;; amdgpu-corpus repo=pytorch/pytorch kind=compiled arch=gfx1100 opt=O3
	.text
	.amdgcn_target "amdgcn-amd-amdhsa--gfx1100"
	.amdhsa_code_object_version 6
	.section	.text._ZN2at6native6mbtopk4fillIjjEEvPT_S3_T0_,"axG",@progbits,_ZN2at6native6mbtopk4fillIjjEEvPT_S3_T0_,comdat
	.protected	_ZN2at6native6mbtopk4fillIjjEEvPT_S3_T0_ ; -- Begin function _ZN2at6native6mbtopk4fillIjjEEvPT_S3_T0_
	.globl	_ZN2at6native6mbtopk4fillIjjEEvPT_S3_T0_
	.p2align	8
	.type	_ZN2at6native6mbtopk4fillIjjEEvPT_S3_T0_,@function
_ZN2at6native6mbtopk4fillIjjEEvPT_S3_T0_: ; @_ZN2at6native6mbtopk4fillIjjEEvPT_S3_T0_
; %bb.0:
	s_clause 0x1
	s_load_b32 s6, s[0:1], 0x1c
	s_load_b64 s[2:3], s[0:1], 0x8
	s_add_u32 s4, s0, 16
	s_addc_u32 s5, s1, 0
	s_mov_b32 s7, exec_lo
	s_waitcnt lgkmcnt(0)
	s_and_b32 s6, s6, 0xffff
	s_delay_alu instid0(SALU_CYCLE_1) | instskip(NEXT) | instid1(VALU_DEP_1)
	v_mad_u64_u32 v[1:2], null, s15, s6, v[0:1]
	v_cmpx_gt_u32_e64 s3, v1
	s_cbranch_execz .LBB0_3
; %bb.1:
	s_load_b32 s7, s[4:5], 0x0
	s_load_b64 s[4:5], s[0:1], 0x0
	v_mov_b32_e32 v2, 0
	v_mov_b32_e32 v0, s2
	s_mov_b32 s2, 0
	s_waitcnt lgkmcnt(0)
	s_mul_i32 s1, s7, s6
.LBB0_2:                                ; =>This Inner Loop Header: Depth=1
	v_lshlrev_b64 v[3:4], 2, v[1:2]
	v_add_nc_u32_e32 v1, s1, v1
	s_delay_alu instid0(VALU_DEP_1) | instskip(NEXT) | instid1(VALU_DEP_3)
	v_cmp_le_u32_e32 vcc_lo, s3, v1
	v_add_co_u32 v3, s0, s4, v3
	s_delay_alu instid0(VALU_DEP_1)
	v_add_co_ci_u32_e64 v4, s0, s5, v4, s0
	s_or_b32 s2, vcc_lo, s2
	global_store_b32 v[3:4], v0, off
	s_and_not1_b32 exec_lo, exec_lo, s2
	s_cbranch_execnz .LBB0_2
.LBB0_3:
	s_nop 0
	s_sendmsg sendmsg(MSG_DEALLOC_VGPRS)
	s_endpgm
	.section	.rodata,"a",@progbits
	.p2align	6, 0x0
	.amdhsa_kernel _ZN2at6native6mbtopk4fillIjjEEvPT_S3_T0_
		.amdhsa_group_segment_fixed_size 0
		.amdhsa_private_segment_fixed_size 0
		.amdhsa_kernarg_size 272
		.amdhsa_user_sgpr_count 15
		.amdhsa_user_sgpr_dispatch_ptr 0
		.amdhsa_user_sgpr_queue_ptr 0
		.amdhsa_user_sgpr_kernarg_segment_ptr 1
		.amdhsa_user_sgpr_dispatch_id 0
		.amdhsa_user_sgpr_private_segment_size 0
		.amdhsa_wavefront_size32 1
		.amdhsa_uses_dynamic_stack 0
		.amdhsa_enable_private_segment 0
		.amdhsa_system_sgpr_workgroup_id_x 1
		.amdhsa_system_sgpr_workgroup_id_y 0
		.amdhsa_system_sgpr_workgroup_id_z 0
		.amdhsa_system_sgpr_workgroup_info 0
		.amdhsa_system_vgpr_workitem_id 0
		.amdhsa_next_free_vgpr 5
		.amdhsa_next_free_sgpr 16
		.amdhsa_reserve_vcc 1
		.amdhsa_float_round_mode_32 0
		.amdhsa_float_round_mode_16_64 0
		.amdhsa_float_denorm_mode_32 3
		.amdhsa_float_denorm_mode_16_64 3
		.amdhsa_dx10_clamp 1
		.amdhsa_ieee_mode 1
		.amdhsa_fp16_overflow 0
		.amdhsa_workgroup_processor_mode 1
		.amdhsa_memory_ordered 1
		.amdhsa_forward_progress 0
		.amdhsa_shared_vgpr_count 0
		.amdhsa_exception_fp_ieee_invalid_op 0
		.amdhsa_exception_fp_denorm_src 0
		.amdhsa_exception_fp_ieee_div_zero 0
		.amdhsa_exception_fp_ieee_overflow 0
		.amdhsa_exception_fp_ieee_underflow 0
		.amdhsa_exception_fp_ieee_inexact 0
		.amdhsa_exception_int_div_zero 0
	.end_amdhsa_kernel
	.section	.text._ZN2at6native6mbtopk4fillIjjEEvPT_S3_T0_,"axG",@progbits,_ZN2at6native6mbtopk4fillIjjEEvPT_S3_T0_,comdat
.Lfunc_end0:
	.size	_ZN2at6native6mbtopk4fillIjjEEvPT_S3_T0_, .Lfunc_end0-_ZN2at6native6mbtopk4fillIjjEEvPT_S3_T0_
                                        ; -- End function
	.section	.AMDGPU.csdata,"",@progbits
; Kernel info:
; codeLenInByte = 176
; NumSgprs: 18
; NumVgprs: 5
; ScratchSize: 0
; MemoryBound: 0
; FloatMode: 240
; IeeeMode: 1
; LDSByteSize: 0 bytes/workgroup (compile time only)
; SGPRBlocks: 2
; VGPRBlocks: 0
; NumSGPRsForWavesPerEU: 18
; NumVGPRsForWavesPerEU: 5
; Occupancy: 16
; WaveLimiterHint : 0
; COMPUTE_PGM_RSRC2:SCRATCH_EN: 0
; COMPUTE_PGM_RSRC2:USER_SGPR: 15
; COMPUTE_PGM_RSRC2:TRAP_HANDLER: 0
; COMPUTE_PGM_RSRC2:TGID_X_EN: 1
; COMPUTE_PGM_RSRC2:TGID_Y_EN: 0
; COMPUTE_PGM_RSRC2:TGID_Z_EN: 0
; COMPUTE_PGM_RSRC2:TIDIG_COMP_CNT: 0
	.section	.text._ZN2at6native6mbtopk23computeBlockDigitCountsIhjjLi1EEEvNS_4cuda6detail10TensorInfoIKT_T0_EEjPjjS8_iijT1_PSB_Ps,"axG",@progbits,_ZN2at6native6mbtopk23computeBlockDigitCountsIhjjLi1EEEvNS_4cuda6detail10TensorInfoIKT_T0_EEjPjjS8_iijT1_PSB_Ps,comdat
	.protected	_ZN2at6native6mbtopk23computeBlockDigitCountsIhjjLi1EEEvNS_4cuda6detail10TensorInfoIKT_T0_EEjPjjS8_iijT1_PSB_Ps ; -- Begin function _ZN2at6native6mbtopk23computeBlockDigitCountsIhjjLi1EEEvNS_4cuda6detail10TensorInfoIKT_T0_EEjPjjS8_iijT1_PSB_Ps
	.globl	_ZN2at6native6mbtopk23computeBlockDigitCountsIhjjLi1EEEvNS_4cuda6detail10TensorInfoIKT_T0_EEjPjjS8_iijT1_PSB_Ps
	.p2align	8
	.type	_ZN2at6native6mbtopk23computeBlockDigitCountsIhjjLi1EEEvNS_4cuda6detail10TensorInfoIKT_T0_EEjPjjS8_iijT1_PSB_Ps,@function
_ZN2at6native6mbtopk23computeBlockDigitCountsIhjjLi1EEEvNS_4cuda6detail10TensorInfoIKT_T0_EEjPjjS8_iijT1_PSB_Ps: ; @_ZN2at6native6mbtopk23computeBlockDigitCountsIhjjLi1EEEvNS_4cuda6detail10TensorInfoIKT_T0_EEjPjjS8_iijT1_PSB_Ps
; %bb.0:
	s_clause 0x2
	s_load_b64 s[2:3], s[0:1], 0xf8
	s_load_b128 s[8:11], s[0:1], 0xe8
	s_load_b64 s[4:5], s[0:1], 0x110
	s_waitcnt lgkmcnt(0)
	v_cvt_f32_u32_e32 v1, s2
	s_sub_i32 s7, 0, s2
	s_mul_i32 s5, s5, s15
	s_delay_alu instid0(SALU_CYCLE_1) | instskip(NEXT) | instid1(VALU_DEP_1)
	s_add_i32 s5, s5, s14
	v_rcp_iflag_f32_e32 v1, v1
	s_mul_i32 s14, s5, s4
	s_delay_alu instid0(SALU_CYCLE_1) | instskip(SKIP_3) | instid1(VALU_DEP_1)
	s_add_i32 s14, s14, s13
	s_mov_b32 s13, 0
	s_waitcnt_depctr 0xfff
	v_mul_f32_e32 v1, 0x4f7ffffe, v1
	v_cvt_u32_f32_e32 v1, v1
	s_delay_alu instid0(VALU_DEP_1) | instskip(NEXT) | instid1(VALU_DEP_1)
	v_readfirstlane_b32 s6, v1
	s_mul_i32 s7, s7, s6
	s_delay_alu instid0(SALU_CYCLE_1) | instskip(NEXT) | instid1(SALU_CYCLE_1)
	s_mul_hi_u32 s4, s6, s7
	s_add_i32 s6, s6, s4
	s_delay_alu instid0(SALU_CYCLE_1) | instskip(NEXT) | instid1(SALU_CYCLE_1)
	s_mul_hi_u32 s4, s14, s6
	s_mul_i32 s5, s4, s2
	s_add_i32 s6, s4, 1
	s_sub_i32 s5, s14, s5
	s_delay_alu instid0(SALU_CYCLE_1)
	s_sub_i32 s7, s5, s2
	s_cmp_ge_u32 s5, s2
	s_cselect_b32 s4, s6, s4
	s_cselect_b32 s5, s7, s5
	s_add_i32 s6, s4, 1
	s_cmp_ge_u32 s5, s2
	s_cselect_b32 s12, s6, s4
	s_delay_alu instid0(SALU_CYCLE_1)
	s_cmp_ge_u32 s12, s8
	s_cbranch_scc1 .LBB1_29
; %bb.1:
	s_load_b128 s[4:7], s[0:1], 0x100
	s_lshl_b64 s[16:17], s[12:13], 2
	v_cmp_gt_u32_e32 vcc_lo, 0x100, v0
	v_lshlrev_b32_e32 v1, 2, v0
	s_waitcnt lgkmcnt(0)
	s_add_u32 s4, s4, s16
	s_addc_u32 s5, s5, s17
	s_and_saveexec_b32 s8, vcc_lo
	s_cbranch_execz .LBB1_3
; %bb.2:
	v_mov_b32_e32 v2, 0
	ds_store_b32 v1, v2
.LBB1_3:
	s_or_b32 exec_lo, exec_lo, s8
	s_load_b32 s8, s[0:1], 0xd8
	s_mul_i32 s13, s12, s2
	s_waitcnt lgkmcnt(0)
	s_sub_i32 s15, s14, s13
	s_barrier
	s_mul_i32 s13, s11, s15
	s_add_i32 s15, s15, 1
	s_lshl_b32 s13, s13, 8
	buffer_gl0_inv
	s_sub_i32 s16, s8, s13
	s_delay_alu instid0(SALU_CYCLE_1) | instskip(SKIP_4) | instid1(VALU_DEP_1)
	s_add_u32 s16, s16, 0xff
	s_addc_u32 s17, 0, 0
	s_cmp_lt_u32 s15, s2
	v_alignbit_b32 v2, s17, s16, 8
	s_mov_b32 s15, 0
	v_readfirstlane_b32 s16, v2
	s_delay_alu instid0(VALU_DEP_1) | instskip(NEXT) | instid1(SALU_CYCLE_1)
	s_cselect_b32 s11, s11, s16
	s_cmp_lt_i32 s11, 1
	s_cbranch_scc1 .LBB1_25
; %bb.4:
	s_clause 0x1
	s_load_b32 s2, s[0:1], 0x6c
	s_load_b64 s[16:17], s[0:1], 0x0
	s_load_b32 s1, s[4:5], 0x0
	s_waitcnt lgkmcnt(0)
	s_mul_i32 s2, s2, s12
	s_delay_alu instid0(SALU_CYCLE_1)
	s_add_u32 s4, s16, s2
	s_addc_u32 s5, s17, 0
	s_and_b32 s2, s10, 0xff
	s_cmp_lt_u32 s11, 4
	s_cbranch_scc1 .LBB1_19
; %bb.5:
	v_dual_mov_b32 v7, 1 :: v_dual_add_nc_u32 v6, s13, v0
	s_and_b32 s15, s11, 0x7ffffffc
	s_lshl_b32 s10, s9, 10
	s_mov_b32 s12, 0
	s_delay_alu instid0(VALU_DEP_1)
	v_add_nc_u32_e32 v2, 0x300, v6
	v_add_nc_u32_e32 v4, 0x200, v6
	;; [unrolled: 1-line block ×3, first 2 shown]
	v_mul_lo_u32 v6, s9, v6
	s_mov_b32 s16, 0
	v_mul_lo_u32 v3, s9, v2
	v_mul_lo_u32 v4, s9, v4
	;; [unrolled: 1-line block ×3, first 2 shown]
	s_branch .LBB1_7
.LBB1_6:                                ;   in Loop: Header=BB1_7 Depth=1
	s_or_b32 exec_lo, exec_lo, s17
	v_add_nc_u32_e32 v2, 0x400, v2
	s_add_i32 s16, s16, 4
	s_add_i32 s12, s12, s10
	s_cmp_eq_u32 s15, s16
	s_cbranch_scc1 .LBB1_19
.LBB1_7:                                ; =>This Inner Loop Header: Depth=1
	v_add_nc_u32_e32 v8, 0xfffffd00, v2
	s_mov_b32 s17, exec_lo
	s_delay_alu instid0(VALU_DEP_1)
	v_cmpx_gt_u32_e64 s8, v8
	s_cbranch_execz .LBB1_10
; %bb.8:                                ;   in Loop: Header=BB1_7 Depth=1
	v_add_nc_u32_e32 v8, s12, v6
	global_load_u8 v8, v8, s[4:5]
	s_waitcnt vmcnt(0)
	v_xor_b32_e32 v9, s1, v8
	s_delay_alu instid0(VALU_DEP_1) | instskip(NEXT) | instid1(VALU_DEP_1)
	v_and_b32_e32 v9, s3, v9
	v_cmp_eq_u32_e64 s0, 0, v9
	s_delay_alu instid0(VALU_DEP_1)
	s_and_b32 exec_lo, exec_lo, s0
	s_cbranch_execz .LBB1_10
; %bb.9:                                ;   in Loop: Header=BB1_7 Depth=1
	v_lshrrev_b32_e32 v8, s2, v8
	s_delay_alu instid0(VALU_DEP_1)
	v_lshlrev_b32_e32 v8, 2, v8
	ds_add_u32 v8, v7
.LBB1_10:                               ;   in Loop: Header=BB1_7 Depth=1
	s_or_b32 exec_lo, exec_lo, s17
	v_add_nc_u32_e32 v8, 0xfffffe00, v2
	s_mov_b32 s17, exec_lo
	s_delay_alu instid0(VALU_DEP_1)
	v_cmpx_gt_u32_e64 s8, v8
	s_cbranch_execz .LBB1_13
; %bb.11:                               ;   in Loop: Header=BB1_7 Depth=1
	v_add_nc_u32_e32 v8, s12, v5
	global_load_u8 v8, v8, s[4:5]
	s_waitcnt vmcnt(0)
	v_xor_b32_e32 v9, s1, v8
	s_delay_alu instid0(VALU_DEP_1) | instskip(NEXT) | instid1(VALU_DEP_1)
	v_and_b32_e32 v9, s3, v9
	v_cmp_eq_u32_e64 s0, 0, v9
	s_delay_alu instid0(VALU_DEP_1)
	s_and_b32 exec_lo, exec_lo, s0
	s_cbranch_execz .LBB1_13
; %bb.12:                               ;   in Loop: Header=BB1_7 Depth=1
	v_lshrrev_b32_e32 v8, s2, v8
	s_delay_alu instid0(VALU_DEP_1)
	v_lshlrev_b32_e32 v8, 2, v8
	ds_add_u32 v8, v7
.LBB1_13:                               ;   in Loop: Header=BB1_7 Depth=1
	s_or_b32 exec_lo, exec_lo, s17
	v_add_nc_u32_e32 v8, 0xffffff00, v2
	s_mov_b32 s17, exec_lo
	s_delay_alu instid0(VALU_DEP_1)
	v_cmpx_gt_u32_e64 s8, v8
	s_cbranch_execz .LBB1_16
; %bb.14:                               ;   in Loop: Header=BB1_7 Depth=1
	v_add_nc_u32_e32 v8, s12, v4
	global_load_u8 v8, v8, s[4:5]
	s_waitcnt vmcnt(0)
	v_xor_b32_e32 v9, s1, v8
	s_delay_alu instid0(VALU_DEP_1) | instskip(NEXT) | instid1(VALU_DEP_1)
	v_and_b32_e32 v9, s3, v9
	v_cmp_eq_u32_e64 s0, 0, v9
	s_delay_alu instid0(VALU_DEP_1)
	s_and_b32 exec_lo, exec_lo, s0
	s_cbranch_execz .LBB1_16
; %bb.15:                               ;   in Loop: Header=BB1_7 Depth=1
	v_lshrrev_b32_e32 v8, s2, v8
	s_delay_alu instid0(VALU_DEP_1)
	v_lshlrev_b32_e32 v8, 2, v8
	ds_add_u32 v8, v7
.LBB1_16:                               ;   in Loop: Header=BB1_7 Depth=1
	s_or_b32 exec_lo, exec_lo, s17
	s_delay_alu instid0(SALU_CYCLE_1)
	s_mov_b32 s17, exec_lo
	v_cmpx_gt_u32_e64 s8, v2
	s_cbranch_execz .LBB1_6
; %bb.17:                               ;   in Loop: Header=BB1_7 Depth=1
	v_add_nc_u32_e32 v8, s12, v3
	global_load_u8 v8, v8, s[4:5]
	s_waitcnt vmcnt(0)
	v_xor_b32_e32 v9, s1, v8
	s_delay_alu instid0(VALU_DEP_1) | instskip(NEXT) | instid1(VALU_DEP_1)
	v_and_b32_e32 v9, s3, v9
	v_cmp_eq_u32_e64 s0, 0, v9
	s_delay_alu instid0(VALU_DEP_1)
	s_and_b32 exec_lo, exec_lo, s0
	s_cbranch_execz .LBB1_6
; %bb.18:                               ;   in Loop: Header=BB1_7 Depth=1
	v_lshrrev_b32_e32 v8, s2, v8
	s_delay_alu instid0(VALU_DEP_1)
	v_lshlrev_b32_e32 v8, 2, v8
	ds_add_u32 v8, v7
	s_branch .LBB1_6
.LBB1_19:
	s_and_b32 s10, s11, 3
	s_delay_alu instid0(SALU_CYCLE_1)
	s_cmp_eq_u32 s10, 0
	s_cbranch_scc1 .LBB1_25
; %bb.20:
	s_lshl_b32 s0, s15, 8
	v_mov_b32_e32 v4, 1
	v_add3_u32 v2, s0, s13, v0
	s_delay_alu instid0(VALU_DEP_1)
	v_mul_lo_u32 v3, s9, v2
	s_lshl_b32 s9, s9, 8
	s_branch .LBB1_22
	.p2align	6
.LBB1_21:                               ;   in Loop: Header=BB1_22 Depth=1
	s_or_b32 exec_lo, exec_lo, s11
	s_delay_alu instid0(VALU_DEP_2) | instskip(SKIP_2) | instid1(SALU_CYCLE_1)
	v_add_nc_u32_e32 v3, s9, v3
	v_add_nc_u32_e32 v2, 0x100, v2
	s_add_i32 s10, s10, -1
	s_cmp_lg_u32 s10, 0
	s_cbranch_scc0 .LBB1_25
.LBB1_22:                               ; =>This Inner Loop Header: Depth=1
	s_mov_b32 s11, exec_lo
	v_cmpx_gt_u32_e64 s8, v2
	s_cbranch_execz .LBB1_21
; %bb.23:                               ;   in Loop: Header=BB1_22 Depth=1
	global_load_u8 v5, v3, s[4:5]
	s_waitcnt vmcnt(0)
	v_xor_b32_e32 v6, s1, v5
	s_delay_alu instid0(VALU_DEP_1) | instskip(NEXT) | instid1(VALU_DEP_1)
	v_and_b32_e32 v6, s3, v6
	v_cmp_eq_u32_e64 s0, 0, v6
	s_delay_alu instid0(VALU_DEP_1)
	s_and_b32 exec_lo, exec_lo, s0
	s_cbranch_execz .LBB1_21
; %bb.24:                               ;   in Loop: Header=BB1_22 Depth=1
	v_lshrrev_b32_e32 v5, s2, v5
	s_delay_alu instid0(VALU_DEP_1)
	v_lshlrev_b32_e32 v5, 2, v5
	ds_add_u32 v5, v4
	s_branch .LBB1_21
.LBB1_25:
	v_mov_b32_e32 v2, 0
	s_waitcnt lgkmcnt(0)
	s_barrier
	buffer_gl0_inv
	s_and_saveexec_b32 s0, vcc_lo
	s_cbranch_execz .LBB1_27
; %bb.26:
	ds_load_b32 v2, v1
.LBB1_27:
	s_or_b32 exec_lo, exec_lo, s0
	s_and_saveexec_b32 s0, vcc_lo
	s_cbranch_execz .LBB1_29
; %bb.28:
	v_lshl_or_b32 v0, s14, 8, v0
	v_mov_b32_e32 v1, 0
	s_delay_alu instid0(VALU_DEP_1) | instskip(NEXT) | instid1(VALU_DEP_1)
	v_lshlrev_b64 v[0:1], 1, v[0:1]
	v_add_co_u32 v0, vcc_lo, s6, v0
	s_delay_alu instid0(VALU_DEP_2)
	v_add_co_ci_u32_e32 v1, vcc_lo, s7, v1, vcc_lo
	s_waitcnt lgkmcnt(0)
	global_store_b16 v[0:1], v2, off
.LBB1_29:
	s_nop 0
	s_sendmsg sendmsg(MSG_DEALLOC_VGPRS)
	s_endpgm
	.section	.rodata,"a",@progbits
	.p2align	6, 0x0
	.amdhsa_kernel _ZN2at6native6mbtopk23computeBlockDigitCountsIhjjLi1EEEvNS_4cuda6detail10TensorInfoIKT_T0_EEjPjjS8_iijT1_PSB_Ps
		.amdhsa_group_segment_fixed_size 1024
		.amdhsa_private_segment_fixed_size 0
		.amdhsa_kernarg_size 528
		.amdhsa_user_sgpr_count 13
		.amdhsa_user_sgpr_dispatch_ptr 0
		.amdhsa_user_sgpr_queue_ptr 0
		.amdhsa_user_sgpr_kernarg_segment_ptr 1
		.amdhsa_user_sgpr_dispatch_id 0
		.amdhsa_user_sgpr_private_segment_size 0
		.amdhsa_wavefront_size32 1
		.amdhsa_uses_dynamic_stack 0
		.amdhsa_enable_private_segment 0
		.amdhsa_system_sgpr_workgroup_id_x 1
		.amdhsa_system_sgpr_workgroup_id_y 1
		.amdhsa_system_sgpr_workgroup_id_z 1
		.amdhsa_system_sgpr_workgroup_info 0
		.amdhsa_system_vgpr_workitem_id 0
		.amdhsa_next_free_vgpr 10
		.amdhsa_next_free_sgpr 18
		.amdhsa_reserve_vcc 1
		.amdhsa_float_round_mode_32 0
		.amdhsa_float_round_mode_16_64 0
		.amdhsa_float_denorm_mode_32 3
		.amdhsa_float_denorm_mode_16_64 3
		.amdhsa_dx10_clamp 1
		.amdhsa_ieee_mode 1
		.amdhsa_fp16_overflow 0
		.amdhsa_workgroup_processor_mode 1
		.amdhsa_memory_ordered 1
		.amdhsa_forward_progress 0
		.amdhsa_shared_vgpr_count 0
		.amdhsa_exception_fp_ieee_invalid_op 0
		.amdhsa_exception_fp_denorm_src 0
		.amdhsa_exception_fp_ieee_div_zero 0
		.amdhsa_exception_fp_ieee_overflow 0
		.amdhsa_exception_fp_ieee_underflow 0
		.amdhsa_exception_fp_ieee_inexact 0
		.amdhsa_exception_int_div_zero 0
	.end_amdhsa_kernel
	.section	.text._ZN2at6native6mbtopk23computeBlockDigitCountsIhjjLi1EEEvNS_4cuda6detail10TensorInfoIKT_T0_EEjPjjS8_iijT1_PSB_Ps,"axG",@progbits,_ZN2at6native6mbtopk23computeBlockDigitCountsIhjjLi1EEEvNS_4cuda6detail10TensorInfoIKT_T0_EEjPjjS8_iijT1_PSB_Ps,comdat
.Lfunc_end1:
	.size	_ZN2at6native6mbtopk23computeBlockDigitCountsIhjjLi1EEEvNS_4cuda6detail10TensorInfoIKT_T0_EEjPjjS8_iijT1_PSB_Ps, .Lfunc_end1-_ZN2at6native6mbtopk23computeBlockDigitCountsIhjjLi1EEEvNS_4cuda6detail10TensorInfoIKT_T0_EEjPjjS8_iijT1_PSB_Ps
                                        ; -- End function
	.section	.AMDGPU.csdata,"",@progbits
; Kernel info:
; codeLenInByte = 1192
; NumSgprs: 20
; NumVgprs: 10
; ScratchSize: 0
; MemoryBound: 0
; FloatMode: 240
; IeeeMode: 1
; LDSByteSize: 1024 bytes/workgroup (compile time only)
; SGPRBlocks: 2
; VGPRBlocks: 1
; NumSGPRsForWavesPerEU: 20
; NumVGPRsForWavesPerEU: 10
; Occupancy: 16
; WaveLimiterHint : 1
; COMPUTE_PGM_RSRC2:SCRATCH_EN: 0
; COMPUTE_PGM_RSRC2:USER_SGPR: 13
; COMPUTE_PGM_RSRC2:TRAP_HANDLER: 0
; COMPUTE_PGM_RSRC2:TGID_X_EN: 1
; COMPUTE_PGM_RSRC2:TGID_Y_EN: 1
; COMPUTE_PGM_RSRC2:TGID_Z_EN: 1
; COMPUTE_PGM_RSRC2:TIDIG_COMP_CNT: 0
	.section	.text._ZN2at6native6mbtopk29computeBlockwiseWithinKCountsIjhEEvPT_PsPjjibS6_PT0_S6_S4_S6_j,"axG",@progbits,_ZN2at6native6mbtopk29computeBlockwiseWithinKCountsIjhEEvPT_PsPjjibS6_PT0_S6_S4_S6_j,comdat
	.protected	_ZN2at6native6mbtopk29computeBlockwiseWithinKCountsIjhEEvPT_PsPjjibS6_PT0_S6_S4_S6_j ; -- Begin function _ZN2at6native6mbtopk29computeBlockwiseWithinKCountsIjhEEvPT_PsPjjibS6_PT0_S6_S4_S6_j
	.globl	_ZN2at6native6mbtopk29computeBlockwiseWithinKCountsIjhEEvPT_PsPjjibS6_PT0_S6_S4_S6_j
	.p2align	8
	.type	_ZN2at6native6mbtopk29computeBlockwiseWithinKCountsIjhEEvPT_PsPjjibS6_PT0_S6_S4_S6_j,@function
_ZN2at6native6mbtopk29computeBlockwiseWithinKCountsIjhEEvPT_PsPjjibS6_PT0_S6_S4_S6_j: ; @_ZN2at6native6mbtopk29computeBlockwiseWithinKCountsIjhEEvPT_PsPjjibS6_PT0_S6_S4_S6_j
; %bb.0:
	s_clause 0x2
	s_load_b128 s[16:19], s[0:1], 0x18
	s_load_b64 s[2:3], s[0:1], 0x58
	s_load_b32 s4, s[0:1], 0x50
	s_waitcnt lgkmcnt(0)
	v_cvt_f32_u32_e32 v1, s16
	s_mul_i32 s3, s3, s15
	s_delay_alu instid0(SALU_CYCLE_1) | instskip(NEXT) | instid1(VALU_DEP_1)
	s_add_i32 s3, s3, s14
	v_rcp_iflag_f32_e32 v1, v1
	s_mul_i32 s2, s3, s2
	s_delay_alu instid0(SALU_CYCLE_1) | instskip(NEXT) | instid1(SALU_CYCLE_1)
	s_add_i32 s20, s2, s13
	s_cmp_ge_u32 s20, s4
	s_waitcnt_depctr 0xfff
	v_mul_f32_e32 v1, 0x4f7ffffe, v1
	s_delay_alu instid0(VALU_DEP_1) | instskip(NEXT) | instid1(VALU_DEP_1)
	v_cvt_u32_f32_e32 v1, v1
	v_readfirstlane_b32 s2, v1
	s_cbranch_scc1 .LBB2_40
; %bb.1:
	s_sub_i32 s3, 0, s16
	s_mov_b32 s21, 0
	s_delay_alu instid0(VALU_DEP_1)
	s_mul_i32 s3, s3, s2
	s_mov_b32 s27, s21
	s_mul_hi_u32 s3, s2, s3
	v_cmp_gt_u32_e32 vcc_lo, 0x100, v0
	s_add_i32 s4, s2, s3
	s_clause 0x1
	s_load_b64 s[2:3], s[0:1], 0x10
	s_load_b128 s[12:15], s[0:1], 0x0
	s_mul_hi_u32 s4, s20, s4
	s_delay_alu instid0(SALU_CYCLE_1) | instskip(SKIP_2) | instid1(SALU_CYCLE_1)
	s_mul_i32 s5, s4, s16
	s_add_i32 s6, s4, 1
	s_sub_i32 s5, s20, s5
	s_sub_i32 s7, s5, s16
	s_cmp_ge_u32 s5, s16
	s_cselect_b32 s4, s6, s4
	s_cselect_b32 s5, s7, s5
	s_add_i32 s6, s4, 1
	s_cmp_ge_u32 s5, s16
	s_cselect_b32 s26, s6, s4
	s_delay_alu instid0(SALU_CYCLE_1)
	s_lshl_b64 s[22:23], s[26:27], 2
	s_waitcnt lgkmcnt(0)
	s_add_u32 s4, s2, s22
	s_addc_u32 s5, s3, s23
	s_and_saveexec_b32 s3, vcc_lo
	s_cbranch_execz .LBB2_8
; %bb.2:
	s_mul_i32 s2, s26, s16
	s_mov_b32 s7, s21
	s_lshl_b32 s6, s2, 8
	v_lshlrev_b32_e32 v1, 1, v0
	s_lshl_b64 s[6:7], s[6:7], 1
	v_mov_b32_e32 v3, 0
	s_add_u32 s2, s14, s6
	s_addc_u32 s6, s15, s7
	v_add_co_u32 v1, s2, s2, v1
	s_delay_alu instid0(VALU_DEP_1)
	v_add_co_ci_u32_e64 v2, null, s6, 0, s2
	s_cmp_lt_u32 s16, 4
	s_cbranch_scc1 .LBB2_41
; %bb.3:
	v_mov_b32_e32 v3, 0
	s_mov_b32 s6, 0
	.p2align	6
.LBB2_4:                                ; =>This Inner Loop Header: Depth=1
	s_clause 0x3
	global_load_i16 v4, v[1:2], off
	global_load_i16 v5, v[1:2], off offset:512
	global_load_i16 v6, v[1:2], off offset:1024
	;; [unrolled: 1-line block ×3, first 2 shown]
	v_add_co_u32 v1, s2, 0x800, v1
	s_delay_alu instid0(VALU_DEP_1)
	v_add_co_ci_u32_e64 v2, s2, 0, v2, s2
	s_add_i32 s2, s6, 7
	s_add_i32 s6, s6, 4
	s_cmp_ge_u32 s2, s16
	s_waitcnt vmcnt(2)
	v_add3_u32 v3, v3, v4, v5
	s_waitcnt vmcnt(0)
	s_delay_alu instid0(VALU_DEP_1)
	v_add3_u32 v3, v3, v6, v7
	s_cbranch_scc0 .LBB2_4
; %bb.5:
	s_cmp_ge_u32 s6, s16
	s_cbranch_scc1 .LBB2_7
.LBB2_6:                                ; =>This Inner Loop Header: Depth=1
	global_load_i16 v4, v[1:2], off
	v_add_co_u32 v1, s2, 0x200, v1
	s_delay_alu instid0(VALU_DEP_1) | instskip(SKIP_1) | instid1(SALU_CYCLE_1)
	v_add_co_ci_u32_e64 v2, s2, 0, v2, s2
	s_add_i32 s6, s6, 1
	s_cmp_lt_u32 s6, s16
	s_waitcnt vmcnt(0)
	v_add_nc_u32_e32 v3, v3, v4
	s_cbranch_scc1 .LBB2_6
.LBB2_7:
	v_lshlrev_b32_e32 v1, 2, v0
	ds_store_b32 v1, v3 offset:1056
.LBB2_8:
	s_or_b32 exec_lo, exec_lo, s3
	s_load_b32 s19, s[4:5], 0x0
	v_mov_b32_e32 v4, 0
	s_waitcnt lgkmcnt(0)
	s_barrier
	buffer_gl0_inv
	s_and_saveexec_b32 s2, vcc_lo
	s_cbranch_execz .LBB2_10
; %bb.9:
	v_lshlrev_b32_e32 v1, 2, v0
	ds_load_b32 v4, v1 offset:1056
.LBB2_10:
	s_or_b32 exec_lo, exec_lo, s2
	v_lshrrev_b32_e32 v2, 5, v0
	v_cmp_gt_u32_e64 s2, 32, v0
	v_mbcnt_lo_u32_b32 v1, -1, 0
	s_delay_alu instid0(VALU_DEP_3)
	v_add_lshl_u32 v3, v2, v0, 2
	s_waitcnt lgkmcnt(0)
	ds_store_b32 v3, v4
	s_waitcnt lgkmcnt(0)
	s_barrier
	buffer_gl0_inv
	s_and_saveexec_b32 s4, s2
	s_cbranch_execz .LBB2_12
; %bb.11:
	v_and_b32_e32 v5, 0xfc, v0
	s_delay_alu instid0(VALU_DEP_1)
	v_lshl_or_b32 v13, v0, 5, v5
	ds_load_2addr_b32 v[5:6], v13 offset1:1
	ds_load_2addr_b32 v[7:8], v13 offset0:2 offset1:3
	ds_load_2addr_b32 v[9:10], v13 offset0:4 offset1:5
	;; [unrolled: 1-line block ×3, first 2 shown]
	; wave barrier
	s_waitcnt lgkmcnt(3)
	v_add_nc_u32_e32 v6, v6, v5
	s_waitcnt lgkmcnt(2)
	s_delay_alu instid0(VALU_DEP_1) | instskip(SKIP_2) | instid1(VALU_DEP_2)
	v_add3_u32 v6, v6, v7, v8
	v_and_b32_e32 v7, 15, v1
	s_waitcnt lgkmcnt(1)
	v_add3_u32 v6, v6, v9, v10
	s_delay_alu instid0(VALU_DEP_2) | instskip(SKIP_2) | instid1(VALU_DEP_3)
	v_cmp_ne_u32_e64 s3, 0, v7
	v_bfe_i32 v9, v1, 4, 1
	s_waitcnt lgkmcnt(0)
	v_add3_u32 v6, v6, v11, v12
	s_delay_alu instid0(VALU_DEP_1) | instskip(NEXT) | instid1(VALU_DEP_1)
	v_mov_b32_dpp v8, v6 row_shr:1 row_mask:0xf bank_mask:0xf
	v_cndmask_b32_e64 v8, 0, v8, s3
	v_cmp_lt_u32_e64 s3, 1, v7
	s_delay_alu instid0(VALU_DEP_2) | instskip(NEXT) | instid1(VALU_DEP_1)
	v_add_nc_u32_e32 v6, v8, v6
	v_mov_b32_dpp v8, v6 row_shr:2 row_mask:0xf bank_mask:0xf
	s_delay_alu instid0(VALU_DEP_1) | instskip(SKIP_1) | instid1(VALU_DEP_2)
	v_cndmask_b32_e64 v8, 0, v8, s3
	v_cmp_lt_u32_e64 s3, 3, v7
	v_add_nc_u32_e32 v6, v6, v8
	s_delay_alu instid0(VALU_DEP_1) | instskip(NEXT) | instid1(VALU_DEP_1)
	v_mov_b32_dpp v8, v6 row_shr:4 row_mask:0xf bank_mask:0xf
	v_cndmask_b32_e64 v8, 0, v8, s3
	v_cmp_lt_u32_e64 s3, 7, v7
	s_delay_alu instid0(VALU_DEP_2) | instskip(NEXT) | instid1(VALU_DEP_1)
	v_add_nc_u32_e32 v6, v6, v8
	v_mov_b32_dpp v8, v6 row_shr:8 row_mask:0xf bank_mask:0xf
	s_delay_alu instid0(VALU_DEP_1) | instskip(SKIP_1) | instid1(VALU_DEP_2)
	v_cndmask_b32_e64 v7, 0, v8, s3
	v_add_nc_u32_e32 v8, -1, v1
	v_add_nc_u32_e32 v6, v6, v7
	s_delay_alu instid0(VALU_DEP_2) | instskip(SKIP_3) | instid1(VALU_DEP_2)
	v_cmp_gt_i32_e64 s3, 0, v8
	ds_swizzle_b32 v7, v6 offset:swizzle(BROADCAST,32,15)
	v_cndmask_b32_e64 v8, v8, v1, s3
	v_cmp_eq_u32_e64 s3, 0, v0
	v_lshlrev_b32_e32 v8, 2, v8
	s_waitcnt lgkmcnt(0)
	v_and_b32_e32 v7, v9, v7
	s_delay_alu instid0(VALU_DEP_1) | instskip(SKIP_3) | instid1(VALU_DEP_1)
	v_add_nc_u32_e32 v6, v6, v7
	ds_bpermute_b32 v6, v8, v6
	s_waitcnt lgkmcnt(0)
	v_add_nc_u32_e32 v5, v6, v5
	v_cndmask_b32_e64 v10, v5, v4, s3
	ds_store_b32 v13, v10
	; wave barrier
	ds_load_2addr_b32 v[4:5], v13 offset0:1 offset1:2
	ds_load_2addr_b32 v[6:7], v13 offset0:3 offset1:4
	;; [unrolled: 1-line block ×3, first 2 shown]
	ds_load_b32 v11, v13 offset:28
	s_waitcnt lgkmcnt(3)
	v_add_nc_u32_e32 v4, v4, v10
	s_delay_alu instid0(VALU_DEP_1) | instskip(SKIP_1) | instid1(VALU_DEP_1)
	v_add_nc_u32_e32 v5, v5, v4
	s_waitcnt lgkmcnt(2)
	v_add_nc_u32_e32 v6, v6, v5
	s_delay_alu instid0(VALU_DEP_1) | instskip(SKIP_1) | instid1(VALU_DEP_1)
	v_add_nc_u32_e32 v7, v7, v6
	;; [unrolled: 4-line block ×3, first 2 shown]
	s_waitcnt lgkmcnt(0)
	v_add_nc_u32_e32 v10, v11, v9
	ds_store_2addr_b32 v13, v4, v5 offset0:1 offset1:2
	ds_store_2addr_b32 v13, v6, v7 offset0:3 offset1:4
	;; [unrolled: 1-line block ×3, first 2 shown]
	ds_store_b32 v13, v10 offset:28
.LBB2_12:
	s_or_b32 exec_lo, exec_lo, s4
	s_waitcnt lgkmcnt(0)
	s_barrier
	buffer_gl0_inv
	ds_load_b32 v4, v3
	s_waitcnt lgkmcnt(0)
	s_barrier
	buffer_gl0_inv
	s_and_saveexec_b32 s3, vcc_lo
	s_cbranch_execz .LBB2_14
; %bb.13:
	v_lshlrev_b32_e32 v3, 2, v0
	ds_store_b32 v3, v4 offset:1056
.LBB2_14:
	s_or_b32 exec_lo, exec_lo, s3
	s_clause 0x1
	s_load_b256 s[4:11], s[0:1], 0x28
	s_load_b64 s[24:25], s[0:1], 0x48
	s_waitcnt lgkmcnt(0)
	s_barrier
	buffer_gl0_inv
	s_and_saveexec_b32 s1, vcc_lo
	s_cbranch_execz .LBB2_23
; %bb.15:
	v_mov_b32_e32 v3, 0
	s_mov_b32 s0, exec_lo
	v_cmpx_ne_u32_e32 0, v0
	s_cbranch_execz .LBB2_17
; %bb.16:
	v_lshlrev_b32_e32 v3, 2, v0
	ds_load_b32 v3, v3 offset:1052
.LBB2_17:
	s_or_b32 exec_lo, exec_lo, s0
	s_waitcnt lgkmcnt(0)
	v_cmp_gt_u32_e32 vcc_lo, s19, v3
	v_cmp_le_u32_e64 s0, s19, v4
	s_delay_alu instid0(VALU_DEP_1) | instskip(NEXT) | instid1(SALU_CYCLE_1)
	s_and_b32 s0, vcc_lo, s0
	s_and_b32 exec_lo, exec_lo, s0
	s_cbranch_execz .LBB2_23
; %bb.18:
	s_add_u32 s12, s12, s22
	s_addc_u32 s13, s13, s23
	s_lshl_b32 s0, 0xff, s17
	s_delay_alu instid0(SALU_CYCLE_1) | instskip(SKIP_2) | instid1(SALU_CYCLE_1)
	v_not_b32_e32 v6, s0
	v_mov_b32_e32 v5, 0
	s_mul_i32 s0, s26, s16
	s_cmp_lg_u32 s20, s0
	global_load_b32 v4, v5, s[12:13]
	s_waitcnt vmcnt(0)
	v_and_b32_e32 v4, v4, v6
	s_delay_alu instid0(VALU_DEP_1)
	v_lshl_or_b32 v4, v0, s17, v4
	ds_store_b32 v5, v4 offset:2112
	s_cbranch_scc1 .LBB2_23
; %bb.19:
	s_add_u32 s10, s10, s22
	s_addc_u32 s11, s11, s23
	s_cmp_lt_i32 s17, 1
	s_mov_b32 s0, -1
	global_store_b32 v5, v4, s[10:11]
	s_cbranch_scc0 .LBB2_21
; %bb.20:
	v_mov_b32_e32 v5, 0
	s_add_u32 s6, s6, s26
	s_addc_u32 s7, s7, 0
	s_mov_b32 s0, 0
	global_store_b8 v5, v4, s[6:7]
.LBB2_21:
	s_and_not1_b32 vcc_lo, exec_lo, s0
	s_cbranch_vccnz .LBB2_23
; %bb.22:
	v_sub_nc_u32_e32 v3, s19, v3
	v_mov_b32_e32 v4, 0
	s_add_u32 s6, s8, s22
	s_addc_u32 s7, s9, s23
	global_store_b32 v4, v3, s[6:7]
.LBB2_23:
	s_or_b32 exec_lo, exec_lo, s1
	v_mov_b32_e32 v3, 0
	s_waitcnt lgkmcnt(0)
	s_waitcnt_vscnt null, 0x0
	s_barrier
	buffer_gl0_inv
	s_bitcmp0_b32 s18, 0
	ds_load_b32 v3, v3 offset:2112
	s_mov_b32 s6, 0
	s_waitcnt lgkmcnt(0)
	v_lshrrev_b32_e32 v3, s17, v3
	s_delay_alu instid0(VALU_DEP_1)
	v_and_b32_e32 v3, 0xff, v3
	s_cbranch_scc0 .LBB2_25
; %bb.24:
	v_and_b32_e32 v4, 0xe0, v0
	s_delay_alu instid0(VALU_DEP_2) | instskip(NEXT) | instid1(VALU_DEP_2)
	v_cmp_lt_u32_e64 s0, v0, v3
	v_cmp_lt_u32_e32 vcc_lo, v4, v3
	s_delay_alu instid0(VALU_DEP_2)
	s_and_b32 s1, s0, exec_lo
	s_and_b32 s3, vcc_lo, exec_lo
	s_and_not1_b32 vcc_lo, exec_lo, s6
	s_cbranch_vccz .LBB2_26
	s_branch .LBB2_27
.LBB2_25:
                                        ; implicit-def: $sgpr1
                                        ; implicit-def: $sgpr3
.LBB2_26:
	v_or_b32_e32 v4, 31, v0
	s_delay_alu instid0(VALU_DEP_2) | instskip(SKIP_2) | instid1(VALU_DEP_2)
	v_cmp_gt_u32_e32 vcc_lo, v0, v3
	s_and_not1_b32 s1, s1, exec_lo
	s_and_not1_b32 s3, s3, exec_lo
	v_cmp_gt_u32_e64 s0, v4, v3
	s_and_b32 s6, vcc_lo, exec_lo
	s_delay_alu instid0(SALU_CYCLE_1) | instskip(NEXT) | instid1(VALU_DEP_1)
	s_or_b32 s1, s1, s6
	s_and_b32 s0, s0, exec_lo
	s_delay_alu instid0(SALU_CYCLE_1)
	s_or_b32 s3, s3, s0
.LBB2_27:
	v_mov_b32_e32 v3, 0
	s_and_saveexec_b32 s0, s3
	s_cbranch_execz .LBB2_31
; %bb.28:
	v_mov_b32_e32 v3, 0
	s_and_saveexec_b32 s3, s1
	s_cbranch_execz .LBB2_30
; %bb.29:
	s_lshl_b32 s6, s20, 8
	s_mov_b32 s7, 0
	v_lshlrev_b32_e32 v3, 1, v0
	s_lshl_b64 s[6:7], s[6:7], 1
	s_delay_alu instid0(SALU_CYCLE_1)
	s_add_u32 s6, s14, s6
	s_addc_u32 s7, s15, s7
	global_load_i16 v3, v3, s[6:7]
.LBB2_30:
	s_or_b32 exec_lo, exec_lo, s3
	v_cmp_gt_u32_e32 vcc_lo, 16, v1
	v_cndmask_b32_e64 v4, 0, 1, vcc_lo
	v_cmp_gt_u32_e32 vcc_lo, 24, v1
	s_delay_alu instid0(VALU_DEP_2) | instskip(SKIP_2) | instid1(VALU_DEP_3)
	v_lshlrev_b32_e32 v4, 4, v4
	v_cndmask_b32_e64 v5, 0, 1, vcc_lo
	v_cmp_gt_u32_e32 vcc_lo, 28, v1
	v_add_lshl_u32 v4, v4, v1, 2
	s_delay_alu instid0(VALU_DEP_3)
	v_lshlrev_b32_e32 v5, 3, v5
	s_waitcnt vmcnt(0)
	ds_bpermute_b32 v4, v4, v3
	v_add_lshl_u32 v5, v5, v1, 2
	s_waitcnt lgkmcnt(0)
	v_add_nc_u32_e32 v3, v4, v3
	ds_bpermute_b32 v4, v5, v3
	v_cndmask_b32_e64 v5, 0, 1, vcc_lo
	v_cmp_gt_u32_e32 vcc_lo, 30, v1
	s_delay_alu instid0(VALU_DEP_2) | instskip(NEXT) | instid1(VALU_DEP_1)
	v_lshlrev_b32_e32 v5, 2, v5
	v_add_lshl_u32 v5, v5, v1, 2
	s_waitcnt lgkmcnt(0)
	v_add_nc_u32_e32 v3, v4, v3
	ds_bpermute_b32 v4, v5, v3
	v_cndmask_b32_e64 v5, 0, 1, vcc_lo
	v_cmp_ne_u32_e32 vcc_lo, 31, v1
	s_delay_alu instid0(VALU_DEP_2) | instskip(NEXT) | instid1(VALU_DEP_1)
	v_lshlrev_b32_e32 v5, 1, v5
	v_add_lshl_u32 v5, v5, v1, 2
	s_waitcnt lgkmcnt(0)
	v_add_nc_u32_e32 v3, v4, v3
	ds_bpermute_b32 v4, v5, v3
	v_add_co_ci_u32_e32 v5, vcc_lo, 0, v1, vcc_lo
	s_waitcnt lgkmcnt(0)
	v_add_nc_u32_e32 v3, v4, v3
	s_delay_alu instid0(VALU_DEP_2)
	v_lshlrev_b32_e32 v4, 2, v5
	ds_bpermute_b32 v4, v4, v3
	s_waitcnt lgkmcnt(0)
	v_add_nc_u32_e32 v3, v4, v3
.LBB2_31:
	s_or_b32 exec_lo, exec_lo, s0
	v_and_b32_e32 v4, 31, v0
	s_mov_b32 s0, exec_lo
	s_delay_alu instid0(VALU_DEP_1)
	v_cmpx_eq_u32_e32 0, v4
	s_cbranch_execz .LBB2_33
; %bb.32:
	v_lshlrev_b32_e32 v2, 2, v2
	ds_store_b32 v2, v3 offset:2080
.LBB2_33:
	s_or_b32 exec_lo, exec_lo, s0
	s_waitcnt lgkmcnt(0)
	s_barrier
	buffer_gl0_inv
	s_and_saveexec_b32 s0, s2
	s_cbranch_execz .LBB2_40
; %bb.34:
	v_mov_b32_e32 v2, 0
	s_mov_b32 s0, exec_lo
	v_cmpx_gt_u32_e32 8, v0
	s_cbranch_execz .LBB2_36
; %bb.35:
	v_lshlrev_b32_e32 v2, 2, v0
	ds_load_b32 v2, v2 offset:2080
.LBB2_36:
	s_or_b32 exec_lo, exec_lo, s0
	v_cmp_gt_u32_e32 vcc_lo, 28, v1
	s_mov_b32 s0, exec_lo
	v_cndmask_b32_e64 v3, 0, 1, vcc_lo
	v_cmp_gt_u32_e32 vcc_lo, 30, v1
	s_delay_alu instid0(VALU_DEP_2) | instskip(SKIP_2) | instid1(VALU_DEP_3)
	v_lshlrev_b32_e32 v3, 2, v3
	v_cndmask_b32_e64 v4, 0, 1, vcc_lo
	v_cmp_ne_u32_e32 vcc_lo, 31, v1
	v_add_lshl_u32 v3, v3, v1, 2
	s_delay_alu instid0(VALU_DEP_3)
	v_lshlrev_b32_e32 v4, 1, v4
	s_waitcnt lgkmcnt(0)
	ds_bpermute_b32 v3, v3, v2
	v_add_lshl_u32 v4, v4, v1, 2
	s_waitcnt lgkmcnt(0)
	v_add_nc_u32_e32 v2, v3, v2
	ds_bpermute_b32 v3, v4, v2
	v_add_co_ci_u32_e32 v4, vcc_lo, 0, v1, vcc_lo
	s_waitcnt lgkmcnt(0)
	v_add_nc_u32_e32 v1, v3, v2
	s_delay_alu instid0(VALU_DEP_2)
	v_lshlrev_b32_e32 v2, 2, v4
	ds_bpermute_b32 v2, v2, v1
	v_cmpx_eq_u32_e32 0, v0
	s_cbranch_execz .LBB2_38
; %bb.37:
	s_lshl_b64 s[2:3], s[20:21], 2
	v_mov_b32_e32 v3, 0
	s_add_u32 s2, s4, s2
	s_addc_u32 s3, s5, s3
	global_load_b32 v4, v3, s[2:3]
	s_waitcnt vmcnt(0) lgkmcnt(0)
	v_add3_u32 v1, v2, v1, v4
	global_store_b32 v3, v1, s[2:3]
.LBB2_38:
	s_or_b32 exec_lo, exec_lo, s0
	v_or_b32_e32 v0, s17, v0
	s_delay_alu instid0(VALU_DEP_1)
	v_cmp_eq_u32_e32 vcc_lo, 0, v0
	s_and_b32 exec_lo, exec_lo, vcc_lo
	s_cbranch_execz .LBB2_40
; %bb.39:
	v_mov_b32_e32 v0, 0
	s_lshl_b32 s0, s20, 8
	s_mov_b32 s1, 0
	s_delay_alu instid0(SALU_CYCLE_1)
	s_lshl_b64 s[0:1], s[0:1], 1
	ds_load_b32 v1, v0 offset:2112
	s_add_u32 s0, s14, s0
	s_addc_u32 s1, s15, s1
	s_waitcnt lgkmcnt(0)
	v_and_b32_e32 v1, 0xff, v1
	s_delay_alu instid0(VALU_DEP_1) | instskip(SKIP_2) | instid1(SALU_CYCLE_1)
	v_lshlrev_b32_e32 v1, 1, v1
	global_load_i16 v1, v1, s[0:1]
	s_lshl_b64 s[0:1], s[20:21], 2
	s_add_u32 s0, s24, s0
	s_addc_u32 s1, s25, s1
	s_waitcnt vmcnt(0)
	global_store_b32 v0, v1, s[0:1]
.LBB2_40:
	s_nop 0
	s_sendmsg sendmsg(MSG_DEALLOC_VGPRS)
	s_endpgm
.LBB2_41:
	s_mov_b32 s6, s21
	s_delay_alu instid0(SALU_CYCLE_1)
	s_cmp_ge_u32 s6, s16
	s_cbranch_scc0 .LBB2_6
	s_branch .LBB2_7
	.section	.rodata,"a",@progbits
	.p2align	6, 0x0
	.amdhsa_kernel _ZN2at6native6mbtopk29computeBlockwiseWithinKCountsIjhEEvPT_PsPjjibS6_PT0_S6_S4_S6_j
		.amdhsa_group_segment_fixed_size 2116
		.amdhsa_private_segment_fixed_size 0
		.amdhsa_kernarg_size 344
		.amdhsa_user_sgpr_count 13
		.amdhsa_user_sgpr_dispatch_ptr 0
		.amdhsa_user_sgpr_queue_ptr 0
		.amdhsa_user_sgpr_kernarg_segment_ptr 1
		.amdhsa_user_sgpr_dispatch_id 0
		.amdhsa_user_sgpr_private_segment_size 0
		.amdhsa_wavefront_size32 1
		.amdhsa_uses_dynamic_stack 0
		.amdhsa_enable_private_segment 0
		.amdhsa_system_sgpr_workgroup_id_x 1
		.amdhsa_system_sgpr_workgroup_id_y 1
		.amdhsa_system_sgpr_workgroup_id_z 1
		.amdhsa_system_sgpr_workgroup_info 0
		.amdhsa_system_vgpr_workitem_id 0
		.amdhsa_next_free_vgpr 14
		.amdhsa_next_free_sgpr 28
		.amdhsa_reserve_vcc 1
		.amdhsa_float_round_mode_32 0
		.amdhsa_float_round_mode_16_64 0
		.amdhsa_float_denorm_mode_32 3
		.amdhsa_float_denorm_mode_16_64 3
		.amdhsa_dx10_clamp 1
		.amdhsa_ieee_mode 1
		.amdhsa_fp16_overflow 0
		.amdhsa_workgroup_processor_mode 1
		.amdhsa_memory_ordered 1
		.amdhsa_forward_progress 0
		.amdhsa_shared_vgpr_count 0
		.amdhsa_exception_fp_ieee_invalid_op 0
		.amdhsa_exception_fp_denorm_src 0
		.amdhsa_exception_fp_ieee_div_zero 0
		.amdhsa_exception_fp_ieee_overflow 0
		.amdhsa_exception_fp_ieee_underflow 0
		.amdhsa_exception_fp_ieee_inexact 0
		.amdhsa_exception_int_div_zero 0
	.end_amdhsa_kernel
	.section	.text._ZN2at6native6mbtopk29computeBlockwiseWithinKCountsIjhEEvPT_PsPjjibS6_PT0_S6_S4_S6_j,"axG",@progbits,_ZN2at6native6mbtopk29computeBlockwiseWithinKCountsIjhEEvPT_PsPjjibS6_PT0_S6_S4_S6_j,comdat
.Lfunc_end2:
	.size	_ZN2at6native6mbtopk29computeBlockwiseWithinKCountsIjhEEvPT_PsPjjibS6_PT0_S6_S4_S6_j, .Lfunc_end2-_ZN2at6native6mbtopk29computeBlockwiseWithinKCountsIjhEEvPT_PsPjjibS6_PT0_S6_S4_S6_j
                                        ; -- End function
	.section	.AMDGPU.csdata,"",@progbits
; Kernel info:
; codeLenInByte = 2252
; NumSgprs: 30
; NumVgprs: 14
; ScratchSize: 0
; MemoryBound: 0
; FloatMode: 240
; IeeeMode: 1
; LDSByteSize: 2116 bytes/workgroup (compile time only)
; SGPRBlocks: 3
; VGPRBlocks: 1
; NumSGPRsForWavesPerEU: 30
; NumVGPRsForWavesPerEU: 14
; Occupancy: 16
; WaveLimiterHint : 1
; COMPUTE_PGM_RSRC2:SCRATCH_EN: 0
; COMPUTE_PGM_RSRC2:USER_SGPR: 13
; COMPUTE_PGM_RSRC2:TRAP_HANDLER: 0
; COMPUTE_PGM_RSRC2:TGID_X_EN: 1
; COMPUTE_PGM_RSRC2:TGID_Y_EN: 1
; COMPUTE_PGM_RSRC2:TGID_Z_EN: 1
; COMPUTE_PGM_RSRC2:TIDIG_COMP_CNT: 0
	.section	.text._ZN2at6native6mbtopk10gatherTopKIhjLi1EEEvNS_4cuda6detail10TensorInfoIKT_T0_EES8_S8_bjS8_NS5_IS6_S8_EES8_NS5_IlS8_EES8_jjPS6_PjSD_j,"axG",@progbits,_ZN2at6native6mbtopk10gatherTopKIhjLi1EEEvNS_4cuda6detail10TensorInfoIKT_T0_EES8_S8_bjS8_NS5_IS6_S8_EES8_NS5_IlS8_EES8_jjPS6_PjSD_j,comdat
	.protected	_ZN2at6native6mbtopk10gatherTopKIhjLi1EEEvNS_4cuda6detail10TensorInfoIKT_T0_EES8_S8_bjS8_NS5_IS6_S8_EES8_NS5_IlS8_EES8_jjPS6_PjSD_j ; -- Begin function _ZN2at6native6mbtopk10gatherTopKIhjLi1EEEvNS_4cuda6detail10TensorInfoIKT_T0_EES8_S8_bjS8_NS5_IS6_S8_EES8_NS5_IlS8_EES8_jjPS6_PjSD_j
	.globl	_ZN2at6native6mbtopk10gatherTopKIhjLi1EEEvNS_4cuda6detail10TensorInfoIKT_T0_EES8_S8_bjS8_NS5_IS6_S8_EES8_NS5_IlS8_EES8_jjPS6_PjSD_j
	.p2align	8
	.type	_ZN2at6native6mbtopk10gatherTopKIhjLi1EEEvNS_4cuda6detail10TensorInfoIKT_T0_EES8_S8_bjS8_NS5_IS6_S8_EES8_NS5_IlS8_EES8_jjPS6_PjSD_j,@function
_ZN2at6native6mbtopk10gatherTopKIhjLi1EEEvNS_4cuda6detail10TensorInfoIKT_T0_EES8_S8_bjS8_NS5_IS6_S8_EES8_NS5_IlS8_EES8_jjPS6_PjSD_j: ; @_ZN2at6native6mbtopk10gatherTopKIhjLi1EEEvNS_4cuda6detail10TensorInfoIKT_T0_EES8_S8_bjS8_NS5_IS6_S8_EES8_NS5_IlS8_EES8_jjPS6_PjSD_j
; %bb.0:
	s_clause 0x1
	s_load_b64 s[2:3], s[0:1], 0x2d8
	s_load_b32 s4, s[0:1], 0x2d0
	s_waitcnt lgkmcnt(0)
	s_mul_i32 s3, s3, s15
	s_delay_alu instid0(SALU_CYCLE_1) | instskip(NEXT) | instid1(SALU_CYCLE_1)
	s_add_i32 s3, s3, s14
	s_mul_i32 s12, s3, s2
	s_delay_alu instid0(SALU_CYCLE_1) | instskip(NEXT) | instid1(SALU_CYCLE_1)
	s_add_i32 s12, s12, s13
	s_cmp_ge_u32 s12, s4
	s_cbranch_scc1 .LBB3_40
; %bb.1:
	s_load_b256 s[4:11], s[0:1], 0x2a8
	s_waitcnt lgkmcnt(0)
	v_cvt_f32_u32_e32 v1, s6
	s_sub_i32 s3, 0, s6
	s_delay_alu instid0(VALU_DEP_1) | instskip(SKIP_2) | instid1(VALU_DEP_1)
	v_rcp_iflag_f32_e32 v1, v1
	s_waitcnt_depctr 0xfff
	v_mul_f32_e32 v1, 0x4f7ffffe, v1
	v_cvt_u32_f32_e32 v1, v1
	s_delay_alu instid0(VALU_DEP_1) | instskip(NEXT) | instid1(VALU_DEP_1)
	v_readfirstlane_b32 s2, v1
	s_mul_i32 s3, s3, s2
	s_delay_alu instid0(SALU_CYCLE_1) | instskip(NEXT) | instid1(SALU_CYCLE_1)
	s_mul_hi_u32 s3, s2, s3
	s_add_i32 s2, s2, s3
	s_delay_alu instid0(SALU_CYCLE_1) | instskip(NEXT) | instid1(SALU_CYCLE_1)
	s_mul_hi_u32 s2, s12, s2
	s_mul_i32 s3, s2, s6
	s_add_i32 s7, s2, 1
	s_sub_i32 s3, s12, s3
	s_delay_alu instid0(SALU_CYCLE_1)
	s_sub_i32 s13, s3, s6
	s_cmp_ge_u32 s3, s6
	s_cselect_b32 s2, s7, s2
	s_cselect_b32 s3, s13, s3
	s_add_i32 s7, s2, 1
	s_cmp_ge_u32 s3, s6
	v_cmp_eq_u32_e64 s3, 0, v0
	s_cselect_b32 s7, s7, s2
	v_cmp_ne_u32_e64 s2, 0, v0
	v_mov_b32_e32 v1, s7
	global_load_u8 v7, v1, s[8:9]
	s_clause 0x2
	s_load_b64 s[16:17], s[0:1], 0x1d0
	s_load_b64 s[18:19], s[0:1], 0xf0
	;; [unrolled: 1-line block ×3, first 2 shown]
	s_mul_i32 s8, s7, s6
	s_mov_b32 s9, 0
	s_sub_i32 s28, s12, s8
	s_and_saveexec_b32 s29, s3
	s_cbranch_execz .LBB3_17
; %bb.2:
	s_load_b64 s[22:23], s[0:1], 0x2c8
	s_lshl_b64 s[24:25], s[8:9], 2
	s_mov_b32 s8, 0
	s_add_u32 s12, s10, s24
	s_addc_u32 s13, s11, s25
	s_mov_b32 s30, 0
	s_waitcnt lgkmcnt(0)
	s_add_u32 s14, s22, s24
	s_addc_u32 s15, s23, s25
	s_cmp_lt_u32 s6, 4
	s_cbranch_scc1 .LBB3_14
; %bb.3:
	s_mov_b32 s31, 0
.LBB3_4:                                ; =>This Inner Loop Header: Depth=1
	s_add_u32 s12, s10, s24
	s_addc_u32 s13, s11, s25
	s_add_u32 s26, s22, s24
	s_load_b128 s[12:15], s[12:13], 0x0
	s_addc_u32 s27, s23, s25
	s_cmp_ge_u32 s31, s28
	s_cbranch_scc0 .LBB3_11
; %bb.5:                                ;   in Loop: Header=BB3_4 Depth=1
	s_add_i32 s33, s31, 1
	s_delay_alu instid0(SALU_CYCLE_1)
	s_cmp_ge_u32 s33, s28
	s_cbranch_scc0 .LBB3_12
.LBB3_6:                                ;   in Loop: Header=BB3_4 Depth=1
	s_add_i32 s33, s33, 1
	s_delay_alu instid0(SALU_CYCLE_1)
	s_cmp_ge_u32 s33, s28
	s_cbranch_scc0 .LBB3_13
.LBB3_7:                                ;   in Loop: Header=BB3_4 Depth=1
	s_add_i32 s33, s33, 1
	s_delay_alu instid0(SALU_CYCLE_1)
	s_cmp_ge_u32 s33, s28
	s_cbranch_scc1 .LBB3_9
.LBB3_8:                                ;   in Loop: Header=BB3_4 Depth=1
	s_load_b32 s26, s[26:27], 0xc
	s_waitcnt lgkmcnt(0)
	s_add_i32 s9, s9, s15
	s_add_i32 s8, s26, s8
.LBB3_9:                                ;   in Loop: Header=BB3_4 Depth=1
	s_waitcnt lgkmcnt(0)
	s_add_i32 s12, s12, s30
	s_delay_alu instid0(SALU_CYCLE_1) | instskip(NEXT) | instid1(SALU_CYCLE_1)
	s_add_i32 s12, s12, s13
	s_add_i32 s12, s12, s14
	s_delay_alu instid0(SALU_CYCLE_1)
	s_add_i32 s30, s12, s15
	s_add_u32 s10, s10, 16
	s_addc_u32 s11, s11, 0
	s_add_u32 s22, s22, 16
	s_addc_u32 s23, s23, 0
	s_add_i32 s27, s33, 4
	s_add_u32 s14, s22, s24
	s_addc_u32 s15, s23, s25
	s_add_u32 s12, s10, s24
	s_addc_u32 s13, s11, s25
	s_add_i32 s26, s33, 1
	s_cmp_ge_u32 s27, s6
	s_cbranch_scc1 .LBB3_15
; %bb.10:                               ;   in Loop: Header=BB3_4 Depth=1
	s_mov_b32 s31, s26
	s_branch .LBB3_4
.LBB3_11:                               ;   in Loop: Header=BB3_4 Depth=1
	s_load_b32 s33, s[26:27], 0x0
	s_waitcnt lgkmcnt(0)
	s_add_i32 s9, s12, s9
	s_add_i32 s8, s33, s8
	;; [unrolled: 1-line block ×3, first 2 shown]
	s_delay_alu instid0(SALU_CYCLE_1)
	s_cmp_ge_u32 s33, s28
	s_cbranch_scc1 .LBB3_6
.LBB3_12:                               ;   in Loop: Header=BB3_4 Depth=1
	s_load_b32 s34, s[26:27], 0x4
	s_waitcnt lgkmcnt(0)
	s_add_i32 s9, s9, s13
	s_add_i32 s8, s34, s8
	s_add_i32 s33, s33, 1
	s_delay_alu instid0(SALU_CYCLE_1)
	s_cmp_ge_u32 s33, s28
	s_cbranch_scc1 .LBB3_7
.LBB3_13:                               ;   in Loop: Header=BB3_4 Depth=1
	s_load_b32 s34, s[26:27], 0x8
	s_waitcnt lgkmcnt(0)
	s_add_i32 s9, s9, s14
	s_add_i32 s8, s34, s8
	;; [unrolled: 1-line block ×3, first 2 shown]
	s_delay_alu instid0(SALU_CYCLE_1)
	s_cmp_ge_u32 s33, s28
	s_cbranch_scc0 .LBB3_8
	s_branch .LBB3_9
.LBB3_14:
	s_mov_b32 s10, 0
	s_delay_alu instid0(SALU_CYCLE_1)
	s_cmp_ge_u32 s10, s6
	s_cbranch_scc0 .LBB3_38
	s_branch .LBB3_16
.LBB3_15:
	s_add_i32 s10, s31, 4
	s_delay_alu instid0(SALU_CYCLE_1)
	s_cmp_ge_u32 s10, s6
	s_cbranch_scc0 .LBB3_38
.LBB3_16:
	v_dual_mov_b32 v1, s8 :: v_dual_mov_b32 v2, s30
	v_dual_mov_b32 v3, s9 :: v_dual_mov_b32 v4, 0
	ds_store_b96 v4, v[1:3] offset:1056
.LBB3_17:
	s_or_b32 exec_lo, exec_lo, s29
	s_clause 0x3
	s_load_b32 s13, s[0:1], 0x23c
	s_load_b32 s14, s[0:1], 0x15c
	s_load_b32 s22, s[0:1], 0x6c
	s_load_b128 s[8:11], s[0:1], 0xd8
	s_waitcnt lgkmcnt(0)
	s_mul_i32 s11, s5, s28
	s_add_i32 s28, s28, 1
	s_lshl_b32 s12, s11, 8
	s_waitcnt vmcnt(0)
	s_barrier
	buffer_gl0_inv
	s_sub_i32 s11, s8, s12
	s_delay_alu instid0(SALU_CYCLE_1) | instskip(SKIP_4) | instid1(VALU_DEP_1)
	s_add_u32 s11, s11, 0xff
	s_addc_u32 s15, 0, 0
	s_cmp_lt_u32 s28, s6
	v_alignbit_b32 v1, s15, s11, 8
	s_mov_b32 s15, 0
	v_readfirstlane_b32 s11, v1
	s_delay_alu instid0(VALU_DEP_1) | instskip(NEXT) | instid1(SALU_CYCLE_1)
	s_cselect_b32 s5, s5, s11
	s_cmp_eq_u32 s5, 0
	s_cbranch_scc1 .LBB3_40
; %bb.18:
	v_dual_mov_b32 v5, 0 :: v_dual_add_nc_u32 v4, s12, v0
	v_lshrrev_b32_e32 v8, 5, v0
	v_lshlrev_b32_e32 v9, 3, v0
	v_lshrrev_b32_e32 v10, 2, v0
	ds_load_b96 v[1:3], v5 offset:1056
	s_clause 0x1
	s_load_b32 s23, s[0:1], 0xe8
	s_load_b32 s11, s[0:1], 0x1c8
	v_add_nc_u32_e32 v11, -1, v0
	s_mul_i32 s6, s7, s22
	v_cmp_gt_u32_e64 s0, 32, v0
	v_add_lshl_u32 v0, v8, v0, 2
	v_add_lshl_u32 v8, v10, v9, 2
	v_lshrrev_b32_e32 v9, 5, v11
	s_mul_i32 s22, s7, s14
	s_add_u32 s6, s20, s6
	s_mul_i32 s14, s7, s13
	v_mbcnt_lo_u32_b32 v6, -1, 0
	s_addc_u32 s7, s21, 0
	s_add_u32 s12, s18, s22
	s_addc_u32 s13, s19, 0
	s_lshl_b64 s[14:15], s[14:15], 3
	v_and_b32_e32 v7, 0xff, v7
	s_add_u32 s14, s16, s14
	s_addc_u32 s15, s17, s15
	v_and_b32_e32 v10, 15, v6
	s_waitcnt lgkmcnt(0)
	v_add_nc_u32_e32 v1, v1, v2
	v_add_lshl_u32 v2, v9, v11, 2
	v_mul_lo_u32 v9, s23, v4
	v_bfe_i32 v11, v6, 4, 1
	v_add_nc_u32_e32 v12, -1, v6
	s_bitcmp1_b32 s10, 0
                                        ; implicit-def: $vgpr13
	s_cselect_b32 s1, -1, 0
	s_lshl_b32 s10, s23, 8
	s_branch .LBB3_21
.LBB3_19:                               ;   in Loop: Header=BB3_21 Depth=1
	s_or_b32 exec_lo, exec_lo, s16
	v_add_nc_u32_e32 v1, v16, v1
.LBB3_20:                               ;   in Loop: Header=BB3_21 Depth=1
	v_add_nc_u32_e32 v3, v15, v3
	v_add_nc_u32_e32 v9, s10, v9
	;; [unrolled: 1-line block ×3, first 2 shown]
	s_add_i32 s5, s5, -1
	s_delay_alu instid0(SALU_CYCLE_1)
	s_cmp_lg_u32 s5, 0
	s_cbranch_scc0 .LBB3_40
.LBB3_21:                               ; =>This Inner Loop Header: Depth=1
	v_mov_b32_e32 v16, 0
	v_mov_b32_e32 v14, 0
	s_mov_b32 s16, exec_lo
	v_cmpx_gt_u32_e64 s8, v4
	s_cbranch_execz .LBB3_23
; %bb.22:                               ;   in Loop: Header=BB3_21 Depth=1
	global_load_u8 v13, v9, s[6:7]
	s_waitcnt vmcnt(0)
	v_cmp_gt_u16_e32 vcc_lo, v13, v7
	v_cndmask_b32_e64 v14, 0, 1, vcc_lo
	v_cmp_lt_u16_e32 vcc_lo, v13, v7
	v_cndmask_b32_e64 v15, 0, 1, vcc_lo
	v_cmp_eq_u16_e32 vcc_lo, v13, v7
	s_delay_alu instid0(VALU_DEP_2) | instskip(NEXT) | instid1(VALU_DEP_1)
	v_cndmask_b32_e64 v14, v15, v14, s1
	v_and_b32_e32 v16, 1, v14
	v_cndmask_b32_e64 v14, 0, 1, vcc_lo
.LBB3_23:                               ;   in Loop: Header=BB3_21 Depth=1
	s_or_b32 exec_lo, exec_lo, s16
	ds_store_b32 v0, v16
	s_waitcnt lgkmcnt(0)
	s_waitcnt_vscnt null, 0x0
	s_barrier
	buffer_gl0_inv
	s_and_saveexec_b32 s16, s0
	s_cbranch_execz .LBB3_25
; %bb.24:                               ;   in Loop: Header=BB3_21 Depth=1
	ds_load_2addr_b32 v[17:18], v8 offset1:1
	ds_load_2addr_b32 v[19:20], v8 offset0:2 offset1:3
	ds_load_2addr_b32 v[21:22], v8 offset0:4 offset1:5
	ds_load_2addr_b32 v[23:24], v8 offset0:6 offset1:7
	v_cmp_ne_u32_e32 vcc_lo, 0, v10
	; wave barrier
	s_waitcnt lgkmcnt(3)
	v_add_nc_u32_e32 v15, v18, v17
	s_waitcnt lgkmcnt(2)
	s_delay_alu instid0(VALU_DEP_1) | instskip(SKIP_1) | instid1(VALU_DEP_1)
	v_add3_u32 v15, v15, v19, v20
	s_waitcnt lgkmcnt(1)
	v_add3_u32 v15, v15, v21, v22
	s_waitcnt lgkmcnt(0)
	s_delay_alu instid0(VALU_DEP_1) | instskip(NEXT) | instid1(VALU_DEP_1)
	v_add3_u32 v15, v15, v23, v24
	v_mov_b32_dpp v18, v15 row_shr:1 row_mask:0xf bank_mask:0xf
	s_delay_alu instid0(VALU_DEP_1) | instskip(SKIP_1) | instid1(VALU_DEP_2)
	v_cndmask_b32_e32 v18, 0, v18, vcc_lo
	v_cmp_lt_u32_e32 vcc_lo, 1, v10
	v_add_nc_u32_e32 v15, v18, v15
	s_delay_alu instid0(VALU_DEP_1) | instskip(NEXT) | instid1(VALU_DEP_1)
	v_mov_b32_dpp v18, v15 row_shr:2 row_mask:0xf bank_mask:0xf
	v_cndmask_b32_e32 v18, 0, v18, vcc_lo
	v_cmp_lt_u32_e32 vcc_lo, 3, v10
	s_delay_alu instid0(VALU_DEP_2) | instskip(NEXT) | instid1(VALU_DEP_1)
	v_add_nc_u32_e32 v15, v15, v18
	v_mov_b32_dpp v18, v15 row_shr:4 row_mask:0xf bank_mask:0xf
	s_delay_alu instid0(VALU_DEP_1) | instskip(SKIP_1) | instid1(VALU_DEP_2)
	v_cndmask_b32_e32 v18, 0, v18, vcc_lo
	v_cmp_lt_u32_e32 vcc_lo, 7, v10
	v_add_nc_u32_e32 v15, v15, v18
	s_delay_alu instid0(VALU_DEP_1) | instskip(NEXT) | instid1(VALU_DEP_1)
	v_mov_b32_dpp v18, v15 row_shr:8 row_mask:0xf bank_mask:0xf
	v_cndmask_b32_e32 v18, 0, v18, vcc_lo
	v_cmp_gt_i32_e32 vcc_lo, 0, v12
	s_delay_alu instid0(VALU_DEP_2)
	v_add_nc_u32_e32 v15, v15, v18
	v_cndmask_b32_e32 v19, v12, v6, vcc_lo
	ds_swizzle_b32 v18, v15 offset:swizzle(BROADCAST,32,15)
	v_lshlrev_b32_e32 v19, 2, v19
	s_waitcnt lgkmcnt(0)
	v_and_b32_e32 v18, v11, v18
	s_delay_alu instid0(VALU_DEP_1) | instskip(SKIP_3) | instid1(VALU_DEP_1)
	v_add_nc_u32_e32 v15, v15, v18
	ds_bpermute_b32 v15, v19, v15
	s_waitcnt lgkmcnt(0)
	v_add_nc_u32_e32 v15, v15, v17
	v_cndmask_b32_e64 v15, v15, v16, s3
	ds_store_b32 v8, v15
	; wave barrier
	ds_load_2addr_b32 v[17:18], v8 offset0:1 offset1:2
	ds_load_2addr_b32 v[19:20], v8 offset0:3 offset1:4
	;; [unrolled: 1-line block ×3, first 2 shown]
	ds_load_b32 v23, v8 offset:28
	s_waitcnt lgkmcnt(3)
	v_add_nc_u32_e32 v15, v17, v15
	s_delay_alu instid0(VALU_DEP_1) | instskip(SKIP_1) | instid1(VALU_DEP_1)
	v_add_nc_u32_e32 v17, v18, v15
	s_waitcnt lgkmcnt(2)
	v_add_nc_u32_e32 v18, v19, v17
	s_delay_alu instid0(VALU_DEP_1) | instskip(SKIP_1) | instid1(VALU_DEP_1)
	v_add_nc_u32_e32 v19, v20, v18
	;; [unrolled: 4-line block ×3, first 2 shown]
	s_waitcnt lgkmcnt(0)
	v_add_nc_u32_e32 v22, v23, v21
	ds_store_2addr_b32 v8, v15, v17 offset0:1 offset1:2
	ds_store_2addr_b32 v8, v18, v19 offset0:3 offset1:4
	;; [unrolled: 1-line block ×3, first 2 shown]
	ds_store_b32 v8, v22 offset:28
.LBB3_25:                               ;   in Loop: Header=BB3_21 Depth=1
	s_or_b32 exec_lo, exec_lo, s16
	v_mov_b32_e32 v17, 0
	s_waitcnt lgkmcnt(0)
	s_barrier
	buffer_gl0_inv
	s_and_saveexec_b32 s16, s2
	s_cbranch_execz .LBB3_27
; %bb.26:                               ;   in Loop: Header=BB3_21 Depth=1
	ds_load_b32 v17, v2
.LBB3_27:                               ;   in Loop: Header=BB3_21 Depth=1
	s_or_b32 exec_lo, exec_lo, s16
	ds_load_b32 v15, v5 offset:1048
	s_mov_b32 s16, exec_lo
	s_waitcnt lgkmcnt(0)
	s_barrier
	buffer_gl0_inv
	v_cmpx_ne_u32_e32 0, v16
	s_cbranch_execz .LBB3_29
; %bb.28:                               ;   in Loop: Header=BB3_21 Depth=1
	v_add_nc_u32_e32 v18, v17, v3
	v_mov_b32_e32 v17, v5
	s_delay_alu instid0(VALU_DEP_2) | instskip(SKIP_1) | instid1(VALU_DEP_2)
	v_mul_lo_u32 v16, v18, s4
	v_mul_lo_u32 v18, v18, s11
	v_lshlrev_b64 v[16:17], 3, v[16:17]
	s_delay_alu instid0(VALU_DEP_1) | instskip(NEXT) | instid1(VALU_DEP_2)
	v_add_co_u32 v16, vcc_lo, s14, v16
	v_add_co_ci_u32_e32 v17, vcc_lo, s15, v17, vcc_lo
	global_store_b8 v18, v13, s[12:13]
	global_store_b64 v[16:17], v[4:5], off
.LBB3_29:                               ;   in Loop: Header=BB3_21 Depth=1
	s_or_b32 exec_lo, exec_lo, s16
	v_cmp_le_u32_e32 vcc_lo, s9, v1
	s_cbranch_vccnz .LBB3_20
; %bb.30:                               ;   in Loop: Header=BB3_21 Depth=1
	ds_store_b32 v0, v14
	s_waitcnt lgkmcnt(0)
	s_waitcnt_vscnt null, 0x0
	s_barrier
	buffer_gl0_inv
	s_and_saveexec_b32 s16, s0
	s_cbranch_execz .LBB3_32
; %bb.31:                               ;   in Loop: Header=BB3_21 Depth=1
	ds_load_2addr_b32 v[16:17], v8 offset1:1
	ds_load_2addr_b32 v[18:19], v8 offset0:2 offset1:3
	ds_load_2addr_b32 v[20:21], v8 offset0:4 offset1:5
	;; [unrolled: 1-line block ×3, first 2 shown]
	v_cmp_ne_u32_e32 vcc_lo, 0, v10
	; wave barrier
	s_waitcnt lgkmcnt(3)
	v_add_nc_u32_e32 v17, v17, v16
	s_waitcnt lgkmcnt(2)
	s_delay_alu instid0(VALU_DEP_1) | instskip(SKIP_1) | instid1(VALU_DEP_1)
	v_add3_u32 v17, v17, v18, v19
	s_waitcnt lgkmcnt(1)
	v_add3_u32 v17, v17, v20, v21
	s_waitcnt lgkmcnt(0)
	s_delay_alu instid0(VALU_DEP_1) | instskip(NEXT) | instid1(VALU_DEP_1)
	v_add3_u32 v17, v17, v22, v23
	v_mov_b32_dpp v18, v17 row_shr:1 row_mask:0xf bank_mask:0xf
	s_delay_alu instid0(VALU_DEP_1) | instskip(SKIP_1) | instid1(VALU_DEP_2)
	v_cndmask_b32_e32 v18, 0, v18, vcc_lo
	v_cmp_lt_u32_e32 vcc_lo, 1, v10
	v_add_nc_u32_e32 v17, v18, v17
	s_delay_alu instid0(VALU_DEP_1) | instskip(NEXT) | instid1(VALU_DEP_1)
	v_mov_b32_dpp v18, v17 row_shr:2 row_mask:0xf bank_mask:0xf
	v_cndmask_b32_e32 v18, 0, v18, vcc_lo
	v_cmp_lt_u32_e32 vcc_lo, 3, v10
	s_delay_alu instid0(VALU_DEP_2) | instskip(NEXT) | instid1(VALU_DEP_1)
	v_add_nc_u32_e32 v17, v17, v18
	v_mov_b32_dpp v18, v17 row_shr:4 row_mask:0xf bank_mask:0xf
	s_delay_alu instid0(VALU_DEP_1) | instskip(SKIP_1) | instid1(VALU_DEP_2)
	v_cndmask_b32_e32 v18, 0, v18, vcc_lo
	v_cmp_lt_u32_e32 vcc_lo, 7, v10
	v_add_nc_u32_e32 v17, v17, v18
	s_delay_alu instid0(VALU_DEP_1) | instskip(NEXT) | instid1(VALU_DEP_1)
	v_mov_b32_dpp v18, v17 row_shr:8 row_mask:0xf bank_mask:0xf
	v_cndmask_b32_e32 v18, 0, v18, vcc_lo
	v_cmp_gt_i32_e32 vcc_lo, 0, v12
	s_delay_alu instid0(VALU_DEP_2)
	v_add_nc_u32_e32 v17, v17, v18
	v_cndmask_b32_e32 v19, v12, v6, vcc_lo
	ds_swizzle_b32 v18, v17 offset:swizzle(BROADCAST,32,15)
	v_lshlrev_b32_e32 v19, 2, v19
	s_waitcnt lgkmcnt(0)
	v_and_b32_e32 v18, v11, v18
	s_delay_alu instid0(VALU_DEP_1) | instskip(SKIP_3) | instid1(VALU_DEP_1)
	v_add_nc_u32_e32 v17, v17, v18
	ds_bpermute_b32 v17, v19, v17
	s_waitcnt lgkmcnt(0)
	v_add_nc_u32_e32 v16, v17, v16
	v_cndmask_b32_e64 v22, v16, v14, s3
	ds_store_b32 v8, v22
	; wave barrier
	ds_load_2addr_b32 v[16:17], v8 offset0:1 offset1:2
	ds_load_2addr_b32 v[18:19], v8 offset0:3 offset1:4
	;; [unrolled: 1-line block ×3, first 2 shown]
	ds_load_b32 v23, v8 offset:28
	s_waitcnt lgkmcnt(3)
	v_add_nc_u32_e32 v16, v16, v22
	s_delay_alu instid0(VALU_DEP_1) | instskip(SKIP_1) | instid1(VALU_DEP_1)
	v_add_nc_u32_e32 v17, v17, v16
	s_waitcnt lgkmcnt(2)
	v_add_nc_u32_e32 v18, v18, v17
	s_delay_alu instid0(VALU_DEP_1) | instskip(SKIP_1) | instid1(VALU_DEP_1)
	v_add_nc_u32_e32 v19, v19, v18
	s_waitcnt lgkmcnt(1)
	v_add_nc_u32_e32 v20, v20, v19
	s_delay_alu instid0(VALU_DEP_1) | instskip(SKIP_1) | instid1(VALU_DEP_1)
	v_add_nc_u32_e32 v21, v21, v20
	s_waitcnt lgkmcnt(0)
	v_add_nc_u32_e32 v22, v23, v21
	ds_store_2addr_b32 v8, v16, v17 offset0:1 offset1:2
	ds_store_2addr_b32 v8, v18, v19 offset0:3 offset1:4
	;; [unrolled: 1-line block ×3, first 2 shown]
	ds_store_b32 v8, v22 offset:28
.LBB3_32:                               ;   in Loop: Header=BB3_21 Depth=1
	s_or_b32 exec_lo, exec_lo, s16
	v_mov_b32_e32 v17, 0
	s_waitcnt lgkmcnt(0)
	s_barrier
	buffer_gl0_inv
	s_and_saveexec_b32 s16, s2
	s_cbranch_execz .LBB3_34
; %bb.33:                               ;   in Loop: Header=BB3_21 Depth=1
	ds_load_b32 v17, v2
.LBB3_34:                               ;   in Loop: Header=BB3_21 Depth=1
	s_or_b32 exec_lo, exec_lo, s16
	ds_load_b32 v16, v5 offset:1048
	s_mov_b32 s16, exec_lo
	s_waitcnt lgkmcnt(0)
	s_barrier
	buffer_gl0_inv
	v_cmpx_ne_u32_e32 0, v14
	s_cbranch_execz .LBB3_19
; %bb.35:                               ;   in Loop: Header=BB3_21 Depth=1
	v_add_nc_u32_e32 v14, v17, v1
	s_delay_alu instid0(VALU_DEP_1)
	v_cmp_gt_u32_e32 vcc_lo, s9, v14
	s_and_b32 exec_lo, exec_lo, vcc_lo
	s_cbranch_execz .LBB3_19
; %bb.36:                               ;   in Loop: Header=BB3_21 Depth=1
	v_mul_lo_u32 v17, v14, s4
	v_mov_b32_e32 v18, v5
	v_mul_lo_u32 v14, v14, s11
	s_delay_alu instid0(VALU_DEP_2) | instskip(NEXT) | instid1(VALU_DEP_1)
	v_lshlrev_b64 v[17:18], 3, v[17:18]
	v_add_co_u32 v17, vcc_lo, s14, v17
	s_delay_alu instid0(VALU_DEP_2)
	v_add_co_ci_u32_e32 v18, vcc_lo, s15, v18, vcc_lo
	global_store_b8 v14, v13, s[12:13]
	global_store_b64 v[17:18], v[4:5], off
	s_branch .LBB3_19
	.p2align	6
.LBB3_37:                               ;   in Loop: Header=BB3_38 Depth=1
	s_add_u32 s12, s12, 4
	s_addc_u32 s13, s13, 0
	s_waitcnt lgkmcnt(0)
	s_add_i32 s30, s11, s30
	s_add_u32 s14, s14, 4
	s_addc_u32 s15, s15, 0
	s_add_i32 s10, s10, 1
	s_delay_alu instid0(SALU_CYCLE_1)
	s_cmp_lt_u32 s10, s6
	s_cbranch_scc0 .LBB3_16
.LBB3_38:                               ; =>This Inner Loop Header: Depth=1
	s_load_b32 s11, s[12:13], 0x0
	s_cmp_ge_u32 s10, s28
	s_cbranch_scc1 .LBB3_37
; %bb.39:                               ;   in Loop: Header=BB3_38 Depth=1
	s_load_b32 s22, s[14:15], 0x0
	s_waitcnt lgkmcnt(0)
	s_add_i32 s9, s11, s9
	s_add_i32 s8, s22, s8
	s_branch .LBB3_37
.LBB3_40:
	s_nop 0
	s_sendmsg sendmsg(MSG_DEALLOC_VGPRS)
	s_endpgm
	.section	.rodata,"a",@progbits
	.p2align	6, 0x0
	.amdhsa_kernel _ZN2at6native6mbtopk10gatherTopKIhjLi1EEEvNS_4cuda6detail10TensorInfoIKT_T0_EES8_S8_bjS8_NS5_IS6_S8_EES8_NS5_IlS8_EES8_jjPS6_PjSD_j
		.amdhsa_group_segment_fixed_size 1068
		.amdhsa_private_segment_fixed_size 0
		.amdhsa_kernarg_size 984
		.amdhsa_user_sgpr_count 13
		.amdhsa_user_sgpr_dispatch_ptr 0
		.amdhsa_user_sgpr_queue_ptr 0
		.amdhsa_user_sgpr_kernarg_segment_ptr 1
		.amdhsa_user_sgpr_dispatch_id 0
		.amdhsa_user_sgpr_private_segment_size 0
		.amdhsa_wavefront_size32 1
		.amdhsa_uses_dynamic_stack 0
		.amdhsa_enable_private_segment 0
		.amdhsa_system_sgpr_workgroup_id_x 1
		.amdhsa_system_sgpr_workgroup_id_y 1
		.amdhsa_system_sgpr_workgroup_id_z 1
		.amdhsa_system_sgpr_workgroup_info 0
		.amdhsa_system_vgpr_workitem_id 0
		.amdhsa_next_free_vgpr 25
		.amdhsa_next_free_sgpr 35
		.amdhsa_reserve_vcc 1
		.amdhsa_float_round_mode_32 0
		.amdhsa_float_round_mode_16_64 0
		.amdhsa_float_denorm_mode_32 3
		.amdhsa_float_denorm_mode_16_64 3
		.amdhsa_dx10_clamp 1
		.amdhsa_ieee_mode 1
		.amdhsa_fp16_overflow 0
		.amdhsa_workgroup_processor_mode 1
		.amdhsa_memory_ordered 1
		.amdhsa_forward_progress 0
		.amdhsa_shared_vgpr_count 0
		.amdhsa_exception_fp_ieee_invalid_op 0
		.amdhsa_exception_fp_denorm_src 0
		.amdhsa_exception_fp_ieee_div_zero 0
		.amdhsa_exception_fp_ieee_overflow 0
		.amdhsa_exception_fp_ieee_underflow 0
		.amdhsa_exception_fp_ieee_inexact 0
		.amdhsa_exception_int_div_zero 0
	.end_amdhsa_kernel
	.section	.text._ZN2at6native6mbtopk10gatherTopKIhjLi1EEEvNS_4cuda6detail10TensorInfoIKT_T0_EES8_S8_bjS8_NS5_IS6_S8_EES8_NS5_IlS8_EES8_jjPS6_PjSD_j,"axG",@progbits,_ZN2at6native6mbtopk10gatherTopKIhjLi1EEEvNS_4cuda6detail10TensorInfoIKT_T0_EES8_S8_bjS8_NS5_IS6_S8_EES8_NS5_IlS8_EES8_jjPS6_PjSD_j,comdat
.Lfunc_end3:
	.size	_ZN2at6native6mbtopk10gatherTopKIhjLi1EEEvNS_4cuda6detail10TensorInfoIKT_T0_EES8_S8_bjS8_NS5_IS6_S8_EES8_NS5_IlS8_EES8_jjPS6_PjSD_j, .Lfunc_end3-_ZN2at6native6mbtopk10gatherTopKIhjLi1EEEvNS_4cuda6detail10TensorInfoIKT_T0_EES8_S8_bjS8_NS5_IS6_S8_EES8_NS5_IlS8_EES8_jjPS6_PjSD_j
                                        ; -- End function
	.section	.AMDGPU.csdata,"",@progbits
; Kernel info:
; codeLenInByte = 2356
; NumSgprs: 37
; NumVgprs: 25
; ScratchSize: 0
; MemoryBound: 0
; FloatMode: 240
; IeeeMode: 1
; LDSByteSize: 1068 bytes/workgroup (compile time only)
; SGPRBlocks: 4
; VGPRBlocks: 3
; NumSGPRsForWavesPerEU: 37
; NumVGPRsForWavesPerEU: 25
; Occupancy: 16
; WaveLimiterHint : 1
; COMPUTE_PGM_RSRC2:SCRATCH_EN: 0
; COMPUTE_PGM_RSRC2:USER_SGPR: 13
; COMPUTE_PGM_RSRC2:TRAP_HANDLER: 0
; COMPUTE_PGM_RSRC2:TGID_X_EN: 1
; COMPUTE_PGM_RSRC2:TGID_Y_EN: 1
; COMPUTE_PGM_RSRC2:TGID_Z_EN: 1
; COMPUTE_PGM_RSRC2:TIDIG_COMP_CNT: 0
	.section	.text._ZN2at6native6sbtopk10gatherTopKIhjLi1ELb0EEEvNS_4cuda6detail10TensorInfoIKT_T0_EES8_S8_bS8_S8_NS5_IS6_S8_EES8_NS5_IlS8_EES8_PS6_,"axG",@progbits,_ZN2at6native6sbtopk10gatherTopKIhjLi1ELb0EEEvNS_4cuda6detail10TensorInfoIKT_T0_EES8_S8_bS8_S8_NS5_IS6_S8_EES8_NS5_IlS8_EES8_PS6_,comdat
	.protected	_ZN2at6native6sbtopk10gatherTopKIhjLi1ELb0EEEvNS_4cuda6detail10TensorInfoIKT_T0_EES8_S8_bS8_S8_NS5_IS6_S8_EES8_NS5_IlS8_EES8_PS6_ ; -- Begin function _ZN2at6native6sbtopk10gatherTopKIhjLi1ELb0EEEvNS_4cuda6detail10TensorInfoIKT_T0_EES8_S8_bS8_S8_NS5_IS6_S8_EES8_NS5_IlS8_EES8_PS6_
	.globl	_ZN2at6native6sbtopk10gatherTopKIhjLi1ELb0EEEvNS_4cuda6detail10TensorInfoIKT_T0_EES8_S8_bS8_S8_NS5_IS6_S8_EES8_NS5_IlS8_EES8_PS6_
	.p2align	8
	.type	_ZN2at6native6sbtopk10gatherTopKIhjLi1ELb0EEEvNS_4cuda6detail10TensorInfoIKT_T0_EES8_S8_bS8_S8_NS5_IS6_S8_EES8_NS5_IlS8_EES8_PS6_,@function
_ZN2at6native6sbtopk10gatherTopKIhjLi1ELb0EEEvNS_4cuda6detail10TensorInfoIKT_T0_EES8_S8_bS8_S8_NS5_IS6_S8_EES8_NS5_IlS8_EES8_PS6_: ; @_ZN2at6native6sbtopk10gatherTopKIhjLi1ELb0EEEvNS_4cuda6detail10TensorInfoIKT_T0_EES8_S8_bS8_S8_NS5_IS6_S8_EES8_NS5_IlS8_EES8_PS6_
; %bb.0:
	s_clause 0x1
	s_load_b64 s[4:5], s[0:1], 0x2b8
	s_load_b128 s[36:39], s[0:1], 0xd8
	s_add_u32 s6, s0, 0x2b8
	s_addc_u32 s7, s1, 0
	s_waitcnt lgkmcnt(0)
	s_mul_i32 s2, s5, s15
	s_delay_alu instid0(SALU_CYCLE_1) | instskip(NEXT) | instid1(SALU_CYCLE_1)
	s_add_i32 s2, s2, s14
	s_mul_i32 s44, s2, s4
	s_delay_alu instid0(SALU_CYCLE_1) | instskip(NEXT) | instid1(SALU_CYCLE_1)
	s_add_i32 s44, s44, s13
	s_cmp_ge_u32 s44, s39
	s_cbranch_scc1 .LBB4_447
; %bb.1:
	s_clause 0x4
	s_load_b64 s[40:41], s[0:1], 0x1d0
	s_load_b64 s[42:43], s[0:1], 0xf0
	s_load_b32 s34, s[0:1], 0xe8
	s_load_b32 s8, s[0:1], 0x6c
	s_load_b64 s[2:3], s[0:1], 0x0
	v_cmp_eq_u32_e64 s5, 0, v0
	s_mov_b32 s47, 0
	s_delay_alu instid0(VALU_DEP_1)
	s_and_saveexec_b32 s9, s5
	s_cbranch_execz .LBB4_3
; %bb.2:
	v_dual_mov_b32 v1, 0 :: v_dual_mov_b32 v2, s36
	s_delay_alu instid0(VALU_DEP_1)
	v_mov_b32_e32 v3, v1
	ds_store_b96 v1, v[1:3] offset:4096
.LBB4_3:
	s_or_b32 exec_lo, exec_lo, s9
	s_waitcnt lgkmcnt(0)
	s_barrier
	buffer_gl0_inv
	s_load_b32 s9, s[6:7], 0xc
	s_mul_i32 s8, s8, s44
	v_mbcnt_lo_u32_b32 v12, -1, 0
	s_add_u32 s30, s2, s8
	s_addc_u32 s31, s3, 0
	s_bitcmp1_b32 s38, 0
	v_cmp_gt_u32_e32 vcc_lo, 32, v0
	s_cselect_b32 s3, -1, 0
	v_cmp_gt_i32_e64 s2, 4, v12
	s_xor_b32 s48, s3, -1
	v_mul_lo_u32 v14, v0, s34
	s_clause 0x1
	s_load_b32 s45, s[0:1], 0x23c
	s_load_b32 s46, s[0:1], 0x15c
	v_dual_mov_b32 v26, s37 :: v_dual_lshlrev_b32 v13, 2, v0
	s_and_b32 s49, vcc_lo, s2
	v_lshl_or_b32 v21, v12, 2, 0xc00
	v_mov_b32_e32 v25, 0
	s_delay_alu instid0(VALU_DEP_3)
	v_or_b32_e32 v3, 3, v13
	v_mad_u64_u32 v[9:10], null, s34, v13, s[34:35]
	s_waitcnt lgkmcnt(0)
	s_and_b32 s33, s9, 0xffff
	s_bfe_u32 s2, s9, 0xb0005
	s_lshl_b32 s50, s33, 2
	s_cmpk_gt_u32 s36, 0xc00
	v_cvt_f32_u32_e32 v1, s50
	s_cselect_b32 s51, -1, 0
	s_cmp_gt_u32 s33, 31
	v_cvt_f32_u32_e32 v2, s33
	s_cselect_b32 s52, -1, 0
	v_rcp_iflag_f32_e32 v1, v1
	s_add_i32 s53, s33, -1
	v_mul_lo_u32 v18, s34, v3
	s_add_i32 s9, s53, s36
	s_cmp_lt_u32 s13, s4
	v_rcp_iflag_f32_e32 v2, v2
	s_cselect_b32 s4, 12, 18
	v_mov_b32_e32 v22, 0
	s_add_u32 s38, s6, s4
	s_addc_u32 s39, s7, 0
	s_waitcnt_depctr 0xfff
	v_mul_f32_e32 v1, 0x4f7ffffe, v1
	s_add_i32 s4, s2, -1
	s_bfe_u32 s54, s33, 0x30005
	s_cmp_gt_u32 s4, 6
	v_lshlrev_b32_e32 v19, 2, v14
	v_cvt_u32_f32_e32 v1, v1
	s_cselect_b32 s55, -1, 0
	s_and_b32 s56, s2, 0x7f8
	s_cmp_lg_u32 s54, 0
	v_mov_b32_e32 v24, 0
	v_readfirstlane_b32 s2, v1
	s_cselect_b32 s57, -1, 0
	s_sub_i32 s4, 0, s50
	v_mul_f32_e32 v1, 0x4f7ffffe, v2
	v_lshrrev_b32_e32 v2, 3, v0
	s_mul_i32 s4, s4, s2
	v_mov_b32_e32 v15, 0
	s_mul_hi_u32 s6, s2, s4
	v_cvt_u32_f32_e32 v1, v1
	v_and_b32_e32 v16, 0x7c, v2
	s_add_i32 s58, s2, s6
	v_cmp_gt_u32_e64 s4, s36, v0
	s_mul_hi_u32 s2, s36, s58
	v_cmp_gt_u32_e64 s6, 2, v0
	s_mul_i32 s2, s2, s50
	v_mov_b32_e32 v23, 0
	s_sub_i32 s7, s36, s2
	v_cmp_eq_u32_e64 s2, 0, v12
	s_sub_i32 s8, s7, s50
	s_cmp_ge_u32 s7, s50
	s_mul_i32 s35, s34, s33
	s_cselect_b32 s7, s8, s7
	v_readfirstlane_b32 s8, v1
	s_sub_i32 s10, s7, s50
	s_cmp_ge_u32 s7, s50
	v_lshlrev_b64 v[1:2], v12, -1
	s_cselect_b32 s10, s10, s7
	s_sub_i32 s7, 0, s33
	s_sub_i32 s60, s36, s10
	s_mul_i32 s7, s7, s8
	v_add_nc_u32_e32 v17, s60, v0
	s_mul_hi_u32 s7, s8, s7
	v_not_b32_e32 v11, v1
	s_add_i32 s59, s8, s7
	v_add_co_u32 v5, s7, s30, v14
	s_delay_alu instid0(VALU_DEP_1)
	v_add_co_ci_u32_e64 v6, null, s31, 0, s7
	s_mul_hi_u32 s7, s9, s59
	v_add3_u32 v1, s33, s36, v0
	s_mul_i32 s7, s7, s33
	v_mul_lo_u32 v4, v17, s34
	s_sub_i32 s7, s9, s7
	v_or_b32_e32 v2, 2, v13
	s_sub_i32 s8, s7, s33
	s_cmp_ge_u32 s7, s33
	v_subrev_nc_u32_e32 v1, s10, v1
	s_cselect_b32 s8, s8, s7
	v_mul_lo_u32 v10, s34, v2
	s_sub_i32 s11, s8, s33
	s_cmp_ge_u32 s8, s33
	v_mul_lo_u32 v20, s34, v1
	s_cselect_b32 s11, s11, s8
	v_cmp_gt_u32_e64 s7, s60, v13
	s_sub_i32 s61, s9, s11
	v_add_co_u32 v7, s9, s30, v4
	v_cmp_gt_u32_e64 s8, s36, v17
	v_add_co_ci_u32_e64 v8, null, s31, 0, s9
	v_cmp_gt_u32_e64 s9, s61, v0
	s_mov_b32 s68, 6
	s_lshl_b32 s63, s35, 2
	s_mov_b32 s64, 0
                                        ; implicit-def: $sgpr62
                                        ; implicit-def: $sgpr67
                                        ; implicit-def: $sgpr66
                                        ; implicit-def: $sgpr69
                                        ; implicit-def: $sgpr65
                                        ; implicit-def: $sgpr70
                                        ; implicit-def: $sgpr72
                                        ; implicit-def: $sgpr71
                                        ; implicit-def: $sgpr73
                                        ; implicit-def: $sgpr74
	s_branch .LBB4_6
.LBB4_4:                                ;   in Loop: Header=BB4_6 Depth=1
	s_or_b32 exec_lo, exec_lo, s13
	v_dual_mov_b32 v23, v2 :: v_dual_mov_b32 v24, v1
	v_dual_mov_b32 v26, v4 :: v_dual_mov_b32 v25, v3
	s_and_not1_b32 s13, s74, exec_lo
	s_and_b32 s12, s12, exec_lo
	s_and_not1_b32 s73, s73, exec_lo
	s_or_b32 s74, s13, s12
	s_and_not1_b32 s71, s71, exec_lo
	s_and_not1_b32 s72, s72, exec_lo
	;; [unrolled: 1-line block ×3, first 2 shown]
	s_or_not1_b32 s12, s11, exec_lo
.LBB4_5:                                ;   in Loop: Header=BB4_6 Depth=1
	s_or_b32 exec_lo, exec_lo, s10
	s_delay_alu instid0(SALU_CYCLE_1) | instskip(NEXT) | instid1(SALU_CYCLE_1)
	s_and_b32 s10, exec_lo, s12
	s_or_b32 s47, s10, s47
	s_and_not1_b32 s10, s65, exec_lo
	s_and_b32 s11, s74, exec_lo
	s_and_not1_b32 s12, s69, exec_lo
	s_or_b32 s65, s10, s11
	s_and_b32 s10, s73, exec_lo
	s_and_not1_b32 s11, s66, exec_lo
	s_and_b32 s13, s71, exec_lo
	s_or_b32 s69, s12, s10
	s_or_b32 s66, s11, s13
	s_and_not1_b32 s10, s67, exec_lo
	s_and_b32 s11, s72, exec_lo
	s_and_not1_b32 s12, s62, exec_lo
	s_and_b32 s13, s70, exec_lo
	s_or_b32 s67, s10, s11
	s_or_b32 s62, s12, s13
	s_and_not1_b32 exec_lo, exec_lo, s47
	s_cbranch_execz .LBB4_387
.LBB4_6:                                ; =>This Loop Header: Depth=1
                                        ;     Child Loop BB4_11 Depth 2
                                        ;     Child Loop BB4_26 Depth 2
	;; [unrolled: 1-line block ×24, first 2 shown]
	ds_load_b64 v[1:2], v22 offset:4096
	s_waitcnt lgkmcnt(0)
	v_readfirstlane_b32 s75, v1
	s_delay_alu instid0(VALU_DEP_1)
	s_cmp_lg_u32 s75, 0
	s_cbranch_scc1 .LBB4_33
; %bb.7:                                ;   in Loop: Header=BB4_6 Depth=1
	s_and_b32 vcc_lo, exec_lo, s51
	s_cbranch_vccz .LBB4_19
; %bb.8:                                ;   in Loop: Header=BB4_6 Depth=1
	v_cmp_gt_u32_e32 vcc_lo, 0xc01, v2
	s_mov_b32 s75, 0
	s_mov_b32 s10, 0
	s_cbranch_vccz .LBB4_20
; %bb.9:                                ;   in Loop: Header=BB4_6 Depth=1
	global_load_u16 v1, v22, s[38:39]
	global_load_u8 v4, v[5:6], off
	v_mov_b32_e32 v27, v0
	s_mov_b32 s12, 0
	s_waitcnt vmcnt(1)
	v_add_nc_u32_e32 v2, v0, v1
	v_mul_lo_u32 v3, s34, v1
	s_delay_alu instid0(VALU_DEP_2)
	v_mul_lo_u32 v2, s34, v2
	s_branch .LBB4_11
.LBB4_10:                               ;   in Loop: Header=BB4_11 Depth=2
	s_or_b32 exec_lo, exec_lo, s11
	v_add_nc_u32_e32 v2, v2, v3
	v_mov_b32_e32 v4, v28
	s_and_not1_b32 exec_lo, exec_lo, s12
	s_cbranch_execz .LBB4_83
.LBB4_11:                               ;   Parent Loop BB4_6 Depth=1
                                        ; =>  This Inner Loop Header: Depth=2
	v_dual_mov_b32 v28, 0 :: v_dual_add_nc_u32 v27, v27, v1
	s_waitcnt lgkmcnt(0)
	v_mov_b32_e32 v29, 0
	s_mov_b32 s11, exec_lo
	s_delay_alu instid0(VALU_DEP_2)
	v_cmp_le_u32_e32 vcc_lo, s36, v27
	v_cmpx_gt_u32_e64 s36, v27
	s_cbranch_execz .LBB4_13
; %bb.12:                               ;   in Loop: Header=BB4_11 Depth=2
	global_load_u8 v28, v2, s[30:31]
.LBB4_13:                               ;   in Loop: Header=BB4_11 Depth=2
	s_or_b32 exec_lo, exec_lo, s11
	s_waitcnt vmcnt(0)
	v_and_b32_e32 v30, v4, v23
	s_delay_alu instid0(VALU_DEP_1) | instskip(NEXT) | instid1(VALU_DEP_1)
	v_and_b32_e32 v30, 0xff, v30
	v_cmp_eq_u32_e64 s10, v30, v24
	s_delay_alu instid0(VALU_DEP_1) | instskip(SKIP_1) | instid1(SALU_CYCLE_1)
	s_cmp_lg_u32 s10, 0
	s_cselect_b32 s11, -1, 0
	s_and_b32 s11, s2, s11
	s_delay_alu instid0(SALU_CYCLE_1)
	s_and_saveexec_b32 s13, s11
	s_cbranch_execz .LBB4_17
; %bb.14:                               ;   in Loop: Header=BB4_11 Depth=2
	s_mov_b32 s16, exec_lo
	s_bcnt1_i32_b32 s14, s10
	v_mbcnt_lo_u32_b32 v29, s16, 0
	s_mov_b32 s15, exec_lo
                                        ; implicit-def: $vgpr30
	s_delay_alu instid0(VALU_DEP_1)
	v_cmpx_eq_u32_e32 0, v29
	s_cbranch_execz .LBB4_16
; %bb.15:                               ;   in Loop: Header=BB4_11 Depth=2
	s_bcnt1_i32_b32 s11, s16
	s_delay_alu instid0(SALU_CYCLE_1) | instskip(NEXT) | instid1(SALU_CYCLE_1)
	s_mul_i32 s11, s14, s11
	v_mov_b32_e32 v30, s11
	ds_add_rtn_u32 v30, v22, v30 offset:4104
.LBB4_16:                               ;   in Loop: Header=BB4_11 Depth=2
	s_or_b32 exec_lo, exec_lo, s15
	s_waitcnt lgkmcnt(0)
	v_readfirstlane_b32 s11, v30
	s_delay_alu instid0(VALU_DEP_1)
	v_mad_u32_u24 v29, s14, v29, s11
.LBB4_17:                               ;   in Loop: Header=BB4_11 Depth=2
	s_or_b32 exec_lo, exec_lo, s13
	ds_bpermute_b32 v29, v22, v29
	s_and_b32 s11, exec_lo, vcc_lo
	s_delay_alu instid0(SALU_CYCLE_1)
	s_or_b32 s12, s11, s12
	s_and_saveexec_b32 s11, s10
	s_cbranch_execz .LBB4_10
; %bb.18:                               ;   in Loop: Header=BB4_11 Depth=2
	v_and_b32_e32 v30, s10, v11
	s_waitcnt lgkmcnt(0)
	s_delay_alu instid0(VALU_DEP_1)
	v_bcnt_u32_b32 v29, v30, v29
	ds_store_b8 v29, v4
	s_branch .LBB4_10
.LBB4_19:                               ;   in Loop: Header=BB4_6 Depth=1
	s_mov_b32 s75, -1
	s_mov_b32 s10, 0
.LBB4_20:                               ;   in Loop: Header=BB4_6 Depth=1
	s_and_b32 vcc_lo, exec_lo, s75
	s_cbranch_vccz .LBB4_31
.LBB4_21:                               ;   in Loop: Header=BB4_6 Depth=1
	v_mov_b32_e32 v1, 0
	s_and_saveexec_b32 s10, s4
	s_cbranch_execz .LBB4_23
; %bb.22:                               ;   in Loop: Header=BB4_6 Depth=1
	global_load_u8 v1, v[5:6], off
.LBB4_23:                               ;   in Loop: Header=BB4_6 Depth=1
	s_or_b32 exec_lo, exec_lo, s10
	s_and_saveexec_b32 s11, s4
	s_cbranch_execz .LBB4_28
; %bb.24:                               ;   in Loop: Header=BB4_6 Depth=1
	global_load_u16 v2, v22, s[38:39]
	v_mov_b32_e32 v27, v0
	s_mov_b32 s12, 0
	s_waitcnt vmcnt(0)
	v_add_nc_u32_e32 v3, v0, v2
	v_mul_lo_u32 v4, s34, v2
	s_delay_alu instid0(VALU_DEP_2)
	v_mul_lo_u32 v3, s34, v3
	s_branch .LBB4_26
	.p2align	6
.LBB4_25:                               ;   in Loop: Header=BB4_26 Depth=2
	s_or_b32 exec_lo, exec_lo, s13
	ds_store_b8 v27, v1
	v_add_nc_u32_e32 v3, v3, v4
	s_waitcnt vmcnt(0)
	v_mov_b32_e32 v1, v29
	v_mov_b32_e32 v27, v28
	s_and_b32 s10, exec_lo, vcc_lo
	s_delay_alu instid0(SALU_CYCLE_1) | instskip(NEXT) | instid1(SALU_CYCLE_1)
	s_or_b32 s12, s10, s12
	s_and_not1_b32 exec_lo, exec_lo, s12
	s_cbranch_execz .LBB4_28
.LBB4_26:                               ;   Parent Loop BB4_6 Depth=1
                                        ; =>  This Inner Loop Header: Depth=2
	v_dual_mov_b32 v29, 0 :: v_dual_add_nc_u32 v28, v27, v2
	s_mov_b32 s13, exec_lo
	s_delay_alu instid0(VALU_DEP_1)
	v_cmp_le_u32_e32 vcc_lo, s36, v28
	v_cmpx_gt_u32_e64 s36, v28
	s_cbranch_execz .LBB4_25
; %bb.27:                               ;   in Loop: Header=BB4_26 Depth=2
	global_load_u8 v29, v3, s[30:31]
	s_branch .LBB4_25
.LBB4_28:                               ;   in Loop: Header=BB4_6 Depth=1
	s_or_b32 exec_lo, exec_lo, s11
	s_waitcnt vmcnt(0) lgkmcnt(0)
	s_barrier
	buffer_gl0_inv
	s_and_saveexec_b32 s10, s5
	s_cbranch_execz .LBB4_30
; %bb.29:                               ;   in Loop: Header=BB4_6 Depth=1
	v_mov_b32_e32 v1, s36
	ds_store_b32 v22, v1 offset:4096
.LBB4_30:                               ;   in Loop: Header=BB4_6 Depth=1
	s_or_b32 exec_lo, exec_lo, s10
	s_mov_b32 s10, -1
	s_waitcnt lgkmcnt(0)
	s_barrier
                                        ; implicit-def: $sgpr75
.LBB4_31:                               ;   in Loop: Header=BB4_6 Depth=1
	s_and_b32 vcc_lo, exec_lo, s10
	s_cbranch_vccz .LBB4_33
; %bb.32:                               ;   in Loop: Header=BB4_6 Depth=1
	buffer_gl0_inv
	ds_load_b32 v1, v22 offset:4096
	s_waitcnt lgkmcnt(0)
	v_readfirstlane_b32 s75, v1
.LBB4_33:                               ;   in Loop: Header=BB4_6 Depth=1
	s_delay_alu instid0(VALU_DEP_1)
	s_cmp_lt_i32 s75, 1
	s_cbranch_scc0 .LBB4_37
; %bb.34:                               ;   in Loop: Header=BB4_6 Depth=1
	v_dual_mov_b32 v1, 0 :: v_dual_mov_b32 v2, 0
	v_dual_mov_b32 v3, 0 :: v_dual_mov_b32 v4, 0
	s_mov_b32 s77, 0
	s_and_saveexec_b32 s76, s7
	s_cbranch_execnz .LBB4_38
; %bb.35:                               ;   in Loop: Header=BB4_6 Depth=1
	s_or_b32 exec_lo, exec_lo, s76
	v_mov_b32_e32 v30, 0
	s_and_saveexec_b32 s10, s8
	s_cbranch_execnz .LBB4_41
.LBB4_36:                               ;   in Loop: Header=BB4_6 Depth=1
	s_or_b32 exec_lo, exec_lo, s10
	s_and_saveexec_b32 s14, s8
	s_cbranch_execnz .LBB4_42
	s_branch .LBB4_47
.LBB4_37:                               ;   in Loop: Header=BB4_6 Depth=1
                                        ; implicit-def: $vgpr4
	s_cbranch_execnz .LBB4_48
	s_branch .LBB4_57
.LBB4_38:                               ;   in Loop: Header=BB4_6 Depth=1
	v_mov_b32_e32 v27, v13
	s_and_b32 s78, s68, 0xfe
	s_mov_b32 s79, 0
	s_mov_b32 s80, 0
	;; [unrolled: 1-line block ×5, first 2 shown]
.LBB4_39:                               ;   Parent Loop BB4_6 Depth=1
                                        ; =>  This Inner Loop Header: Depth=2
	v_add_nc_u32_e32 v1, s79, v19
	v_add_nc_u32_e32 v2, s79, v9
	;; [unrolled: 1-line block ×5, first 2 shown]
	s_clause 0x3
	global_load_u8 v1, v1, s[30:31]
	global_load_u8 v2, v2, s[30:31]
	;; [unrolled: 1-line block ×4, first 2 shown]
	s_add_i32 s79, s79, s63
	v_cmp_le_u32_e32 vcc_lo, s60, v27
	s_waitcnt vmcnt(3)
	v_and_b32_e32 v28, v23, v1
	v_bfe_u32 v1, v1, s78, 2
	s_waitcnt vmcnt(2)
	v_and_b32_e32 v29, v23, v2
	v_bfe_u32 v2, v2, s78, 2
	;; [unrolled: 3-line block ×3, first 2 shown]
	v_cmp_eq_u32_e64 s10, v28, v24
	v_cmp_eq_u32_e64 s14, 0, v1
	s_waitcnt vmcnt(0)
	v_and_b32_e32 v31, v23, v4
	v_bfe_u32 v4, v4, s78, 2
	v_cmp_eq_u32_e64 s11, v29, v24
	v_cmp_eq_u32_e64 s15, 0, v2
	;; [unrolled: 1-line block ×4, first 2 shown]
	s_and_b32 s14, s10, s14
	v_cmp_eq_u32_e64 s13, v31, v24
	v_cmp_eq_u32_e64 s17, 0, v4
	;; [unrolled: 1-line block ×5, first 2 shown]
	v_cndmask_b32_e64 v1, 0, 1, s14
	s_and_b32 s14, s11, s15
	v_cmp_eq_u32_e64 s19, 1, v2
	v_cmp_eq_u32_e64 s23, 2, v2
	v_cmp_eq_u32_e64 s27, 3, v2
	v_cndmask_b32_e64 v2, 0, 1, s14
	s_and_b32 s14, s12, s16
	v_cmp_eq_u32_e64 s20, 1, v3
	v_cmp_eq_u32_e64 s24, 2, v3
	v_cmp_eq_u32_e64 s28, 3, v3
	;; [unrolled: 5-line block ×3, first 2 shown]
	v_cndmask_b32_e64 v4, 0, 1, s14
	s_and_b32 s14, s10, s18
	s_delay_alu instid0(SALU_CYCLE_1) | instskip(SKIP_1) | instid1(SALU_CYCLE_1)
	v_cndmask_b32_e64 v28, 0, 1, s14
	s_and_b32 s14, s11, s19
	v_cndmask_b32_e64 v29, 0, 1, s14
	s_and_b32 s14, s12, s20
	s_delay_alu instid0(SALU_CYCLE_1) | instskip(SKIP_1) | instid1(VALU_DEP_2)
	v_cndmask_b32_e64 v30, 0, 1, s14
	s_and_b32 s14, s13, s21
	v_cmp_ne_u32_e64 s15, 0, v29
	v_cndmask_b32_e64 v31, 0, 1, s14
	s_and_b32 s14, s10, s22
	s_and_b32 s10, s10, s26
	v_cndmask_b32_e64 v32, 0, 1, s14
	s_and_b32 s14, s11, s23
	v_cndmask_b32_e64 v36, 0, 1, s10
	;; [unrolled: 2-line block ×7, first 2 shown]
	v_cndmask_b32_e64 v39, 0, 1, s10
	v_cmp_ne_u32_e64 s10, 0, v1
	v_cmp_ne_u32_e64 s14, 0, v28
	;; [unrolled: 1-line block ×11, first 2 shown]
	s_bcnt1_i32_b32 s10, s10
	s_bcnt1_i32_b32 s14, s14
	;; [unrolled: 1-line block ×4, first 2 shown]
	v_cmp_ne_u32_e64 s13, 0, v4
	v_cmp_ne_u32_e64 s17, 0, v31
	;; [unrolled: 1-line block ×4, first 2 shown]
	s_bcnt1_i32_b32 s11, s11
	s_bcnt1_i32_b32 s15, s15
	s_bcnt1_i32_b32 s19, s19
	s_bcnt1_i32_b32 s23, s23
	s_add_i32 s10, s10, s83
	s_add_i32 s14, s14, s82
	s_add_i32 s18, s18, s81
	s_add_i32 s22, s22, s80
	s_bcnt1_i32_b32 s12, s12
	s_bcnt1_i32_b32 s16, s16
	s_bcnt1_i32_b32 s20, s20
	s_bcnt1_i32_b32 s24, s24
	s_add_i32 s10, s10, s11
	s_add_i32 s11, s14, s15
	s_add_i32 s14, s18, s19
	s_add_i32 s15, s22, s23
	;; [unrolled: 8-line block ×3, first 2 shown]
	s_add_i32 s83, s10, s13
	s_add_i32 s82, s11, s17
	;; [unrolled: 1-line block ×4, first 2 shown]
	v_mov_b32_e32 v3, s81
	v_dual_mov_b32 v1, s83 :: v_dual_mov_b32 v2, s82
	v_mov_b32_e32 v4, s80
	s_or_b32 s77, vcc_lo, s77
	s_delay_alu instid0(SALU_CYCLE_1)
	s_and_not1_b32 exec_lo, exec_lo, s77
	s_cbranch_execnz .LBB4_39
; %bb.40:                               ;   in Loop: Header=BB4_6 Depth=1
	s_or_b32 exec_lo, exec_lo, s77
	s_delay_alu instid0(SALU_CYCLE_1)
	s_or_b32 exec_lo, exec_lo, s76
	v_mov_b32_e32 v30, 0
	s_and_saveexec_b32 s10, s8
	s_cbranch_execz .LBB4_36
.LBB4_41:                               ;   in Loop: Header=BB4_6 Depth=1
	global_load_u8 v30, v[7:8], off
	s_or_b32 exec_lo, exec_lo, s10
	s_and_saveexec_b32 s14, s8
	s_cbranch_execz .LBB4_47
.LBB4_42:                               ;   in Loop: Header=BB4_6 Depth=1
	v_dual_mov_b32 v27, v20 :: v_dual_mov_b32 v28, v17
	s_and_b32 s16, s68, 0xfe
	s_mov_b32 s15, 0
	s_branch .LBB4_44
.LBB4_43:                               ;   in Loop: Header=BB4_44 Depth=2
	s_or_b32 exec_lo, exec_lo, s11
	s_waitcnt vmcnt(0)
	v_and_b32_e32 v30, 0xff, v30
	s_and_b32 s11, exec_lo, vcc_lo
	v_add_nc_u32_e32 v27, s35, v27
	s_or_b32 s15, s11, s15
	s_delay_alu instid0(VALU_DEP_2) | instskip(SKIP_1) | instid1(VALU_DEP_2)
	v_and_b32_e32 v31, v23, v30
	v_bfe_u32 v30, v30, s16, 2
	v_cmp_eq_u32_e32 vcc_lo, v31, v24
	s_delay_alu instid0(VALU_DEP_2) | instskip(SKIP_3) | instid1(VALU_DEP_4)
	v_cmp_eq_u32_e64 s10, 0, v30
	v_cmp_eq_u32_e64 s11, 1, v30
	;; [unrolled: 1-line block ×4, first 2 shown]
	s_and_b32 s10, vcc_lo, s10
	s_delay_alu instid0(SALU_CYCLE_1) | instskip(SKIP_1) | instid1(SALU_CYCLE_1)
	v_cndmask_b32_e64 v30, 0, 1, s10
	s_and_b32 s10, vcc_lo, s11
	v_cndmask_b32_e64 v31, 0, 1, s10
	s_and_b32 s10, vcc_lo, s12
	s_delay_alu instid0(SALU_CYCLE_1)
	v_cndmask_b32_e64 v32, 0, 1, s10
	s_and_b32 s10, vcc_lo, s13
	v_cmp_ne_u32_e32 vcc_lo, 0, v30
	v_mov_b32_e32 v30, v29
	v_cndmask_b32_e64 v33, 0, 1, s10
	v_cmp_ne_u32_e64 s10, 0, v31
	v_cmp_ne_u32_e64 s11, 0, v32
	s_bcnt1_i32_b32 s13, vcc_lo
	s_delay_alu instid0(VALU_DEP_3) | instskip(NEXT) | instid1(VALU_DEP_3)
	v_cmp_ne_u32_e64 s12, 0, v33
	s_bcnt1_i32_b32 s10, s10
	s_delay_alu instid0(VALU_DEP_2)
	s_bcnt1_i32_b32 s11, s11
	v_add_nc_u32_e32 v1, s13, v1
	v_add_nc_u32_e32 v2, s10, v2
	s_bcnt1_i32_b32 s12, s12
	v_add_nc_u32_e32 v3, s11, v3
	v_add_nc_u32_e32 v4, s12, v4
	s_and_not1_b32 exec_lo, exec_lo, s15
	s_cbranch_execz .LBB4_46
.LBB4_44:                               ;   Parent Loop BB4_6 Depth=1
                                        ; =>  This Inner Loop Header: Depth=2
	s_delay_alu instid0(VALU_DEP_1) | instskip(SKIP_1) | instid1(VALU_DEP_1)
	v_dual_mov_b32 v29, 0 :: v_dual_add_nc_u32 v28, s33, v28
	s_mov_b32 s11, exec_lo
	v_cmp_le_u32_e32 vcc_lo, s36, v28
	v_cmpx_gt_u32_e64 s36, v28
	s_cbranch_execz .LBB4_43
; %bb.45:                               ;   in Loop: Header=BB4_44 Depth=2
	global_load_u8 v29, v27, s[30:31]
	s_branch .LBB4_43
.LBB4_46:                               ;   in Loop: Header=BB4_6 Depth=1
	s_or_b32 exec_lo, exec_lo, s15
.LBB4_47:                               ;   in Loop: Header=BB4_6 Depth=1
	s_delay_alu instid0(SALU_CYCLE_1)
	s_or_b32 exec_lo, exec_lo, s14
	s_branch .LBB4_57
.LBB4_48:                               ;   in Loop: Header=BB4_6 Depth=1
	s_mul_hi_u32 s10, s75, s58
	v_dual_mov_b32 v1, 0 :: v_dual_mov_b32 v2, 0
	s_mul_i32 s10, s10, s50
	v_dual_mov_b32 v3, 0 :: v_dual_mov_b32 v4, 0
	s_sub_i32 s10, s75, s10
	s_mov_b32 s78, 0
	s_sub_i32 s11, s10, s50
	s_cmp_ge_u32 s10, s50
	s_mov_b32 s77, exec_lo
	s_cselect_b32 s10, s11, s10
	s_delay_alu instid0(SALU_CYCLE_1) | instskip(SKIP_2) | instid1(SALU_CYCLE_1)
	s_sub_i32 s11, s10, s50
	s_cmp_ge_u32 s10, s50
	s_cselect_b32 s10, s11, s10
	s_sub_i32 s76, s75, s10
	s_delay_alu instid0(SALU_CYCLE_1)
	v_cmpx_gt_u32_e64 s76, v13
	s_cbranch_execz .LBB4_52
; %bb.49:                               ;   in Loop: Header=BB4_6 Depth=1
	v_mov_b32_e32 v27, v13
	s_and_b32 s79, s68, 0xfe
	s_mov_b32 s80, 0
	s_mov_b32 s81, 0
	;; [unrolled: 1-line block ×4, first 2 shown]
.LBB4_50:                               ;   Parent Loop BB4_6 Depth=1
                                        ; =>  This Inner Loop Header: Depth=2
	ds_load_b32 v1, v27
	s_waitcnt lgkmcnt(0)
	v_and_b32_e32 v2, 0xff, v1
	v_bfe_u32 v3, v1, 8, 8
	v_bfe_u32 v4, v1, 16, 8
	v_lshrrev_b32_e32 v1, 24, v1
	s_delay_alu instid0(VALU_DEP_4)
	v_and_b32_e32 v28, v23, v2
	v_bfe_u32 v2, v2, s79, 2
	v_and_b32_e32 v29, v23, v3
	v_bfe_u32 v3, v3, s79, 2
	s_waitcnt vmcnt(0)
	v_and_b32_e32 v30, v23, v4
	v_bfe_u32 v4, v4, s79, 2
	v_cmp_eq_u32_e64 s10, v28, v24
	v_cmp_eq_u32_e64 s14, 0, v2
	v_and_b32_e32 v31, v23, v1
	v_bfe_u32 v1, v1, s79, 2
	v_cmp_eq_u32_e64 s11, v29, v24
	v_cmp_eq_u32_e64 s15, 0, v3
	v_cmp_eq_u32_e64 s12, v30, v24
	v_cmp_eq_u32_e64 s16, 0, v4
	s_and_b32 s14, s10, s14
	v_cmp_eq_u32_e64 s13, v31, v24
	v_cmp_eq_u32_e64 s17, 0, v1
	;; [unrolled: 1-line block ×5, first 2 shown]
	v_cndmask_b32_e64 v1, 0, 1, s14
	s_and_b32 s14, s11, s15
	v_cmp_eq_u32_e64 s18, 1, v2
	v_cmp_eq_u32_e64 s22, 2, v2
	v_cmp_eq_u32_e64 s26, 3, v2
	v_cndmask_b32_e64 v2, 0, 1, s14
	s_and_b32 s14, s12, s16
	v_cmp_eq_u32_e64 s19, 1, v3
	v_cmp_eq_u32_e64 s23, 2, v3
	v_cmp_eq_u32_e64 s27, 3, v3
	;; [unrolled: 5-line block ×3, first 2 shown]
	v_cndmask_b32_e64 v4, 0, 1, s14
	s_and_b32 s14, s10, s18
	s_delay_alu instid0(SALU_CYCLE_1) | instskip(SKIP_1) | instid1(SALU_CYCLE_1)
	v_cndmask_b32_e64 v28, 0, 1, s14
	s_and_b32 s14, s11, s19
	v_cndmask_b32_e64 v29, 0, 1, s14
	s_and_b32 s14, s12, s20
	s_delay_alu instid0(SALU_CYCLE_1) | instskip(SKIP_1) | instid1(VALU_DEP_2)
	v_cndmask_b32_e64 v30, 0, 1, s14
	s_and_b32 s14, s13, s21
	v_cmp_ne_u32_e64 s15, 0, v29
	v_cndmask_b32_e64 v31, 0, 1, s14
	s_and_b32 s14, s10, s22
	s_and_b32 s10, s10, s26
	v_cndmask_b32_e64 v32, 0, 1, s14
	s_and_b32 s14, s11, s23
	v_cndmask_b32_e64 v36, 0, 1, s10
	;; [unrolled: 2-line block ×7, first 2 shown]
	v_cndmask_b32_e64 v39, 0, 1, s10
	v_cmp_ne_u32_e64 s10, 0, v1
	v_cmp_ne_u32_e64 s14, 0, v28
	;; [unrolled: 1-line block ×6, first 2 shown]
	s_bcnt1_i32_b32 s10, s10
	s_bcnt1_i32_b32 s14, s14
	v_cmp_ne_u32_e64 s17, 0, v31
	v_cmp_ne_u32_e64 s19, 0, v33
	;; [unrolled: 1-line block ×3, first 2 shown]
	s_bcnt1_i32_b32 s11, s11
	s_bcnt1_i32_b32 s15, s15
	s_add_i32 s10, s10, s83
	s_add_i32 s14, s14, s82
	v_cmp_ne_u32_e64 s12, 0, v3
	v_cmp_ne_u32_e64 s20, 0, v34
	;; [unrolled: 1-line block ×3, first 2 shown]
	s_bcnt1_i32_b32 s16, s16
	s_add_i32 s10, s10, s11
	s_add_i32 s11, s14, s15
	s_bcnt1_i32_b32 s18, s18
	s_bcnt1_i32_b32 s22, s22
	v_cmp_ne_u32_e64 s13, 0, v4
	v_cmp_ne_u32_e64 s21, 0, v35
	;; [unrolled: 1-line block ×3, first 2 shown]
	s_bcnt1_i32_b32 s17, s17
	s_add_i32 s11, s11, s16
	s_bcnt1_i32_b32 s19, s19
	s_bcnt1_i32_b32 s23, s23
	s_add_i32 s18, s18, s81
	s_add_i32 s22, s22, s80
	;; [unrolled: 1-line block ×3, first 2 shown]
	s_delay_alu instid0(SALU_CYCLE_1)
	v_dual_mov_b32 v2, s82 :: v_dual_add_nc_u32 v27, s50, v27
	s_bcnt1_i32_b32 s12, s12
	s_bcnt1_i32_b32 s20, s20
	;; [unrolled: 1-line block ×3, first 2 shown]
	s_add_i32 s14, s18, s19
	s_add_i32 s15, s22, s23
	s_bcnt1_i32_b32 s13, s13
	s_bcnt1_i32_b32 s21, s21
	;; [unrolled: 1-line block ×3, first 2 shown]
	s_add_i32 s10, s10, s12
	s_add_i32 s12, s14, s20
	;; [unrolled: 1-line block ×3, first 2 shown]
	v_cmp_le_u32_e32 vcc_lo, s76, v27
	s_add_i32 s83, s10, s13
	s_add_i32 s81, s12, s21
	s_add_i32 s80, s14, s25
	v_mov_b32_e32 v1, s83
	v_dual_mov_b32 v3, s81 :: v_dual_mov_b32 v4, s80
	s_or_b32 s78, vcc_lo, s78
	s_delay_alu instid0(SALU_CYCLE_1)
	s_and_not1_b32 exec_lo, exec_lo, s78
	s_cbranch_execnz .LBB4_50
; %bb.51:                               ;   in Loop: Header=BB4_6 Depth=1
	s_or_b32 exec_lo, exec_lo, s78
.LBB4_52:                               ;   in Loop: Header=BB4_6 Depth=1
	s_delay_alu instid0(SALU_CYCLE_1) | instskip(SKIP_2) | instid1(VALU_DEP_1)
	s_or_b32 exec_lo, exec_lo, s77
	v_add_nc_u32_e32 v27, s76, v0
	s_mov_b32 s15, exec_lo
	v_cmpx_gt_u32_e64 s75, v27
	s_cbranch_execz .LBB4_56
; %bb.53:                               ;   in Loop: Header=BB4_6 Depth=1
	s_and_b32 s17, s68, 0xfe
	s_mov_b32 s16, 0
	s_set_inst_prefetch_distance 0x1
	.p2align	6
.LBB4_54:                               ;   Parent Loop BB4_6 Depth=1
                                        ; =>  This Inner Loop Header: Depth=2
	ds_load_u8 v28, v27
	v_add_nc_u32_e32 v27, s33, v27
	s_delay_alu instid0(VALU_DEP_1) | instskip(SKIP_3) | instid1(VALU_DEP_2)
	v_cmp_le_u32_e32 vcc_lo, s75, v27
	s_waitcnt lgkmcnt(0)
	v_and_b32_e32 v29, v23, v28
	v_bfe_u32 v28, v28, s17, 2
	v_cmp_eq_u32_e64 s10, v29, v24
	s_delay_alu instid0(VALU_DEP_2) | instskip(SKIP_3) | instid1(VALU_DEP_4)
	v_cmp_eq_u32_e64 s11, 0, v28
	v_cmp_eq_u32_e64 s12, 1, v28
	;; [unrolled: 1-line block ×4, first 2 shown]
	s_and_b32 s11, s10, s11
	s_delay_alu instid0(SALU_CYCLE_1) | instskip(SKIP_1) | instid1(SALU_CYCLE_1)
	v_cndmask_b32_e64 v28, 0, 1, s11
	s_and_b32 s11, s10, s12
	v_cndmask_b32_e64 v29, 0, 1, s11
	s_and_b32 s11, s10, s13
	s_and_b32 s10, s10, s14
	s_waitcnt vmcnt(0)
	v_cndmask_b32_e64 v30, 0, 1, s11
	v_cndmask_b32_e64 v31, 0, 1, s10
	v_cmp_ne_u32_e64 s10, 0, v28
	v_cmp_ne_u32_e64 s11, 0, v29
	s_delay_alu instid0(VALU_DEP_4) | instskip(NEXT) | instid1(VALU_DEP_4)
	v_cmp_ne_u32_e64 s12, 0, v30
	v_cmp_ne_u32_e64 s13, 0, v31
	s_delay_alu instid0(VALU_DEP_4) | instskip(NEXT) | instid1(VALU_DEP_3)
	s_bcnt1_i32_b32 s10, s10
	s_bcnt1_i32_b32 s11, s11
	v_add_nc_u32_e32 v1, s10, v1
	s_bcnt1_i32_b32 s12, s12
	s_bcnt1_i32_b32 s13, s13
	v_add_nc_u32_e32 v2, s11, v2
	v_add_nc_u32_e32 v3, s12, v3
	;; [unrolled: 1-line block ×3, first 2 shown]
	s_or_b32 s16, vcc_lo, s16
	s_delay_alu instid0(SALU_CYCLE_1)
	s_and_not1_b32 exec_lo, exec_lo, s16
	s_cbranch_execnz .LBB4_54
; %bb.55:                               ;   in Loop: Header=BB4_6 Depth=1
	s_set_inst_prefetch_distance 0x2
	s_or_b32 exec_lo, exec_lo, s16
.LBB4_56:                               ;   in Loop: Header=BB4_6 Depth=1
	s_delay_alu instid0(SALU_CYCLE_1)
	s_or_b32 exec_lo, exec_lo, s15
.LBB4_57:                               ;   in Loop: Header=BB4_6 Depth=1
	s_lshl_b32 s10, s64, 7
	s_and_saveexec_b32 s11, s2
	s_cbranch_execz .LBB4_59
; %bb.58:                               ;   in Loop: Header=BB4_6 Depth=1
	v_or_b32_e32 v27, s10, v16
	s_delay_alu instid0(VALU_DEP_1)
	v_lshlrev_b32_e32 v27, 2, v27
	ds_store_b128 v27, v[1:4] offset:3072
.LBB4_59:                               ;   in Loop: Header=BB4_6 Depth=1
	s_or_b32 exec_lo, exec_lo, s11
	s_waitcnt vmcnt(0) lgkmcnt(0)
	s_barrier
	buffer_gl0_inv
	s_and_saveexec_b32 s11, s49
	s_cbranch_execz .LBB4_69
; %bb.60:                               ;   in Loop: Header=BB4_6 Depth=1
	v_mov_b32_e32 v1, 0
	s_and_not1_b32 vcc_lo, exec_lo, s52
	s_cbranch_vccnz .LBB4_68
; %bb.61:                               ;   in Loop: Header=BB4_6 Depth=1
	v_mov_b32_e32 v1, 0
	s_and_not1_b32 vcc_lo, exec_lo, s55
	s_mov_b32 s12, 0
	s_cbranch_vccnz .LBB4_65
; %bb.62:                               ;   in Loop: Header=BB4_6 Depth=1
	v_lshl_add_u32 v2, s64, 9, v21
	v_mov_b32_e32 v1, 0
	.p2align	6
.LBB4_63:                               ;   Parent Loop BB4_6 Depth=1
                                        ; =>  This Inner Loop Header: Depth=2
	ds_load_2addr_b32 v[3:4], v2 offset1:4
	ds_load_2addr_b32 v[27:28], v2 offset0:8 offset1:12
	ds_load_2addr_b32 v[29:30], v2 offset0:16 offset1:20
	;; [unrolled: 1-line block ×3, first 2 shown]
	v_add_nc_u32_e32 v2, 0x80, v2
	s_add_i32 s12, s12, 8
	s_delay_alu instid0(SALU_CYCLE_1) | instskip(SKIP_3) | instid1(VALU_DEP_1)
	s_cmp_eq_u32 s56, s12
	s_waitcnt lgkmcnt(3)
	v_add3_u32 v1, v3, v1, v4
	s_waitcnt lgkmcnt(2)
	v_add3_u32 v1, v27, v1, v28
	s_waitcnt lgkmcnt(1)
	s_delay_alu instid0(VALU_DEP_1) | instskip(SKIP_1) | instid1(VALU_DEP_1)
	v_add3_u32 v1, v29, v1, v30
	s_waitcnt lgkmcnt(0)
	v_add3_u32 v1, v31, v1, v32
	s_cbranch_scc0 .LBB4_63
; %bb.64:                               ;   in Loop: Header=BB4_6 Depth=1
	s_mov_b32 s12, s56
.LBB4_65:                               ;   in Loop: Header=BB4_6 Depth=1
	s_and_not1_b32 vcc_lo, exec_lo, s57
	s_cbranch_vccnz .LBB4_68
; %bb.66:                               ;   in Loop: Header=BB4_6 Depth=1
	s_lshl_b32 s13, s64, 9
	s_lshl_b32 s12, s12, 4
	s_delay_alu instid0(SALU_CYCLE_1)
	v_add3_u32 v2, s13, s12, v21
	s_mov_b32 s12, s54
.LBB4_67:                               ;   Parent Loop BB4_6 Depth=1
                                        ; =>  This Inner Loop Header: Depth=2
	ds_load_b32 v3, v2
	v_add_nc_u32_e32 v2, 16, v2
	s_add_i32 s12, s12, -1
	s_delay_alu instid0(SALU_CYCLE_1)
	s_cmp_lg_u32 s12, 0
	s_waitcnt lgkmcnt(0)
	v_add_nc_u32_e32 v1, v3, v1
	s_cbranch_scc1 .LBB4_67
.LBB4_68:                               ;   in Loop: Header=BB4_6 Depth=1
	v_add_lshl_u32 v2, s10, v12, 2
	ds_store_b32 v2, v1 offset:3072
.LBB4_69:                               ;   in Loop: Header=BB4_6 Depth=1
	s_or_b32 exec_lo, exec_lo, s11
	s_lshl_b32 s10, s10, 2
	s_waitcnt lgkmcnt(0)
	v_mov_b32_e32 v1, s10
	s_barrier
	buffer_gl0_inv
	s_and_b32 s17, s68, 0xfe
	v_cmp_eq_u32_e64 s10, 1, v26
	ds_load_b128 v[1:4], v1 offset:3072
	s_lshl_b32 s13, 3, s17
	s_and_not1_b32 vcc_lo, exec_lo, s48
	s_not_b32 s14, s13
	s_waitcnt lgkmcnt(0)
	v_readfirstlane_b32 s12, v1
	v_readfirstlane_b32 s16, v2
	;; [unrolled: 1-line block ×4, first 2 shown]
	s_cbranch_vccnz .LBB4_81
; %bb.70:                               ;   in Loop: Header=BB4_6 Depth=1
	s_cmp_eq_u32 s12, 1
	v_dual_mov_b32 v1, v24 :: v_dual_mov_b32 v2, v23
	v_mov_b32_e32 v3, v25
	s_cselect_b32 s11, -1, 0
	s_mov_b32 s26, -1
	s_and_b32 s25, s11, s10
                                        ; implicit-def: $sgpr15
                                        ; implicit-def: $sgpr22
                                        ; implicit-def: $sgpr21
	s_delay_alu instid0(SALU_CYCLE_1)
	s_and_saveexec_b32 s20, s25
	s_cbranch_execz .LBB4_99
; %bb.71:                               ;   in Loop: Header=BB4_6 Depth=1
	ds_load_b32 v1, v22 offset:4096
	s_waitcnt lgkmcnt(0)
	s_barrier
	buffer_gl0_inv
	v_readfirstlane_b32 s15, v1
	s_and_saveexec_b32 s11, s6
	s_cbranch_execz .LBB4_73
; %bb.72:                               ;   in Loop: Header=BB4_6 Depth=1
	ds_store_b8 v0, v15 offset:3072
.LBB4_73:                               ;   in Loop: Header=BB4_6 Depth=1
	s_or_b32 exec_lo, exec_lo, s11
	v_and_b32_e32 v1, s14, v24
	v_or_b32_e32 v2, s13, v23
	s_cmp_eq_u32 s15, 0
	s_waitcnt lgkmcnt(0)
	s_barrier
	buffer_gl0_inv
	s_cbranch_scc1 .LBB4_86
; %bb.74:                               ;   in Loop: Header=BB4_6 Depth=1
	s_add_i32 s11, s15, s53
                                        ; implicit-def: $vgpr3
	s_delay_alu instid0(SALU_CYCLE_1) | instskip(NEXT) | instid1(SALU_CYCLE_1)
	s_mul_hi_u32 s21, s11, s59
	s_mul_i32 s21, s21, s33
	s_delay_alu instid0(SALU_CYCLE_1) | instskip(NEXT) | instid1(SALU_CYCLE_1)
	s_sub_i32 s21, s11, s21
	s_sub_i32 s22, s21, s33
	s_cmp_ge_u32 s21, s33
	s_cselect_b32 s21, s22, s21
	s_delay_alu instid0(SALU_CYCLE_1) | instskip(SKIP_2) | instid1(SALU_CYCLE_1)
	s_sub_i32 s22, s21, s33
	s_cmp_ge_u32 s21, s33
	s_cselect_b32 s21, s22, s21
	s_sub_i32 s22, s11, s21
	s_mov_b32 s11, 0
	s_mov_b32 s21, exec_lo
	v_cmpx_gt_u32_e64 s22, v0
	s_cbranch_execz .LBB4_88
; %bb.75:                               ;   in Loop: Header=BB4_6 Depth=1
	v_mov_b32_e32 v3, v0
	s_mov_b32 s23, 0
                                        ; implicit-def: $sgpr24
	s_set_inst_prefetch_distance 0x1
	s_branch .LBB4_77
	.p2align	6
.LBB4_76:                               ;   in Loop: Header=BB4_77 Depth=2
	s_or_b32 exec_lo, exec_lo, s11
	s_waitcnt lgkmcnt(0)
	s_barrier
	buffer_gl0_inv
	ds_load_u16 v4, v22 offset:3072
	v_add_nc_u32_e32 v3, s33, v3
	s_waitcnt lgkmcnt(0)
	s_barrier
	buffer_gl0_inv
	v_cmp_le_u32_e32 vcc_lo, s22, v3
	v_and_b32_e32 v27, 0xff, v4
	s_delay_alu instid0(VALU_DEP_1) | instskip(NEXT) | instid1(VALU_DEP_1)
	v_cmp_ne_u16_e64 s11, 0, v27
	s_or_b32 s26, vcc_lo, s11
	s_delay_alu instid0(SALU_CYCLE_1) | instskip(NEXT) | instid1(SALU_CYCLE_1)
	s_and_b32 s26, exec_lo, s26
	s_or_b32 s23, s26, s23
	s_and_not1_b32 s24, s24, exec_lo
	s_and_b32 s11, s11, exec_lo
	s_delay_alu instid0(SALU_CYCLE_1)
	s_or_b32 s24, s24, s11
	s_and_not1_b32 exec_lo, exec_lo, s23
	s_cbranch_execz .LBB4_87
.LBB4_77:                               ;   Parent Loop BB4_6 Depth=1
                                        ; =>  This Inner Loop Header: Depth=2
	s_delay_alu instid0(VALU_DEP_1)
	v_cmp_gt_u32_e32 vcc_lo, s15, v3
	v_mov_b32_e32 v4, 0
	s_and_saveexec_b32 s11, vcc_lo
	s_cbranch_execz .LBB4_79
; %bb.78:                               ;   in Loop: Header=BB4_77 Depth=2
	ds_load_u8 v4, v3
.LBB4_79:                               ;   in Loop: Header=BB4_77 Depth=2
	s_or_b32 exec_lo, exec_lo, s11
	s_waitcnt lgkmcnt(0)
	v_and_b32_e32 v27, v4, v2
	s_delay_alu instid0(VALU_DEP_1) | instskip(NEXT) | instid1(VALU_DEP_1)
	v_and_b32_e32 v27, 0xff, v27
	v_cmp_eq_u32_e64 s11, v27, v1
	s_delay_alu instid0(VALU_DEP_1) | instskip(NEXT) | instid1(SALU_CYCLE_1)
	s_and_b32 s26, vcc_lo, s11
	s_and_saveexec_b32 s11, s26
	s_cbranch_execz .LBB4_76
; %bb.80:                               ;   in Loop: Header=BB4_77 Depth=2
	v_lshlrev_b16 v4, 8, v4
	s_delay_alu instid0(VALU_DEP_1)
	v_or_b32_e32 v4, 1, v4
	ds_store_b16 v22, v4 offset:3072
	s_branch .LBB4_76
.LBB4_81:                               ;   in Loop: Header=BB4_6 Depth=1
	s_mov_b32 s20, 0
	s_mov_b32 s11, 0
                                        ; implicit-def: $sgpr21
                                        ; implicit-def: $sgpr22
                                        ; implicit-def: $sgpr15
                                        ; implicit-def: $vgpr27
                                        ; implicit-def: $vgpr4
                                        ; implicit-def: $vgpr1
                                        ; implicit-def: $vgpr2
                                        ; implicit-def: $vgpr3
	s_cbranch_execnz .LBB4_229
.LBB4_82:                               ;   in Loop: Header=BB4_6 Depth=1
	s_mov_b32 s23, s15
	s_mov_b32 s24, s15
	s_and_saveexec_b32 s10, s20
	s_cbranch_execnz .LBB4_383
	s_branch .LBB4_384
.LBB4_83:                               ;   in Loop: Header=BB4_6 Depth=1
	s_or_b32 exec_lo, exec_lo, s12
	s_waitcnt lgkmcnt(0)
	s_barrier
	buffer_gl0_inv
	s_and_saveexec_b32 s10, s5
	s_cbranch_execz .LBB4_85
; %bb.84:                               ;   in Loop: Header=BB4_6 Depth=1
	ds_load_b32 v1, v22 offset:4104
	s_waitcnt lgkmcnt(0)
	ds_store_b32 v22, v1 offset:4096
.LBB4_85:                               ;   in Loop: Header=BB4_6 Depth=1
	s_or_b32 exec_lo, exec_lo, s10
	s_waitcnt lgkmcnt(0)
	s_mov_b32 s10, -1
	s_barrier
	s_and_b32 vcc_lo, exec_lo, s75
	s_cbranch_vccnz .LBB4_21
	s_branch .LBB4_31
.LBB4_86:                               ;   in Loop: Header=BB4_6 Depth=1
	s_mov_b32 s15, -1
	s_mov_b32 s11, 0
                                        ; implicit-def: $sgpr21
                                        ; implicit-def: $vgpr3
	s_mov_b32 s22, s15
	s_cbranch_execnz .LBB4_89
	s_branch .LBB4_98
.LBB4_87:                               ;   in Loop: Header=BB4_6 Depth=1
	s_set_inst_prefetch_distance 0x2
	s_or_b32 exec_lo, exec_lo, s23
	v_lshrrev_b16 v3, 8, v4
	s_and_b32 s11, s24, exec_lo
.LBB4_88:                               ;   in Loop: Header=BB4_6 Depth=1
	s_or_b32 exec_lo, exec_lo, s21
	s_mov_b32 s21, -1
	s_mov_b32 s15, 0
	s_delay_alu instid0(SALU_CYCLE_1)
	s_mov_b32 s22, s15
	s_branch .LBB4_98
.LBB4_89:                               ;   in Loop: Header=BB4_6 Depth=1
	s_mov_b32 s11, 0
                                        ; implicit-def: $vgpr3
	s_and_saveexec_b32 s15, s9
	s_cbranch_execz .LBB4_97
; %bb.90:                               ;   in Loop: Header=BB4_6 Depth=1
	v_dual_mov_b32 v3, v14 :: v_dual_mov_b32 v4, v0
	s_mov_b32 s21, 0
                                        ; implicit-def: $sgpr22
	s_set_inst_prefetch_distance 0x1
	s_branch .LBB4_92
	.p2align	6
.LBB4_91:                               ;   in Loop: Header=BB4_92 Depth=2
	s_or_b32 exec_lo, exec_lo, s11
	s_waitcnt lgkmcnt(0)
	s_barrier
	buffer_gl0_inv
	ds_load_u16 v27, v22 offset:3072
	v_add_nc_u32_e32 v4, s33, v4
	v_add_nc_u32_e32 v3, s35, v3
	s_waitcnt lgkmcnt(0)
	s_barrier
	buffer_gl0_inv
	v_cmp_le_u32_e32 vcc_lo, s61, v4
	v_and_b32_e32 v28, 0xff, v27
	s_delay_alu instid0(VALU_DEP_1) | instskip(NEXT) | instid1(VALU_DEP_1)
	v_cmp_ne_u16_e64 s11, 0, v28
	s_or_b32 s23, vcc_lo, s11
	s_delay_alu instid0(SALU_CYCLE_1) | instskip(NEXT) | instid1(SALU_CYCLE_1)
	s_and_b32 s23, exec_lo, s23
	s_or_b32 s21, s23, s21
	s_and_not1_b32 s22, s22, exec_lo
	s_and_b32 s11, s11, exec_lo
	s_delay_alu instid0(SALU_CYCLE_1)
	s_or_b32 s22, s22, s11
	s_and_not1_b32 exec_lo, exec_lo, s21
	s_cbranch_execz .LBB4_96
.LBB4_92:                               ;   Parent Loop BB4_6 Depth=1
                                        ; =>  This Inner Loop Header: Depth=2
	s_delay_alu instid0(VALU_DEP_1)
	v_cmp_gt_u32_e32 vcc_lo, s36, v4
	v_mov_b32_e32 v27, 0
	s_and_saveexec_b32 s11, vcc_lo
	s_cbranch_execz .LBB4_94
; %bb.93:                               ;   in Loop: Header=BB4_92 Depth=2
	global_load_u8 v27, v3, s[30:31]
.LBB4_94:                               ;   in Loop: Header=BB4_92 Depth=2
	s_or_b32 exec_lo, exec_lo, s11
	s_waitcnt vmcnt(0)
	v_and_b32_e32 v28, v27, v2
	s_delay_alu instid0(VALU_DEP_1) | instskip(NEXT) | instid1(VALU_DEP_1)
	v_and_b32_e32 v28, 0xff, v28
	v_cmp_eq_u32_e64 s11, v28, v1
	s_delay_alu instid0(VALU_DEP_1) | instskip(NEXT) | instid1(SALU_CYCLE_1)
	s_and_b32 s23, vcc_lo, s11
	s_and_saveexec_b32 s11, s23
	s_cbranch_execz .LBB4_91
; %bb.95:                               ;   in Loop: Header=BB4_92 Depth=2
	v_lshlrev_b16 v27, 8, v27
	s_delay_alu instid0(VALU_DEP_1)
	v_or_b32_e32 v27, 1, v27
	ds_store_b16 v22, v27 offset:3072
	s_branch .LBB4_91
.LBB4_96:                               ;   in Loop: Header=BB4_6 Depth=1
	s_set_inst_prefetch_distance 0x2
	s_or_b32 exec_lo, exec_lo, s21
	v_lshrrev_b16 v3, 8, v27
	s_and_b32 s11, s22, exec_lo
.LBB4_97:                               ;   in Loop: Header=BB4_6 Depth=1
	s_or_b32 exec_lo, exec_lo, s15
	s_mov_b32 s22, -1
	s_mov_b32 s15, 0
	s_mov_b32 s21, 0
.LBB4_98:                               ;   in Loop: Header=BB4_6 Depth=1
	s_or_not1_b32 s26, s11, exec_lo
.LBB4_99:                               ;   in Loop: Header=BB4_6 Depth=1
	s_or_b32 exec_lo, exec_lo, s20
	s_mov_b32 s23, 0
	s_mov_b32 s20, 0
	;; [unrolled: 1-line block ×3, first 2 shown]
                                        ; implicit-def: $vgpr27
                                        ; implicit-def: $vgpr4
	s_and_saveexec_b32 s24, s26
	s_cbranch_execz .LBB4_228
; %bb.100:                              ;   in Loop: Header=BB4_6 Depth=1
	v_dual_mov_b32 v4, 1 :: v_dual_mov_b32 v27, 1
	s_xor_b32 s25, s25, -1
	s_delay_alu instid0(SALU_CYCLE_1)
	s_and_saveexec_b32 s11, s25
	s_cbranch_execz .LBB4_110
; %bb.101:                              ;   in Loop: Header=BB4_6 Depth=1
	s_mov_b32 s25, exec_lo
                                        ; implicit-def: $sgpr26
                                        ; implicit-def: $sgpr20
	v_cmpx_ge_u32_e64 s12, v26
	s_xor_b32 s25, exec_lo, s25
	s_cbranch_execz .LBB4_107
; %bb.102:                              ;   in Loop: Header=BB4_6 Depth=1
	ds_load_b32 v4, v22 offset:4096
	s_waitcnt lgkmcnt(0)
	v_cmp_ne_u32_e32 vcc_lo, 0, v4
	s_cbranch_vccnz .LBB4_106
; %bb.103:                              ;   in Loop: Header=BB4_6 Depth=1
	s_and_saveexec_b32 s20, s5
	s_cbranch_execz .LBB4_105
; %bb.104:                              ;   in Loop: Header=BB4_6 Depth=1
	v_mov_b32_e32 v4, s12
	ds_store_b32 v22, v4 offset:4100
.LBB4_105:                              ;   in Loop: Header=BB4_6 Depth=1
	s_or_b32 exec_lo, exec_lo, s20
	s_waitcnt lgkmcnt(0)
	s_barrier
	buffer_gl0_inv
.LBB4_106:                              ;   in Loop: Header=BB4_6 Depth=1
	v_and_b32_e32 v1, s14, v1
	v_or_b32_e32 v2, s13, v2
	s_mov_b32 s20, 0
	s_mov_b32 s26, 8
.LBB4_107:                              ;   in Loop: Header=BB4_6 Depth=1
	s_or_saveexec_b32 s25, s25
	v_dual_mov_b32 v27, s26 :: v_dual_mov_b32 v4, v26
	s_xor_b32 exec_lo, exec_lo, s25
; %bb.108:                              ;   in Loop: Header=BB4_6 Depth=1
	v_subrev_nc_u32_e32 v4, s12, v26
	v_mov_b32_e32 v27, 0
	s_or_b32 s20, s20, exec_lo
; %bb.109:                              ;   in Loop: Header=BB4_6 Depth=1
	s_or_b32 exec_lo, exec_lo, s25
	s_delay_alu instid0(SALU_CYCLE_1)
	s_and_b32 s20, s20, exec_lo
.LBB4_110:                              ;   in Loop: Header=BB4_6 Depth=1
	s_or_b32 exec_lo, exec_lo, s11
	s_mov_b32 s11, -1
                                        ; implicit-def: $sgpr25
                                        ; implicit-def: $sgpr27
                                        ; implicit-def: $sgpr28
	s_and_saveexec_b32 s26, s20
	s_delay_alu instid0(SALU_CYCLE_1)
	s_xor_b32 s20, exec_lo, s26
	s_cbranch_execz .LBB4_225
; %bb.111:                              ;   in Loop: Header=BB4_6 Depth=1
	v_cmp_eq_u32_e32 vcc_lo, 1, v4
	s_cmp_eq_u32 s16, 1
                                        ; implicit-def: $sgpr25
                                        ; implicit-def: $sgpr27
                                        ; implicit-def: $sgpr26
	s_cselect_b32 s11, -1, 0
	s_delay_alu instid0(SALU_CYCLE_1)
	s_and_b32 s29, s11, vcc_lo
	s_mov_b32 s11, -1
	s_and_saveexec_b32 s28, s29
	s_cbranch_execz .LBB4_135
; %bb.112:                              ;   in Loop: Header=BB4_6 Depth=1
	ds_load_b32 v3, v22 offset:4096
	s_waitcnt lgkmcnt(0)
	s_barrier
	buffer_gl0_inv
	v_readfirstlane_b32 s25, v3
	s_and_saveexec_b32 s11, s6
	s_cbranch_execz .LBB4_114
; %bb.113:                              ;   in Loop: Header=BB4_6 Depth=1
	ds_store_b8 v0, v15 offset:3072
.LBB4_114:                              ;   in Loop: Header=BB4_6 Depth=1
	s_or_b32 exec_lo, exec_lo, s11
	s_lshl_b32 s11, 1, s17
	v_or_b32_e32 v2, s13, v2
	v_and_or_b32 v1, v1, s14, s11
	s_cmp_eq_u32 s25, 0
	s_waitcnt lgkmcnt(0)
	s_barrier
	buffer_gl0_inv
	s_cbranch_scc1 .LBB4_122
; %bb.115:                              ;   in Loop: Header=BB4_6 Depth=1
	s_add_i32 s11, s25, s53
                                        ; implicit-def: $vgpr3
	s_delay_alu instid0(SALU_CYCLE_1) | instskip(NEXT) | instid1(SALU_CYCLE_1)
	s_mul_hi_u32 s26, s11, s59
	s_mul_i32 s26, s26, s33
	s_delay_alu instid0(SALU_CYCLE_1) | instskip(NEXT) | instid1(SALU_CYCLE_1)
	s_sub_i32 s26, s11, s26
	s_sub_i32 s27, s26, s33
	s_cmp_ge_u32 s26, s33
	s_cselect_b32 s26, s27, s26
	s_delay_alu instid0(SALU_CYCLE_1) | instskip(SKIP_2) | instid1(SALU_CYCLE_1)
	s_sub_i32 s27, s26, s33
	s_cmp_ge_u32 s26, s33
	s_cselect_b32 s26, s27, s26
	s_sub_i32 s27, s11, s26
	s_mov_b32 s11, 0
	s_mov_b32 s26, exec_lo
	v_cmpx_gt_u32_e64 s27, v0
	s_cbranch_execz .LBB4_124
; %bb.116:                              ;   in Loop: Header=BB4_6 Depth=1
	v_mov_b32_e32 v3, v0
	s_mov_b32 s75, 0
                                        ; implicit-def: $sgpr76
	s_set_inst_prefetch_distance 0x1
	s_branch .LBB4_118
	.p2align	6
.LBB4_117:                              ;   in Loop: Header=BB4_118 Depth=2
	s_or_b32 exec_lo, exec_lo, s11
	s_waitcnt lgkmcnt(0)
	s_barrier
	buffer_gl0_inv
	ds_load_u16 v27, v22 offset:3072
	v_add_nc_u32_e32 v3, s33, v3
	s_waitcnt lgkmcnt(0)
	s_barrier
	buffer_gl0_inv
	v_cmp_le_u32_e32 vcc_lo, s27, v3
	v_and_b32_e32 v28, 0xff, v27
	s_delay_alu instid0(VALU_DEP_1) | instskip(NEXT) | instid1(VALU_DEP_1)
	v_cmp_ne_u16_e64 s11, 0, v28
	s_or_b32 s77, vcc_lo, s11
	s_delay_alu instid0(SALU_CYCLE_1) | instskip(NEXT) | instid1(SALU_CYCLE_1)
	s_and_b32 s77, exec_lo, s77
	s_or_b32 s75, s77, s75
	s_and_not1_b32 s76, s76, exec_lo
	s_and_b32 s11, s11, exec_lo
	s_delay_alu instid0(SALU_CYCLE_1)
	s_or_b32 s76, s76, s11
	s_and_not1_b32 exec_lo, exec_lo, s75
	s_cbranch_execz .LBB4_123
.LBB4_118:                              ;   Parent Loop BB4_6 Depth=1
                                        ; =>  This Inner Loop Header: Depth=2
	s_delay_alu instid0(VALU_DEP_1)
	v_cmp_gt_u32_e32 vcc_lo, s25, v3
	v_mov_b32_e32 v27, 0
	s_and_saveexec_b32 s11, vcc_lo
	s_cbranch_execz .LBB4_120
; %bb.119:                              ;   in Loop: Header=BB4_118 Depth=2
	ds_load_u8 v27, v3
.LBB4_120:                              ;   in Loop: Header=BB4_118 Depth=2
	s_or_b32 exec_lo, exec_lo, s11
	s_waitcnt lgkmcnt(0)
	v_and_b32_e32 v28, v27, v2
	s_delay_alu instid0(VALU_DEP_1) | instskip(NEXT) | instid1(VALU_DEP_1)
	v_and_b32_e32 v28, 0xff, v28
	v_cmp_eq_u32_e64 s11, v28, v1
	s_delay_alu instid0(VALU_DEP_1) | instskip(NEXT) | instid1(SALU_CYCLE_1)
	s_and_b32 s77, vcc_lo, s11
	s_and_saveexec_b32 s11, s77
	s_cbranch_execz .LBB4_117
; %bb.121:                              ;   in Loop: Header=BB4_118 Depth=2
	v_lshlrev_b16 v27, 8, v27
	s_delay_alu instid0(VALU_DEP_1)
	v_or_b32_e32 v27, 1, v27
	ds_store_b16 v22, v27 offset:3072
	s_branch .LBB4_117
.LBB4_122:                              ;   in Loop: Header=BB4_6 Depth=1
	s_mov_b32 s25, -1
	s_mov_b32 s11, 0
                                        ; implicit-def: $sgpr26
                                        ; implicit-def: $vgpr3
	s_mov_b32 s27, s25
	s_cbranch_execnz .LBB4_125
	s_branch .LBB4_134
.LBB4_123:                              ;   in Loop: Header=BB4_6 Depth=1
	s_set_inst_prefetch_distance 0x2
	s_or_b32 exec_lo, exec_lo, s75
	v_lshrrev_b16 v3, 8, v27
	s_and_b32 s11, s76, exec_lo
.LBB4_124:                              ;   in Loop: Header=BB4_6 Depth=1
	s_or_b32 exec_lo, exec_lo, s26
	s_mov_b32 s26, -1
	s_mov_b32 s25, 0
	s_delay_alu instid0(SALU_CYCLE_1)
	s_mov_b32 s27, s25
	s_branch .LBB4_134
.LBB4_125:                              ;   in Loop: Header=BB4_6 Depth=1
	s_mov_b32 s11, 0
                                        ; implicit-def: $vgpr3
	s_and_saveexec_b32 s25, s9
	s_cbranch_execz .LBB4_133
; %bb.126:                              ;   in Loop: Header=BB4_6 Depth=1
	v_mov_b32_e32 v3, v14
	v_mov_b32_e32 v27, v0
	s_mov_b32 s26, 0
                                        ; implicit-def: $sgpr27
	s_set_inst_prefetch_distance 0x1
	s_branch .LBB4_128
	.p2align	6
.LBB4_127:                              ;   in Loop: Header=BB4_128 Depth=2
	s_or_b32 exec_lo, exec_lo, s11
	s_waitcnt lgkmcnt(0)
	s_barrier
	buffer_gl0_inv
	ds_load_u16 v28, v22 offset:3072
	v_add_nc_u32_e32 v27, s33, v27
	v_add_nc_u32_e32 v3, s35, v3
	s_waitcnt lgkmcnt(0)
	s_barrier
	buffer_gl0_inv
	v_cmp_le_u32_e32 vcc_lo, s61, v27
	v_and_b32_e32 v29, 0xff, v28
	s_delay_alu instid0(VALU_DEP_1) | instskip(NEXT) | instid1(VALU_DEP_1)
	v_cmp_ne_u16_e64 s11, 0, v29
	s_or_b32 s75, vcc_lo, s11
	s_delay_alu instid0(SALU_CYCLE_1) | instskip(NEXT) | instid1(SALU_CYCLE_1)
	s_and_b32 s75, exec_lo, s75
	s_or_b32 s26, s75, s26
	s_and_not1_b32 s27, s27, exec_lo
	s_and_b32 s11, s11, exec_lo
	s_delay_alu instid0(SALU_CYCLE_1)
	s_or_b32 s27, s27, s11
	s_and_not1_b32 exec_lo, exec_lo, s26
	s_cbranch_execz .LBB4_132
.LBB4_128:                              ;   Parent Loop BB4_6 Depth=1
                                        ; =>  This Inner Loop Header: Depth=2
	s_delay_alu instid0(VALU_DEP_1)
	v_cmp_gt_u32_e32 vcc_lo, s36, v27
	v_mov_b32_e32 v28, 0
	s_and_saveexec_b32 s11, vcc_lo
	s_cbranch_execz .LBB4_130
; %bb.129:                              ;   in Loop: Header=BB4_128 Depth=2
	global_load_u8 v28, v3, s[30:31]
.LBB4_130:                              ;   in Loop: Header=BB4_128 Depth=2
	s_or_b32 exec_lo, exec_lo, s11
	s_waitcnt vmcnt(0)
	v_and_b32_e32 v29, v28, v2
	s_delay_alu instid0(VALU_DEP_1) | instskip(NEXT) | instid1(VALU_DEP_1)
	v_and_b32_e32 v29, 0xff, v29
	v_cmp_eq_u32_e64 s11, v29, v1
	s_delay_alu instid0(VALU_DEP_1) | instskip(NEXT) | instid1(SALU_CYCLE_1)
	s_and_b32 s75, vcc_lo, s11
	s_and_saveexec_b32 s11, s75
	s_cbranch_execz .LBB4_127
; %bb.131:                              ;   in Loop: Header=BB4_128 Depth=2
	v_lshlrev_b16 v28, 8, v28
	s_delay_alu instid0(VALU_DEP_1)
	v_or_b32_e32 v28, 1, v28
	ds_store_b16 v22, v28 offset:3072
	s_branch .LBB4_127
.LBB4_132:                              ;   in Loop: Header=BB4_6 Depth=1
	s_set_inst_prefetch_distance 0x2
	s_or_b32 exec_lo, exec_lo, s26
	v_lshrrev_b16 v3, 8, v28
	s_and_b32 s11, s27, exec_lo
.LBB4_133:                              ;   in Loop: Header=BB4_6 Depth=1
	s_or_b32 exec_lo, exec_lo, s25
	s_mov_b32 s27, -1
	s_mov_b32 s25, 0
	s_mov_b32 s26, 0
.LBB4_134:                              ;   in Loop: Header=BB4_6 Depth=1
	s_or_not1_b32 s11, s11, exec_lo
.LBB4_135:                              ;   in Loop: Header=BB4_6 Depth=1
	s_or_b32 exec_lo, exec_lo, s28
	s_mov_b32 s75, 0
                                        ; implicit-def: $vgpr27
	s_and_saveexec_b32 s28, s11
	s_cbranch_execz .LBB4_224
; %bb.136:                              ;   in Loop: Header=BB4_6 Depth=1
	v_dual_mov_b32 v28, 1 :: v_dual_mov_b32 v27, 1
	s_xor_b32 s29, s29, -1
	s_mov_b32 s76, 0
	s_and_saveexec_b32 s11, s29
	s_cbranch_execz .LBB4_146
; %bb.137:                              ;   in Loop: Header=BB4_6 Depth=1
	s_mov_b32 s75, exec_lo
                                        ; implicit-def: $sgpr76
                                        ; implicit-def: $sgpr29
	v_cmpx_ge_u32_e64 s16, v4
	s_xor_b32 s75, exec_lo, s75
	s_cbranch_execz .LBB4_143
; %bb.138:                              ;   in Loop: Header=BB4_6 Depth=1
	ds_load_b32 v27, v22 offset:4096
	s_waitcnt lgkmcnt(0)
	v_cmp_ne_u32_e32 vcc_lo, 0, v27
	s_cbranch_vccnz .LBB4_142
; %bb.139:                              ;   in Loop: Header=BB4_6 Depth=1
	s_and_saveexec_b32 s29, s5
	s_cbranch_execz .LBB4_141
; %bb.140:                              ;   in Loop: Header=BB4_6 Depth=1
	v_mov_b32_e32 v27, s16
	ds_store_b32 v22, v27 offset:4100
.LBB4_141:                              ;   in Loop: Header=BB4_6 Depth=1
	s_or_b32 exec_lo, exec_lo, s29
	s_waitcnt lgkmcnt(0)
	s_barrier
	buffer_gl0_inv
.LBB4_142:                              ;   in Loop: Header=BB4_6 Depth=1
	s_lshl_b32 s29, 1, s17
	v_or_b32_e32 v2, s13, v2
	v_and_or_b32 v1, v1, s14, s29
	s_mov_b32 s29, 0
	s_mov_b32 s76, 8
.LBB4_143:                              ;   in Loop: Header=BB4_6 Depth=1
	s_or_saveexec_b32 s75, s75
	v_mov_b32_e32 v27, s76
	s_xor_b32 exec_lo, exec_lo, s75
; %bb.144:                              ;   in Loop: Header=BB4_6 Depth=1
	v_subrev_nc_u32_e32 v4, s16, v4
	v_mov_b32_e32 v27, 0
	s_or_b32 s29, s29, exec_lo
; %bb.145:                              ;   in Loop: Header=BB4_6 Depth=1
	s_or_b32 exec_lo, exec_lo, s75
	s_delay_alu instid0(VALU_DEP_2)
	v_mov_b32_e32 v28, v4
	s_and_b32 s76, s29, exec_lo
.LBB4_146:                              ;   in Loop: Header=BB4_6 Depth=1
	s_or_b32 exec_lo, exec_lo, s11
	s_mov_b32 s11, -1
                                        ; implicit-def: $sgpr75
                                        ; implicit-def: $sgpr77
                                        ; implicit-def: $sgpr78
	s_and_saveexec_b32 s29, s76
	s_cbranch_execz .LBB4_223
; %bb.147:                              ;   in Loop: Header=BB4_6 Depth=1
	v_cmp_eq_u32_e32 vcc_lo, 1, v28
	s_cmp_eq_u32 s18, 1
                                        ; implicit-def: $sgpr75
                                        ; implicit-def: $sgpr77
                                        ; implicit-def: $sgpr76
	s_cselect_b32 s11, -1, 0
	s_delay_alu instid0(SALU_CYCLE_1)
	s_and_b32 s79, s11, vcc_lo
	s_mov_b32 s11, -1
	s_and_saveexec_b32 s78, s79
	s_cbranch_execz .LBB4_171
; %bb.148:                              ;   in Loop: Header=BB4_6 Depth=1
	ds_load_b32 v3, v22 offset:4096
	s_waitcnt lgkmcnt(0)
	s_barrier
	buffer_gl0_inv
	v_readfirstlane_b32 s75, v3
	s_and_saveexec_b32 s11, s6
	s_cbranch_execz .LBB4_150
; %bb.149:                              ;   in Loop: Header=BB4_6 Depth=1
	ds_store_b8 v0, v15 offset:3072
.LBB4_150:                              ;   in Loop: Header=BB4_6 Depth=1
	s_or_b32 exec_lo, exec_lo, s11
	s_lshl_b32 s11, 2, s17
	v_or_b32_e32 v2, s13, v2
	v_and_or_b32 v1, v1, s14, s11
	s_cmp_eq_u32 s75, 0
	s_waitcnt lgkmcnt(0)
	s_barrier
	buffer_gl0_inv
	s_cbranch_scc1 .LBB4_158
; %bb.151:                              ;   in Loop: Header=BB4_6 Depth=1
	s_add_i32 s11, s75, s53
                                        ; implicit-def: $vgpr3
	s_delay_alu instid0(SALU_CYCLE_1) | instskip(NEXT) | instid1(SALU_CYCLE_1)
	s_mul_hi_u32 s76, s11, s59
	s_mul_i32 s76, s76, s33
	s_delay_alu instid0(SALU_CYCLE_1) | instskip(NEXT) | instid1(SALU_CYCLE_1)
	s_sub_i32 s76, s11, s76
	s_sub_i32 s77, s76, s33
	s_cmp_ge_u32 s76, s33
	s_cselect_b32 s76, s77, s76
	s_delay_alu instid0(SALU_CYCLE_1) | instskip(SKIP_2) | instid1(SALU_CYCLE_1)
	s_sub_i32 s77, s76, s33
	s_cmp_ge_u32 s76, s33
	s_cselect_b32 s76, s77, s76
	s_sub_i32 s77, s11, s76
	s_mov_b32 s11, 0
	s_mov_b32 s76, exec_lo
	v_cmpx_gt_u32_e64 s77, v0
	s_cbranch_execz .LBB4_160
; %bb.152:                              ;   in Loop: Header=BB4_6 Depth=1
	v_mov_b32_e32 v3, v0
	s_mov_b32 s80, 0
                                        ; implicit-def: $sgpr81
	s_set_inst_prefetch_distance 0x1
	s_branch .LBB4_154
	.p2align	6
.LBB4_153:                              ;   in Loop: Header=BB4_154 Depth=2
	s_or_b32 exec_lo, exec_lo, s11
	s_waitcnt lgkmcnt(0)
	s_barrier
	buffer_gl0_inv
	ds_load_u16 v4, v22 offset:3072
	v_add_nc_u32_e32 v3, s33, v3
	s_waitcnt lgkmcnt(0)
	s_barrier
	buffer_gl0_inv
	v_cmp_le_u32_e32 vcc_lo, s77, v3
	v_and_b32_e32 v27, 0xff, v4
	s_delay_alu instid0(VALU_DEP_1) | instskip(NEXT) | instid1(VALU_DEP_1)
	v_cmp_ne_u16_e64 s11, 0, v27
	s_or_b32 s82, vcc_lo, s11
	s_delay_alu instid0(SALU_CYCLE_1) | instskip(NEXT) | instid1(SALU_CYCLE_1)
	s_and_b32 s82, exec_lo, s82
	s_or_b32 s80, s82, s80
	s_and_not1_b32 s81, s81, exec_lo
	s_and_b32 s11, s11, exec_lo
	s_delay_alu instid0(SALU_CYCLE_1)
	s_or_b32 s81, s81, s11
	s_and_not1_b32 exec_lo, exec_lo, s80
	s_cbranch_execz .LBB4_159
.LBB4_154:                              ;   Parent Loop BB4_6 Depth=1
                                        ; =>  This Inner Loop Header: Depth=2
	s_delay_alu instid0(VALU_DEP_1)
	v_cmp_gt_u32_e32 vcc_lo, s75, v3
	v_mov_b32_e32 v4, 0
	s_and_saveexec_b32 s11, vcc_lo
	s_cbranch_execz .LBB4_156
; %bb.155:                              ;   in Loop: Header=BB4_154 Depth=2
	ds_load_u8 v4, v3
.LBB4_156:                              ;   in Loop: Header=BB4_154 Depth=2
	s_or_b32 exec_lo, exec_lo, s11
	s_waitcnt lgkmcnt(0)
	v_and_b32_e32 v27, v4, v2
	s_delay_alu instid0(VALU_DEP_1) | instskip(NEXT) | instid1(VALU_DEP_1)
	v_and_b32_e32 v27, 0xff, v27
	v_cmp_eq_u32_e64 s11, v27, v1
	s_delay_alu instid0(VALU_DEP_1) | instskip(NEXT) | instid1(SALU_CYCLE_1)
	s_and_b32 s82, vcc_lo, s11
	s_and_saveexec_b32 s11, s82
	s_cbranch_execz .LBB4_153
; %bb.157:                              ;   in Loop: Header=BB4_154 Depth=2
	v_lshlrev_b16 v4, 8, v4
	s_delay_alu instid0(VALU_DEP_1)
	v_or_b32_e32 v4, 1, v4
	ds_store_b16 v22, v4 offset:3072
	s_branch .LBB4_153
.LBB4_158:                              ;   in Loop: Header=BB4_6 Depth=1
	s_mov_b32 s75, -1
	s_mov_b32 s11, 0
                                        ; implicit-def: $sgpr76
                                        ; implicit-def: $vgpr3
	s_mov_b32 s77, s75
	s_cbranch_execnz .LBB4_161
	s_branch .LBB4_170
.LBB4_159:                              ;   in Loop: Header=BB4_6 Depth=1
	s_set_inst_prefetch_distance 0x2
	s_or_b32 exec_lo, exec_lo, s80
	v_lshrrev_b16 v3, 8, v4
	s_and_b32 s11, s81, exec_lo
.LBB4_160:                              ;   in Loop: Header=BB4_6 Depth=1
	s_or_b32 exec_lo, exec_lo, s76
	s_mov_b32 s76, -1
	s_mov_b32 s75, 0
	s_delay_alu instid0(SALU_CYCLE_1)
	s_mov_b32 s77, s75
	s_branch .LBB4_170
.LBB4_161:                              ;   in Loop: Header=BB4_6 Depth=1
	s_mov_b32 s11, 0
                                        ; implicit-def: $vgpr3
	s_and_saveexec_b32 s75, s9
	s_cbranch_execz .LBB4_169
; %bb.162:                              ;   in Loop: Header=BB4_6 Depth=1
	v_dual_mov_b32 v3, v14 :: v_dual_mov_b32 v4, v0
	s_mov_b32 s76, 0
                                        ; implicit-def: $sgpr77
	s_set_inst_prefetch_distance 0x1
	s_branch .LBB4_164
	.p2align	6
.LBB4_163:                              ;   in Loop: Header=BB4_164 Depth=2
	s_or_b32 exec_lo, exec_lo, s11
	s_waitcnt lgkmcnt(0)
	s_barrier
	buffer_gl0_inv
	ds_load_u16 v27, v22 offset:3072
	v_add_nc_u32_e32 v4, s33, v4
	v_add_nc_u32_e32 v3, s35, v3
	s_waitcnt lgkmcnt(0)
	s_barrier
	buffer_gl0_inv
	v_cmp_le_u32_e32 vcc_lo, s61, v4
	v_and_b32_e32 v29, 0xff, v27
	s_delay_alu instid0(VALU_DEP_1) | instskip(NEXT) | instid1(VALU_DEP_1)
	v_cmp_ne_u16_e64 s11, 0, v29
	s_or_b32 s80, vcc_lo, s11
	s_delay_alu instid0(SALU_CYCLE_1) | instskip(NEXT) | instid1(SALU_CYCLE_1)
	s_and_b32 s80, exec_lo, s80
	s_or_b32 s76, s80, s76
	s_and_not1_b32 s77, s77, exec_lo
	s_and_b32 s11, s11, exec_lo
	s_delay_alu instid0(SALU_CYCLE_1)
	s_or_b32 s77, s77, s11
	s_and_not1_b32 exec_lo, exec_lo, s76
	s_cbranch_execz .LBB4_168
.LBB4_164:                              ;   Parent Loop BB4_6 Depth=1
                                        ; =>  This Inner Loop Header: Depth=2
	s_delay_alu instid0(VALU_DEP_1)
	v_cmp_gt_u32_e32 vcc_lo, s36, v4
	v_mov_b32_e32 v27, 0
	s_and_saveexec_b32 s11, vcc_lo
	s_cbranch_execz .LBB4_166
; %bb.165:                              ;   in Loop: Header=BB4_164 Depth=2
	global_load_u8 v27, v3, s[30:31]
.LBB4_166:                              ;   in Loop: Header=BB4_164 Depth=2
	s_or_b32 exec_lo, exec_lo, s11
	s_waitcnt vmcnt(0)
	v_and_b32_e32 v29, v27, v2
	s_delay_alu instid0(VALU_DEP_1) | instskip(NEXT) | instid1(VALU_DEP_1)
	v_and_b32_e32 v29, 0xff, v29
	v_cmp_eq_u32_e64 s11, v29, v1
	s_delay_alu instid0(VALU_DEP_1) | instskip(NEXT) | instid1(SALU_CYCLE_1)
	s_and_b32 s80, vcc_lo, s11
	s_and_saveexec_b32 s11, s80
	s_cbranch_execz .LBB4_163
; %bb.167:                              ;   in Loop: Header=BB4_164 Depth=2
	v_lshlrev_b16 v27, 8, v27
	s_delay_alu instid0(VALU_DEP_1)
	v_or_b32_e32 v27, 1, v27
	ds_store_b16 v22, v27 offset:3072
	s_branch .LBB4_163
.LBB4_168:                              ;   in Loop: Header=BB4_6 Depth=1
	s_set_inst_prefetch_distance 0x2
	s_or_b32 exec_lo, exec_lo, s76
	v_lshrrev_b16 v3, 8, v27
	s_and_b32 s11, s77, exec_lo
.LBB4_169:                              ;   in Loop: Header=BB4_6 Depth=1
	s_or_b32 exec_lo, exec_lo, s75
	s_mov_b32 s77, -1
	s_mov_b32 s75, 0
	s_mov_b32 s76, 0
.LBB4_170:                              ;   in Loop: Header=BB4_6 Depth=1
	s_or_not1_b32 s11, s11, exec_lo
.LBB4_171:                              ;   in Loop: Header=BB4_6 Depth=1
	s_or_b32 exec_lo, exec_lo, s78
	s_mov_b32 s80, 0
                                        ; implicit-def: $vgpr27
	s_and_saveexec_b32 s78, s11
	s_cbranch_execz .LBB4_222
; %bb.172:                              ;   in Loop: Header=BB4_6 Depth=1
	v_dual_mov_b32 v4, 1 :: v_dual_mov_b32 v27, 1
	s_xor_b32 s79, s79, -1
	s_mov_b32 s81, 0
	s_and_saveexec_b32 s11, s79
	s_cbranch_execz .LBB4_182
; %bb.173:                              ;   in Loop: Header=BB4_6 Depth=1
	s_mov_b32 s80, exec_lo
                                        ; implicit-def: $sgpr81
                                        ; implicit-def: $sgpr79
	v_cmpx_ge_u32_e64 s18, v28
	s_xor_b32 s80, exec_lo, s80
	s_cbranch_execz .LBB4_179
; %bb.174:                              ;   in Loop: Header=BB4_6 Depth=1
	ds_load_b32 v4, v22 offset:4096
	s_waitcnt lgkmcnt(0)
	v_cmp_ne_u32_e32 vcc_lo, 0, v4
	s_cbranch_vccnz .LBB4_178
; %bb.175:                              ;   in Loop: Header=BB4_6 Depth=1
	s_and_saveexec_b32 s79, s5
	s_cbranch_execz .LBB4_177
; %bb.176:                              ;   in Loop: Header=BB4_6 Depth=1
	v_mov_b32_e32 v4, s18
	ds_store_b32 v22, v4 offset:4100
.LBB4_177:                              ;   in Loop: Header=BB4_6 Depth=1
	s_or_b32 exec_lo, exec_lo, s79
	s_waitcnt lgkmcnt(0)
	s_barrier
	buffer_gl0_inv
.LBB4_178:                              ;   in Loop: Header=BB4_6 Depth=1
	s_lshl_b32 s79, 2, s17
	v_or_b32_e32 v2, s13, v2
	v_and_or_b32 v1, v1, s14, s79
	s_mov_b32 s79, 0
	s_mov_b32 s81, 8
.LBB4_179:                              ;   in Loop: Header=BB4_6 Depth=1
	s_or_saveexec_b32 s80, s80
	v_mov_b32_e32 v27, s81
	s_xor_b32 exec_lo, exec_lo, s80
; %bb.180:                              ;   in Loop: Header=BB4_6 Depth=1
	v_subrev_nc_u32_e32 v28, s18, v28
	v_mov_b32_e32 v27, 0
	s_or_b32 s79, s79, exec_lo
; %bb.181:                              ;   in Loop: Header=BB4_6 Depth=1
	s_or_b32 exec_lo, exec_lo, s80
	s_delay_alu instid0(VALU_DEP_2)
	v_mov_b32_e32 v4, v28
	s_and_b32 s81, s79, exec_lo
.LBB4_182:                              ;   in Loop: Header=BB4_6 Depth=1
	s_or_b32 exec_lo, exec_lo, s11
	s_mov_b32 s80, -1
                                        ; implicit-def: $sgpr11
                                        ; implicit-def: $sgpr83
                                        ; implicit-def: $sgpr82
	s_and_saveexec_b32 s79, s81
	s_cbranch_execz .LBB4_221
; %bb.183:                              ;   in Loop: Header=BB4_6 Depth=1
	v_cmp_eq_u32_e32 vcc_lo, 1, v4
	s_cmp_eq_u32 s19, 1
	s_mov_b32 s84, -1
	s_cselect_b32 s11, -1, 0
                                        ; implicit-def: $sgpr83
                                        ; implicit-def: $sgpr82
	s_delay_alu instid0(SALU_CYCLE_1) | instskip(NEXT) | instid1(SALU_CYCLE_1)
	s_and_b32 s80, s11, vcc_lo
                                        ; implicit-def: $sgpr11
	s_and_saveexec_b32 s81, s80
	s_cbranch_execz .LBB4_208
; %bb.184:                              ;   in Loop: Header=BB4_6 Depth=1
	ds_load_b32 v3, v22 offset:4096
	s_waitcnt lgkmcnt(0)
	s_barrier
	buffer_gl0_inv
	v_readfirstlane_b32 s82, v3
	s_and_saveexec_b32 s11, s6
	s_cbranch_execz .LBB4_186
; %bb.185:                              ;   in Loop: Header=BB4_6 Depth=1
	ds_store_b8 v0, v15 offset:3072
.LBB4_186:                              ;   in Loop: Header=BB4_6 Depth=1
	s_or_b32 exec_lo, exec_lo, s11
	v_or_b32_e32 v1, s13, v1
	v_or_b32_e32 v2, s13, v2
	s_cmp_eq_u32 s82, 0
	s_waitcnt lgkmcnt(0)
	s_barrier
	buffer_gl0_inv
	s_cbranch_scc1 .LBB4_194
; %bb.187:                              ;   in Loop: Header=BB4_6 Depth=1
	s_add_i32 s11, s82, s53
                                        ; implicit-def: $vgpr3
	s_delay_alu instid0(SALU_CYCLE_1) | instskip(NEXT) | instid1(SALU_CYCLE_1)
	s_mul_hi_u32 s83, s11, s59
	s_mul_i32 s83, s83, s33
	s_delay_alu instid0(SALU_CYCLE_1) | instskip(NEXT) | instid1(SALU_CYCLE_1)
	s_sub_i32 s83, s11, s83
	s_sub_i32 s84, s83, s33
	s_cmp_ge_u32 s83, s33
	s_cselect_b32 s83, s84, s83
	s_delay_alu instid0(SALU_CYCLE_1)
	s_sub_i32 s84, s83, s33
	s_cmp_ge_u32 s83, s33
	s_cselect_b32 s83, s84, s83
	s_mov_b32 s84, 0
	s_sub_i32 s85, s11, s83
	s_mov_b32 s83, exec_lo
	v_cmpx_gt_u32_e64 s85, v0
	s_cbranch_execz .LBB4_196
; %bb.188:                              ;   in Loop: Header=BB4_6 Depth=1
	v_mov_b32_e32 v3, v0
                                        ; implicit-def: $sgpr86
	s_set_inst_prefetch_distance 0x1
	s_branch .LBB4_190
	.p2align	6
.LBB4_189:                              ;   in Loop: Header=BB4_190 Depth=2
	s_or_b32 exec_lo, exec_lo, s11
	s_waitcnt lgkmcnt(0)
	s_barrier
	buffer_gl0_inv
	ds_load_u16 v27, v22 offset:3072
	v_add_nc_u32_e32 v3, s33, v3
	s_waitcnt lgkmcnt(0)
	s_barrier
	buffer_gl0_inv
	v_cmp_le_u32_e32 vcc_lo, s85, v3
	v_and_b32_e32 v28, 0xff, v27
	s_delay_alu instid0(VALU_DEP_1) | instskip(NEXT) | instid1(VALU_DEP_1)
	v_cmp_ne_u16_e64 s11, 0, v28
	s_or_b32 s87, vcc_lo, s11
	s_delay_alu instid0(SALU_CYCLE_1) | instskip(NEXT) | instid1(SALU_CYCLE_1)
	s_and_b32 s87, exec_lo, s87
	s_or_b32 s84, s87, s84
	s_and_not1_b32 s86, s86, exec_lo
	s_and_b32 s11, s11, exec_lo
	s_delay_alu instid0(SALU_CYCLE_1)
	s_or_b32 s86, s86, s11
	s_and_not1_b32 exec_lo, exec_lo, s84
	s_cbranch_execz .LBB4_195
.LBB4_190:                              ;   Parent Loop BB4_6 Depth=1
                                        ; =>  This Inner Loop Header: Depth=2
	s_delay_alu instid0(VALU_DEP_1)
	v_cmp_gt_u32_e32 vcc_lo, s82, v3
	v_mov_b32_e32 v27, 0
	s_and_saveexec_b32 s11, vcc_lo
	s_cbranch_execz .LBB4_192
; %bb.191:                              ;   in Loop: Header=BB4_190 Depth=2
	ds_load_u8 v27, v3
.LBB4_192:                              ;   in Loop: Header=BB4_190 Depth=2
	s_or_b32 exec_lo, exec_lo, s11
	s_waitcnt lgkmcnt(0)
	v_and_b32_e32 v28, v27, v2
	s_delay_alu instid0(VALU_DEP_1) | instskip(NEXT) | instid1(VALU_DEP_1)
	v_and_b32_e32 v28, 0xff, v28
	v_cmp_eq_u32_e64 s11, v28, v1
	s_delay_alu instid0(VALU_DEP_1) | instskip(NEXT) | instid1(SALU_CYCLE_1)
	s_and_b32 s87, vcc_lo, s11
	s_and_saveexec_b32 s11, s87
	s_cbranch_execz .LBB4_189
; %bb.193:                              ;   in Loop: Header=BB4_190 Depth=2
	v_lshlrev_b16 v27, 8, v27
	s_delay_alu instid0(VALU_DEP_1)
	v_or_b32_e32 v27, 1, v27
	ds_store_b16 v22, v27 offset:3072
	s_branch .LBB4_189
.LBB4_194:                              ;   in Loop: Header=BB4_6 Depth=1
	s_mov_b32 s11, -1
	s_mov_b32 s84, 0
                                        ; implicit-def: $sgpr82
                                        ; implicit-def: $vgpr3
	s_branch .LBB4_197
.LBB4_195:                              ;   in Loop: Header=BB4_6 Depth=1
	s_set_inst_prefetch_distance 0x2
	s_or_b32 exec_lo, exec_lo, s84
	v_lshrrev_b16 v3, 8, v27
	s_and_b32 s84, s86, exec_lo
.LBB4_196:                              ;   in Loop: Header=BB4_6 Depth=1
	s_or_b32 exec_lo, exec_lo, s83
	s_mov_b32 s82, -1
	s_mov_b32 s11, 0
.LBB4_197:                              ;   in Loop: Header=BB4_6 Depth=1
	s_delay_alu instid0(SALU_CYCLE_1)
	s_and_b32 vcc_lo, exec_lo, s11
	s_mov_b32 s83, s11
	s_cbranch_vccz .LBB4_207
; %bb.198:                              ;   in Loop: Header=BB4_6 Depth=1
	s_mov_b32 s84, 0
                                        ; implicit-def: $vgpr3
	s_and_saveexec_b32 s82, s9
	s_cbranch_execz .LBB4_206
; %bb.199:                              ;   in Loop: Header=BB4_6 Depth=1
	v_mov_b32_e32 v3, v14
	v_mov_b32_e32 v27, v0
	s_mov_b32 s83, 0
                                        ; implicit-def: $sgpr84
	s_set_inst_prefetch_distance 0x1
	s_branch .LBB4_201
	.p2align	6
.LBB4_200:                              ;   in Loop: Header=BB4_201 Depth=2
	s_or_b32 exec_lo, exec_lo, s11
	s_waitcnt lgkmcnt(0)
	s_barrier
	buffer_gl0_inv
	ds_load_u16 v28, v22 offset:3072
	v_add_nc_u32_e32 v27, s33, v27
	v_add_nc_u32_e32 v3, s35, v3
	s_waitcnt lgkmcnt(0)
	s_barrier
	buffer_gl0_inv
	v_cmp_le_u32_e32 vcc_lo, s61, v27
	v_and_b32_e32 v29, 0xff, v28
	s_delay_alu instid0(VALU_DEP_1) | instskip(NEXT) | instid1(VALU_DEP_1)
	v_cmp_ne_u16_e64 s11, 0, v29
	s_or_b32 s85, vcc_lo, s11
	s_delay_alu instid0(SALU_CYCLE_1) | instskip(NEXT) | instid1(SALU_CYCLE_1)
	s_and_b32 s85, exec_lo, s85
	s_or_b32 s83, s85, s83
	s_and_not1_b32 s84, s84, exec_lo
	s_and_b32 s11, s11, exec_lo
	s_delay_alu instid0(SALU_CYCLE_1)
	s_or_b32 s84, s84, s11
	s_and_not1_b32 exec_lo, exec_lo, s83
	s_cbranch_execz .LBB4_205
.LBB4_201:                              ;   Parent Loop BB4_6 Depth=1
                                        ; =>  This Inner Loop Header: Depth=2
	s_delay_alu instid0(VALU_DEP_1)
	v_cmp_gt_u32_e32 vcc_lo, s36, v27
	v_mov_b32_e32 v28, 0
	s_and_saveexec_b32 s11, vcc_lo
	s_cbranch_execz .LBB4_203
; %bb.202:                              ;   in Loop: Header=BB4_201 Depth=2
	global_load_u8 v28, v3, s[30:31]
.LBB4_203:                              ;   in Loop: Header=BB4_201 Depth=2
	s_or_b32 exec_lo, exec_lo, s11
	s_waitcnt vmcnt(0)
	v_and_b32_e32 v29, v28, v2
	s_delay_alu instid0(VALU_DEP_1) | instskip(NEXT) | instid1(VALU_DEP_1)
	v_and_b32_e32 v29, 0xff, v29
	v_cmp_eq_u32_e64 s11, v29, v1
	s_delay_alu instid0(VALU_DEP_1) | instskip(NEXT) | instid1(SALU_CYCLE_1)
	s_and_b32 s85, vcc_lo, s11
	s_and_saveexec_b32 s11, s85
	s_cbranch_execz .LBB4_200
; %bb.204:                              ;   in Loop: Header=BB4_201 Depth=2
	v_lshlrev_b16 v28, 8, v28
	s_delay_alu instid0(VALU_DEP_1)
	v_or_b32_e32 v28, 1, v28
	ds_store_b16 v22, v28 offset:3072
	s_branch .LBB4_200
.LBB4_205:                              ;   in Loop: Header=BB4_6 Depth=1
	s_set_inst_prefetch_distance 0x2
	s_or_b32 exec_lo, exec_lo, s83
	v_lshrrev_b16 v3, 8, v28
	s_and_b32 s84, s84, exec_lo
.LBB4_206:                              ;   in Loop: Header=BB4_6 Depth=1
	s_or_b32 exec_lo, exec_lo, s82
	s_mov_b32 s83, -1
	s_mov_b32 s11, 0
	s_mov_b32 s82, 0
.LBB4_207:                              ;   in Loop: Header=BB4_6 Depth=1
	s_or_not1_b32 s84, s84, exec_lo
.LBB4_208:                              ;   in Loop: Header=BB4_6 Depth=1
	s_or_b32 exec_lo, exec_lo, s81
	s_mov_b32 s85, 0
                                        ; implicit-def: $vgpr27
                                        ; implicit-def: $vgpr28
	s_and_saveexec_b32 s81, s84
	s_cbranch_execz .LBB4_220
; %bb.209:                              ;   in Loop: Header=BB4_6 Depth=1
	v_dual_mov_b32 v27, 1 :: v_dual_mov_b32 v28, 1
	s_xor_b32 s84, s80, -1
	s_delay_alu instid0(SALU_CYCLE_1)
	s_and_saveexec_b32 s80, s84
	s_cbranch_execz .LBB4_219
; %bb.210:                              ;   in Loop: Header=BB4_6 Depth=1
	s_mov_b32 s84, exec_lo
                                        ; implicit-def: $sgpr85
	v_cmpx_ge_u32_e64 s19, v4
	s_xor_b32 s84, exec_lo, s84
	s_cbranch_execz .LBB4_216
; %bb.211:                              ;   in Loop: Header=BB4_6 Depth=1
	ds_load_b32 v27, v22 offset:4096
	s_waitcnt lgkmcnt(0)
	v_cmp_ne_u32_e32 vcc_lo, 0, v27
	s_cbranch_vccnz .LBB4_215
; %bb.212:                              ;   in Loop: Header=BB4_6 Depth=1
	s_and_saveexec_b32 s85, s5
	s_cbranch_execz .LBB4_214
; %bb.213:                              ;   in Loop: Header=BB4_6 Depth=1
	v_mov_b32_e32 v27, s19
	ds_store_b32 v22, v27 offset:4100
.LBB4_214:                              ;   in Loop: Header=BB4_6 Depth=1
	s_or_b32 exec_lo, exec_lo, s85
	s_waitcnt lgkmcnt(0)
	s_barrier
	buffer_gl0_inv
.LBB4_215:                              ;   in Loop: Header=BB4_6 Depth=1
	v_or_b32_e32 v1, s13, v1
	v_or_b32_e32 v2, s13, v2
	s_mov_b32 s85, 8
.LBB4_216:                              ;   in Loop: Header=BB4_6 Depth=1
	s_or_saveexec_b32 s84, s84
	v_mov_b32_e32 v27, s85
	s_xor_b32 exec_lo, exec_lo, s84
; %bb.217:                              ;   in Loop: Header=BB4_6 Depth=1
	v_subrev_nc_u32_e32 v4, s19, v4
	v_mov_b32_e32 v27, 8
; %bb.218:                              ;   in Loop: Header=BB4_6 Depth=1
	s_or_b32 exec_lo, exec_lo, s84
	s_delay_alu instid0(VALU_DEP_2)
	v_mov_b32_e32 v28, v4
.LBB4_219:                              ;   in Loop: Header=BB4_6 Depth=1
	s_or_b32 exec_lo, exec_lo, s80
	s_delay_alu instid0(SALU_CYCLE_1)
	s_mov_b32 s85, exec_lo
.LBB4_220:                              ;   in Loop: Header=BB4_6 Depth=1
	s_or_b32 exec_lo, exec_lo, s81
	s_delay_alu instid0(VALU_DEP_1)
	v_mov_b32_e32 v4, v28
	s_or_not1_b32 s80, s85, exec_lo
.LBB4_221:                              ;   in Loop: Header=BB4_6 Depth=1
	s_or_b32 exec_lo, exec_lo, s79
	s_delay_alu instid0(SALU_CYCLE_1)
	s_and_not1_b32 s75, s75, exec_lo
	s_and_b32 s11, s11, exec_lo
	v_mov_b32_e32 v28, v4
	s_or_b32 s75, s75, s11
	s_and_not1_b32 s11, s77, exec_lo
	s_and_b32 s77, s83, exec_lo
	s_and_not1_b32 s76, s76, exec_lo
	s_and_b32 s79, s82, exec_lo
	s_or_b32 s77, s11, s77
	s_or_b32 s76, s76, s79
	s_and_b32 s80, s80, exec_lo
.LBB4_222:                              ;   in Loop: Header=BB4_6 Depth=1
	s_or_b32 exec_lo, exec_lo, s78
	s_delay_alu instid0(SALU_CYCLE_1)
	s_and_b32 s78, s75, exec_lo
	s_and_b32 s77, s77, exec_lo
	;; [unrolled: 1-line block ×3, first 2 shown]
	s_or_not1_b32 s11, s80, exec_lo
.LBB4_223:                              ;   in Loop: Header=BB4_6 Depth=1
	s_or_b32 exec_lo, exec_lo, s29
	s_delay_alu instid0(SALU_CYCLE_1)
	s_and_not1_b32 s25, s25, exec_lo
	s_and_b32 s29, s78, exec_lo
	v_mov_b32_e32 v4, v28
	s_or_b32 s25, s25, s29
	s_and_not1_b32 s27, s27, exec_lo
	s_and_b32 s29, s77, exec_lo
	s_and_not1_b32 s26, s26, exec_lo
	s_and_b32 s75, s75, exec_lo
	s_or_b32 s27, s27, s29
	s_or_b32 s26, s26, s75
	s_and_b32 s75, s11, exec_lo
.LBB4_224:                              ;   in Loop: Header=BB4_6 Depth=1
	s_or_b32 exec_lo, exec_lo, s28
	s_delay_alu instid0(SALU_CYCLE_1)
	s_and_b32 s28, s25, exec_lo
	s_and_b32 s27, s27, exec_lo
	;; [unrolled: 1-line block ×3, first 2 shown]
	s_or_not1_b32 s11, s75, exec_lo
.LBB4_225:                              ;   in Loop: Header=BB4_6 Depth=1
	s_or_b32 exec_lo, exec_lo, s20
	s_mov_b32 s20, 0
	s_mov_b32 s26, 0
	s_and_saveexec_b32 s29, s11
	s_delay_alu instid0(SALU_CYCLE_1)
	s_xor_b32 s29, exec_lo, s29
; %bb.226:                              ;   in Loop: Header=BB4_6 Depth=1
	v_cmp_ne_u32_e32 vcc_lo, 8, v27
	v_cmp_eq_u32_e64 s11, 8, v27
	s_and_not1_b32 s28, s28, exec_lo
	s_and_not1_b32 s27, s27, exec_lo
	;; [unrolled: 1-line block ×3, first 2 shown]
	s_and_b32 s26, vcc_lo, exec_lo
	s_and_b32 s20, s11, exec_lo
; %bb.227:                              ;   in Loop: Header=BB4_6 Depth=1
	s_or_b32 exec_lo, exec_lo, s29
	s_delay_alu instid0(SALU_CYCLE_1)
	s_and_not1_b32 s11, s15, exec_lo
	s_and_b32 s15, s28, exec_lo
	s_and_not1_b32 s21, s21, exec_lo
	s_or_b32 s15, s11, s15
	s_and_not1_b32 s11, s22, exec_lo
	s_and_b32 s22, s27, exec_lo
	s_and_b32 s25, s25, exec_lo
	s_or_b32 s22, s11, s22
	s_or_b32 s21, s21, s25
	s_and_b32 s11, s26, exec_lo
	s_and_b32 s20, s20, exec_lo
.LBB4_228:                              ;   in Loop: Header=BB4_6 Depth=1
	s_or_b32 exec_lo, exec_lo, s24
	s_delay_alu instid0(SALU_CYCLE_1)
	s_and_b32 vcc_lo, exec_lo, s23
	s_cbranch_vccz .LBB4_82
.LBB4_229:                              ;   in Loop: Header=BB4_6 Depth=1
	s_cmp_eq_u32 s19, 1
                                        ; implicit-def: $sgpr23
                                        ; implicit-def: $sgpr24
	s_cselect_b32 s15, -1, 0
	s_delay_alu instid0(SALU_CYCLE_1)
	s_and_b32 s22, s15, s10
	s_mov_b32 s10, -1
                                        ; implicit-def: $sgpr15
	s_and_saveexec_b32 s21, s22
	s_cbranch_execz .LBB4_253
; %bb.230:                              ;   in Loop: Header=BB4_6 Depth=1
	ds_load_b32 v1, v22 offset:4096
	s_waitcnt lgkmcnt(0)
	s_barrier
	buffer_gl0_inv
	v_readfirstlane_b32 s15, v1
	s_and_saveexec_b32 s10, s6
	s_cbranch_execz .LBB4_232
; %bb.231:                              ;   in Loop: Header=BB4_6 Depth=1
	ds_store_b8 v0, v15 offset:3072
.LBB4_232:                              ;   in Loop: Header=BB4_6 Depth=1
	s_or_b32 exec_lo, exec_lo, s10
	v_or_b32_e32 v24, s13, v24
	v_or_b32_e32 v23, s13, v23
	s_cmp_eq_u32 s15, 0
	s_waitcnt lgkmcnt(0)
	s_barrier
	buffer_gl0_inv
	s_cbranch_scc1 .LBB4_240
; %bb.233:                              ;   in Loop: Header=BB4_6 Depth=1
	s_add_i32 s10, s15, s53
                                        ; implicit-def: $vgpr25
	s_delay_alu instid0(SALU_CYCLE_1) | instskip(NEXT) | instid1(SALU_CYCLE_1)
	s_mul_hi_u32 s23, s10, s59
	s_mul_i32 s23, s23, s33
	s_delay_alu instid0(SALU_CYCLE_1) | instskip(NEXT) | instid1(SALU_CYCLE_1)
	s_sub_i32 s23, s10, s23
	s_sub_i32 s24, s23, s33
	s_cmp_ge_u32 s23, s33
	s_cselect_b32 s23, s24, s23
	s_delay_alu instid0(SALU_CYCLE_1) | instskip(SKIP_2) | instid1(SALU_CYCLE_1)
	s_sub_i32 s24, s23, s33
	s_cmp_ge_u32 s23, s33
	s_cselect_b32 s23, s24, s23
	s_sub_i32 s24, s10, s23
	s_mov_b32 s10, 0
	s_mov_b32 s23, exec_lo
	v_cmpx_gt_u32_e64 s24, v0
	s_cbranch_execz .LBB4_242
; %bb.234:                              ;   in Loop: Header=BB4_6 Depth=1
	v_mov_b32_e32 v1, v0
	s_mov_b32 s25, 0
                                        ; implicit-def: $sgpr26
	s_set_inst_prefetch_distance 0x1
	s_branch .LBB4_236
	.p2align	6
.LBB4_235:                              ;   in Loop: Header=BB4_236 Depth=2
	s_or_b32 exec_lo, exec_lo, s10
	s_waitcnt lgkmcnt(0)
	s_barrier
	buffer_gl0_inv
	ds_load_u16 v2, v22 offset:3072
	v_add_nc_u32_e32 v1, s33, v1
	s_waitcnt lgkmcnt(0)
	s_barrier
	buffer_gl0_inv
	v_cmp_le_u32_e32 vcc_lo, s24, v1
	v_and_b32_e32 v3, 0xff, v2
	s_delay_alu instid0(VALU_DEP_1) | instskip(NEXT) | instid1(VALU_DEP_1)
	v_cmp_ne_u16_e64 s10, 0, v3
	s_or_b32 s27, vcc_lo, s10
	s_delay_alu instid0(SALU_CYCLE_1) | instskip(NEXT) | instid1(SALU_CYCLE_1)
	s_and_b32 s27, exec_lo, s27
	s_or_b32 s25, s27, s25
	s_and_not1_b32 s26, s26, exec_lo
	s_and_b32 s10, s10, exec_lo
	s_delay_alu instid0(SALU_CYCLE_1)
	s_or_b32 s26, s26, s10
	s_and_not1_b32 exec_lo, exec_lo, s25
	s_cbranch_execz .LBB4_241
.LBB4_236:                              ;   Parent Loop BB4_6 Depth=1
                                        ; =>  This Inner Loop Header: Depth=2
	s_delay_alu instid0(VALU_DEP_1)
	v_cmp_gt_u32_e32 vcc_lo, s15, v1
	v_mov_b32_e32 v2, 0
	s_and_saveexec_b32 s10, vcc_lo
	s_cbranch_execz .LBB4_238
; %bb.237:                              ;   in Loop: Header=BB4_236 Depth=2
	ds_load_u8 v2, v1
.LBB4_238:                              ;   in Loop: Header=BB4_236 Depth=2
	s_or_b32 exec_lo, exec_lo, s10
	s_waitcnt lgkmcnt(0)
	v_and_b32_e32 v3, v2, v23
	s_delay_alu instid0(VALU_DEP_1) | instskip(NEXT) | instid1(VALU_DEP_1)
	v_and_b32_e32 v3, 0xff, v3
	v_cmp_eq_u32_e64 s10, v3, v24
	s_delay_alu instid0(VALU_DEP_1) | instskip(NEXT) | instid1(SALU_CYCLE_1)
	s_and_b32 s27, vcc_lo, s10
	s_and_saveexec_b32 s10, s27
	s_cbranch_execz .LBB4_235
; %bb.239:                              ;   in Loop: Header=BB4_236 Depth=2
	v_lshlrev_b16 v2, 8, v2
	s_delay_alu instid0(VALU_DEP_1)
	v_or_b32_e32 v2, 1, v2
	ds_store_b16 v22, v2 offset:3072
	s_branch .LBB4_235
.LBB4_240:                              ;   in Loop: Header=BB4_6 Depth=1
	s_mov_b32 s23, -1
	s_mov_b32 s10, 0
                                        ; implicit-def: $sgpr24
                                        ; implicit-def: $vgpr25
	s_mov_b32 s15, s23
	s_cbranch_execnz .LBB4_243
	s_branch .LBB4_252
.LBB4_241:                              ;   in Loop: Header=BB4_6 Depth=1
	s_set_inst_prefetch_distance 0x2
	s_or_b32 exec_lo, exec_lo, s25
	v_lshrrev_b16 v25, 8, v2
	s_and_b32 s10, s26, exec_lo
.LBB4_242:                              ;   in Loop: Header=BB4_6 Depth=1
	s_or_b32 exec_lo, exec_lo, s23
	s_mov_b32 s23, 0
	s_mov_b32 s24, -1
	s_mov_b32 s15, s23
	s_branch .LBB4_252
.LBB4_243:                              ;   in Loop: Header=BB4_6 Depth=1
	s_mov_b32 s10, 0
                                        ; implicit-def: $vgpr25
	s_and_saveexec_b32 s15, s9
	s_cbranch_execz .LBB4_251
; %bb.244:                              ;   in Loop: Header=BB4_6 Depth=1
	v_dual_mov_b32 v1, v14 :: v_dual_mov_b32 v2, v0
	s_mov_b32 s23, 0
                                        ; implicit-def: $sgpr24
	s_set_inst_prefetch_distance 0x1
	s_branch .LBB4_246
	.p2align	6
.LBB4_245:                              ;   in Loop: Header=BB4_246 Depth=2
	s_or_b32 exec_lo, exec_lo, s10
	s_waitcnt lgkmcnt(0)
	s_barrier
	buffer_gl0_inv
	ds_load_u16 v3, v22 offset:3072
	v_add_nc_u32_e32 v2, s33, v2
	v_add_nc_u32_e32 v1, s35, v1
	s_waitcnt lgkmcnt(0)
	s_barrier
	buffer_gl0_inv
	v_cmp_le_u32_e32 vcc_lo, s61, v2
	v_and_b32_e32 v4, 0xff, v3
	s_delay_alu instid0(VALU_DEP_1) | instskip(NEXT) | instid1(VALU_DEP_1)
	v_cmp_ne_u16_e64 s10, 0, v4
	s_or_b32 s25, vcc_lo, s10
	s_delay_alu instid0(SALU_CYCLE_1) | instskip(NEXT) | instid1(SALU_CYCLE_1)
	s_and_b32 s25, exec_lo, s25
	s_or_b32 s23, s25, s23
	s_and_not1_b32 s24, s24, exec_lo
	s_and_b32 s10, s10, exec_lo
	s_delay_alu instid0(SALU_CYCLE_1)
	s_or_b32 s24, s24, s10
	s_and_not1_b32 exec_lo, exec_lo, s23
	s_cbranch_execz .LBB4_250
.LBB4_246:                              ;   Parent Loop BB4_6 Depth=1
                                        ; =>  This Inner Loop Header: Depth=2
	s_delay_alu instid0(VALU_DEP_1)
	v_cmp_gt_u32_e32 vcc_lo, s36, v2
	v_mov_b32_e32 v3, 0
	s_and_saveexec_b32 s10, vcc_lo
	s_cbranch_execz .LBB4_248
; %bb.247:                              ;   in Loop: Header=BB4_246 Depth=2
	global_load_u8 v3, v1, s[30:31]
.LBB4_248:                              ;   in Loop: Header=BB4_246 Depth=2
	s_or_b32 exec_lo, exec_lo, s10
	s_waitcnt vmcnt(0)
	v_and_b32_e32 v4, v3, v23
	s_delay_alu instid0(VALU_DEP_1) | instskip(NEXT) | instid1(VALU_DEP_1)
	v_and_b32_e32 v4, 0xff, v4
	v_cmp_eq_u32_e64 s10, v4, v24
	s_delay_alu instid0(VALU_DEP_1) | instskip(NEXT) | instid1(SALU_CYCLE_1)
	s_and_b32 s25, vcc_lo, s10
	s_and_saveexec_b32 s10, s25
	s_cbranch_execz .LBB4_245
; %bb.249:                              ;   in Loop: Header=BB4_246 Depth=2
	v_lshlrev_b16 v3, 8, v3
	s_delay_alu instid0(VALU_DEP_1)
	v_or_b32_e32 v3, 1, v3
	ds_store_b16 v22, v3 offset:3072
	s_branch .LBB4_245
.LBB4_250:                              ;   in Loop: Header=BB4_6 Depth=1
	s_set_inst_prefetch_distance 0x2
	s_or_b32 exec_lo, exec_lo, s23
	v_lshrrev_b16 v25, 8, v3
	s_and_b32 s10, s24, exec_lo
.LBB4_251:                              ;   in Loop: Header=BB4_6 Depth=1
	s_or_b32 exec_lo, exec_lo, s15
	s_mov_b32 s24, 0
	s_mov_b32 s23, -1
	s_mov_b32 s15, 0
.LBB4_252:                              ;   in Loop: Header=BB4_6 Depth=1
	s_or_not1_b32 s10, s10, exec_lo
.LBB4_253:                              ;   in Loop: Header=BB4_6 Depth=1
	s_or_b32 exec_lo, exec_lo, s21
                                        ; implicit-def: $vgpr27
                                        ; implicit-def: $vgpr4
                                        ; implicit-def: $vgpr1
                                        ; implicit-def: $vgpr2
                                        ; implicit-def: $vgpr3
	s_and_saveexec_b32 s21, s10
	s_cbranch_execz .LBB4_382
; %bb.254:                              ;   in Loop: Header=BB4_6 Depth=1
	v_dual_mov_b32 v4, 1 :: v_dual_mov_b32 v27, 1
	s_xor_b32 s22, s22, -1
	s_mov_b32 s28, 0
	s_and_saveexec_b32 s10, s22
	s_cbranch_execz .LBB4_264
; %bb.255:                              ;   in Loop: Header=BB4_6 Depth=1
	s_mov_b32 s25, exec_lo
                                        ; implicit-def: $sgpr26
                                        ; implicit-def: $sgpr22
	v_cmpx_ge_u32_e64 s19, v26
	s_xor_b32 s25, exec_lo, s25
	s_cbranch_execz .LBB4_261
; %bb.256:                              ;   in Loop: Header=BB4_6 Depth=1
	ds_load_b32 v1, v22 offset:4096
	s_waitcnt lgkmcnt(0)
	v_cmp_ne_u32_e32 vcc_lo, 0, v1
	s_cbranch_vccnz .LBB4_260
; %bb.257:                              ;   in Loop: Header=BB4_6 Depth=1
	s_and_saveexec_b32 s22, s5
	s_cbranch_execz .LBB4_259
; %bb.258:                              ;   in Loop: Header=BB4_6 Depth=1
	v_mov_b32_e32 v1, s19
	ds_store_b32 v22, v1 offset:4100
.LBB4_259:                              ;   in Loop: Header=BB4_6 Depth=1
	s_or_b32 exec_lo, exec_lo, s22
	s_waitcnt lgkmcnt(0)
	s_barrier
	buffer_gl0_inv
.LBB4_260:                              ;   in Loop: Header=BB4_6 Depth=1
	v_or_b32_e32 v24, s13, v24
	v_or_b32_e32 v23, s13, v23
	s_mov_b32 s22, 0
	s_mov_b32 s26, 5
.LBB4_261:                              ;   in Loop: Header=BB4_6 Depth=1
	s_or_saveexec_b32 s25, s25
	v_mov_b32_e32 v27, s26
	s_xor_b32 exec_lo, exec_lo, s25
; %bb.262:                              ;   in Loop: Header=BB4_6 Depth=1
	v_subrev_nc_u32_e32 v26, s19, v26
	v_mov_b32_e32 v27, 0
	s_or_b32 s22, s22, exec_lo
; %bb.263:                              ;   in Loop: Header=BB4_6 Depth=1
	s_or_b32 exec_lo, exec_lo, s25
	s_delay_alu instid0(VALU_DEP_2)
	v_mov_b32_e32 v4, v26
	s_and_b32 s28, s22, exec_lo
.LBB4_264:                              ;   in Loop: Header=BB4_6 Depth=1
	s_or_b32 exec_lo, exec_lo, s10
	s_mov_b32 s26, -1
                                        ; implicit-def: $sgpr22
                                        ; implicit-def: $sgpr25
                                        ; implicit-def: $sgpr27
	s_and_saveexec_b32 s10, s28
	s_delay_alu instid0(SALU_CYCLE_1)
	s_xor_b32 s19, exec_lo, s10
	s_cbranch_execz .LBB4_379
; %bb.265:                              ;   in Loop: Header=BB4_6 Depth=1
	v_cmp_eq_u32_e32 vcc_lo, 1, v4
	s_cmp_eq_u32 s18, 1
                                        ; implicit-def: $sgpr22
                                        ; implicit-def: $sgpr25
                                        ; implicit-def: $sgpr26
	s_cselect_b32 s10, -1, 0
	s_delay_alu instid0(SALU_CYCLE_1)
	s_and_b32 s28, s10, vcc_lo
	s_mov_b32 s10, -1
	s_and_saveexec_b32 s27, s28
	s_cbranch_execz .LBB4_289
; %bb.266:                              ;   in Loop: Header=BB4_6 Depth=1
	ds_load_b32 v1, v22 offset:4096
	s_waitcnt lgkmcnt(0)
	s_barrier
	buffer_gl0_inv
	v_readfirstlane_b32 s22, v1
	s_and_saveexec_b32 s10, s6
	s_cbranch_execz .LBB4_268
; %bb.267:                              ;   in Loop: Header=BB4_6 Depth=1
	ds_store_b8 v0, v15 offset:3072
.LBB4_268:                              ;   in Loop: Header=BB4_6 Depth=1
	s_or_b32 exec_lo, exec_lo, s10
	s_lshl_b32 s10, 2, s17
	v_or_b32_e32 v23, s13, v23
	v_and_or_b32 v24, v24, s14, s10
	s_cmp_eq_u32 s22, 0
	s_waitcnt lgkmcnt(0)
	s_barrier
	buffer_gl0_inv
	s_cbranch_scc1 .LBB4_276
; %bb.269:                              ;   in Loop: Header=BB4_6 Depth=1
	s_add_i32 s10, s22, s53
                                        ; implicit-def: $vgpr25
	s_delay_alu instid0(SALU_CYCLE_1) | instskip(NEXT) | instid1(SALU_CYCLE_1)
	s_mul_hi_u32 s25, s10, s59
	s_mul_i32 s25, s25, s33
	s_delay_alu instid0(SALU_CYCLE_1) | instskip(NEXT) | instid1(SALU_CYCLE_1)
	s_sub_i32 s25, s10, s25
	s_sub_i32 s26, s25, s33
	s_cmp_ge_u32 s25, s33
	s_cselect_b32 s25, s26, s25
	s_delay_alu instid0(SALU_CYCLE_1) | instskip(SKIP_2) | instid1(SALU_CYCLE_1)
	s_sub_i32 s26, s25, s33
	s_cmp_ge_u32 s25, s33
	s_cselect_b32 s25, s26, s25
	s_sub_i32 s26, s10, s25
	s_mov_b32 s10, 0
	s_mov_b32 s25, exec_lo
	v_cmpx_gt_u32_e64 s26, v0
	s_cbranch_execz .LBB4_278
; %bb.270:                              ;   in Loop: Header=BB4_6 Depth=1
	v_mov_b32_e32 v1, v0
	s_mov_b32 s29, 0
                                        ; implicit-def: $sgpr75
	s_set_inst_prefetch_distance 0x1
	s_branch .LBB4_272
	.p2align	6
.LBB4_271:                              ;   in Loop: Header=BB4_272 Depth=2
	s_or_b32 exec_lo, exec_lo, s10
	s_waitcnt lgkmcnt(0)
	s_barrier
	buffer_gl0_inv
	ds_load_u16 v2, v22 offset:3072
	v_add_nc_u32_e32 v1, s33, v1
	s_waitcnt lgkmcnt(0)
	s_barrier
	buffer_gl0_inv
	v_cmp_le_u32_e32 vcc_lo, s26, v1
	v_and_b32_e32 v3, 0xff, v2
	s_delay_alu instid0(VALU_DEP_1) | instskip(NEXT) | instid1(VALU_DEP_1)
	v_cmp_ne_u16_e64 s10, 0, v3
	s_or_b32 s76, vcc_lo, s10
	s_delay_alu instid0(SALU_CYCLE_1) | instskip(NEXT) | instid1(SALU_CYCLE_1)
	s_and_b32 s76, exec_lo, s76
	s_or_b32 s29, s76, s29
	s_and_not1_b32 s75, s75, exec_lo
	s_and_b32 s10, s10, exec_lo
	s_delay_alu instid0(SALU_CYCLE_1)
	s_or_b32 s75, s75, s10
	s_and_not1_b32 exec_lo, exec_lo, s29
	s_cbranch_execz .LBB4_277
.LBB4_272:                              ;   Parent Loop BB4_6 Depth=1
                                        ; =>  This Inner Loop Header: Depth=2
	s_delay_alu instid0(VALU_DEP_1)
	v_cmp_gt_u32_e32 vcc_lo, s22, v1
	v_mov_b32_e32 v2, 0
	s_and_saveexec_b32 s10, vcc_lo
	s_cbranch_execz .LBB4_274
; %bb.273:                              ;   in Loop: Header=BB4_272 Depth=2
	ds_load_u8 v2, v1
.LBB4_274:                              ;   in Loop: Header=BB4_272 Depth=2
	s_or_b32 exec_lo, exec_lo, s10
	s_waitcnt lgkmcnt(0)
	v_and_b32_e32 v3, v2, v23
	s_delay_alu instid0(VALU_DEP_1) | instskip(NEXT) | instid1(VALU_DEP_1)
	v_and_b32_e32 v3, 0xff, v3
	v_cmp_eq_u32_e64 s10, v3, v24
	s_delay_alu instid0(VALU_DEP_1) | instskip(NEXT) | instid1(SALU_CYCLE_1)
	s_and_b32 s76, vcc_lo, s10
	s_and_saveexec_b32 s10, s76
	s_cbranch_execz .LBB4_271
; %bb.275:                              ;   in Loop: Header=BB4_272 Depth=2
	v_lshlrev_b16 v2, 8, v2
	s_delay_alu instid0(VALU_DEP_1)
	v_or_b32_e32 v2, 1, v2
	ds_store_b16 v22, v2 offset:3072
	s_branch .LBB4_271
.LBB4_276:                              ;   in Loop: Header=BB4_6 Depth=1
	s_mov_b32 s22, -1
	s_mov_b32 s10, 0
                                        ; implicit-def: $sgpr25
                                        ; implicit-def: $vgpr25
	s_mov_b32 s26, s22
	s_cbranch_execnz .LBB4_279
	s_branch .LBB4_288
.LBB4_277:                              ;   in Loop: Header=BB4_6 Depth=1
	s_set_inst_prefetch_distance 0x2
	s_or_b32 exec_lo, exec_lo, s29
	v_lshrrev_b16 v25, 8, v2
	s_and_b32 s10, s75, exec_lo
.LBB4_278:                              ;   in Loop: Header=BB4_6 Depth=1
	s_or_b32 exec_lo, exec_lo, s25
	s_mov_b32 s22, 0
	s_mov_b32 s25, -1
	s_mov_b32 s26, s22
	s_branch .LBB4_288
.LBB4_279:                              ;   in Loop: Header=BB4_6 Depth=1
	s_mov_b32 s10, 0
                                        ; implicit-def: $vgpr25
	s_and_saveexec_b32 s22, s9
	s_cbranch_execz .LBB4_287
; %bb.280:                              ;   in Loop: Header=BB4_6 Depth=1
	v_dual_mov_b32 v1, v14 :: v_dual_mov_b32 v2, v0
	s_mov_b32 s25, 0
                                        ; implicit-def: $sgpr26
	s_set_inst_prefetch_distance 0x1
	s_branch .LBB4_282
	.p2align	6
.LBB4_281:                              ;   in Loop: Header=BB4_282 Depth=2
	s_or_b32 exec_lo, exec_lo, s10
	s_waitcnt lgkmcnt(0)
	s_barrier
	buffer_gl0_inv
	ds_load_u16 v3, v22 offset:3072
	v_add_nc_u32_e32 v2, s33, v2
	v_add_nc_u32_e32 v1, s35, v1
	s_waitcnt lgkmcnt(0)
	s_barrier
	buffer_gl0_inv
	v_cmp_le_u32_e32 vcc_lo, s61, v2
	v_and_b32_e32 v25, 0xff, v3
	s_delay_alu instid0(VALU_DEP_1) | instskip(NEXT) | instid1(VALU_DEP_1)
	v_cmp_ne_u16_e64 s10, 0, v25
	s_or_b32 s29, vcc_lo, s10
	s_delay_alu instid0(SALU_CYCLE_1) | instskip(NEXT) | instid1(SALU_CYCLE_1)
	s_and_b32 s29, exec_lo, s29
	s_or_b32 s25, s29, s25
	s_and_not1_b32 s26, s26, exec_lo
	s_and_b32 s10, s10, exec_lo
	s_delay_alu instid0(SALU_CYCLE_1)
	s_or_b32 s26, s26, s10
	s_and_not1_b32 exec_lo, exec_lo, s25
	s_cbranch_execz .LBB4_286
.LBB4_282:                              ;   Parent Loop BB4_6 Depth=1
                                        ; =>  This Inner Loop Header: Depth=2
	s_delay_alu instid0(VALU_DEP_1)
	v_cmp_gt_u32_e32 vcc_lo, s36, v2
	v_mov_b32_e32 v3, 0
	s_and_saveexec_b32 s10, vcc_lo
	s_cbranch_execz .LBB4_284
; %bb.283:                              ;   in Loop: Header=BB4_282 Depth=2
	global_load_u8 v3, v1, s[30:31]
.LBB4_284:                              ;   in Loop: Header=BB4_282 Depth=2
	s_or_b32 exec_lo, exec_lo, s10
	s_waitcnt vmcnt(0)
	v_and_b32_e32 v25, v3, v23
	s_delay_alu instid0(VALU_DEP_1) | instskip(NEXT) | instid1(VALU_DEP_1)
	v_and_b32_e32 v25, 0xff, v25
	v_cmp_eq_u32_e64 s10, v25, v24
	s_delay_alu instid0(VALU_DEP_1) | instskip(NEXT) | instid1(SALU_CYCLE_1)
	s_and_b32 s29, vcc_lo, s10
	s_and_saveexec_b32 s10, s29
	s_cbranch_execz .LBB4_281
; %bb.285:                              ;   in Loop: Header=BB4_282 Depth=2
	v_lshlrev_b16 v3, 8, v3
	s_delay_alu instid0(VALU_DEP_1)
	v_or_b32_e32 v3, 1, v3
	ds_store_b16 v22, v3 offset:3072
	s_branch .LBB4_281
.LBB4_286:                              ;   in Loop: Header=BB4_6 Depth=1
	s_set_inst_prefetch_distance 0x2
	s_or_b32 exec_lo, exec_lo, s25
	v_lshrrev_b16 v25, 8, v3
	s_and_b32 s10, s26, exec_lo
.LBB4_287:                              ;   in Loop: Header=BB4_6 Depth=1
	s_or_b32 exec_lo, exec_lo, s22
	s_mov_b32 s25, 0
	s_mov_b32 s22, -1
	s_mov_b32 s26, 0
.LBB4_288:                              ;   in Loop: Header=BB4_6 Depth=1
	s_or_not1_b32 s10, s10, exec_lo
.LBB4_289:                              ;   in Loop: Header=BB4_6 Depth=1
	s_or_b32 exec_lo, exec_lo, s27
	s_mov_b32 s29, 0
                                        ; implicit-def: $vgpr27
	s_and_saveexec_b32 s27, s10
	s_cbranch_execz .LBB4_378
; %bb.290:                              ;   in Loop: Header=BB4_6 Depth=1
	v_mov_b32_e32 v1, 1
	v_mov_b32_e32 v27, 1
	s_xor_b32 s28, s28, -1
	s_mov_b32 s75, 0
	s_and_saveexec_b32 s10, s28
	s_cbranch_execz .LBB4_300
; %bb.291:                              ;   in Loop: Header=BB4_6 Depth=1
	s_mov_b32 s29, exec_lo
                                        ; implicit-def: $sgpr75
                                        ; implicit-def: $sgpr28
	v_cmpx_ge_u32_e64 s18, v4
	s_xor_b32 s29, exec_lo, s29
	s_cbranch_execz .LBB4_297
; %bb.292:                              ;   in Loop: Header=BB4_6 Depth=1
	ds_load_b32 v1, v22 offset:4096
	s_waitcnt lgkmcnt(0)
	v_cmp_ne_u32_e32 vcc_lo, 0, v1
	s_cbranch_vccnz .LBB4_296
; %bb.293:                              ;   in Loop: Header=BB4_6 Depth=1
	s_and_saveexec_b32 s28, s5
	s_cbranch_execz .LBB4_295
; %bb.294:                              ;   in Loop: Header=BB4_6 Depth=1
	v_mov_b32_e32 v1, s18
	ds_store_b32 v22, v1 offset:4100
.LBB4_295:                              ;   in Loop: Header=BB4_6 Depth=1
	s_or_b32 exec_lo, exec_lo, s28
	s_waitcnt lgkmcnt(0)
	s_barrier
	buffer_gl0_inv
.LBB4_296:                              ;   in Loop: Header=BB4_6 Depth=1
	s_lshl_b32 s28, 2, s17
	v_or_b32_e32 v23, s13, v23
	v_and_or_b32 v24, v24, s14, s28
	s_mov_b32 s28, 0
	s_mov_b32 s75, 5
.LBB4_297:                              ;   in Loop: Header=BB4_6 Depth=1
	s_or_saveexec_b32 s29, s29
	v_mov_b32_e32 v27, s75
	s_xor_b32 exec_lo, exec_lo, s29
; %bb.298:                              ;   in Loop: Header=BB4_6 Depth=1
	v_subrev_nc_u32_e32 v4, s18, v4
	v_mov_b32_e32 v27, 0
	s_or_b32 s28, s28, exec_lo
; %bb.299:                              ;   in Loop: Header=BB4_6 Depth=1
	s_or_b32 exec_lo, exec_lo, s29
	s_delay_alu instid0(VALU_DEP_2)
	v_mov_b32_e32 v1, v4
	s_and_b32 s75, s28, exec_lo
.LBB4_300:                              ;   in Loop: Header=BB4_6 Depth=1
	s_or_b32 exec_lo, exec_lo, s10
	s_mov_b32 s10, -1
                                        ; implicit-def: $sgpr28
                                        ; implicit-def: $sgpr29
                                        ; implicit-def: $sgpr76
	s_and_saveexec_b32 s18, s75
	s_cbranch_execz .LBB4_377
; %bb.301:                              ;   in Loop: Header=BB4_6 Depth=1
	v_cmp_eq_u32_e32 vcc_lo, 1, v1
	s_cmp_eq_u32 s16, 1
                                        ; implicit-def: $sgpr28
                                        ; implicit-def: $sgpr29
                                        ; implicit-def: $sgpr75
	s_cselect_b32 s10, -1, 0
	s_delay_alu instid0(SALU_CYCLE_1)
	s_and_b32 s77, s10, vcc_lo
	s_mov_b32 s10, -1
	s_and_saveexec_b32 s76, s77
	s_cbranch_execz .LBB4_325
; %bb.302:                              ;   in Loop: Header=BB4_6 Depth=1
	ds_load_b32 v2, v22 offset:4096
	s_waitcnt lgkmcnt(0)
	s_barrier
	buffer_gl0_inv
	v_readfirstlane_b32 s28, v2
	s_and_saveexec_b32 s10, s6
	s_cbranch_execz .LBB4_304
; %bb.303:                              ;   in Loop: Header=BB4_6 Depth=1
	ds_store_b8 v0, v15 offset:3072
.LBB4_304:                              ;   in Loop: Header=BB4_6 Depth=1
	s_or_b32 exec_lo, exec_lo, s10
	s_lshl_b32 s10, 1, s17
	v_or_b32_e32 v23, s13, v23
	v_and_or_b32 v24, v24, s14, s10
	s_cmp_eq_u32 s28, 0
	s_waitcnt lgkmcnt(0)
	s_barrier
	buffer_gl0_inv
	s_cbranch_scc1 .LBB4_312
; %bb.305:                              ;   in Loop: Header=BB4_6 Depth=1
	s_add_i32 s10, s28, s53
                                        ; implicit-def: $vgpr25
	s_delay_alu instid0(SALU_CYCLE_1) | instskip(NEXT) | instid1(SALU_CYCLE_1)
	s_mul_hi_u32 s29, s10, s59
	s_mul_i32 s29, s29, s33
	s_delay_alu instid0(SALU_CYCLE_1) | instskip(NEXT) | instid1(SALU_CYCLE_1)
	s_sub_i32 s29, s10, s29
	s_sub_i32 s75, s29, s33
	s_cmp_ge_u32 s29, s33
	s_cselect_b32 s29, s75, s29
	s_delay_alu instid0(SALU_CYCLE_1) | instskip(SKIP_2) | instid1(SALU_CYCLE_1)
	s_sub_i32 s75, s29, s33
	s_cmp_ge_u32 s29, s33
	s_cselect_b32 s29, s75, s29
	s_sub_i32 s75, s10, s29
	s_mov_b32 s10, 0
	s_mov_b32 s29, exec_lo
	v_cmpx_gt_u32_e64 s75, v0
	s_cbranch_execz .LBB4_314
; %bb.306:                              ;   in Loop: Header=BB4_6 Depth=1
	v_mov_b32_e32 v2, v0
	s_mov_b32 s78, 0
                                        ; implicit-def: $sgpr79
	s_set_inst_prefetch_distance 0x1
	s_branch .LBB4_308
	.p2align	6
.LBB4_307:                              ;   in Loop: Header=BB4_308 Depth=2
	s_or_b32 exec_lo, exec_lo, s10
	s_waitcnt lgkmcnt(0)
	s_barrier
	buffer_gl0_inv
	ds_load_u16 v3, v22 offset:3072
	v_add_nc_u32_e32 v2, s33, v2
	s_waitcnt lgkmcnt(0)
	s_barrier
	buffer_gl0_inv
	v_cmp_le_u32_e32 vcc_lo, s75, v2
	v_and_b32_e32 v4, 0xff, v3
	s_delay_alu instid0(VALU_DEP_1) | instskip(NEXT) | instid1(VALU_DEP_1)
	v_cmp_ne_u16_e64 s10, 0, v4
	s_or_b32 s80, vcc_lo, s10
	s_delay_alu instid0(SALU_CYCLE_1) | instskip(NEXT) | instid1(SALU_CYCLE_1)
	s_and_b32 s80, exec_lo, s80
	s_or_b32 s78, s80, s78
	s_and_not1_b32 s79, s79, exec_lo
	s_and_b32 s10, s10, exec_lo
	s_delay_alu instid0(SALU_CYCLE_1)
	s_or_b32 s79, s79, s10
	s_and_not1_b32 exec_lo, exec_lo, s78
	s_cbranch_execz .LBB4_313
.LBB4_308:                              ;   Parent Loop BB4_6 Depth=1
                                        ; =>  This Inner Loop Header: Depth=2
	s_delay_alu instid0(VALU_DEP_1)
	v_cmp_gt_u32_e32 vcc_lo, s28, v2
	v_mov_b32_e32 v3, 0
	s_and_saveexec_b32 s10, vcc_lo
	s_cbranch_execz .LBB4_310
; %bb.309:                              ;   in Loop: Header=BB4_308 Depth=2
	ds_load_u8 v3, v2
.LBB4_310:                              ;   in Loop: Header=BB4_308 Depth=2
	s_or_b32 exec_lo, exec_lo, s10
	s_waitcnt lgkmcnt(0)
	v_and_b32_e32 v4, v3, v23
	s_delay_alu instid0(VALU_DEP_1) | instskip(NEXT) | instid1(VALU_DEP_1)
	v_and_b32_e32 v4, 0xff, v4
	v_cmp_eq_u32_e64 s10, v4, v24
	s_delay_alu instid0(VALU_DEP_1) | instskip(NEXT) | instid1(SALU_CYCLE_1)
	s_and_b32 s80, vcc_lo, s10
	s_and_saveexec_b32 s10, s80
	s_cbranch_execz .LBB4_307
; %bb.311:                              ;   in Loop: Header=BB4_308 Depth=2
	v_lshlrev_b16 v3, 8, v3
	s_delay_alu instid0(VALU_DEP_1)
	v_or_b32_e32 v3, 1, v3
	ds_store_b16 v22, v3 offset:3072
	s_branch .LBB4_307
.LBB4_312:                              ;   in Loop: Header=BB4_6 Depth=1
	s_mov_b32 s28, -1
	s_mov_b32 s10, 0
                                        ; implicit-def: $sgpr29
                                        ; implicit-def: $vgpr25
	s_mov_b32 s75, s28
	s_cbranch_execnz .LBB4_315
	s_branch .LBB4_324
.LBB4_313:                              ;   in Loop: Header=BB4_6 Depth=1
	s_set_inst_prefetch_distance 0x2
	s_or_b32 exec_lo, exec_lo, s78
	v_lshrrev_b16 v25, 8, v3
	s_and_b32 s10, s79, exec_lo
.LBB4_314:                              ;   in Loop: Header=BB4_6 Depth=1
	s_or_b32 exec_lo, exec_lo, s29
	s_mov_b32 s28, 0
	s_mov_b32 s29, -1
	s_mov_b32 s75, s28
	s_branch .LBB4_324
.LBB4_315:                              ;   in Loop: Header=BB4_6 Depth=1
	s_mov_b32 s10, 0
                                        ; implicit-def: $vgpr25
	s_and_saveexec_b32 s28, s9
	s_cbranch_execz .LBB4_323
; %bb.316:                              ;   in Loop: Header=BB4_6 Depth=1
	v_dual_mov_b32 v2, v14 :: v_dual_mov_b32 v3, v0
	s_mov_b32 s29, 0
                                        ; implicit-def: $sgpr75
	s_set_inst_prefetch_distance 0x1
	s_branch .LBB4_318
	.p2align	6
.LBB4_317:                              ;   in Loop: Header=BB4_318 Depth=2
	s_or_b32 exec_lo, exec_lo, s10
	s_waitcnt lgkmcnt(0)
	s_barrier
	buffer_gl0_inv
	ds_load_u16 v4, v22 offset:3072
	v_add_nc_u32_e32 v3, s33, v3
	v_add_nc_u32_e32 v2, s35, v2
	s_waitcnt lgkmcnt(0)
	s_barrier
	buffer_gl0_inv
	v_cmp_le_u32_e32 vcc_lo, s61, v3
	v_and_b32_e32 v25, 0xff, v4
	s_delay_alu instid0(VALU_DEP_1) | instskip(NEXT) | instid1(VALU_DEP_1)
	v_cmp_ne_u16_e64 s10, 0, v25
	s_or_b32 s78, vcc_lo, s10
	s_delay_alu instid0(SALU_CYCLE_1) | instskip(NEXT) | instid1(SALU_CYCLE_1)
	s_and_b32 s78, exec_lo, s78
	s_or_b32 s29, s78, s29
	s_and_not1_b32 s75, s75, exec_lo
	s_and_b32 s10, s10, exec_lo
	s_delay_alu instid0(SALU_CYCLE_1)
	s_or_b32 s75, s75, s10
	s_and_not1_b32 exec_lo, exec_lo, s29
	s_cbranch_execz .LBB4_322
.LBB4_318:                              ;   Parent Loop BB4_6 Depth=1
                                        ; =>  This Inner Loop Header: Depth=2
	s_delay_alu instid0(VALU_DEP_1)
	v_cmp_gt_u32_e32 vcc_lo, s36, v3
	v_mov_b32_e32 v4, 0
	s_and_saveexec_b32 s10, vcc_lo
	s_cbranch_execz .LBB4_320
; %bb.319:                              ;   in Loop: Header=BB4_318 Depth=2
	global_load_u8 v4, v2, s[30:31]
.LBB4_320:                              ;   in Loop: Header=BB4_318 Depth=2
	s_or_b32 exec_lo, exec_lo, s10
	s_waitcnt vmcnt(0)
	v_and_b32_e32 v25, v4, v23
	s_delay_alu instid0(VALU_DEP_1) | instskip(NEXT) | instid1(VALU_DEP_1)
	v_and_b32_e32 v25, 0xff, v25
	v_cmp_eq_u32_e64 s10, v25, v24
	s_delay_alu instid0(VALU_DEP_1) | instskip(NEXT) | instid1(SALU_CYCLE_1)
	s_and_b32 s78, vcc_lo, s10
	s_and_saveexec_b32 s10, s78
	s_cbranch_execz .LBB4_317
; %bb.321:                              ;   in Loop: Header=BB4_318 Depth=2
	v_lshlrev_b16 v4, 8, v4
	s_delay_alu instid0(VALU_DEP_1)
	v_or_b32_e32 v4, 1, v4
	ds_store_b16 v22, v4 offset:3072
	s_branch .LBB4_317
.LBB4_322:                              ;   in Loop: Header=BB4_6 Depth=1
	s_set_inst_prefetch_distance 0x2
	s_or_b32 exec_lo, exec_lo, s29
	v_lshrrev_b16 v25, 8, v4
	s_and_b32 s10, s75, exec_lo
.LBB4_323:                              ;   in Loop: Header=BB4_6 Depth=1
	s_or_b32 exec_lo, exec_lo, s28
	s_mov_b32 s29, 0
	s_mov_b32 s28, -1
	s_mov_b32 s75, 0
.LBB4_324:                              ;   in Loop: Header=BB4_6 Depth=1
	s_or_not1_b32 s10, s10, exec_lo
.LBB4_325:                              ;   in Loop: Header=BB4_6 Depth=1
	s_or_b32 exec_lo, exec_lo, s76
	s_mov_b32 s78, 0
                                        ; implicit-def: $vgpr27
	s_and_saveexec_b32 s76, s10
	s_cbranch_execz .LBB4_376
; %bb.326:                              ;   in Loop: Header=BB4_6 Depth=1
	v_dual_mov_b32 v2, 1 :: v_dual_mov_b32 v27, 1
	s_xor_b32 s78, s77, -1
	s_mov_b32 s77, 0
	s_and_saveexec_b32 s10, s78
	s_cbranch_execz .LBB4_336
; %bb.327:                              ;   in Loop: Header=BB4_6 Depth=1
	s_mov_b32 s78, exec_lo
                                        ; implicit-def: $sgpr79
                                        ; implicit-def: $sgpr77
	v_cmpx_ge_u32_e64 s16, v1
	s_xor_b32 s78, exec_lo, s78
	s_cbranch_execz .LBB4_333
; %bb.328:                              ;   in Loop: Header=BB4_6 Depth=1
	ds_load_b32 v2, v22 offset:4096
	s_waitcnt lgkmcnt(0)
	v_cmp_ne_u32_e32 vcc_lo, 0, v2
	s_cbranch_vccnz .LBB4_332
; %bb.329:                              ;   in Loop: Header=BB4_6 Depth=1
	s_and_saveexec_b32 s77, s5
	s_cbranch_execz .LBB4_331
; %bb.330:                              ;   in Loop: Header=BB4_6 Depth=1
	v_mov_b32_e32 v2, s16
	ds_store_b32 v22, v2 offset:4100
.LBB4_331:                              ;   in Loop: Header=BB4_6 Depth=1
	s_or_b32 exec_lo, exec_lo, s77
	s_waitcnt lgkmcnt(0)
	s_barrier
	buffer_gl0_inv
.LBB4_332:                              ;   in Loop: Header=BB4_6 Depth=1
	s_lshl_b32 s17, 1, s17
	v_or_b32_e32 v23, s13, v23
	v_and_or_b32 v24, v24, s14, s17
	s_mov_b32 s77, 0
	s_mov_b32 s79, 5
.LBB4_333:                              ;   in Loop: Header=BB4_6 Depth=1
	s_or_saveexec_b32 s17, s78
	v_mov_b32_e32 v27, s79
	s_xor_b32 exec_lo, exec_lo, s17
; %bb.334:                              ;   in Loop: Header=BB4_6 Depth=1
	v_subrev_nc_u32_e32 v1, s16, v1
	v_mov_b32_e32 v27, 0
	s_or_b32 s77, s77, exec_lo
; %bb.335:                              ;   in Loop: Header=BB4_6 Depth=1
	s_or_b32 exec_lo, exec_lo, s17
	s_delay_alu instid0(VALU_DEP_2)
	v_mov_b32_e32 v2, v1
	s_and_b32 s77, s77, exec_lo
.LBB4_336:                              ;   in Loop: Header=BB4_6 Depth=1
	s_or_b32 exec_lo, exec_lo, s10
	s_mov_b32 s17, -1
                                        ; implicit-def: $sgpr10
                                        ; implicit-def: $sgpr78
                                        ; implicit-def: $sgpr79
	s_and_saveexec_b32 s16, s77
	s_cbranch_execz .LBB4_375
; %bb.337:                              ;   in Loop: Header=BB4_6 Depth=1
	v_cmp_eq_u32_e32 vcc_lo, 1, v2
	s_cmp_eq_u32 s12, 1
	s_mov_b32 s80, -1
	s_cselect_b32 s10, -1, 0
                                        ; implicit-def: $sgpr78
                                        ; implicit-def: $sgpr79
	s_delay_alu instid0(SALU_CYCLE_1) | instskip(NEXT) | instid1(SALU_CYCLE_1)
	s_and_b32 s17, s10, vcc_lo
                                        ; implicit-def: $sgpr10
	s_and_saveexec_b32 s77, s17
	s_cbranch_execz .LBB4_362
; %bb.338:                              ;   in Loop: Header=BB4_6 Depth=1
	ds_load_b32 v1, v22 offset:4096
	s_waitcnt lgkmcnt(0)
	s_barrier
	buffer_gl0_inv
	v_readfirstlane_b32 s78, v1
	s_and_saveexec_b32 s10, s6
	s_cbranch_execz .LBB4_340
; %bb.339:                              ;   in Loop: Header=BB4_6 Depth=1
	ds_store_b8 v0, v15 offset:3072
.LBB4_340:                              ;   in Loop: Header=BB4_6 Depth=1
	s_or_b32 exec_lo, exec_lo, s10
	v_and_b32_e32 v24, s14, v24
	v_or_b32_e32 v23, s13, v23
	s_cmp_eq_u32 s78, 0
	s_waitcnt lgkmcnt(0)
	s_barrier
	buffer_gl0_inv
	s_cbranch_scc1 .LBB4_348
; %bb.341:                              ;   in Loop: Header=BB4_6 Depth=1
	s_add_i32 s10, s78, s53
                                        ; implicit-def: $vgpr25
	s_delay_alu instid0(SALU_CYCLE_1) | instskip(NEXT) | instid1(SALU_CYCLE_1)
	s_mul_hi_u32 s79, s10, s59
	s_mul_i32 s79, s79, s33
	s_delay_alu instid0(SALU_CYCLE_1) | instskip(NEXT) | instid1(SALU_CYCLE_1)
	s_sub_i32 s79, s10, s79
	s_sub_i32 s80, s79, s33
	s_cmp_ge_u32 s79, s33
	s_cselect_b32 s79, s80, s79
	s_delay_alu instid0(SALU_CYCLE_1)
	s_sub_i32 s80, s79, s33
	s_cmp_ge_u32 s79, s33
	s_cselect_b32 s79, s80, s79
	s_mov_b32 s80, 0
	s_sub_i32 s81, s10, s79
	s_mov_b32 s79, exec_lo
	v_cmpx_gt_u32_e64 s81, v0
	s_cbranch_execz .LBB4_350
; %bb.342:                              ;   in Loop: Header=BB4_6 Depth=1
	v_mov_b32_e32 v1, v0
                                        ; implicit-def: $sgpr82
	s_set_inst_prefetch_distance 0x1
	s_branch .LBB4_344
	.p2align	6
.LBB4_343:                              ;   in Loop: Header=BB4_344 Depth=2
	s_or_b32 exec_lo, exec_lo, s10
	s_waitcnt lgkmcnt(0)
	s_barrier
	buffer_gl0_inv
	ds_load_u16 v3, v22 offset:3072
	v_add_nc_u32_e32 v1, s33, v1
	s_waitcnt lgkmcnt(0)
	s_barrier
	buffer_gl0_inv
	v_cmp_le_u32_e32 vcc_lo, s81, v1
	v_and_b32_e32 v4, 0xff, v3
	s_delay_alu instid0(VALU_DEP_1) | instskip(NEXT) | instid1(VALU_DEP_1)
	v_cmp_ne_u16_e64 s10, 0, v4
	s_or_b32 s83, vcc_lo, s10
	s_delay_alu instid0(SALU_CYCLE_1) | instskip(NEXT) | instid1(SALU_CYCLE_1)
	s_and_b32 s83, exec_lo, s83
	s_or_b32 s80, s83, s80
	s_and_not1_b32 s82, s82, exec_lo
	s_and_b32 s10, s10, exec_lo
	s_delay_alu instid0(SALU_CYCLE_1)
	s_or_b32 s82, s82, s10
	s_and_not1_b32 exec_lo, exec_lo, s80
	s_cbranch_execz .LBB4_349
.LBB4_344:                              ;   Parent Loop BB4_6 Depth=1
                                        ; =>  This Inner Loop Header: Depth=2
	s_delay_alu instid0(VALU_DEP_1)
	v_cmp_gt_u32_e32 vcc_lo, s78, v1
	v_mov_b32_e32 v3, 0
	s_and_saveexec_b32 s10, vcc_lo
	s_cbranch_execz .LBB4_346
; %bb.345:                              ;   in Loop: Header=BB4_344 Depth=2
	ds_load_u8 v3, v1
.LBB4_346:                              ;   in Loop: Header=BB4_344 Depth=2
	s_or_b32 exec_lo, exec_lo, s10
	s_waitcnt lgkmcnt(0)
	v_and_b32_e32 v4, v3, v23
	s_delay_alu instid0(VALU_DEP_1) | instskip(NEXT) | instid1(VALU_DEP_1)
	v_and_b32_e32 v4, 0xff, v4
	v_cmp_eq_u32_e64 s10, v4, v24
	s_delay_alu instid0(VALU_DEP_1) | instskip(NEXT) | instid1(SALU_CYCLE_1)
	s_and_b32 s83, vcc_lo, s10
	s_and_saveexec_b32 s10, s83
	s_cbranch_execz .LBB4_343
; %bb.347:                              ;   in Loop: Header=BB4_344 Depth=2
	v_lshlrev_b16 v3, 8, v3
	s_delay_alu instid0(VALU_DEP_1)
	v_or_b32_e32 v3, 1, v3
	ds_store_b16 v22, v3 offset:3072
	s_branch .LBB4_343
.LBB4_348:                              ;   in Loop: Header=BB4_6 Depth=1
	s_mov_b32 s10, -1
	s_mov_b32 s80, 0
                                        ; implicit-def: $sgpr78
                                        ; implicit-def: $vgpr25
	s_branch .LBB4_351
.LBB4_349:                              ;   in Loop: Header=BB4_6 Depth=1
	s_set_inst_prefetch_distance 0x2
	s_or_b32 exec_lo, exec_lo, s80
	v_lshrrev_b16 v25, 8, v3
	s_and_b32 s80, s82, exec_lo
.LBB4_350:                              ;   in Loop: Header=BB4_6 Depth=1
	s_or_b32 exec_lo, exec_lo, s79
	s_mov_b32 s10, 0
	s_mov_b32 s78, -1
.LBB4_351:                              ;   in Loop: Header=BB4_6 Depth=1
	s_and_b32 vcc_lo, exec_lo, s10
	s_mov_b32 s79, s10
	s_cbranch_vccz .LBB4_361
; %bb.352:                              ;   in Loop: Header=BB4_6 Depth=1
	s_mov_b32 s80, 0
                                        ; implicit-def: $vgpr25
	s_and_saveexec_b32 s78, s9
	s_cbranch_execz .LBB4_360
; %bb.353:                              ;   in Loop: Header=BB4_6 Depth=1
	v_mov_b32_e32 v1, v14
	v_mov_b32_e32 v3, v0
	s_mov_b32 s79, 0
                                        ; implicit-def: $sgpr80
	s_set_inst_prefetch_distance 0x1
	s_branch .LBB4_355
	.p2align	6
.LBB4_354:                              ;   in Loop: Header=BB4_355 Depth=2
	s_or_b32 exec_lo, exec_lo, s10
	s_waitcnt lgkmcnt(0)
	s_barrier
	buffer_gl0_inv
	ds_load_u16 v4, v22 offset:3072
	v_add_nc_u32_e32 v3, s33, v3
	v_add_nc_u32_e32 v1, s35, v1
	s_waitcnt lgkmcnt(0)
	s_barrier
	buffer_gl0_inv
	v_cmp_le_u32_e32 vcc_lo, s61, v3
	v_and_b32_e32 v25, 0xff, v4
	s_delay_alu instid0(VALU_DEP_1) | instskip(NEXT) | instid1(VALU_DEP_1)
	v_cmp_ne_u16_e64 s10, 0, v25
	s_or_b32 s81, vcc_lo, s10
	s_delay_alu instid0(SALU_CYCLE_1) | instskip(NEXT) | instid1(SALU_CYCLE_1)
	s_and_b32 s81, exec_lo, s81
	s_or_b32 s79, s81, s79
	s_and_not1_b32 s80, s80, exec_lo
	s_and_b32 s10, s10, exec_lo
	s_delay_alu instid0(SALU_CYCLE_1)
	s_or_b32 s80, s80, s10
	s_and_not1_b32 exec_lo, exec_lo, s79
	s_cbranch_execz .LBB4_359
.LBB4_355:                              ;   Parent Loop BB4_6 Depth=1
                                        ; =>  This Inner Loop Header: Depth=2
	s_delay_alu instid0(VALU_DEP_1)
	v_cmp_gt_u32_e32 vcc_lo, s36, v3
	v_mov_b32_e32 v4, 0
	s_and_saveexec_b32 s10, vcc_lo
	s_cbranch_execz .LBB4_357
; %bb.356:                              ;   in Loop: Header=BB4_355 Depth=2
	global_load_u8 v4, v1, s[30:31]
.LBB4_357:                              ;   in Loop: Header=BB4_355 Depth=2
	s_or_b32 exec_lo, exec_lo, s10
	s_waitcnt vmcnt(0)
	v_and_b32_e32 v25, v4, v23
	s_delay_alu instid0(VALU_DEP_1) | instskip(NEXT) | instid1(VALU_DEP_1)
	v_and_b32_e32 v25, 0xff, v25
	v_cmp_eq_u32_e64 s10, v25, v24
	s_delay_alu instid0(VALU_DEP_1) | instskip(NEXT) | instid1(SALU_CYCLE_1)
	s_and_b32 s81, vcc_lo, s10
	s_and_saveexec_b32 s10, s81
	s_cbranch_execz .LBB4_354
; %bb.358:                              ;   in Loop: Header=BB4_355 Depth=2
	v_lshlrev_b16 v4, 8, v4
	s_delay_alu instid0(VALU_DEP_1)
	v_or_b32_e32 v4, 1, v4
	ds_store_b16 v22, v4 offset:3072
	s_branch .LBB4_354
.LBB4_359:                              ;   in Loop: Header=BB4_6 Depth=1
	s_set_inst_prefetch_distance 0x2
	s_or_b32 exec_lo, exec_lo, s79
	v_lshrrev_b16 v25, 8, v4
	s_and_b32 s80, s80, exec_lo
.LBB4_360:                              ;   in Loop: Header=BB4_6 Depth=1
	s_or_b32 exec_lo, exec_lo, s78
	s_mov_b32 s78, 0
	s_mov_b32 s10, -1
	s_mov_b32 s79, 0
.LBB4_361:                              ;   in Loop: Header=BB4_6 Depth=1
	s_or_not1_b32 s80, s80, exec_lo
.LBB4_362:                              ;   in Loop: Header=BB4_6 Depth=1
	s_or_b32 exec_lo, exec_lo, s77
	s_mov_b32 s81, 0
                                        ; implicit-def: $vgpr27
                                        ; implicit-def: $vgpr1
	s_and_saveexec_b32 s77, s80
	s_cbranch_execz .LBB4_374
; %bb.363:                              ;   in Loop: Header=BB4_6 Depth=1
	v_mov_b32_e32 v27, 1
	v_mov_b32_e32 v1, 1
	s_xor_b32 s80, s17, -1
	s_delay_alu instid0(SALU_CYCLE_1)
	s_and_saveexec_b32 s17, s80
	s_cbranch_execz .LBB4_373
; %bb.364:                              ;   in Loop: Header=BB4_6 Depth=1
	s_mov_b32 s80, exec_lo
                                        ; implicit-def: $sgpr81
	v_cmpx_ge_u32_e64 s12, v2
	s_xor_b32 s80, exec_lo, s80
	s_cbranch_execz .LBB4_370
; %bb.365:                              ;   in Loop: Header=BB4_6 Depth=1
	ds_load_b32 v1, v22 offset:4096
	s_waitcnt lgkmcnt(0)
	v_cmp_ne_u32_e32 vcc_lo, 0, v1
	s_cbranch_vccnz .LBB4_369
; %bb.366:                              ;   in Loop: Header=BB4_6 Depth=1
	s_and_saveexec_b32 s81, s5
	s_cbranch_execz .LBB4_368
; %bb.367:                              ;   in Loop: Header=BB4_6 Depth=1
	v_mov_b32_e32 v1, s12
	ds_store_b32 v22, v1 offset:4100
.LBB4_368:                              ;   in Loop: Header=BB4_6 Depth=1
	s_or_b32 exec_lo, exec_lo, s81
	s_waitcnt lgkmcnt(0)
	s_barrier
	buffer_gl0_inv
.LBB4_369:                              ;   in Loop: Header=BB4_6 Depth=1
	v_and_b32_e32 v24, s14, v24
	v_or_b32_e32 v23, s13, v23
	s_mov_b32 s81, 5
.LBB4_370:                              ;   in Loop: Header=BB4_6 Depth=1
	s_or_saveexec_b32 s13, s80
	v_mov_b32_e32 v27, s81
	s_xor_b32 exec_lo, exec_lo, s13
; %bb.371:                              ;   in Loop: Header=BB4_6 Depth=1
	v_subrev_nc_u32_e32 v2, s12, v2
	v_mov_b32_e32 v27, 5
; %bb.372:                              ;   in Loop: Header=BB4_6 Depth=1
	s_or_b32 exec_lo, exec_lo, s13
	s_delay_alu instid0(VALU_DEP_2)
	v_mov_b32_e32 v1, v2
.LBB4_373:                              ;   in Loop: Header=BB4_6 Depth=1
	s_or_b32 exec_lo, exec_lo, s17
	s_delay_alu instid0(SALU_CYCLE_1)
	s_mov_b32 s81, exec_lo
.LBB4_374:                              ;   in Loop: Header=BB4_6 Depth=1
	s_or_b32 exec_lo, exec_lo, s77
	s_delay_alu instid0(VALU_DEP_1)
	v_mov_b32_e32 v2, v1
	s_or_not1_b32 s17, s81, exec_lo
.LBB4_375:                              ;   in Loop: Header=BB4_6 Depth=1
	s_or_b32 exec_lo, exec_lo, s16
	s_delay_alu instid0(SALU_CYCLE_1)
	s_and_not1_b32 s12, s28, exec_lo
	s_and_b32 s10, s10, exec_lo
	s_and_not1_b32 s13, s75, exec_lo
	s_or_b32 s28, s12, s10
	s_and_not1_b32 s10, s29, exec_lo
	s_and_b32 s12, s78, exec_lo
	s_and_b32 s14, s79, exec_lo
	v_mov_b32_e32 v1, v2
	s_or_b32 s29, s10, s12
	s_or_b32 s75, s13, s14
	s_and_b32 s78, s17, exec_lo
.LBB4_376:                              ;   in Loop: Header=BB4_6 Depth=1
	s_or_b32 exec_lo, exec_lo, s76
	s_delay_alu instid0(SALU_CYCLE_1)
	s_and_b32 s76, s28, exec_lo
	s_and_b32 s29, s29, exec_lo
	;; [unrolled: 1-line block ×3, first 2 shown]
	s_or_not1_b32 s10, s78, exec_lo
.LBB4_377:                              ;   in Loop: Header=BB4_6 Depth=1
	s_or_b32 exec_lo, exec_lo, s18
	s_delay_alu instid0(SALU_CYCLE_1)
	s_and_not1_b32 s12, s22, exec_lo
	s_and_b32 s13, s76, exec_lo
	s_and_not1_b32 s14, s26, exec_lo
	s_or_b32 s22, s12, s13
	s_and_not1_b32 s12, s25, exec_lo
	s_and_b32 s13, s29, exec_lo
	s_and_b32 s16, s28, exec_lo
	v_mov_b32_e32 v4, v1
	s_or_b32 s25, s12, s13
	s_or_b32 s26, s14, s16
	s_and_b32 s29, s10, exec_lo
.LBB4_378:                              ;   in Loop: Header=BB4_6 Depth=1
	s_or_b32 exec_lo, exec_lo, s27
	s_delay_alu instid0(SALU_CYCLE_1)
	s_and_b32 s27, s22, exec_lo
	s_and_b32 s25, s25, exec_lo
	;; [unrolled: 1-line block ×3, first 2 shown]
	s_or_not1_b32 s26, s29, exec_lo
.LBB4_379:                              ;   in Loop: Header=BB4_6 Depth=1
	s_or_b32 exec_lo, exec_lo, s19
	s_mov_b32 s10, s20
	s_mov_b32 s12, s11
	s_and_saveexec_b32 s13, s26
; %bb.380:                              ;   in Loop: Header=BB4_6 Depth=1
	v_cmp_eq_u32_e32 vcc_lo, 5, v27
	v_cmp_ne_u32_e64 s10, 5, v27
	s_and_not1_b32 s12, s11, exec_lo
	s_and_not1_b32 s14, s20, exec_lo
	;; [unrolled: 1-line block ×3, first 2 shown]
	s_and_b32 s16, vcc_lo, exec_lo
	s_and_b32 s10, s10, exec_lo
	s_and_not1_b32 s25, s25, exec_lo
	s_and_not1_b32 s22, s22, exec_lo
	s_or_b32 s12, s12, s10
	s_or_b32 s10, s14, s16
; %bb.381:                              ;   in Loop: Header=BB4_6 Depth=1
	s_or_b32 exec_lo, exec_lo, s13
	s_delay_alu instid0(SALU_CYCLE_1)
	s_and_not1_b32 s13, s23, exec_lo
	s_and_b32 s14, s27, exec_lo
	v_dual_mov_b32 v1, v24 :: v_dual_mov_b32 v2, v23
	s_or_b32 s23, s13, s14
	s_and_not1_b32 s13, s24, exec_lo
	s_and_b32 s14, s25, exec_lo
	v_mov_b32_e32 v3, v25
	s_and_not1_b32 s15, s15, exec_lo
	s_and_b32 s16, s22, exec_lo
	s_or_b32 s24, s13, s14
	s_and_not1_b32 s11, s11, exec_lo
	s_and_b32 s12, s12, exec_lo
	s_and_not1_b32 s13, s20, exec_lo
	s_and_b32 s10, s10, exec_lo
	s_or_b32 s15, s15, s16
	s_or_b32 s11, s11, s12
	;; [unrolled: 1-line block ×3, first 2 shown]
.LBB4_382:                              ;   in Loop: Header=BB4_6 Depth=1
	s_or_b32 exec_lo, exec_lo, s21
	s_mov_b32 s22, s15
	s_mov_b32 s21, s15
	s_and_saveexec_b32 s10, s20
.LBB4_383:                              ;   in Loop: Header=BB4_6 Depth=1
	v_mov_b32_e32 v27, 0
	s_and_not1_b32 s15, s15, exec_lo
	s_and_not1_b32 s23, s23, exec_lo
	;; [unrolled: 1-line block ×5, first 2 shown]
	s_or_b32 s11, s11, exec_lo
.LBB4_384:                              ;   in Loop: Header=BB4_6 Depth=1
	s_or_b32 exec_lo, exec_lo, s10
	s_delay_alu instid0(SALU_CYCLE_1)
	s_and_not1_b32 s10, s74, exec_lo
	s_and_b32 s13, s15, exec_lo
	s_and_not1_b32 s14, s71, exec_lo
	s_or_b32 s74, s10, s13
	s_and_not1_b32 s10, s73, exec_lo
	s_and_b32 s13, s23, exec_lo
	s_and_b32 s15, s24, exec_lo
	s_or_b32 s73, s10, s13
	s_or_b32 s71, s14, s15
	s_and_not1_b32 s10, s72, exec_lo
	s_and_b32 s13, s22, exec_lo
	s_and_not1_b32 s14, s70, exec_lo
	s_and_b32 s15, s21, exec_lo
	s_mov_b32 s12, -1
	s_or_b32 s72, s10, s13
	s_or_b32 s70, s14, s15
                                        ; implicit-def: $vgpr23
                                        ; implicit-def: $vgpr24
                                        ; implicit-def: $vgpr26
                                        ; implicit-def: $vgpr25
	s_and_saveexec_b32 s10, s11
	s_delay_alu instid0(SALU_CYCLE_1)
	s_xor_b32 s10, exec_lo, s10
	s_cbranch_execz .LBB4_5
; %bb.385:                              ;   in Loop: Header=BB4_6 Depth=1
	s_mov_b32 s11, -1
	s_mov_b32 s13, exec_lo
	v_cmpx_eq_u32_e32 0, v27
	s_cbranch_execz .LBB4_4
; %bb.386:                              ;   in Loop: Header=BB4_6 Depth=1
	s_xor_b32 s64, s64, 1
	s_add_i32 s14, s68, -2
	s_cmp_eq_u32 s68, 0
	s_mov_b32 s68, s14
	s_cselect_b32 s11, -1, 0
	s_xor_b32 s12, exec_lo, -1
	s_or_not1_b32 s11, s11, exec_lo
	s_branch .LBB4_4
.LBB4_387:
	s_or_b32 exec_lo, exec_lo, s47
	s_xor_b32 s7, s69, -1
	s_xor_b32 s12, s66, -1
	;; [unrolled: 1-line block ×5, first 2 shown]
	s_mov_b32 s9, 0
	s_and_saveexec_b32 s10, s8
	s_delay_alu instid0(SALU_CYCLE_1)
	s_xor_b32 s8, exec_lo, s10
	s_cbranch_execz .LBB4_444
; %bb.388:
	s_mov_b32 s10, 0
	s_and_saveexec_b32 s9, s11
	s_delay_alu instid0(SALU_CYCLE_1)
	s_xor_b32 s9, exec_lo, s9
	s_cbranch_execz .LBB4_442
; %bb.389:
	;; [unrolled: 6-line block ×4, first 2 shown]
	s_and_saveexec_b32 s7, s6
	s_delay_alu instid0(SALU_CYCLE_1)
	s_xor_b32 s6, exec_lo, s7
; %bb.392:
	v_mov_b32_e32 v3, v1
; %bb.393:
	s_or_b32 exec_lo, exec_lo, s6
	s_and_saveexec_b32 s6, s5
	s_cbranch_execz .LBB4_395
; %bb.394:
	v_mov_b32_e32 v1, 0
	ds_store_b32 v1, v1 offset:4108
.LBB4_395:
	s_or_b32 exec_lo, exec_lo, s6
	v_mov_b32_e32 v9, 0
	s_waitcnt lgkmcnt(0)
	s_barrier
	buffer_gl0_inv
	s_and_saveexec_b32 s5, s4
	s_cbranch_execz .LBB4_397
; %bb.396:
	global_load_u8 v9, v[5:6], off
.LBB4_397:
	s_or_b32 exec_lo, exec_lo, s5
	s_clause 0x1
	s_load_b32 s5, s[0:1], 0x1c8
	s_load_b32 s12, s[0:1], 0x2a8
	v_add_nc_u32_e32 v1, s33, v0
	s_add_i32 s13, s36, 31
	s_mul_i32 s46, s46, s44
	s_and_not1_b32 s13, s13, 31
	s_mul_i32 s0, s45, s44
	v_mul_lo_u32 v4, s34, v1
	s_mov_b32 s1, 0
	s_add_u32 s6, s42, s46
	s_addc_u32 s7, s43, 0
	s_lshl_b64 s[14:15], s[0:1], 3
	v_and_b32_e32 v7, 0xff, v3
	s_add_u32 s14, s40, s14
	s_addc_u32 s15, s41, s15
	s_mov_b32 s0, -1
	s_mov_b32 s16, 0
	s_mov_b32 s17, exec_lo
	v_cmpx_gt_u32_e64 s13, v0
	s_cbranch_execz .LBB4_413
; %bb.398:
	v_mul_lo_u32 v8, s34, v1
	v_dual_mov_b32 v2, 0 :: v_dual_mov_b32 v1, v0
                                        ; implicit-def: $sgpr18
                                        ; implicit-def: $vgpr13
	s_branch .LBB4_400
.LBB4_399:                              ;   in Loop: Header=BB4_400 Depth=1
	s_or_b32 exec_lo, exec_lo, s19
	s_xor_b32 s19, s20, -1
	s_and_b32 s0, exec_lo, s0
	v_mov_b32_e32 v9, v12
	s_or_b32 s16, s0, s16
	v_mov_b32_e32 v1, v10
	s_and_not1_b32 s0, s18, exec_lo
	s_and_b32 s18, s19, exec_lo
	s_delay_alu instid0(SALU_CYCLE_1)
	s_or_b32 s18, s0, s18
	s_and_not1_b32 exec_lo, exec_lo, s16
	s_cbranch_execz .LBB4_412
.LBB4_400:                              ; =>This Inner Loop Header: Depth=1
	s_delay_alu instid0(VALU_DEP_1) | instskip(SKIP_2) | instid1(VALU_DEP_2)
	v_add_nc_u32_e32 v10, s33, v1
	v_mov_b32_e32 v12, 0
	s_mov_b32 s0, exec_lo
	v_cmpx_gt_u32_e64 s36, v10
	s_cbranch_execz .LBB4_402
; %bb.401:                              ;   in Loop: Header=BB4_400 Depth=1
	global_load_u8 v12, v8, s[30:31]
.LBB4_402:                              ;   in Loop: Header=BB4_400 Depth=1
	s_or_b32 exec_lo, exec_lo, s0
	s_waitcnt vmcnt(0)
	v_and_b32_e32 v14, 0xff, v9
	s_delay_alu instid0(VALU_DEP_1) | instskip(SKIP_4) | instid1(VALU_DEP_2)
	v_cmp_gt_u16_e32 vcc_lo, v14, v7
	v_cndmask_b32_e64 v15, 0, 1, vcc_lo
	v_cmp_lt_u16_e32 vcc_lo, v14, v7
	v_cndmask_b32_e64 v14, 0, 1, vcc_lo
	v_cmp_gt_u32_e32 vcc_lo, s36, v1
	v_cndmask_b32_e64 v14, v14, v15, s3
	s_delay_alu instid0(VALU_DEP_1) | instskip(NEXT) | instid1(VALU_DEP_1)
	v_and_b32_e32 v14, 1, v14
	v_cmp_eq_u32_e64 s0, 1, v14
	s_delay_alu instid0(VALU_DEP_1) | instskip(NEXT) | instid1(SALU_CYCLE_1)
	s_and_b32 s19, vcc_lo, s0
	v_cndmask_b32_e64 v14, 0, 1, s19
	s_delay_alu instid0(VALU_DEP_1) | instskip(SKIP_2) | instid1(SALU_CYCLE_1)
	v_cmp_ne_u32_e32 vcc_lo, 0, v14
	s_cmp_lg_u32 vcc_lo, 0
	s_cselect_b32 s0, -1, 0
	s_and_b32 s0, s2, s0
	s_delay_alu instid0(SALU_CYCLE_1)
	s_and_saveexec_b32 s20, s0
	s_cbranch_execz .LBB4_406
; %bb.403:                              ;   in Loop: Header=BB4_400 Depth=1
	s_mov_b32 s23, exec_lo
	s_bcnt1_i32_b32 s21, vcc_lo
	s_waitcnt lgkmcnt(0)
	v_mbcnt_lo_u32_b32 v13, s23, 0
	s_mov_b32 s22, exec_lo
                                        ; implicit-def: $vgpr14
	s_delay_alu instid0(VALU_DEP_1)
	v_cmpx_eq_u32_e32 0, v13
	s_cbranch_execz .LBB4_405
; %bb.404:                              ;   in Loop: Header=BB4_400 Depth=1
	s_bcnt1_i32_b32 s0, s23
	s_delay_alu instid0(SALU_CYCLE_1) | instskip(NEXT) | instid1(SALU_CYCLE_1)
	s_mul_i32 s0, s21, s0
	v_mov_b32_e32 v14, s0
	ds_add_rtn_u32 v14, v2, v14 offset:4108
.LBB4_405:                              ;   in Loop: Header=BB4_400 Depth=1
	s_or_b32 exec_lo, exec_lo, s22
	s_waitcnt lgkmcnt(0)
	v_readfirstlane_b32 s0, v14
	s_delay_alu instid0(VALU_DEP_1)
	v_mad_u32_u24 v13, s21, v13, s0
.LBB4_406:                              ;   in Loop: Header=BB4_400 Depth=1
	s_or_b32 exec_lo, exec_lo, s20
	s_waitcnt lgkmcnt(0)
	ds_bpermute_b32 v13, v2, v13
	s_mov_b32 s0, -1
	s_mov_b32 s22, -1
                                        ; implicit-def: $sgpr20
	s_and_saveexec_b32 s21, s19
	s_cbranch_execz .LBB4_410
; %bb.407:                              ;   in Loop: Header=BB4_400 Depth=1
	v_and_b32_e32 v14, vcc_lo, v11
	s_mov_b32 s19, 0
	s_mov_b32 s20, exec_lo
	s_waitcnt lgkmcnt(0)
	s_delay_alu instid0(VALU_DEP_1) | instskip(NEXT) | instid1(VALU_DEP_1)
	v_bcnt_u32_b32 v14, v14, v13
	v_cmpx_gt_u32_e64 s37, v14
	s_cbranch_execz .LBB4_409
; %bb.408:                              ;   in Loop: Header=BB4_400 Depth=1
	v_mul_lo_u32 v15, v14, s12
	v_mov_b32_e32 v16, v2
	v_mul_lo_u32 v17, v14, s5
	s_mov_b32 s19, exec_lo
	s_delay_alu instid0(VALU_DEP_2) | instskip(NEXT) | instid1(VALU_DEP_1)
	v_lshlrev_b64 v[15:16], 3, v[15:16]
	v_add_co_u32 v14, vcc_lo, s14, v15
	s_delay_alu instid0(VALU_DEP_2)
	v_add_co_ci_u32_e32 v15, vcc_lo, s15, v16, vcc_lo
	global_store_b8 v17, v9, s[6:7]
	global_store_b64 v[14:15], v[1:2], off
.LBB4_409:                              ;   in Loop: Header=BB4_400 Depth=1
	s_or_b32 exec_lo, exec_lo, s20
	s_mov_b32 s20, -1
	s_or_not1_b32 s22, s19, exec_lo
.LBB4_410:                              ;   in Loop: Header=BB4_400 Depth=1
	s_or_b32 exec_lo, exec_lo, s21
	s_and_saveexec_b32 s19, s22
	s_cbranch_execz .LBB4_399
; %bb.411:                              ;   in Loop: Header=BB4_400 Depth=1
	v_cmp_le_u32_e32 vcc_lo, s13, v10
	v_add_nc_u32_e32 v8, s35, v8
	s_and_not1_b32 s20, s20, exec_lo
	s_or_not1_b32 s0, vcc_lo, exec_lo
	s_branch .LBB4_399
.LBB4_412:
	s_or_b32 exec_lo, exec_lo, s16
	s_delay_alu instid0(SALU_CYCLE_1)
	s_mov_b32 s16, exec_lo
	s_or_not1_b32 s0, s18, exec_lo
.LBB4_413:
	s_or_b32 exec_lo, exec_lo, s17
	s_and_saveexec_b32 s3, s0
	s_cbranch_execz .LBB4_436
; %bb.414:
	v_dual_mov_b32 v1, 0 :: v_dual_mov_b32 v8, 0
	s_waitcnt vmcnt(0) lgkmcnt(0)
	s_waitcnt_vscnt null, 0x0
	s_barrier
	buffer_gl0_inv
	s_and_saveexec_b32 s0, s4
	s_cbranch_execz .LBB4_416
; %bb.415:
	global_load_u8 v8, v[5:6], off
.LBB4_416:
	s_or_b32 exec_lo, exec_lo, s0
	s_mov_b32 s4, 0
                                        ; implicit-def: $sgpr1
                                        ; implicit-def: $sgpr17
                                        ; implicit-def: $sgpr18
                                        ; implicit-def: $vgpr2
	s_branch .LBB4_419
.LBB4_417:                              ;   in Loop: Header=BB4_419 Depth=1
	s_or_b32 exec_lo, exec_lo, s21
	v_mov_b32_e32 v0, v5
	s_and_not1_b32 s0, s18, exec_lo
	s_and_b32 s18, s23, exec_lo
	s_and_not1_b32 s17, s17, exec_lo
	s_and_b32 s20, s20, exec_lo
	s_or_b32 s18, s0, s18
	s_or_b32 s17, s17, s20
.LBB4_418:                              ;   in Loop: Header=BB4_419 Depth=1
	s_or_b32 exec_lo, exec_lo, s19
	s_xor_b32 s0, s18, -1
	s_and_b32 s19, exec_lo, s17
	s_delay_alu instid0(SALU_CYCLE_1) | instskip(SKIP_2) | instid1(SALU_CYCLE_1)
	s_or_b32 s4, s19, s4
	s_and_not1_b32 s1, s1, exec_lo
	s_and_b32 s0, s0, exec_lo
	s_or_b32 s1, s1, s0
	s_and_not1_b32 exec_lo, exec_lo, s4
	s_cbranch_execz .LBB4_434
.LBB4_419:                              ; =>This Inner Loop Header: Depth=1
	s_or_b32 s18, s18, exec_lo
	s_or_b32 s17, s17, exec_lo
	s_mov_b32 s19, exec_lo
	v_cmpx_gt_u32_e64 s13, v0
	s_cbranch_execz .LBB4_418
; %bb.420:                              ;   in Loop: Header=BB4_419 Depth=1
	v_dual_mov_b32 v6, 0 :: v_dual_add_nc_u32 v5, s33, v0
	s_mov_b32 s0, exec_lo
	s_delay_alu instid0(VALU_DEP_1)
	v_cmpx_gt_u32_e64 s36, v5
	s_cbranch_execz .LBB4_422
; %bb.421:                              ;   in Loop: Header=BB4_419 Depth=1
	global_load_u8 v6, v4, s[30:31]
.LBB4_422:                              ;   in Loop: Header=BB4_419 Depth=1
	s_or_b32 exec_lo, exec_lo, s0
	s_waitcnt vmcnt(0)
	v_and_b32_e32 v9, 0xff, v8
	v_cmp_gt_u32_e32 vcc_lo, s36, v0
	s_delay_alu instid0(VALU_DEP_2) | instskip(NEXT) | instid1(VALU_DEP_1)
	v_cmp_eq_u16_e64 s0, v9, v7
	s_and_b32 s21, vcc_lo, s0
	s_delay_alu instid0(SALU_CYCLE_1) | instskip(NEXT) | instid1(VALU_DEP_1)
	v_cndmask_b32_e64 v9, 0, 1, s21
	v_cmp_ne_u32_e32 vcc_lo, 0, v9
	s_cmp_lg_u32 vcc_lo, 0
	s_cselect_b32 s0, -1, 0
	s_delay_alu instid0(SALU_CYCLE_1) | instskip(NEXT) | instid1(SALU_CYCLE_1)
	s_and_b32 s0, s2, s0
	s_and_saveexec_b32 s20, s0
	s_cbranch_execz .LBB4_426
; %bb.423:                              ;   in Loop: Header=BB4_419 Depth=1
	s_mov_b32 s24, exec_lo
	s_bcnt1_i32_b32 s22, vcc_lo
	v_mbcnt_lo_u32_b32 v2, s24, 0
	s_mov_b32 s23, exec_lo
                                        ; implicit-def: $vgpr9
	s_delay_alu instid0(VALU_DEP_1)
	v_cmpx_eq_u32_e32 0, v2
	s_cbranch_execz .LBB4_425
; %bb.424:                              ;   in Loop: Header=BB4_419 Depth=1
	s_bcnt1_i32_b32 s0, s24
	s_delay_alu instid0(SALU_CYCLE_1) | instskip(NEXT) | instid1(SALU_CYCLE_1)
	s_mul_i32 s0, s22, s0
	v_mov_b32_e32 v9, s0
	ds_add_rtn_u32 v9, v1, v9 offset:4108
.LBB4_425:                              ;   in Loop: Header=BB4_419 Depth=1
	s_or_b32 exec_lo, exec_lo, s23
	s_waitcnt lgkmcnt(0)
	v_readfirstlane_b32 s0, v9
	s_delay_alu instid0(VALU_DEP_1)
	v_mad_u32_u24 v2, s22, v2, s0
.LBB4_426:                              ;   in Loop: Header=BB4_419 Depth=1
	s_or_b32 exec_lo, exec_lo, s20
	ds_bpermute_b32 v2, v1, v2
	s_cmp_eq_u32 vcc_lo, 0
	s_mov_b32 s20, -1
	s_cselect_b32 s22, -1, 0
	s_mov_b32 s23, -1
	s_waitcnt lgkmcnt(0)
	v_cmp_gt_u32_e64 s0, s37, v2
	s_delay_alu instid0(VALU_DEP_1) | instskip(SKIP_3) | instid1(SALU_CYCLE_1)
	s_or_b32 s0, s22, s0
	s_mov_b32 s22, -1
	v_cndmask_b32_e64 v8, v8, v6, s0
	s_and_b32 s24, s21, s0
	s_and_saveexec_b32 s21, s24
	s_cbranch_execz .LBB4_432
; %bb.427:                              ;   in Loop: Header=BB4_419 Depth=1
	v_and_b32_e32 v8, vcc_lo, v11
	v_sub_nc_u32_e32 v9, s37, v2
	s_mov_b32 s24, -1
	s_mov_b32 s23, exec_lo
	s_delay_alu instid0(VALU_DEP_2) | instskip(NEXT) | instid1(VALU_DEP_1)
	v_bcnt_u32_b32 v8, v8, 0
	v_cmp_le_u32_e64 s22, v9, v8
	v_cmpx_gt_u32_e64 v9, v8
	s_cbranch_execz .LBB4_431
; %bb.428:                              ;   in Loop: Header=BB4_419 Depth=1
	v_add_nc_u32_e32 v8, v2, v8
	s_delay_alu instid0(VALU_DEP_3) | instskip(SKIP_1) | instid1(VALU_DEP_1)
	s_mov_b32 s25, s22
	s_mov_b32 s24, exec_lo
	v_cmpx_gt_u32_e64 s37, v8
	s_cbranch_execz .LBB4_430
; %bb.429:                              ;   in Loop: Header=BB4_419 Depth=1
	v_mul_lo_u32 v9, v8, s12
	v_mov_b32_e32 v10, v1
	v_mul_lo_u32 v12, v8, s5
	s_or_b32 s25, s22, exec_lo
	s_delay_alu instid0(VALU_DEP_2)
	v_lshlrev_b64 v[9:10], 3, v[9:10]
	global_store_b8 v12, v3, s[6:7]
	v_add_co_u32 v8, vcc_lo, s14, v9
	v_add_co_ci_u32_e32 v9, vcc_lo, s15, v10, vcc_lo
	global_store_b64 v[8:9], v[0:1], off
.LBB4_430:                              ;   in Loop: Header=BB4_419 Depth=1
	s_or_b32 exec_lo, exec_lo, s24
	s_delay_alu instid0(SALU_CYCLE_1)
	s_and_not1_b32 s22, s22, exec_lo
	s_and_b32 s25, s25, exec_lo
	s_xor_b32 s24, exec_lo, -1
	s_or_b32 s22, s22, s25
.LBB4_431:                              ;   in Loop: Header=BB4_419 Depth=1
	s_or_b32 exec_lo, exec_lo, s23
	v_mov_b32_e32 v8, v6
	s_or_not1_b32 s23, s24, exec_lo
	s_or_b32 s0, s0, exec_lo
	s_or_not1_b32 s22, s22, exec_lo
.LBB4_432:                              ;   in Loop: Header=BB4_419 Depth=1
	s_or_b32 exec_lo, exec_lo, s21
	s_and_saveexec_b32 s21, s22
	s_cbranch_execz .LBB4_417
; %bb.433:                              ;   in Loop: Header=BB4_419 Depth=1
	v_add_nc_u32_e32 v4, s35, v4
	s_xor_b32 s0, s0, -1
	s_or_b32 s23, s23, exec_lo
	s_or_not1_b32 s20, s0, exec_lo
	s_branch .LBB4_417
.LBB4_434:
	s_or_b32 exec_lo, exec_lo, s4
	s_mov_b32 s0, 0
	s_and_saveexec_b32 s2, s1
	s_delay_alu instid0(SALU_CYCLE_1)
	s_xor_b32 s1, exec_lo, s2
	s_cbranch_execnz .LBB4_466
.LBB4_435:
	s_or_b32 exec_lo, exec_lo, s1
	s_delay_alu instid0(SALU_CYCLE_1)
	s_and_b32 s1, s0, exec_lo
	s_and_not1_b32 s16, s16, exec_lo
.LBB4_436:
	s_or_b32 exec_lo, exec_lo, s3
	s_and_saveexec_b32 s0, s16
	s_delay_alu instid0(SALU_CYCLE_1)
	s_xor_b32 s0, exec_lo, s0
	s_cbranch_execnz .LBB4_462
.LBB4_437:
	s_or_b32 exec_lo, exec_lo, s0
	s_waitcnt lgkmcnt(0)
	s_and_b32 s12, s1, exec_lo
.LBB4_438:
	s_and_not1_saveexec_b32 s0, s11
	s_cbranch_execnz .LBB4_458
.LBB4_439:
	s_or_b32 exec_lo, exec_lo, s0
	s_delay_alu instid0(SALU_CYCLE_1)
	s_and_b32 s11, s12, exec_lo
.LBB4_440:
	s_and_not1_saveexec_b32 s0, s10
	s_cbranch_execnz .LBB4_454
.LBB4_441:
	s_or_b32 exec_lo, exec_lo, s0
	s_delay_alu instid0(SALU_CYCLE_1)
	s_and_b32 s10, s11, exec_lo
.LBB4_442:
	s_and_not1_saveexec_b32 s0, s9
	s_cbranch_execnz .LBB4_450
.LBB4_443:
	s_or_b32 exec_lo, exec_lo, s0
	s_delay_alu instid0(SALU_CYCLE_1)
	s_and_b32 s9, s10, exec_lo
.LBB4_444:
	s_and_not1_saveexec_b32 s0, s8
	s_cbranch_execnz .LBB4_448
; %bb.445:
	s_or_b32 exec_lo, exec_lo, s0
	s_and_saveexec_b32 s0, s9
.LBB4_446:
	; divergent unreachable
.LBB4_447:
	s_nop 0
	s_sendmsg sendmsg(MSG_DEALLOC_VGPRS)
	s_endpgm
.LBB4_448:
	s_cbranch_execnz .LBB4_452
; %bb.449:
	s_or_b32 s9, s9, exec_lo
	s_or_b32 exec_lo, exec_lo, s0
	s_and_saveexec_b32 s0, s9
	s_cbranch_execnz .LBB4_446
	s_branch .LBB4_447
.LBB4_450:
	s_cbranch_execnz .LBB4_456
; %bb.451:
	s_or_b32 s10, s10, exec_lo
	s_branch .LBB4_443
.LBB4_452:
	s_trap 2
	s_sendmsg_rtn_b32 s0, sendmsg(MSG_RTN_GET_DOORBELL)
	s_mov_b32 ttmp2, m0
	s_waitcnt lgkmcnt(0)
	s_and_b32 s0, s0, 0x3ff
	s_delay_alu instid0(SALU_CYCLE_1) | instskip(NEXT) | instid1(SALU_CYCLE_1)
	s_bitset1_b32 s0, 10
	s_mov_b32 m0, s0
	s_sendmsg sendmsg(MSG_INTERRUPT)
	s_mov_b32 m0, ttmp2
.LBB4_453:                              ; =>This Inner Loop Header: Depth=1
	s_sethalt 5
	s_branch .LBB4_453
.LBB4_454:
	s_cbranch_execnz .LBB4_460
; %bb.455:
	s_or_b32 s11, s11, exec_lo
	s_branch .LBB4_441
.LBB4_456:
	s_trap 2
	s_sendmsg_rtn_b32 s0, sendmsg(MSG_RTN_GET_DOORBELL)
	s_mov_b32 ttmp2, m0
	s_waitcnt lgkmcnt(0)
	s_and_b32 s0, s0, 0x3ff
	s_delay_alu instid0(SALU_CYCLE_1) | instskip(NEXT) | instid1(SALU_CYCLE_1)
	s_bitset1_b32 s0, 10
	s_mov_b32 m0, s0
	s_sendmsg sendmsg(MSG_INTERRUPT)
	s_mov_b32 m0, ttmp2
.LBB4_457:                              ; =>This Inner Loop Header: Depth=1
	s_sethalt 5
	s_branch .LBB4_457
.LBB4_458:
	s_cbranch_execnz .LBB4_464
; %bb.459:
	s_or_b32 s12, s12, exec_lo
	s_branch .LBB4_439
.LBB4_460:
	s_trap 2
	s_sendmsg_rtn_b32 s0, sendmsg(MSG_RTN_GET_DOORBELL)
	s_mov_b32 ttmp2, m0
	s_waitcnt lgkmcnt(0)
	s_and_b32 s0, s0, 0x3ff
	s_delay_alu instid0(SALU_CYCLE_1) | instskip(NEXT) | instid1(SALU_CYCLE_1)
	s_bitset1_b32 s0, 10
	s_mov_b32 m0, s0
	s_sendmsg sendmsg(MSG_INTERRUPT)
	s_mov_b32 m0, ttmp2
.LBB4_461:                              ; =>This Inner Loop Header: Depth=1
	s_sethalt 5
	s_branch .LBB4_461
.LBB4_462:
	s_cbranch_execnz .LBB4_468
; %bb.463:
	s_or_b32 s1, s1, exec_lo
	s_branch .LBB4_437
.LBB4_464:
	s_trap 2
	s_sendmsg_rtn_b32 s0, sendmsg(MSG_RTN_GET_DOORBELL)
	s_mov_b32 ttmp2, m0
	s_waitcnt lgkmcnt(0)
	s_and_b32 s0, s0, 0x3ff
	s_delay_alu instid0(SALU_CYCLE_1) | instskip(NEXT) | instid1(SALU_CYCLE_1)
	s_bitset1_b32 s0, 10
	s_mov_b32 m0, s0
	s_sendmsg sendmsg(MSG_INTERRUPT)
	s_mov_b32 m0, ttmp2
.LBB4_465:                              ; =>This Inner Loop Header: Depth=1
	s_sethalt 5
	s_branch .LBB4_465
.LBB4_466:
	s_cbranch_execnz .LBB4_470
; %bb.467:
	s_mov_b32 s0, exec_lo
	s_branch .LBB4_435
.LBB4_468:
	s_trap 2
	s_sendmsg_rtn_b32 s0, sendmsg(MSG_RTN_GET_DOORBELL)
	s_mov_b32 ttmp2, m0
	s_waitcnt lgkmcnt(0)
	s_and_b32 s0, s0, 0x3ff
	s_delay_alu instid0(SALU_CYCLE_1) | instskip(NEXT) | instid1(SALU_CYCLE_1)
	s_bitset1_b32 s0, 10
	s_mov_b32 m0, s0
	s_sendmsg sendmsg(MSG_INTERRUPT)
	s_mov_b32 m0, ttmp2
.LBB4_469:                              ; =>This Inner Loop Header: Depth=1
	s_sethalt 5
	s_branch .LBB4_469
.LBB4_470:
	s_trap 2
	s_sendmsg_rtn_b32 s0, sendmsg(MSG_RTN_GET_DOORBELL)
	s_mov_b32 ttmp2, m0
	s_waitcnt lgkmcnt(0)
	s_and_b32 s0, s0, 0x3ff
	s_delay_alu instid0(SALU_CYCLE_1) | instskip(NEXT) | instid1(SALU_CYCLE_1)
	s_bitset1_b32 s0, 10
	s_mov_b32 m0, s0
	s_sendmsg sendmsg(MSG_INTERRUPT)
	s_mov_b32 m0, ttmp2
.LBB4_471:                              ; =>This Inner Loop Header: Depth=1
	s_sethalt 5
	s_branch .LBB4_471
	.section	.rodata,"a",@progbits
	.p2align	6, 0x0
	.amdhsa_kernel _ZN2at6native6sbtopk10gatherTopKIhjLi1ELb0EEEvNS_4cuda6detail10TensorInfoIKT_T0_EES8_S8_bS8_S8_NS5_IS6_S8_EES8_NS5_IlS8_EES8_PS6_
		.amdhsa_group_segment_fixed_size 4112
		.amdhsa_private_segment_fixed_size 0
		.amdhsa_kernarg_size 952
		.amdhsa_user_sgpr_count 13
		.amdhsa_user_sgpr_dispatch_ptr 0
		.amdhsa_user_sgpr_queue_ptr 0
		.amdhsa_user_sgpr_kernarg_segment_ptr 1
		.amdhsa_user_sgpr_dispatch_id 0
		.amdhsa_user_sgpr_private_segment_size 0
		.amdhsa_wavefront_size32 1
		.amdhsa_uses_dynamic_stack 0
		.amdhsa_enable_private_segment 0
		.amdhsa_system_sgpr_workgroup_id_x 1
		.amdhsa_system_sgpr_workgroup_id_y 1
		.amdhsa_system_sgpr_workgroup_id_z 1
		.amdhsa_system_sgpr_workgroup_info 0
		.amdhsa_system_vgpr_workitem_id 0
		.amdhsa_next_free_vgpr 40
		.amdhsa_next_free_sgpr 88
		.amdhsa_reserve_vcc 1
		.amdhsa_float_round_mode_32 0
		.amdhsa_float_round_mode_16_64 0
		.amdhsa_float_denorm_mode_32 3
		.amdhsa_float_denorm_mode_16_64 3
		.amdhsa_dx10_clamp 1
		.amdhsa_ieee_mode 1
		.amdhsa_fp16_overflow 0
		.amdhsa_workgroup_processor_mode 1
		.amdhsa_memory_ordered 1
		.amdhsa_forward_progress 0
		.amdhsa_shared_vgpr_count 0
		.amdhsa_exception_fp_ieee_invalid_op 0
		.amdhsa_exception_fp_denorm_src 0
		.amdhsa_exception_fp_ieee_div_zero 0
		.amdhsa_exception_fp_ieee_overflow 0
		.amdhsa_exception_fp_ieee_underflow 0
		.amdhsa_exception_fp_ieee_inexact 0
		.amdhsa_exception_int_div_zero 0
	.end_amdhsa_kernel
	.section	.text._ZN2at6native6sbtopk10gatherTopKIhjLi1ELb0EEEvNS_4cuda6detail10TensorInfoIKT_T0_EES8_S8_bS8_S8_NS5_IS6_S8_EES8_NS5_IlS8_EES8_PS6_,"axG",@progbits,_ZN2at6native6sbtopk10gatherTopKIhjLi1ELb0EEEvNS_4cuda6detail10TensorInfoIKT_T0_EES8_S8_bS8_S8_NS5_IS6_S8_EES8_NS5_IlS8_EES8_PS6_,comdat
.Lfunc_end4:
	.size	_ZN2at6native6sbtopk10gatherTopKIhjLi1ELb0EEEvNS_4cuda6detail10TensorInfoIKT_T0_EES8_S8_bS8_S8_NS5_IS6_S8_EES8_NS5_IlS8_EES8_PS6_, .Lfunc_end4-_ZN2at6native6sbtopk10gatherTopKIhjLi1ELb0EEEvNS_4cuda6detail10TensorInfoIKT_T0_EES8_S8_bS8_S8_NS5_IS6_S8_EES8_NS5_IlS8_EES8_PS6_
                                        ; -- End function
	.section	.AMDGPU.csdata,"",@progbits
; Kernel info:
; codeLenInByte = 15000
; NumSgprs: 90
; NumVgprs: 40
; ScratchSize: 0
; MemoryBound: 0
; FloatMode: 240
; IeeeMode: 1
; LDSByteSize: 4112 bytes/workgroup (compile time only)
; SGPRBlocks: 11
; VGPRBlocks: 4
; NumSGPRsForWavesPerEU: 90
; NumVGPRsForWavesPerEU: 40
; Occupancy: 16
; WaveLimiterHint : 1
; COMPUTE_PGM_RSRC2:SCRATCH_EN: 0
; COMPUTE_PGM_RSRC2:USER_SGPR: 13
; COMPUTE_PGM_RSRC2:TRAP_HANDLER: 0
; COMPUTE_PGM_RSRC2:TGID_X_EN: 1
; COMPUTE_PGM_RSRC2:TGID_Y_EN: 1
; COMPUTE_PGM_RSRC2:TGID_Z_EN: 1
; COMPUTE_PGM_RSRC2:TIDIG_COMP_CNT: 0
	.section	.text._ZN2at6native6mbtopk23computeBlockDigitCountsIhjjLi2EEEvNS_4cuda6detail10TensorInfoIKT_T0_EEjPjjS8_iijT1_PSB_Ps,"axG",@progbits,_ZN2at6native6mbtopk23computeBlockDigitCountsIhjjLi2EEEvNS_4cuda6detail10TensorInfoIKT_T0_EEjPjjS8_iijT1_PSB_Ps,comdat
	.protected	_ZN2at6native6mbtopk23computeBlockDigitCountsIhjjLi2EEEvNS_4cuda6detail10TensorInfoIKT_T0_EEjPjjS8_iijT1_PSB_Ps ; -- Begin function _ZN2at6native6mbtopk23computeBlockDigitCountsIhjjLi2EEEvNS_4cuda6detail10TensorInfoIKT_T0_EEjPjjS8_iijT1_PSB_Ps
	.globl	_ZN2at6native6mbtopk23computeBlockDigitCountsIhjjLi2EEEvNS_4cuda6detail10TensorInfoIKT_T0_EEjPjjS8_iijT1_PSB_Ps
	.p2align	8
	.type	_ZN2at6native6mbtopk23computeBlockDigitCountsIhjjLi2EEEvNS_4cuda6detail10TensorInfoIKT_T0_EEjPjjS8_iijT1_PSB_Ps,@function
_ZN2at6native6mbtopk23computeBlockDigitCountsIhjjLi2EEEvNS_4cuda6detail10TensorInfoIKT_T0_EEjPjjS8_iijT1_PSB_Ps: ; @_ZN2at6native6mbtopk23computeBlockDigitCountsIhjjLi2EEEvNS_4cuda6detail10TensorInfoIKT_T0_EEjPjjS8_iijT1_PSB_Ps
; %bb.0:
	s_clause 0x2
	s_load_b64 s[2:3], s[0:1], 0xf8
	s_load_b128 s[8:11], s[0:1], 0xe8
	s_load_b64 s[4:5], s[0:1], 0x110
	s_waitcnt lgkmcnt(0)
	v_cvt_f32_u32_e32 v1, s2
	s_sub_i32 s7, 0, s2
	s_mul_i32 s5, s5, s15
	s_delay_alu instid0(SALU_CYCLE_1) | instskip(NEXT) | instid1(VALU_DEP_1)
	s_add_i32 s5, s5, s14
	v_rcp_iflag_f32_e32 v1, v1
	s_mul_i32 s14, s5, s4
	s_delay_alu instid0(SALU_CYCLE_1) | instskip(SKIP_3) | instid1(VALU_DEP_1)
	s_add_i32 s14, s14, s13
	s_mov_b32 s13, 0
	s_waitcnt_depctr 0xfff
	v_mul_f32_e32 v1, 0x4f7ffffe, v1
	v_cvt_u32_f32_e32 v1, v1
	s_delay_alu instid0(VALU_DEP_1) | instskip(NEXT) | instid1(VALU_DEP_1)
	v_readfirstlane_b32 s6, v1
	s_mul_i32 s7, s7, s6
	s_delay_alu instid0(SALU_CYCLE_1) | instskip(NEXT) | instid1(SALU_CYCLE_1)
	s_mul_hi_u32 s4, s6, s7
	s_add_i32 s6, s6, s4
	s_delay_alu instid0(SALU_CYCLE_1) | instskip(NEXT) | instid1(SALU_CYCLE_1)
	s_mul_hi_u32 s4, s14, s6
	s_mul_i32 s5, s4, s2
	s_add_i32 s6, s4, 1
	s_sub_i32 s5, s14, s5
	s_delay_alu instid0(SALU_CYCLE_1)
	s_sub_i32 s7, s5, s2
	s_cmp_ge_u32 s5, s2
	s_cselect_b32 s4, s6, s4
	s_cselect_b32 s5, s7, s5
	s_add_i32 s6, s4, 1
	s_cmp_ge_u32 s5, s2
	s_cselect_b32 s12, s6, s4
	s_delay_alu instid0(SALU_CYCLE_1)
	s_cmp_ge_u32 s12, s8
	s_cbranch_scc1 .LBB5_29
; %bb.1:
	s_clause 0x1
	s_load_b32 s16, s[0:1], 0xc
	s_load_b128 s[4:7], s[0:1], 0x100
	s_lshl_b64 s[18:19], s[12:13], 2
	v_cmp_gt_u32_e32 vcc_lo, 0x100, v0
	s_waitcnt lgkmcnt(0)
	v_cvt_f32_u32_e32 v1, s16
	s_add_u32 s4, s4, s18
	s_addc_u32 s5, s5, s19
	s_delay_alu instid0(VALU_DEP_1) | instskip(SKIP_2) | instid1(VALU_DEP_1)
	v_rcp_iflag_f32_e32 v1, v1
	s_waitcnt_depctr 0xfff
	v_mul_f32_e32 v1, 0x4f7ffffe, v1
	v_cvt_u32_f32_e32 v1, v1
	s_delay_alu instid0(VALU_DEP_1)
	v_readfirstlane_b32 s17, v1
	v_lshlrev_b32_e32 v1, 2, v0
	s_and_saveexec_b32 s8, vcc_lo
	s_cbranch_execz .LBB5_3
; %bb.2:
	v_mov_b32_e32 v2, 0
	ds_store_b32 v1, v2
.LBB5_3:
	s_or_b32 exec_lo, exec_lo, s8
	s_load_b32 s8, s[0:1], 0xd8
	s_mul_i32 s13, s12, s2
	s_waitcnt lgkmcnt(0)
	s_sub_i32 s15, s14, s13
	s_barrier
	s_mul_i32 s13, s11, s15
	s_add_i32 s15, s15, 1
	s_lshl_b32 s13, s13, 8
	buffer_gl0_inv
	s_sub_i32 s18, s8, s13
	s_delay_alu instid0(SALU_CYCLE_1) | instskip(SKIP_4) | instid1(VALU_DEP_1)
	s_add_u32 s18, s18, 0xff
	s_addc_u32 s19, 0, 0
	s_cmp_lt_u32 s15, s2
	v_alignbit_b32 v2, s19, s18, 8
	s_mov_b32 s15, 0
	v_readfirstlane_b32 s18, v2
	s_delay_alu instid0(VALU_DEP_1) | instskip(NEXT) | instid1(SALU_CYCLE_1)
	s_cselect_b32 s11, s11, s18
	s_cmp_lt_i32 s11, 1
	s_cbranch_scc1 .LBB5_25
; %bb.4:
	s_sub_i32 s2, 0, s16
	s_clause 0x1
	s_load_b64 s[18:19], s[0:1], 0x6c
	s_load_b64 s[20:21], s[0:1], 0x0
	s_mul_i32 s2, s2, s17
	s_load_b32 s1, s[4:5], 0x0
	s_mul_hi_u32 s2, s17, s2
	s_delay_alu instid0(SALU_CYCLE_1) | instskip(NEXT) | instid1(SALU_CYCLE_1)
	s_add_i32 s17, s17, s2
	s_mul_hi_u32 s2, s12, s17
	s_delay_alu instid0(SALU_CYCLE_1) | instskip(NEXT) | instid1(SALU_CYCLE_1)
	s_mul_i32 s17, s2, s16
	s_sub_i32 s0, s12, s17
	s_add_i32 s17, s2, 1
	s_sub_i32 s22, s0, s16
	s_cmp_ge_u32 s0, s16
	s_cselect_b32 s2, s17, s2
	s_cselect_b32 s0, s22, s0
	s_add_i32 s4, s2, 1
	s_cmp_ge_u32 s0, s16
	s_cselect_b32 s0, s4, s2
	s_delay_alu instid0(SALU_CYCLE_1) | instskip(SKIP_3) | instid1(SALU_CYCLE_1)
	s_mul_i32 s2, s0, s16
	s_waitcnt lgkmcnt(0)
	s_mul_i32 s0, s0, s18
	s_sub_i32 s2, s12, s2
	s_mul_i32 s2, s2, s19
	s_delay_alu instid0(SALU_CYCLE_1) | instskip(NEXT) | instid1(SALU_CYCLE_1)
	s_add_i32 s0, s0, s2
	s_add_u32 s4, s20, s0
	s_addc_u32 s5, s21, 0
	s_and_b32 s2, s10, 0xff
	s_cmp_lt_u32 s11, 4
	s_cbranch_scc1 .LBB5_19
; %bb.5:
	v_dual_mov_b32 v7, 1 :: v_dual_add_nc_u32 v6, s13, v0
	s_and_b32 s15, s11, 0x7ffffffc
	s_lshl_b32 s10, s9, 10
	s_mov_b32 s12, 0
	s_delay_alu instid0(VALU_DEP_1)
	v_add_nc_u32_e32 v2, 0x300, v6
	v_add_nc_u32_e32 v4, 0x200, v6
	;; [unrolled: 1-line block ×3, first 2 shown]
	v_mul_lo_u32 v6, s9, v6
	s_mov_b32 s16, 0
	v_mul_lo_u32 v3, s9, v2
	v_mul_lo_u32 v4, s9, v4
	;; [unrolled: 1-line block ×3, first 2 shown]
	s_branch .LBB5_7
.LBB5_6:                                ;   in Loop: Header=BB5_7 Depth=1
	s_or_b32 exec_lo, exec_lo, s17
	v_add_nc_u32_e32 v2, 0x400, v2
	s_add_i32 s16, s16, 4
	s_add_i32 s12, s12, s10
	s_cmp_eq_u32 s15, s16
	s_cbranch_scc1 .LBB5_19
.LBB5_7:                                ; =>This Inner Loop Header: Depth=1
	v_add_nc_u32_e32 v8, 0xfffffd00, v2
	s_mov_b32 s17, exec_lo
	s_delay_alu instid0(VALU_DEP_1)
	v_cmpx_gt_u32_e64 s8, v8
	s_cbranch_execz .LBB5_10
; %bb.8:                                ;   in Loop: Header=BB5_7 Depth=1
	v_add_nc_u32_e32 v8, s12, v6
	global_load_u8 v8, v8, s[4:5]
	s_waitcnt vmcnt(0)
	v_xor_b32_e32 v9, s1, v8
	s_delay_alu instid0(VALU_DEP_1) | instskip(NEXT) | instid1(VALU_DEP_1)
	v_and_b32_e32 v9, s3, v9
	v_cmp_eq_u32_e64 s0, 0, v9
	s_delay_alu instid0(VALU_DEP_1)
	s_and_b32 exec_lo, exec_lo, s0
	s_cbranch_execz .LBB5_10
; %bb.9:                                ;   in Loop: Header=BB5_7 Depth=1
	v_lshrrev_b32_e32 v8, s2, v8
	s_delay_alu instid0(VALU_DEP_1)
	v_lshlrev_b32_e32 v8, 2, v8
	ds_add_u32 v8, v7
.LBB5_10:                               ;   in Loop: Header=BB5_7 Depth=1
	s_or_b32 exec_lo, exec_lo, s17
	v_add_nc_u32_e32 v8, 0xfffffe00, v2
	s_mov_b32 s17, exec_lo
	s_delay_alu instid0(VALU_DEP_1)
	v_cmpx_gt_u32_e64 s8, v8
	s_cbranch_execz .LBB5_13
; %bb.11:                               ;   in Loop: Header=BB5_7 Depth=1
	v_add_nc_u32_e32 v8, s12, v5
	global_load_u8 v8, v8, s[4:5]
	s_waitcnt vmcnt(0)
	v_xor_b32_e32 v9, s1, v8
	s_delay_alu instid0(VALU_DEP_1) | instskip(NEXT) | instid1(VALU_DEP_1)
	v_and_b32_e32 v9, s3, v9
	v_cmp_eq_u32_e64 s0, 0, v9
	s_delay_alu instid0(VALU_DEP_1)
	s_and_b32 exec_lo, exec_lo, s0
	s_cbranch_execz .LBB5_13
; %bb.12:                               ;   in Loop: Header=BB5_7 Depth=1
	v_lshrrev_b32_e32 v8, s2, v8
	s_delay_alu instid0(VALU_DEP_1)
	v_lshlrev_b32_e32 v8, 2, v8
	ds_add_u32 v8, v7
.LBB5_13:                               ;   in Loop: Header=BB5_7 Depth=1
	s_or_b32 exec_lo, exec_lo, s17
	v_add_nc_u32_e32 v8, 0xffffff00, v2
	s_mov_b32 s17, exec_lo
	s_delay_alu instid0(VALU_DEP_1)
	v_cmpx_gt_u32_e64 s8, v8
	s_cbranch_execz .LBB5_16
; %bb.14:                               ;   in Loop: Header=BB5_7 Depth=1
	v_add_nc_u32_e32 v8, s12, v4
	global_load_u8 v8, v8, s[4:5]
	s_waitcnt vmcnt(0)
	v_xor_b32_e32 v9, s1, v8
	s_delay_alu instid0(VALU_DEP_1) | instskip(NEXT) | instid1(VALU_DEP_1)
	v_and_b32_e32 v9, s3, v9
	v_cmp_eq_u32_e64 s0, 0, v9
	s_delay_alu instid0(VALU_DEP_1)
	s_and_b32 exec_lo, exec_lo, s0
	s_cbranch_execz .LBB5_16
; %bb.15:                               ;   in Loop: Header=BB5_7 Depth=1
	v_lshrrev_b32_e32 v8, s2, v8
	s_delay_alu instid0(VALU_DEP_1)
	v_lshlrev_b32_e32 v8, 2, v8
	ds_add_u32 v8, v7
.LBB5_16:                               ;   in Loop: Header=BB5_7 Depth=1
	s_or_b32 exec_lo, exec_lo, s17
	s_delay_alu instid0(SALU_CYCLE_1)
	s_mov_b32 s17, exec_lo
	v_cmpx_gt_u32_e64 s8, v2
	s_cbranch_execz .LBB5_6
; %bb.17:                               ;   in Loop: Header=BB5_7 Depth=1
	v_add_nc_u32_e32 v8, s12, v3
	global_load_u8 v8, v8, s[4:5]
	s_waitcnt vmcnt(0)
	v_xor_b32_e32 v9, s1, v8
	s_delay_alu instid0(VALU_DEP_1) | instskip(NEXT) | instid1(VALU_DEP_1)
	v_and_b32_e32 v9, s3, v9
	v_cmp_eq_u32_e64 s0, 0, v9
	s_delay_alu instid0(VALU_DEP_1)
	s_and_b32 exec_lo, exec_lo, s0
	s_cbranch_execz .LBB5_6
; %bb.18:                               ;   in Loop: Header=BB5_7 Depth=1
	v_lshrrev_b32_e32 v8, s2, v8
	s_delay_alu instid0(VALU_DEP_1)
	v_lshlrev_b32_e32 v8, 2, v8
	ds_add_u32 v8, v7
	s_branch .LBB5_6
.LBB5_19:
	s_and_b32 s10, s11, 3
	s_delay_alu instid0(SALU_CYCLE_1)
	s_cmp_eq_u32 s10, 0
	s_cbranch_scc1 .LBB5_25
; %bb.20:
	s_lshl_b32 s0, s15, 8
	v_mov_b32_e32 v4, 1
	v_add3_u32 v2, s0, s13, v0
	s_delay_alu instid0(VALU_DEP_1)
	v_mul_lo_u32 v3, s9, v2
	s_lshl_b32 s9, s9, 8
	s_branch .LBB5_22
	.p2align	6
.LBB5_21:                               ;   in Loop: Header=BB5_22 Depth=1
	s_or_b32 exec_lo, exec_lo, s11
	s_delay_alu instid0(VALU_DEP_2) | instskip(SKIP_2) | instid1(SALU_CYCLE_1)
	v_add_nc_u32_e32 v3, s9, v3
	v_add_nc_u32_e32 v2, 0x100, v2
	s_add_i32 s10, s10, -1
	s_cmp_lg_u32 s10, 0
	s_cbranch_scc0 .LBB5_25
.LBB5_22:                               ; =>This Inner Loop Header: Depth=1
	s_mov_b32 s11, exec_lo
	v_cmpx_gt_u32_e64 s8, v2
	s_cbranch_execz .LBB5_21
; %bb.23:                               ;   in Loop: Header=BB5_22 Depth=1
	global_load_u8 v5, v3, s[4:5]
	s_waitcnt vmcnt(0)
	v_xor_b32_e32 v6, s1, v5
	s_delay_alu instid0(VALU_DEP_1) | instskip(NEXT) | instid1(VALU_DEP_1)
	v_and_b32_e32 v6, s3, v6
	v_cmp_eq_u32_e64 s0, 0, v6
	s_delay_alu instid0(VALU_DEP_1)
	s_and_b32 exec_lo, exec_lo, s0
	s_cbranch_execz .LBB5_21
; %bb.24:                               ;   in Loop: Header=BB5_22 Depth=1
	v_lshrrev_b32_e32 v5, s2, v5
	s_delay_alu instid0(VALU_DEP_1)
	v_lshlrev_b32_e32 v5, 2, v5
	ds_add_u32 v5, v4
	s_branch .LBB5_21
.LBB5_25:
	v_mov_b32_e32 v2, 0
	s_waitcnt lgkmcnt(0)
	s_barrier
	buffer_gl0_inv
	s_and_saveexec_b32 s0, vcc_lo
	s_cbranch_execz .LBB5_27
; %bb.26:
	ds_load_b32 v2, v1
.LBB5_27:
	s_or_b32 exec_lo, exec_lo, s0
	s_and_saveexec_b32 s0, vcc_lo
	s_cbranch_execz .LBB5_29
; %bb.28:
	v_lshl_or_b32 v0, s14, 8, v0
	v_mov_b32_e32 v1, 0
	s_delay_alu instid0(VALU_DEP_1) | instskip(NEXT) | instid1(VALU_DEP_1)
	v_lshlrev_b64 v[0:1], 1, v[0:1]
	v_add_co_u32 v0, vcc_lo, s6, v0
	s_delay_alu instid0(VALU_DEP_2)
	v_add_co_ci_u32_e32 v1, vcc_lo, s7, v1, vcc_lo
	s_waitcnt lgkmcnt(0)
	global_store_b16 v[0:1], v2, off
.LBB5_29:
	s_nop 0
	s_sendmsg sendmsg(MSG_DEALLOC_VGPRS)
	s_endpgm
	.section	.rodata,"a",@progbits
	.p2align	6, 0x0
	.amdhsa_kernel _ZN2at6native6mbtopk23computeBlockDigitCountsIhjjLi2EEEvNS_4cuda6detail10TensorInfoIKT_T0_EEjPjjS8_iijT1_PSB_Ps
		.amdhsa_group_segment_fixed_size 1024
		.amdhsa_private_segment_fixed_size 0
		.amdhsa_kernarg_size 528
		.amdhsa_user_sgpr_count 13
		.amdhsa_user_sgpr_dispatch_ptr 0
		.amdhsa_user_sgpr_queue_ptr 0
		.amdhsa_user_sgpr_kernarg_segment_ptr 1
		.amdhsa_user_sgpr_dispatch_id 0
		.amdhsa_user_sgpr_private_segment_size 0
		.amdhsa_wavefront_size32 1
		.amdhsa_uses_dynamic_stack 0
		.amdhsa_enable_private_segment 0
		.amdhsa_system_sgpr_workgroup_id_x 1
		.amdhsa_system_sgpr_workgroup_id_y 1
		.amdhsa_system_sgpr_workgroup_id_z 1
		.amdhsa_system_sgpr_workgroup_info 0
		.amdhsa_system_vgpr_workitem_id 0
		.amdhsa_next_free_vgpr 10
		.amdhsa_next_free_sgpr 23
		.amdhsa_reserve_vcc 1
		.amdhsa_float_round_mode_32 0
		.amdhsa_float_round_mode_16_64 0
		.amdhsa_float_denorm_mode_32 3
		.amdhsa_float_denorm_mode_16_64 3
		.amdhsa_dx10_clamp 1
		.amdhsa_ieee_mode 1
		.amdhsa_fp16_overflow 0
		.amdhsa_workgroup_processor_mode 1
		.amdhsa_memory_ordered 1
		.amdhsa_forward_progress 0
		.amdhsa_shared_vgpr_count 0
		.amdhsa_exception_fp_ieee_invalid_op 0
		.amdhsa_exception_fp_denorm_src 0
		.amdhsa_exception_fp_ieee_div_zero 0
		.amdhsa_exception_fp_ieee_overflow 0
		.amdhsa_exception_fp_ieee_underflow 0
		.amdhsa_exception_fp_ieee_inexact 0
		.amdhsa_exception_int_div_zero 0
	.end_amdhsa_kernel
	.section	.text._ZN2at6native6mbtopk23computeBlockDigitCountsIhjjLi2EEEvNS_4cuda6detail10TensorInfoIKT_T0_EEjPjjS8_iijT1_PSB_Ps,"axG",@progbits,_ZN2at6native6mbtopk23computeBlockDigitCountsIhjjLi2EEEvNS_4cuda6detail10TensorInfoIKT_T0_EEjPjjS8_iijT1_PSB_Ps,comdat
.Lfunc_end5:
	.size	_ZN2at6native6mbtopk23computeBlockDigitCountsIhjjLi2EEEvNS_4cuda6detail10TensorInfoIKT_T0_EEjPjjS8_iijT1_PSB_Ps, .Lfunc_end5-_ZN2at6native6mbtopk23computeBlockDigitCountsIhjjLi2EEEvNS_4cuda6detail10TensorInfoIKT_T0_EEjPjjS8_iijT1_PSB_Ps
                                        ; -- End function
	.section	.AMDGPU.csdata,"",@progbits
; Kernel info:
; codeLenInByte = 1328
; NumSgprs: 25
; NumVgprs: 10
; ScratchSize: 0
; MemoryBound: 0
; FloatMode: 240
; IeeeMode: 1
; LDSByteSize: 1024 bytes/workgroup (compile time only)
; SGPRBlocks: 3
; VGPRBlocks: 1
; NumSGPRsForWavesPerEU: 25
; NumVGPRsForWavesPerEU: 10
; Occupancy: 16
; WaveLimiterHint : 1
; COMPUTE_PGM_RSRC2:SCRATCH_EN: 0
; COMPUTE_PGM_RSRC2:USER_SGPR: 13
; COMPUTE_PGM_RSRC2:TRAP_HANDLER: 0
; COMPUTE_PGM_RSRC2:TGID_X_EN: 1
; COMPUTE_PGM_RSRC2:TGID_Y_EN: 1
; COMPUTE_PGM_RSRC2:TGID_Z_EN: 1
; COMPUTE_PGM_RSRC2:TIDIG_COMP_CNT: 0
	.section	.text._ZN2at6native6mbtopk10gatherTopKIhjLi2EEEvNS_4cuda6detail10TensorInfoIKT_T0_EES8_S8_bjS8_NS5_IS6_S8_EES8_NS5_IlS8_EES8_jjPS6_PjSD_j,"axG",@progbits,_ZN2at6native6mbtopk10gatherTopKIhjLi2EEEvNS_4cuda6detail10TensorInfoIKT_T0_EES8_S8_bjS8_NS5_IS6_S8_EES8_NS5_IlS8_EES8_jjPS6_PjSD_j,comdat
	.protected	_ZN2at6native6mbtopk10gatherTopKIhjLi2EEEvNS_4cuda6detail10TensorInfoIKT_T0_EES8_S8_bjS8_NS5_IS6_S8_EES8_NS5_IlS8_EES8_jjPS6_PjSD_j ; -- Begin function _ZN2at6native6mbtopk10gatherTopKIhjLi2EEEvNS_4cuda6detail10TensorInfoIKT_T0_EES8_S8_bjS8_NS5_IS6_S8_EES8_NS5_IlS8_EES8_jjPS6_PjSD_j
	.globl	_ZN2at6native6mbtopk10gatherTopKIhjLi2EEEvNS_4cuda6detail10TensorInfoIKT_T0_EES8_S8_bjS8_NS5_IS6_S8_EES8_NS5_IlS8_EES8_jjPS6_PjSD_j
	.p2align	8
	.type	_ZN2at6native6mbtopk10gatherTopKIhjLi2EEEvNS_4cuda6detail10TensorInfoIKT_T0_EES8_S8_bjS8_NS5_IS6_S8_EES8_NS5_IlS8_EES8_jjPS6_PjSD_j,@function
_ZN2at6native6mbtopk10gatherTopKIhjLi2EEEvNS_4cuda6detail10TensorInfoIKT_T0_EES8_S8_bjS8_NS5_IS6_S8_EES8_NS5_IlS8_EES8_jjPS6_PjSD_j: ; @_ZN2at6native6mbtopk10gatherTopKIhjLi2EEEvNS_4cuda6detail10TensorInfoIKT_T0_EES8_S8_bjS8_NS5_IS6_S8_EES8_NS5_IlS8_EES8_jjPS6_PjSD_j
; %bb.0:
	s_clause 0x1
	s_load_b64 s[2:3], s[0:1], 0x2d8
	s_load_b32 s4, s[0:1], 0x2d0
	s_waitcnt lgkmcnt(0)
	s_mul_i32 s3, s3, s15
	s_delay_alu instid0(SALU_CYCLE_1) | instskip(NEXT) | instid1(SALU_CYCLE_1)
	s_add_i32 s3, s3, s14
	s_mul_i32 s2, s3, s2
	s_delay_alu instid0(SALU_CYCLE_1) | instskip(NEXT) | instid1(SALU_CYCLE_1)
	s_add_i32 s2, s2, s13
	s_cmp_ge_u32 s2, s4
	s_cbranch_scc1 .LBB6_40
; %bb.1:
	s_clause 0x3
	s_load_b256 s[4:11], s[0:1], 0x2a8
	s_load_b64 s[16:17], s[0:1], 0x1d0
	s_load_b64 s[22:23], s[0:1], 0x23c
	;; [unrolled: 1-line block ×3, first 2 shown]
	s_waitcnt lgkmcnt(0)
	v_cvt_f32_u32_e32 v1, s6
	s_sub_i32 s7, 0, s6
	s_delay_alu instid0(VALU_DEP_1) | instskip(SKIP_2) | instid1(VALU_DEP_1)
	v_rcp_iflag_f32_e32 v1, v1
	s_waitcnt_depctr 0xfff
	v_mul_f32_e32 v1, 0x4f7ffffe, v1
	v_cvt_u32_f32_e32 v1, v1
	s_delay_alu instid0(VALU_DEP_1) | instskip(NEXT) | instid1(VALU_DEP_1)
	v_readfirstlane_b32 s3, v1
	s_mul_i32 s7, s7, s3
	s_delay_alu instid0(SALU_CYCLE_1) | instskip(NEXT) | instid1(SALU_CYCLE_1)
	s_mul_hi_u32 s7, s3, s7
	s_add_i32 s3, s3, s7
	s_delay_alu instid0(SALU_CYCLE_1) | instskip(NEXT) | instid1(SALU_CYCLE_1)
	s_mul_hi_u32 s3, s2, s3
	s_mul_i32 s7, s3, s6
	s_add_i32 s12, s3, 1
	s_sub_i32 s7, s2, s7
	s_delay_alu instid0(SALU_CYCLE_1)
	s_sub_i32 s13, s7, s6
	s_cmp_ge_u32 s7, s6
	s_cselect_b32 s3, s12, s3
	s_cselect_b32 s7, s13, s7
	s_add_i32 s12, s3, 1
	s_cmp_ge_u32 s7, s6
	s_cselect_b32 s7, s12, s3
	s_delay_alu instid0(SALU_CYCLE_1)
	v_mov_b32_e32 v1, s7
	global_load_u8 v6, v1, s[8:9]
	s_clause 0x5
	s_load_b32 s38, s[0:1], 0xc
	s_load_b32 s36, s[0:1], 0xfc
	;; [unrolled: 1-line block ×3, first 2 shown]
	s_load_b64 s[18:19], s[0:1], 0xf0
	s_load_b64 s[26:27], s[0:1], 0x6c
	;; [unrolled: 1-line block ×3, first 2 shown]
	s_mul_i32 s8, s7, s6
	s_mov_b32 s9, 0
	s_sub_i32 s41, s2, s8
	s_waitcnt lgkmcnt(0)
	v_cvt_f32_u32_e32 v1, s38
	v_cvt_f32_u32_e32 v2, s36
	;; [unrolled: 1-line block ×3, first 2 shown]
	s_sub_i32 s12, 0, s38
	s_delay_alu instid0(VALU_DEP_3) | instskip(NEXT) | instid1(VALU_DEP_2)
	v_rcp_iflag_f32_e32 v1, v1
	v_rcp_iflag_f32_e32 v2, v2
	s_delay_alu instid0(VALU_DEP_1) | instskip(SKIP_2) | instid1(VALU_DEP_1)
	v_rcp_iflag_f32_e32 v3, v3
	s_waitcnt_depctr 0xfff
	v_dual_mul_f32 v1, 0x4f7ffffe, v1 :: v_dual_mul_f32 v2, 0x4f7ffffe, v2
	v_cvt_u32_f32_e32 v1, v1
	s_delay_alu instid0(VALU_DEP_2) | instskip(NEXT) | instid1(VALU_DEP_2)
	v_cvt_u32_f32_e32 v2, v2
	v_readfirstlane_b32 s3, v1
	v_mul_f32_e32 v1, 0x4f7ffffe, v3
	s_delay_alu instid0(VALU_DEP_2) | instskip(NEXT) | instid1(VALU_DEP_1)
	s_mul_i32 s12, s12, s3
	v_cvt_u32_f32_e32 v1, v1
	s_mul_hi_u32 s2, s3, s12
	v_readfirstlane_b32 s12, v2
	s_add_i32 s3, s3, s2
	s_sub_i32 s2, 0, s36
	v_readfirstlane_b32 s13, v1
	s_mul_hi_u32 s40, s7, s3
	s_sub_i32 s3, 0, s33
	s_mul_i32 s2, s2, s12
	s_delay_alu instid0(VALU_DEP_1)
	s_mul_i32 s3, s3, s13
	s_mul_hi_u32 s2, s12, s2
	s_mul_hi_u32 s14, s13, s3
	s_add_i32 s12, s12, s2
	v_cmp_ne_u32_e64 s2, 0, v0
	v_cmp_eq_u32_e64 s3, 0, v0
	s_add_i32 s13, s13, s14
	s_mul_hi_u32 s39, s7, s12
	s_mul_hi_u32 s37, s7, s13
	s_delay_alu instid0(VALU_DEP_1)
	s_and_saveexec_b32 s42, s3
	s_cbranch_execz .LBB6_17
; %bb.2:
	s_load_b64 s[28:29], s[0:1], 0x2c8
	s_lshl_b64 s[30:31], s[8:9], 2
	s_mov_b32 s8, 0
	s_add_u32 s12, s10, s30
	s_addc_u32 s13, s11, s31
	s_mov_b32 s43, 0
	s_waitcnt lgkmcnt(0)
	s_add_u32 s14, s28, s30
	s_addc_u32 s15, s29, s31
	s_cmp_lt_u32 s6, 4
	s_cbranch_scc1 .LBB6_14
; %bb.3:
	s_mov_b32 s44, 0
.LBB6_4:                                ; =>This Inner Loop Header: Depth=1
	s_add_u32 s12, s10, s30
	s_addc_u32 s13, s11, s31
	s_add_u32 s34, s28, s30
	s_load_b128 s[12:15], s[12:13], 0x0
	s_addc_u32 s35, s29, s31
	s_cmp_ge_u32 s44, s41
	s_cbranch_scc0 .LBB6_11
; %bb.5:                                ;   in Loop: Header=BB6_4 Depth=1
	s_add_i32 s45, s44, 1
	s_delay_alu instid0(SALU_CYCLE_1)
	s_cmp_ge_u32 s45, s41
	s_cbranch_scc0 .LBB6_12
.LBB6_6:                                ;   in Loop: Header=BB6_4 Depth=1
	s_add_i32 s45, s45, 1
	s_delay_alu instid0(SALU_CYCLE_1)
	s_cmp_ge_u32 s45, s41
	s_cbranch_scc0 .LBB6_13
.LBB6_7:                                ;   in Loop: Header=BB6_4 Depth=1
	s_add_i32 s45, s45, 1
	s_delay_alu instid0(SALU_CYCLE_1)
	s_cmp_ge_u32 s45, s41
	s_cbranch_scc1 .LBB6_9
.LBB6_8:                                ;   in Loop: Header=BB6_4 Depth=1
	s_load_b32 s34, s[34:35], 0xc
	s_waitcnt lgkmcnt(0)
	s_add_i32 s9, s9, s15
	s_add_i32 s8, s34, s8
.LBB6_9:                                ;   in Loop: Header=BB6_4 Depth=1
	s_waitcnt lgkmcnt(0)
	s_add_i32 s12, s12, s43
	s_delay_alu instid0(SALU_CYCLE_1) | instskip(NEXT) | instid1(SALU_CYCLE_1)
	s_add_i32 s12, s12, s13
	s_add_i32 s12, s12, s14
	s_delay_alu instid0(SALU_CYCLE_1)
	s_add_i32 s43, s12, s15
	s_add_u32 s10, s10, 16
	s_addc_u32 s11, s11, 0
	s_add_u32 s28, s28, 16
	s_addc_u32 s29, s29, 0
	s_add_i32 s35, s45, 4
	s_add_u32 s14, s28, s30
	s_addc_u32 s15, s29, s31
	s_add_u32 s12, s10, s30
	s_addc_u32 s13, s11, s31
	s_add_i32 s34, s45, 1
	s_cmp_ge_u32 s35, s6
	s_cbranch_scc1 .LBB6_15
; %bb.10:                               ;   in Loop: Header=BB6_4 Depth=1
	s_mov_b32 s44, s34
	s_branch .LBB6_4
.LBB6_11:                               ;   in Loop: Header=BB6_4 Depth=1
	s_load_b32 s45, s[34:35], 0x0
	s_waitcnt lgkmcnt(0)
	s_add_i32 s9, s12, s9
	s_add_i32 s8, s45, s8
	;; [unrolled: 1-line block ×3, first 2 shown]
	s_delay_alu instid0(SALU_CYCLE_1)
	s_cmp_ge_u32 s45, s41
	s_cbranch_scc1 .LBB6_6
.LBB6_12:                               ;   in Loop: Header=BB6_4 Depth=1
	s_load_b32 s46, s[34:35], 0x4
	s_waitcnt lgkmcnt(0)
	s_add_i32 s9, s9, s13
	s_add_i32 s8, s46, s8
	;; [unrolled: 1-line block ×3, first 2 shown]
	s_delay_alu instid0(SALU_CYCLE_1)
	s_cmp_ge_u32 s45, s41
	s_cbranch_scc1 .LBB6_7
.LBB6_13:                               ;   in Loop: Header=BB6_4 Depth=1
	s_load_b32 s46, s[34:35], 0x8
	s_waitcnt lgkmcnt(0)
	s_add_i32 s9, s9, s14
	s_add_i32 s8, s46, s8
	s_add_i32 s45, s45, 1
	s_delay_alu instid0(SALU_CYCLE_1)
	s_cmp_ge_u32 s45, s41
	s_cbranch_scc0 .LBB6_8
	s_branch .LBB6_9
.LBB6_14:
	s_mov_b32 s10, 0
	s_delay_alu instid0(SALU_CYCLE_1)
	s_cmp_ge_u32 s10, s6
	s_cbranch_scc0 .LBB6_38
	s_branch .LBB6_16
.LBB6_15:
	s_add_i32 s10, s44, 4
	s_delay_alu instid0(SALU_CYCLE_1)
	s_cmp_ge_u32 s10, s6
	s_cbranch_scc0 .LBB6_38
.LBB6_16:
	v_dual_mov_b32 v1, s8 :: v_dual_mov_b32 v2, s43
	v_dual_mov_b32 v3, s9 :: v_dual_mov_b32 v4, 0
	ds_store_b96 v4, v[1:3] offset:1056
.LBB6_17:
	s_or_b32 exec_lo, exec_lo, s42
	s_load_b128 s[8:11], s[0:1], 0xd8
	s_waitcnt lgkmcnt(0)
	s_mul_i32 s11, s5, s41
	s_add_i32 s41, s41, 1
	s_lshl_b32 s28, s11, 8
	s_mov_b32 s15, 0
	s_waitcnt vmcnt(0)
	s_barrier
	buffer_gl0_inv
	s_sub_i32 s11, s8, s28
	s_delay_alu instid0(SALU_CYCLE_1) | instskip(SKIP_3) | instid1(VALU_DEP_1)
	s_add_u32 s11, s11, 0xff
	s_addc_u32 s12, 0, 0
	s_cmp_lt_u32 s41, s6
	v_alignbit_b32 v1, s12, s11, 8
	v_readfirstlane_b32 s11, v1
	s_delay_alu instid0(VALU_DEP_1) | instskip(NEXT) | instid1(SALU_CYCLE_1)
	s_cselect_b32 s5, s5, s11
	s_cmp_eq_u32 s5, 0
	s_cbranch_scc1 .LBB6_40
; %bb.18:
	s_mul_i32 s6, s40, s38
	s_add_i32 s11, s40, 1
	s_sub_i32 s6, s7, s6
	v_dual_mov_b32 v5, 0 :: v_dual_add_nc_u32 v8, -1, v0
	s_sub_i32 s12, s6, s38
	s_cmp_ge_u32 s6, s38
	v_lshrrev_b32_e32 v4, 5, v0
	s_cselect_b32 s11, s11, s40
	s_cselect_b32 s6, s12, s6
	s_add_i32 s12, s11, 1
	s_cmp_ge_u32 s6, s38
	s_mul_i32 s6, s39, s36
	s_cselect_b32 s11, s12, s11
	s_sub_i32 s6, s7, s6
	s_mul_i32 s12, s11, s38
	s_mul_i32 s11, s11, s26
	s_sub_i32 s12, s7, s12
	s_add_i32 s13, s39, 1
	s_mul_i32 s12, s12, s27
	s_sub_i32 s14, s6, s36
	s_add_i32 s12, s11, s12
	s_cmp_ge_u32 s6, s36
	s_mul_i32 s11, s37, s33
	s_cselect_b32 s13, s13, s39
	s_cselect_b32 s6, s14, s6
	s_add_i32 s14, s13, 1
	s_cmp_ge_u32 s6, s36
	ds_load_b96 v[1:3], v5 offset:1056
	s_cselect_b32 s6, s14, s13
	s_sub_i32 s11, s7, s11
	s_mul_i32 s13, s6, s36
	s_mul_i32 s6, s6, s24
	s_sub_i32 s13, s7, s13
	s_add_i32 s14, s37, 1
	s_mul_i32 s13, s13, s25
	s_sub_i32 s24, s11, s33
	s_add_i32 s13, s6, s13
	s_cmp_ge_u32 s11, s33
	v_add_lshl_u32 v7, v4, v0, 2
	s_cselect_b32 s6, s14, s37
	s_cselect_b32 s11, s24, s11
	s_add_i32 s14, s6, 1
	s_cmp_ge_u32 s11, s33
	s_clause 0x1
	s_load_b32 s24, s[0:1], 0xe8
	s_load_b32 s11, s[0:1], 0x1c8
	s_cselect_b32 s0, s14, s6
	v_lshrrev_b32_e32 v9, 2, v0
	s_mul_i32 s1, s0, s33
	s_mul_i32 s0, s0, s22
	s_sub_i32 s1, s7, s1
	s_waitcnt lgkmcnt(0)
	v_add_nc_u32_e32 v1, v1, v2
	s_mul_i32 s1, s1, s23
	v_lshlrev_b32_e32 v2, 3, v0
	s_add_i32 s14, s0, s1
	s_add_u32 s6, s20, s12
	s_addc_u32 s7, s21, 0
	s_add_u32 s12, s18, s13
	v_add_nc_u32_e32 v4, s28, v0
	s_addc_u32 s13, s19, 0
	s_lshl_b64 s[0:1], s[14:15], 3
	v_lshrrev_b32_e32 v10, 5, v8
	s_add_u32 s14, s16, s0
	v_cmp_gt_u32_e64 s0, 32, v0
	v_mbcnt_lo_u32_b32 v0, -1, 0
	v_add_lshl_u32 v2, v9, v2, 2
	v_mul_lo_u32 v9, s24, v4
	s_addc_u32 s15, s17, s1
	v_add_lshl_u32 v8, v10, v8, 2
	v_and_b32_e32 v6, 0xff, v6
	v_and_b32_e32 v10, 15, v0
	v_bfe_i32 v11, v0, 4, 1
	v_add_nc_u32_e32 v12, -1, v0
	s_bitcmp1_b32 s10, 0
                                        ; implicit-def: $vgpr13
	s_cselect_b32 s1, -1, 0
	s_lshl_b32 s10, s24, 8
	s_branch .LBB6_21
.LBB6_19:                               ;   in Loop: Header=BB6_21 Depth=1
	s_or_b32 exec_lo, exec_lo, s16
	v_add_nc_u32_e32 v1, v16, v1
.LBB6_20:                               ;   in Loop: Header=BB6_21 Depth=1
	v_add_nc_u32_e32 v3, v15, v3
	v_add_nc_u32_e32 v9, s10, v9
	;; [unrolled: 1-line block ×3, first 2 shown]
	s_add_i32 s5, s5, -1
	s_delay_alu instid0(SALU_CYCLE_1)
	s_cmp_lg_u32 s5, 0
	s_cbranch_scc0 .LBB6_40
.LBB6_21:                               ; =>This Inner Loop Header: Depth=1
	v_mov_b32_e32 v16, 0
	v_mov_b32_e32 v14, 0
	s_mov_b32 s16, exec_lo
	v_cmpx_gt_u32_e64 s8, v4
	s_cbranch_execz .LBB6_23
; %bb.22:                               ;   in Loop: Header=BB6_21 Depth=1
	global_load_u8 v13, v9, s[6:7]
	s_waitcnt vmcnt(0)
	v_cmp_gt_u16_e32 vcc_lo, v13, v6
	v_cndmask_b32_e64 v14, 0, 1, vcc_lo
	v_cmp_lt_u16_e32 vcc_lo, v13, v6
	v_cndmask_b32_e64 v15, 0, 1, vcc_lo
	v_cmp_eq_u16_e32 vcc_lo, v13, v6
	s_delay_alu instid0(VALU_DEP_2) | instskip(NEXT) | instid1(VALU_DEP_1)
	v_cndmask_b32_e64 v14, v15, v14, s1
	v_and_b32_e32 v16, 1, v14
	v_cndmask_b32_e64 v14, 0, 1, vcc_lo
.LBB6_23:                               ;   in Loop: Header=BB6_21 Depth=1
	s_or_b32 exec_lo, exec_lo, s16
	ds_store_b32 v7, v16
	s_waitcnt lgkmcnt(0)
	s_waitcnt_vscnt null, 0x0
	s_barrier
	buffer_gl0_inv
	s_and_saveexec_b32 s16, s0
	s_cbranch_execz .LBB6_25
; %bb.24:                               ;   in Loop: Header=BB6_21 Depth=1
	ds_load_2addr_b32 v[17:18], v2 offset1:1
	ds_load_2addr_b32 v[19:20], v2 offset0:2 offset1:3
	ds_load_2addr_b32 v[21:22], v2 offset0:4 offset1:5
	ds_load_2addr_b32 v[23:24], v2 offset0:6 offset1:7
	v_cmp_ne_u32_e32 vcc_lo, 0, v10
	; wave barrier
	s_waitcnt lgkmcnt(3)
	v_add_nc_u32_e32 v15, v18, v17
	s_waitcnt lgkmcnt(2)
	s_delay_alu instid0(VALU_DEP_1) | instskip(SKIP_1) | instid1(VALU_DEP_1)
	v_add3_u32 v15, v15, v19, v20
	s_waitcnt lgkmcnt(1)
	v_add3_u32 v15, v15, v21, v22
	s_waitcnt lgkmcnt(0)
	s_delay_alu instid0(VALU_DEP_1) | instskip(NEXT) | instid1(VALU_DEP_1)
	v_add3_u32 v15, v15, v23, v24
	v_mov_b32_dpp v18, v15 row_shr:1 row_mask:0xf bank_mask:0xf
	s_delay_alu instid0(VALU_DEP_1) | instskip(SKIP_1) | instid1(VALU_DEP_2)
	v_cndmask_b32_e32 v18, 0, v18, vcc_lo
	v_cmp_lt_u32_e32 vcc_lo, 1, v10
	v_add_nc_u32_e32 v15, v18, v15
	s_delay_alu instid0(VALU_DEP_1) | instskip(NEXT) | instid1(VALU_DEP_1)
	v_mov_b32_dpp v18, v15 row_shr:2 row_mask:0xf bank_mask:0xf
	v_cndmask_b32_e32 v18, 0, v18, vcc_lo
	v_cmp_lt_u32_e32 vcc_lo, 3, v10
	s_delay_alu instid0(VALU_DEP_2) | instskip(NEXT) | instid1(VALU_DEP_1)
	v_add_nc_u32_e32 v15, v15, v18
	v_mov_b32_dpp v18, v15 row_shr:4 row_mask:0xf bank_mask:0xf
	s_delay_alu instid0(VALU_DEP_1) | instskip(SKIP_1) | instid1(VALU_DEP_2)
	v_cndmask_b32_e32 v18, 0, v18, vcc_lo
	v_cmp_lt_u32_e32 vcc_lo, 7, v10
	v_add_nc_u32_e32 v15, v15, v18
	s_delay_alu instid0(VALU_DEP_1) | instskip(NEXT) | instid1(VALU_DEP_1)
	v_mov_b32_dpp v18, v15 row_shr:8 row_mask:0xf bank_mask:0xf
	v_cndmask_b32_e32 v18, 0, v18, vcc_lo
	v_cmp_gt_i32_e32 vcc_lo, 0, v12
	v_cndmask_b32_e32 v19, v12, v0, vcc_lo
	s_delay_alu instid0(VALU_DEP_1) | instskip(NEXT) | instid1(VALU_DEP_4)
	v_lshlrev_b32_e32 v19, 2, v19
	v_add_nc_u32_e32 v15, v15, v18
	ds_swizzle_b32 v18, v15 offset:swizzle(BROADCAST,32,15)
	s_waitcnt lgkmcnt(0)
	v_and_b32_e32 v18, v11, v18
	s_delay_alu instid0(VALU_DEP_1) | instskip(SKIP_3) | instid1(VALU_DEP_1)
	v_add_nc_u32_e32 v15, v15, v18
	ds_bpermute_b32 v15, v19, v15
	s_waitcnt lgkmcnt(0)
	v_add_nc_u32_e32 v15, v15, v17
	v_cndmask_b32_e64 v15, v15, v16, s3
	ds_store_b32 v2, v15
	; wave barrier
	ds_load_2addr_b32 v[17:18], v2 offset0:1 offset1:2
	ds_load_2addr_b32 v[19:20], v2 offset0:3 offset1:4
	;; [unrolled: 1-line block ×3, first 2 shown]
	ds_load_b32 v23, v2 offset:28
	s_waitcnt lgkmcnt(3)
	v_add_nc_u32_e32 v15, v17, v15
	s_delay_alu instid0(VALU_DEP_1) | instskip(SKIP_1) | instid1(VALU_DEP_1)
	v_add_nc_u32_e32 v17, v18, v15
	s_waitcnt lgkmcnt(2)
	v_add_nc_u32_e32 v18, v19, v17
	s_delay_alu instid0(VALU_DEP_1) | instskip(SKIP_1) | instid1(VALU_DEP_1)
	v_add_nc_u32_e32 v19, v20, v18
	;; [unrolled: 4-line block ×3, first 2 shown]
	s_waitcnt lgkmcnt(0)
	v_add_nc_u32_e32 v22, v23, v21
	ds_store_2addr_b32 v2, v15, v17 offset0:1 offset1:2
	ds_store_2addr_b32 v2, v18, v19 offset0:3 offset1:4
	;; [unrolled: 1-line block ×3, first 2 shown]
	ds_store_b32 v2, v22 offset:28
.LBB6_25:                               ;   in Loop: Header=BB6_21 Depth=1
	s_or_b32 exec_lo, exec_lo, s16
	v_mov_b32_e32 v17, 0
	s_waitcnt lgkmcnt(0)
	s_barrier
	buffer_gl0_inv
	s_and_saveexec_b32 s16, s2
	s_cbranch_execz .LBB6_27
; %bb.26:                               ;   in Loop: Header=BB6_21 Depth=1
	ds_load_b32 v17, v8
.LBB6_27:                               ;   in Loop: Header=BB6_21 Depth=1
	s_or_b32 exec_lo, exec_lo, s16
	ds_load_b32 v15, v5 offset:1048
	s_mov_b32 s16, exec_lo
	s_waitcnt lgkmcnt(0)
	s_barrier
	buffer_gl0_inv
	v_cmpx_ne_u32_e32 0, v16
	s_cbranch_execz .LBB6_29
; %bb.28:                               ;   in Loop: Header=BB6_21 Depth=1
	v_add_nc_u32_e32 v18, v17, v3
	v_mov_b32_e32 v17, v5
	s_delay_alu instid0(VALU_DEP_2) | instskip(SKIP_1) | instid1(VALU_DEP_2)
	v_mul_lo_u32 v16, v18, s4
	v_mul_lo_u32 v18, v18, s11
	v_lshlrev_b64 v[16:17], 3, v[16:17]
	s_delay_alu instid0(VALU_DEP_1) | instskip(NEXT) | instid1(VALU_DEP_2)
	v_add_co_u32 v16, vcc_lo, s14, v16
	v_add_co_ci_u32_e32 v17, vcc_lo, s15, v17, vcc_lo
	global_store_b8 v18, v13, s[12:13]
	global_store_b64 v[16:17], v[4:5], off
.LBB6_29:                               ;   in Loop: Header=BB6_21 Depth=1
	s_or_b32 exec_lo, exec_lo, s16
	v_cmp_le_u32_e32 vcc_lo, s9, v1
	s_cbranch_vccnz .LBB6_20
; %bb.30:                               ;   in Loop: Header=BB6_21 Depth=1
	ds_store_b32 v7, v14
	s_waitcnt lgkmcnt(0)
	s_waitcnt_vscnt null, 0x0
	s_barrier
	buffer_gl0_inv
	s_and_saveexec_b32 s16, s0
	s_cbranch_execz .LBB6_32
; %bb.31:                               ;   in Loop: Header=BB6_21 Depth=1
	ds_load_2addr_b32 v[16:17], v2 offset1:1
	ds_load_2addr_b32 v[18:19], v2 offset0:2 offset1:3
	ds_load_2addr_b32 v[20:21], v2 offset0:4 offset1:5
	;; [unrolled: 1-line block ×3, first 2 shown]
	v_cmp_ne_u32_e32 vcc_lo, 0, v10
	; wave barrier
	s_waitcnt lgkmcnt(3)
	v_add_nc_u32_e32 v17, v17, v16
	s_waitcnt lgkmcnt(2)
	s_delay_alu instid0(VALU_DEP_1) | instskip(SKIP_1) | instid1(VALU_DEP_1)
	v_add3_u32 v17, v17, v18, v19
	s_waitcnt lgkmcnt(1)
	v_add3_u32 v17, v17, v20, v21
	s_waitcnt lgkmcnt(0)
	s_delay_alu instid0(VALU_DEP_1) | instskip(NEXT) | instid1(VALU_DEP_1)
	v_add3_u32 v17, v17, v22, v23
	v_mov_b32_dpp v18, v17 row_shr:1 row_mask:0xf bank_mask:0xf
	s_delay_alu instid0(VALU_DEP_1) | instskip(SKIP_1) | instid1(VALU_DEP_2)
	v_cndmask_b32_e32 v18, 0, v18, vcc_lo
	v_cmp_lt_u32_e32 vcc_lo, 1, v10
	v_add_nc_u32_e32 v17, v18, v17
	s_delay_alu instid0(VALU_DEP_1) | instskip(NEXT) | instid1(VALU_DEP_1)
	v_mov_b32_dpp v18, v17 row_shr:2 row_mask:0xf bank_mask:0xf
	v_cndmask_b32_e32 v18, 0, v18, vcc_lo
	v_cmp_lt_u32_e32 vcc_lo, 3, v10
	s_delay_alu instid0(VALU_DEP_2) | instskip(NEXT) | instid1(VALU_DEP_1)
	v_add_nc_u32_e32 v17, v17, v18
	v_mov_b32_dpp v18, v17 row_shr:4 row_mask:0xf bank_mask:0xf
	s_delay_alu instid0(VALU_DEP_1) | instskip(SKIP_1) | instid1(VALU_DEP_2)
	v_cndmask_b32_e32 v18, 0, v18, vcc_lo
	v_cmp_lt_u32_e32 vcc_lo, 7, v10
	v_add_nc_u32_e32 v17, v17, v18
	s_delay_alu instid0(VALU_DEP_1) | instskip(NEXT) | instid1(VALU_DEP_1)
	v_mov_b32_dpp v18, v17 row_shr:8 row_mask:0xf bank_mask:0xf
	v_cndmask_b32_e32 v18, 0, v18, vcc_lo
	v_cmp_gt_i32_e32 vcc_lo, 0, v12
	v_cndmask_b32_e32 v19, v12, v0, vcc_lo
	s_delay_alu instid0(VALU_DEP_1) | instskip(NEXT) | instid1(VALU_DEP_4)
	v_lshlrev_b32_e32 v19, 2, v19
	v_add_nc_u32_e32 v17, v17, v18
	ds_swizzle_b32 v18, v17 offset:swizzle(BROADCAST,32,15)
	s_waitcnt lgkmcnt(0)
	v_and_b32_e32 v18, v11, v18
	s_delay_alu instid0(VALU_DEP_1) | instskip(SKIP_3) | instid1(VALU_DEP_1)
	v_add_nc_u32_e32 v17, v17, v18
	ds_bpermute_b32 v17, v19, v17
	s_waitcnt lgkmcnt(0)
	v_add_nc_u32_e32 v16, v17, v16
	v_cndmask_b32_e64 v22, v16, v14, s3
	ds_store_b32 v2, v22
	; wave barrier
	ds_load_2addr_b32 v[16:17], v2 offset0:1 offset1:2
	ds_load_2addr_b32 v[18:19], v2 offset0:3 offset1:4
	;; [unrolled: 1-line block ×3, first 2 shown]
	ds_load_b32 v23, v2 offset:28
	s_waitcnt lgkmcnt(3)
	v_add_nc_u32_e32 v16, v16, v22
	s_delay_alu instid0(VALU_DEP_1) | instskip(SKIP_1) | instid1(VALU_DEP_1)
	v_add_nc_u32_e32 v17, v17, v16
	s_waitcnt lgkmcnt(2)
	v_add_nc_u32_e32 v18, v18, v17
	s_delay_alu instid0(VALU_DEP_1) | instskip(SKIP_1) | instid1(VALU_DEP_1)
	v_add_nc_u32_e32 v19, v19, v18
	;; [unrolled: 4-line block ×3, first 2 shown]
	s_waitcnt lgkmcnt(0)
	v_add_nc_u32_e32 v22, v23, v21
	ds_store_2addr_b32 v2, v16, v17 offset0:1 offset1:2
	ds_store_2addr_b32 v2, v18, v19 offset0:3 offset1:4
	;; [unrolled: 1-line block ×3, first 2 shown]
	ds_store_b32 v2, v22 offset:28
.LBB6_32:                               ;   in Loop: Header=BB6_21 Depth=1
	s_or_b32 exec_lo, exec_lo, s16
	v_mov_b32_e32 v17, 0
	s_waitcnt lgkmcnt(0)
	s_barrier
	buffer_gl0_inv
	s_and_saveexec_b32 s16, s2
	s_cbranch_execz .LBB6_34
; %bb.33:                               ;   in Loop: Header=BB6_21 Depth=1
	ds_load_b32 v17, v8
.LBB6_34:                               ;   in Loop: Header=BB6_21 Depth=1
	s_or_b32 exec_lo, exec_lo, s16
	ds_load_b32 v16, v5 offset:1048
	s_mov_b32 s16, exec_lo
	s_waitcnt lgkmcnt(0)
	s_barrier
	buffer_gl0_inv
	v_cmpx_ne_u32_e32 0, v14
	s_cbranch_execz .LBB6_19
; %bb.35:                               ;   in Loop: Header=BB6_21 Depth=1
	v_add_nc_u32_e32 v14, v17, v1
	s_delay_alu instid0(VALU_DEP_1)
	v_cmp_gt_u32_e32 vcc_lo, s9, v14
	s_and_b32 exec_lo, exec_lo, vcc_lo
	s_cbranch_execz .LBB6_19
; %bb.36:                               ;   in Loop: Header=BB6_21 Depth=1
	v_mul_lo_u32 v17, v14, s4
	v_mov_b32_e32 v18, v5
	v_mul_lo_u32 v14, v14, s11
	s_delay_alu instid0(VALU_DEP_2) | instskip(NEXT) | instid1(VALU_DEP_1)
	v_lshlrev_b64 v[17:18], 3, v[17:18]
	v_add_co_u32 v17, vcc_lo, s14, v17
	s_delay_alu instid0(VALU_DEP_2)
	v_add_co_ci_u32_e32 v18, vcc_lo, s15, v18, vcc_lo
	global_store_b8 v14, v13, s[12:13]
	global_store_b64 v[17:18], v[4:5], off
	s_branch .LBB6_19
	.p2align	6
.LBB6_37:                               ;   in Loop: Header=BB6_38 Depth=1
	s_add_u32 s12, s12, 4
	s_addc_u32 s13, s13, 0
	s_waitcnt lgkmcnt(0)
	s_add_i32 s43, s11, s43
	s_add_u32 s14, s14, 4
	s_addc_u32 s15, s15, 0
	s_add_i32 s10, s10, 1
	s_delay_alu instid0(SALU_CYCLE_1)
	s_cmp_lt_u32 s10, s6
	s_cbranch_scc0 .LBB6_16
.LBB6_38:                               ; =>This Inner Loop Header: Depth=1
	s_load_b32 s11, s[12:13], 0x0
	s_cmp_ge_u32 s10, s41
	s_cbranch_scc1 .LBB6_37
; %bb.39:                               ;   in Loop: Header=BB6_38 Depth=1
	s_load_b32 s28, s[14:15], 0x0
	s_waitcnt lgkmcnt(0)
	s_add_i32 s9, s11, s9
	s_add_i32 s8, s28, s8
	s_branch .LBB6_37
.LBB6_40:
	s_nop 0
	s_sendmsg sendmsg(MSG_DEALLOC_VGPRS)
	s_endpgm
	.section	.rodata,"a",@progbits
	.p2align	6, 0x0
	.amdhsa_kernel _ZN2at6native6mbtopk10gatherTopKIhjLi2EEEvNS_4cuda6detail10TensorInfoIKT_T0_EES8_S8_bjS8_NS5_IS6_S8_EES8_NS5_IlS8_EES8_jjPS6_PjSD_j
		.amdhsa_group_segment_fixed_size 1068
		.amdhsa_private_segment_fixed_size 0
		.amdhsa_kernarg_size 984
		.amdhsa_user_sgpr_count 13
		.amdhsa_user_sgpr_dispatch_ptr 0
		.amdhsa_user_sgpr_queue_ptr 0
		.amdhsa_user_sgpr_kernarg_segment_ptr 1
		.amdhsa_user_sgpr_dispatch_id 0
		.amdhsa_user_sgpr_private_segment_size 0
		.amdhsa_wavefront_size32 1
		.amdhsa_uses_dynamic_stack 0
		.amdhsa_enable_private_segment 0
		.amdhsa_system_sgpr_workgroup_id_x 1
		.amdhsa_system_sgpr_workgroup_id_y 1
		.amdhsa_system_sgpr_workgroup_id_z 1
		.amdhsa_system_sgpr_workgroup_info 0
		.amdhsa_system_vgpr_workitem_id 0
		.amdhsa_next_free_vgpr 25
		.amdhsa_next_free_sgpr 47
		.amdhsa_reserve_vcc 1
		.amdhsa_float_round_mode_32 0
		.amdhsa_float_round_mode_16_64 0
		.amdhsa_float_denorm_mode_32 3
		.amdhsa_float_denorm_mode_16_64 3
		.amdhsa_dx10_clamp 1
		.amdhsa_ieee_mode 1
		.amdhsa_fp16_overflow 0
		.amdhsa_workgroup_processor_mode 1
		.amdhsa_memory_ordered 1
		.amdhsa_forward_progress 0
		.amdhsa_shared_vgpr_count 0
		.amdhsa_exception_fp_ieee_invalid_op 0
		.amdhsa_exception_fp_denorm_src 0
		.amdhsa_exception_fp_ieee_div_zero 0
		.amdhsa_exception_fp_ieee_overflow 0
		.amdhsa_exception_fp_ieee_underflow 0
		.amdhsa_exception_fp_ieee_inexact 0
		.amdhsa_exception_int_div_zero 0
	.end_amdhsa_kernel
	.section	.text._ZN2at6native6mbtopk10gatherTopKIhjLi2EEEvNS_4cuda6detail10TensorInfoIKT_T0_EES8_S8_bjS8_NS5_IS6_S8_EES8_NS5_IlS8_EES8_jjPS6_PjSD_j,"axG",@progbits,_ZN2at6native6mbtopk10gatherTopKIhjLi2EEEvNS_4cuda6detail10TensorInfoIKT_T0_EES8_S8_bjS8_NS5_IS6_S8_EES8_NS5_IlS8_EES8_jjPS6_PjSD_j,comdat
.Lfunc_end6:
	.size	_ZN2at6native6mbtopk10gatherTopKIhjLi2EEEvNS_4cuda6detail10TensorInfoIKT_T0_EES8_S8_bjS8_NS5_IS6_S8_EES8_NS5_IlS8_EES8_jjPS6_PjSD_j, .Lfunc_end6-_ZN2at6native6mbtopk10gatherTopKIhjLi2EEEvNS_4cuda6detail10TensorInfoIKT_T0_EES8_S8_bjS8_NS5_IS6_S8_EES8_NS5_IlS8_EES8_jjPS6_PjSD_j
                                        ; -- End function
	.section	.AMDGPU.csdata,"",@progbits
; Kernel info:
; codeLenInByte = 2712
; NumSgprs: 49
; NumVgprs: 25
; ScratchSize: 0
; MemoryBound: 0
; FloatMode: 240
; IeeeMode: 1
; LDSByteSize: 1068 bytes/workgroup (compile time only)
; SGPRBlocks: 6
; VGPRBlocks: 3
; NumSGPRsForWavesPerEU: 49
; NumVGPRsForWavesPerEU: 25
; Occupancy: 16
; WaveLimiterHint : 1
; COMPUTE_PGM_RSRC2:SCRATCH_EN: 0
; COMPUTE_PGM_RSRC2:USER_SGPR: 13
; COMPUTE_PGM_RSRC2:TRAP_HANDLER: 0
; COMPUTE_PGM_RSRC2:TGID_X_EN: 1
; COMPUTE_PGM_RSRC2:TGID_Y_EN: 1
; COMPUTE_PGM_RSRC2:TGID_Z_EN: 1
; COMPUTE_PGM_RSRC2:TIDIG_COMP_CNT: 0
	.section	.text._ZN2at6native6sbtopk10gatherTopKIhjLi2ELb0EEEvNS_4cuda6detail10TensorInfoIKT_T0_EES8_S8_bS8_S8_NS5_IS6_S8_EES8_NS5_IlS8_EES8_PS6_,"axG",@progbits,_ZN2at6native6sbtopk10gatherTopKIhjLi2ELb0EEEvNS_4cuda6detail10TensorInfoIKT_T0_EES8_S8_bS8_S8_NS5_IS6_S8_EES8_NS5_IlS8_EES8_PS6_,comdat
	.protected	_ZN2at6native6sbtopk10gatherTopKIhjLi2ELb0EEEvNS_4cuda6detail10TensorInfoIKT_T0_EES8_S8_bS8_S8_NS5_IS6_S8_EES8_NS5_IlS8_EES8_PS6_ ; -- Begin function _ZN2at6native6sbtopk10gatherTopKIhjLi2ELb0EEEvNS_4cuda6detail10TensorInfoIKT_T0_EES8_S8_bS8_S8_NS5_IS6_S8_EES8_NS5_IlS8_EES8_PS6_
	.globl	_ZN2at6native6sbtopk10gatherTopKIhjLi2ELb0EEEvNS_4cuda6detail10TensorInfoIKT_T0_EES8_S8_bS8_S8_NS5_IS6_S8_EES8_NS5_IlS8_EES8_PS6_
	.p2align	8
	.type	_ZN2at6native6sbtopk10gatherTopKIhjLi2ELb0EEEvNS_4cuda6detail10TensorInfoIKT_T0_EES8_S8_bS8_S8_NS5_IS6_S8_EES8_NS5_IlS8_EES8_PS6_,@function
_ZN2at6native6sbtopk10gatherTopKIhjLi2ELb0EEEvNS_4cuda6detail10TensorInfoIKT_T0_EES8_S8_bS8_S8_NS5_IS6_S8_EES8_NS5_IlS8_EES8_PS6_: ; @_ZN2at6native6sbtopk10gatherTopKIhjLi2ELb0EEEvNS_4cuda6detail10TensorInfoIKT_T0_EES8_S8_bS8_S8_NS5_IS6_S8_EES8_NS5_IlS8_EES8_PS6_
; %bb.0:
	s_clause 0x1
	s_load_b64 s[4:5], s[0:1], 0x2b8
	s_load_b128 s[36:39], s[0:1], 0xd8
	s_add_u32 s6, s0, 0x2b8
	s_addc_u32 s7, s1, 0
	s_waitcnt lgkmcnt(0)
	s_mul_i32 s2, s5, s15
	s_delay_alu instid0(SALU_CYCLE_1) | instskip(NEXT) | instid1(SALU_CYCLE_1)
	s_add_i32 s2, s2, s14
	s_mul_i32 s48, s2, s4
	s_delay_alu instid0(SALU_CYCLE_1) | instskip(NEXT) | instid1(SALU_CYCLE_1)
	s_add_i32 s48, s48, s13
	s_cmp_ge_u32 s48, s39
	s_cbranch_scc1 .LBB7_447
; %bb.1:
	s_clause 0x9
	s_load_b32 s10, s[0:1], 0xc
	s_load_b32 s50, s[0:1], 0xfc
	;; [unrolled: 1-line block ×3, first 2 shown]
	s_load_b64 s[34:35], s[0:1], 0xf0
	s_load_b64 s[44:45], s[0:1], 0x23c
	s_load_b64 s[42:43], s[0:1], 0x1d0
	s_load_b64 s[46:47], s[0:1], 0x15c
	s_load_b32 s40, s[0:1], 0xe8
	s_load_b64 s[8:9], s[0:1], 0x6c
	s_load_b64 s[2:3], s[0:1], 0x0
	v_cmp_eq_u32_e64 s5, 0, v0
	s_mov_b32 s53, 0
	s_waitcnt lgkmcnt(0)
	v_cvt_f32_u32_e32 v1, s10
	v_cvt_f32_u32_e32 v2, s50
	;; [unrolled: 1-line block ×3, first 2 shown]
	s_sub_i32 s11, 0, s10
	s_sub_i32 s16, 0, s50
	v_rcp_iflag_f32_e32 v1, v1
	v_rcp_iflag_f32_e32 v2, v2
	;; [unrolled: 1-line block ×3, first 2 shown]
	s_sub_i32 s17, 0, s49
	s_waitcnt_depctr 0xfff
	v_dual_mul_f32 v1, 0x4f7ffffe, v1 :: v_dual_mul_f32 v2, 0x4f7ffffe, v2
	v_mul_f32_e32 v3, 0x4f7ffffe, v3
	s_delay_alu instid0(VALU_DEP_2) | instskip(NEXT) | instid1(VALU_DEP_3)
	v_cvt_u32_f32_e32 v1, v1
	v_cvt_u32_f32_e32 v2, v2
	s_delay_alu instid0(VALU_DEP_3) | instskip(NEXT) | instid1(VALU_DEP_3)
	v_cvt_u32_f32_e32 v3, v3
	v_readfirstlane_b32 s12, v1
	s_delay_alu instid0(VALU_DEP_3) | instskip(NEXT) | instid1(VALU_DEP_3)
	v_readfirstlane_b32 s14, v2
	v_readfirstlane_b32 s15, v3
	s_delay_alu instid0(VALU_DEP_3) | instskip(NEXT) | instid1(VALU_DEP_2)
	s_mul_i32 s11, s11, s12
	s_mul_i32 s16, s16, s14
	s_delay_alu instid0(VALU_DEP_1)
	s_mul_i32 s17, s17, s15
	s_mul_hi_u32 s11, s12, s11
	s_mul_hi_u32 s16, s14, s16
	;; [unrolled: 1-line block ×3, first 2 shown]
	s_add_i32 s12, s12, s11
	s_add_i32 s14, s14, s16
	;; [unrolled: 1-line block ×3, first 2 shown]
	s_mul_hi_u32 s11, s48, s12
	s_mul_hi_u32 s52, s48, s14
	;; [unrolled: 1-line block ×3, first 2 shown]
	s_and_saveexec_b32 s12, s5
	s_cbranch_execz .LBB7_3
; %bb.2:
	v_dual_mov_b32 v1, 0 :: v_dual_mov_b32 v2, s36
	s_delay_alu instid0(VALU_DEP_1)
	v_mov_b32_e32 v3, v1
	ds_store_b96 v1, v[1:3] offset:4096
.LBB7_3:
	s_or_b32 exec_lo, exec_lo, s12
	s_mul_i32 s12, s11, s10
	s_add_i32 s14, s11, 1
	s_sub_i32 s12, s48, s12
	s_waitcnt lgkmcnt(0)
	s_sub_i32 s15, s12, s10
	s_cmp_ge_u32 s12, s10
	s_barrier
	s_cselect_b32 s11, s14, s11
	buffer_gl0_inv
	s_load_b32 s14, s[6:7], 0xc
	s_cselect_b32 s12, s15, s12
	s_add_i32 s15, s11, 1
	s_cmp_ge_u32 s12, s10
	v_mbcnt_lo_u32_b32 v12, -1, 0
	s_cselect_b32 s11, s15, s11
	v_cmp_gt_u32_e32 vcc_lo, 32, v0
	s_mul_i32 s10, s11, s10
	s_mul_i32 s8, s11, s8
	s_sub_i32 s10, s48, s10
	v_mul_lo_u32 v14, v0, s40
	s_mul_i32 s10, s10, s9
	v_dual_mov_b32 v26, s37 :: v_dual_lshlrev_b32 v13, 2, v0
	s_add_i32 s8, s8, s10
	v_lshrrev_b32_e32 v3, 3, v0
	s_add_u32 s30, s2, s8
	s_addc_u32 s31, s3, 0
	s_bitcmp1_b32 s38, 0
	v_cmp_gt_i32_e64 s2, 4, v12
	s_cselect_b32 s3, -1, 0
	s_waitcnt lgkmcnt(0)
	s_and_b32 s33, s14, 0xffff
	s_xor_b32 s54, s3, -1
	s_lshl_b32 s55, s33, 2
	s_bfe_u32 s8, s14, 0xb0005
	v_cvt_f32_u32_e32 v1, s55
	s_and_b32 s56, vcc_lo, s2
	s_cmpk_gt_u32 s36, 0xc00
	v_cvt_f32_u32_e32 v2, s33
	s_cselect_b32 s57, -1, 0
	v_rcp_iflag_f32_e32 v1, v1
	s_cmp_gt_u32 s33, 31
	v_add_co_u32 v5, s11, s30, v14
	s_cselect_b32 s58, -1, 0
	s_add_i32 s59, s33, -1
	v_rcp_iflag_f32_e32 v2, v2
	s_add_i32 s9, s59, s36
	s_cmp_lt_u32 s13, s4
	s_waitcnt_depctr 0xfff
	v_dual_mov_b32 v22, 0 :: v_dual_mul_f32 v1, 0x4f7ffffe, v1
	s_cselect_b32 s2, 12, 18
	v_add_co_ci_u32_e64 v6, null, s31, 0, s11
	s_add_u32 s38, s6, s2
	s_delay_alu instid0(VALU_DEP_2)
	v_cvt_u32_f32_e32 v1, v1
	s_addc_u32 s39, s7, 0
	s_add_i32 s2, s8, -1
	s_bfe_u32 s60, s33, 0x30005
	s_cmp_gt_u32 s2, 6
	v_readfirstlane_b32 s2, v1
	s_cselect_b32 s61, -1, 0
	s_and_b32 s62, s8, 0x7f8
	s_cmp_lg_u32 s60, 0
	v_dual_mul_f32 v1, 0x4f7ffffe, v2 :: v_dual_mov_b32 v24, 0
	s_cselect_b32 s63, -1, 0
	s_sub_i32 s4, 0, s55
	v_dual_mov_b32 v15, 0 :: v_dual_and_b32 v16, 0x7c, v3
	s_mul_i32 s4, s4, s2
	v_cvt_u32_f32_e32 v1, v1
	s_mul_hi_u32 s4, s2, s4
	v_or_b32_e32 v3, 3, v13
	s_add_i32 s64, s2, s4
	v_mad_u64_u32 v[9:10], null, s40, v13, s[40:41]
	s_mul_hi_u32 s2, s36, s64
	v_readfirstlane_b32 s7, v1
	s_mul_i32 s2, s2, s55
	v_lshlrev_b64 v[1:2], v12, -1
	s_sub_i32 s2, s36, s2
	v_or_b32_e32 v2, 2, v13
	s_sub_i32 s6, s2, s55
	s_cmp_ge_u32 s2, s55
	v_mul_lo_u32 v18, s40, v3
	s_cselect_b32 s2, s6, s2
	v_not_b32_e32 v11, v1
	s_sub_i32 s6, s2, s55
	s_cmp_ge_u32 s2, s55
	v_mul_lo_u32 v10, s40, v2
	s_cselect_b32 s10, s6, s2
	s_sub_i32 s2, 0, s33
	s_sub_i32 s66, s36, s10
	s_mul_i32 s2, s2, s7
	v_add_nc_u32_e32 v17, s66, v0
	s_mul_hi_u32 s8, s7, s2
	v_cmp_gt_u32_e64 s4, s36, v0
	s_add_i32 s65, s7, s8
	v_cmp_gt_u32_e64 s6, 2, v0
	s_mul_hi_u32 s7, s9, s65
	v_mul_lo_u32 v1, v17, s40
	s_mul_i32 s7, s7, s33
	v_cmp_eq_u32_e64 s2, 0, v12
	s_sub_i32 s7, s9, s7
	v_lshlrev_b32_e32 v19, 2, v14
	s_sub_i32 s8, s7, s33
	s_cmp_ge_u32 s7, s33
	v_lshl_or_b32 v21, v12, 2, 0xc00
	s_cselect_b32 s8, s8, s7
	v_cmp_gt_u32_e64 s7, s66, v13
	s_sub_i32 s11, s8, s33
	s_cmp_ge_u32 s8, s33
	v_mov_b32_e32 v25, 0
	s_cselect_b32 s11, s11, s8
	v_cmp_gt_u32_e64 s8, s36, v17
	s_sub_i32 s67, s9, s11
	v_add_co_u32 v7, s9, s30, v1
	v_add3_u32 v1, s33, s36, v0
	v_add_co_ci_u32_e64 v8, null, s31, 0, s9
	v_cmp_gt_u32_e64 s9, s67, v0
	v_mov_b32_e32 v23, 0
	s_delay_alu instid0(VALU_DEP_4)
	v_subrev_nc_u32_e32 v1, s10, v1
	s_mul_i32 s41, s40, s33
	s_mov_b32 s74, 6
	s_lshl_b32 s69, s41, 2
	s_mov_b32 s70, 0
	v_mul_lo_u32 v20, s40, v1
                                        ; implicit-def: $sgpr68
                                        ; implicit-def: $sgpr73
                                        ; implicit-def: $sgpr72
                                        ; implicit-def: $sgpr75
                                        ; implicit-def: $sgpr71
                                        ; implicit-def: $sgpr76
                                        ; implicit-def: $sgpr78
                                        ; implicit-def: $sgpr77
                                        ; implicit-def: $sgpr79
                                        ; implicit-def: $sgpr80
	s_branch .LBB7_6
.LBB7_4:                                ;   in Loop: Header=BB7_6 Depth=1
	s_or_b32 exec_lo, exec_lo, s13
	v_dual_mov_b32 v23, v2 :: v_dual_mov_b32 v24, v1
	v_dual_mov_b32 v26, v4 :: v_dual_mov_b32 v25, v3
	s_and_not1_b32 s13, s80, exec_lo
	s_and_b32 s12, s12, exec_lo
	s_and_not1_b32 s79, s79, exec_lo
	s_or_b32 s80, s13, s12
	s_and_not1_b32 s77, s77, exec_lo
	s_and_not1_b32 s78, s78, exec_lo
	;; [unrolled: 1-line block ×3, first 2 shown]
	s_or_not1_b32 s12, s11, exec_lo
.LBB7_5:                                ;   in Loop: Header=BB7_6 Depth=1
	s_or_b32 exec_lo, exec_lo, s10
	s_delay_alu instid0(SALU_CYCLE_1) | instskip(NEXT) | instid1(SALU_CYCLE_1)
	s_and_b32 s10, exec_lo, s12
	s_or_b32 s53, s10, s53
	s_and_not1_b32 s10, s71, exec_lo
	s_and_b32 s11, s80, exec_lo
	s_and_not1_b32 s12, s75, exec_lo
	s_or_b32 s71, s10, s11
	s_and_b32 s10, s79, exec_lo
	s_and_not1_b32 s11, s72, exec_lo
	s_and_b32 s13, s77, exec_lo
	s_or_b32 s75, s12, s10
	s_or_b32 s72, s11, s13
	s_and_not1_b32 s10, s73, exec_lo
	s_and_b32 s11, s78, exec_lo
	s_and_not1_b32 s12, s68, exec_lo
	s_and_b32 s13, s76, exec_lo
	s_or_b32 s73, s10, s11
	s_or_b32 s68, s12, s13
	s_and_not1_b32 exec_lo, exec_lo, s53
	s_cbranch_execz .LBB7_387
.LBB7_6:                                ; =>This Loop Header: Depth=1
                                        ;     Child Loop BB7_11 Depth 2
                                        ;     Child Loop BB7_26 Depth 2
	;; [unrolled: 1-line block ×24, first 2 shown]
	ds_load_b64 v[1:2], v22 offset:4096
	s_waitcnt lgkmcnt(0)
	v_readfirstlane_b32 s81, v1
	s_delay_alu instid0(VALU_DEP_1)
	s_cmp_lg_u32 s81, 0
	s_cbranch_scc1 .LBB7_33
; %bb.7:                                ;   in Loop: Header=BB7_6 Depth=1
	s_and_b32 vcc_lo, exec_lo, s57
	s_cbranch_vccz .LBB7_19
; %bb.8:                                ;   in Loop: Header=BB7_6 Depth=1
	v_cmp_gt_u32_e32 vcc_lo, 0xc01, v2
	s_mov_b32 s81, 0
	s_mov_b32 s10, 0
	s_cbranch_vccz .LBB7_20
; %bb.9:                                ;   in Loop: Header=BB7_6 Depth=1
	global_load_u16 v1, v22, s[38:39]
	global_load_u8 v4, v[5:6], off
	v_mov_b32_e32 v27, v0
	s_mov_b32 s12, 0
	s_waitcnt vmcnt(1)
	v_add_nc_u32_e32 v2, v0, v1
	v_mul_lo_u32 v3, s40, v1
	s_delay_alu instid0(VALU_DEP_2)
	v_mul_lo_u32 v2, s40, v2
	s_branch .LBB7_11
.LBB7_10:                               ;   in Loop: Header=BB7_11 Depth=2
	s_or_b32 exec_lo, exec_lo, s11
	v_add_nc_u32_e32 v2, v2, v3
	v_mov_b32_e32 v4, v28
	s_and_not1_b32 exec_lo, exec_lo, s12
	s_cbranch_execz .LBB7_83
.LBB7_11:                               ;   Parent Loop BB7_6 Depth=1
                                        ; =>  This Inner Loop Header: Depth=2
	v_dual_mov_b32 v28, 0 :: v_dual_add_nc_u32 v27, v27, v1
	s_waitcnt lgkmcnt(0)
	v_mov_b32_e32 v29, 0
	s_mov_b32 s11, exec_lo
	s_delay_alu instid0(VALU_DEP_2)
	v_cmp_le_u32_e32 vcc_lo, s36, v27
	v_cmpx_gt_u32_e64 s36, v27
	s_cbranch_execz .LBB7_13
; %bb.12:                               ;   in Loop: Header=BB7_11 Depth=2
	global_load_u8 v28, v2, s[30:31]
.LBB7_13:                               ;   in Loop: Header=BB7_11 Depth=2
	s_or_b32 exec_lo, exec_lo, s11
	s_waitcnt vmcnt(0)
	v_and_b32_e32 v30, v4, v23
	s_delay_alu instid0(VALU_DEP_1) | instskip(NEXT) | instid1(VALU_DEP_1)
	v_and_b32_e32 v30, 0xff, v30
	v_cmp_eq_u32_e64 s10, v30, v24
	s_delay_alu instid0(VALU_DEP_1) | instskip(SKIP_1) | instid1(SALU_CYCLE_1)
	s_cmp_lg_u32 s10, 0
	s_cselect_b32 s11, -1, 0
	s_and_b32 s11, s2, s11
	s_delay_alu instid0(SALU_CYCLE_1)
	s_and_saveexec_b32 s13, s11
	s_cbranch_execz .LBB7_17
; %bb.14:                               ;   in Loop: Header=BB7_11 Depth=2
	s_mov_b32 s16, exec_lo
	s_bcnt1_i32_b32 s14, s10
	v_mbcnt_lo_u32_b32 v29, s16, 0
	s_mov_b32 s15, exec_lo
                                        ; implicit-def: $vgpr30
	s_delay_alu instid0(VALU_DEP_1)
	v_cmpx_eq_u32_e32 0, v29
	s_cbranch_execz .LBB7_16
; %bb.15:                               ;   in Loop: Header=BB7_11 Depth=2
	s_bcnt1_i32_b32 s11, s16
	s_delay_alu instid0(SALU_CYCLE_1) | instskip(NEXT) | instid1(SALU_CYCLE_1)
	s_mul_i32 s11, s14, s11
	v_mov_b32_e32 v30, s11
	ds_add_rtn_u32 v30, v22, v30 offset:4104
.LBB7_16:                               ;   in Loop: Header=BB7_11 Depth=2
	s_or_b32 exec_lo, exec_lo, s15
	s_waitcnt lgkmcnt(0)
	v_readfirstlane_b32 s11, v30
	s_delay_alu instid0(VALU_DEP_1)
	v_mad_u32_u24 v29, s14, v29, s11
.LBB7_17:                               ;   in Loop: Header=BB7_11 Depth=2
	s_or_b32 exec_lo, exec_lo, s13
	ds_bpermute_b32 v29, v22, v29
	s_and_b32 s11, exec_lo, vcc_lo
	s_delay_alu instid0(SALU_CYCLE_1)
	s_or_b32 s12, s11, s12
	s_and_saveexec_b32 s11, s10
	s_cbranch_execz .LBB7_10
; %bb.18:                               ;   in Loop: Header=BB7_11 Depth=2
	v_and_b32_e32 v30, s10, v11
	s_waitcnt lgkmcnt(0)
	s_delay_alu instid0(VALU_DEP_1)
	v_bcnt_u32_b32 v29, v30, v29
	ds_store_b8 v29, v4
	s_branch .LBB7_10
.LBB7_19:                               ;   in Loop: Header=BB7_6 Depth=1
	s_mov_b32 s81, -1
	s_mov_b32 s10, 0
.LBB7_20:                               ;   in Loop: Header=BB7_6 Depth=1
	s_and_b32 vcc_lo, exec_lo, s81
	s_cbranch_vccz .LBB7_31
.LBB7_21:                               ;   in Loop: Header=BB7_6 Depth=1
	v_mov_b32_e32 v1, 0
	s_and_saveexec_b32 s10, s4
	s_cbranch_execz .LBB7_23
; %bb.22:                               ;   in Loop: Header=BB7_6 Depth=1
	global_load_u8 v1, v[5:6], off
.LBB7_23:                               ;   in Loop: Header=BB7_6 Depth=1
	s_or_b32 exec_lo, exec_lo, s10
	s_and_saveexec_b32 s11, s4
	s_cbranch_execz .LBB7_28
; %bb.24:                               ;   in Loop: Header=BB7_6 Depth=1
	global_load_u16 v2, v22, s[38:39]
	v_mov_b32_e32 v27, v0
	s_mov_b32 s12, 0
	s_waitcnt vmcnt(0)
	v_add_nc_u32_e32 v3, v0, v2
	v_mul_lo_u32 v4, s40, v2
	s_delay_alu instid0(VALU_DEP_2)
	v_mul_lo_u32 v3, s40, v3
	s_branch .LBB7_26
	.p2align	6
.LBB7_25:                               ;   in Loop: Header=BB7_26 Depth=2
	s_or_b32 exec_lo, exec_lo, s13
	ds_store_b8 v27, v1
	v_add_nc_u32_e32 v3, v3, v4
	s_waitcnt vmcnt(0)
	v_mov_b32_e32 v1, v29
	v_mov_b32_e32 v27, v28
	s_and_b32 s10, exec_lo, vcc_lo
	s_delay_alu instid0(SALU_CYCLE_1) | instskip(NEXT) | instid1(SALU_CYCLE_1)
	s_or_b32 s12, s10, s12
	s_and_not1_b32 exec_lo, exec_lo, s12
	s_cbranch_execz .LBB7_28
.LBB7_26:                               ;   Parent Loop BB7_6 Depth=1
                                        ; =>  This Inner Loop Header: Depth=2
	v_dual_mov_b32 v29, 0 :: v_dual_add_nc_u32 v28, v27, v2
	s_mov_b32 s13, exec_lo
	s_delay_alu instid0(VALU_DEP_1)
	v_cmp_le_u32_e32 vcc_lo, s36, v28
	v_cmpx_gt_u32_e64 s36, v28
	s_cbranch_execz .LBB7_25
; %bb.27:                               ;   in Loop: Header=BB7_26 Depth=2
	global_load_u8 v29, v3, s[30:31]
	s_branch .LBB7_25
.LBB7_28:                               ;   in Loop: Header=BB7_6 Depth=1
	s_or_b32 exec_lo, exec_lo, s11
	s_waitcnt vmcnt(0) lgkmcnt(0)
	s_barrier
	buffer_gl0_inv
	s_and_saveexec_b32 s10, s5
	s_cbranch_execz .LBB7_30
; %bb.29:                               ;   in Loop: Header=BB7_6 Depth=1
	v_mov_b32_e32 v1, s36
	ds_store_b32 v22, v1 offset:4096
.LBB7_30:                               ;   in Loop: Header=BB7_6 Depth=1
	s_or_b32 exec_lo, exec_lo, s10
	s_mov_b32 s10, -1
	s_waitcnt lgkmcnt(0)
	s_barrier
                                        ; implicit-def: $sgpr81
.LBB7_31:                               ;   in Loop: Header=BB7_6 Depth=1
	s_and_b32 vcc_lo, exec_lo, s10
	s_cbranch_vccz .LBB7_33
; %bb.32:                               ;   in Loop: Header=BB7_6 Depth=1
	buffer_gl0_inv
	ds_load_b32 v1, v22 offset:4096
	s_waitcnt lgkmcnt(0)
	v_readfirstlane_b32 s81, v1
.LBB7_33:                               ;   in Loop: Header=BB7_6 Depth=1
	s_delay_alu instid0(VALU_DEP_1)
	s_cmp_lt_i32 s81, 1
	s_cbranch_scc0 .LBB7_37
; %bb.34:                               ;   in Loop: Header=BB7_6 Depth=1
	v_dual_mov_b32 v1, 0 :: v_dual_mov_b32 v2, 0
	v_dual_mov_b32 v3, 0 :: v_dual_mov_b32 v4, 0
	s_mov_b32 s83, 0
	s_and_saveexec_b32 s82, s7
	s_cbranch_execnz .LBB7_38
; %bb.35:                               ;   in Loop: Header=BB7_6 Depth=1
	s_or_b32 exec_lo, exec_lo, s82
	v_mov_b32_e32 v30, 0
	s_and_saveexec_b32 s10, s8
	s_cbranch_execnz .LBB7_41
.LBB7_36:                               ;   in Loop: Header=BB7_6 Depth=1
	s_or_b32 exec_lo, exec_lo, s10
	s_and_saveexec_b32 s14, s8
	s_cbranch_execnz .LBB7_42
	s_branch .LBB7_47
.LBB7_37:                               ;   in Loop: Header=BB7_6 Depth=1
                                        ; implicit-def: $vgpr4
	s_cbranch_execnz .LBB7_48
	s_branch .LBB7_57
.LBB7_38:                               ;   in Loop: Header=BB7_6 Depth=1
	v_mov_b32_e32 v27, v13
	s_and_b32 s84, s74, 0xfe
	s_mov_b32 s85, 0
	s_mov_b32 s86, 0
	;; [unrolled: 1-line block ×5, first 2 shown]
.LBB7_39:                               ;   Parent Loop BB7_6 Depth=1
                                        ; =>  This Inner Loop Header: Depth=2
	v_add_nc_u32_e32 v1, s85, v19
	v_add_nc_u32_e32 v2, s85, v9
	;; [unrolled: 1-line block ×5, first 2 shown]
	s_clause 0x3
	global_load_u8 v1, v1, s[30:31]
	global_load_u8 v2, v2, s[30:31]
	;; [unrolled: 1-line block ×4, first 2 shown]
	s_add_i32 s85, s85, s69
	v_cmp_le_u32_e32 vcc_lo, s66, v27
	s_waitcnt vmcnt(3)
	v_and_b32_e32 v28, v23, v1
	v_bfe_u32 v1, v1, s84, 2
	s_waitcnt vmcnt(2)
	v_and_b32_e32 v29, v23, v2
	v_bfe_u32 v2, v2, s84, 2
	;; [unrolled: 3-line block ×3, first 2 shown]
	v_cmp_eq_u32_e64 s10, v28, v24
	v_cmp_eq_u32_e64 s14, 0, v1
	s_waitcnt vmcnt(0)
	v_and_b32_e32 v31, v23, v4
	v_bfe_u32 v4, v4, s84, 2
	v_cmp_eq_u32_e64 s11, v29, v24
	v_cmp_eq_u32_e64 s15, 0, v2
	v_cmp_eq_u32_e64 s12, v30, v24
	v_cmp_eq_u32_e64 s16, 0, v3
	s_and_b32 s14, s10, s14
	v_cmp_eq_u32_e64 s13, v31, v24
	v_cmp_eq_u32_e64 s17, 0, v4
	;; [unrolled: 1-line block ×5, first 2 shown]
	v_cndmask_b32_e64 v1, 0, 1, s14
	s_and_b32 s14, s11, s15
	v_cmp_eq_u32_e64 s19, 1, v2
	v_cmp_eq_u32_e64 s23, 2, v2
	v_cmp_eq_u32_e64 s27, 3, v2
	v_cndmask_b32_e64 v2, 0, 1, s14
	s_and_b32 s14, s12, s16
	v_cmp_eq_u32_e64 s20, 1, v3
	v_cmp_eq_u32_e64 s24, 2, v3
	v_cmp_eq_u32_e64 s28, 3, v3
	;; [unrolled: 5-line block ×3, first 2 shown]
	v_cndmask_b32_e64 v4, 0, 1, s14
	s_and_b32 s14, s10, s18
	s_delay_alu instid0(SALU_CYCLE_1) | instskip(SKIP_1) | instid1(SALU_CYCLE_1)
	v_cndmask_b32_e64 v28, 0, 1, s14
	s_and_b32 s14, s11, s19
	v_cndmask_b32_e64 v29, 0, 1, s14
	s_and_b32 s14, s12, s20
	s_delay_alu instid0(SALU_CYCLE_1) | instskip(SKIP_1) | instid1(VALU_DEP_2)
	v_cndmask_b32_e64 v30, 0, 1, s14
	s_and_b32 s14, s13, s21
	v_cmp_ne_u32_e64 s15, 0, v29
	v_cndmask_b32_e64 v31, 0, 1, s14
	s_and_b32 s14, s10, s22
	s_and_b32 s10, s10, s26
	v_cndmask_b32_e64 v32, 0, 1, s14
	s_and_b32 s14, s11, s23
	v_cndmask_b32_e64 v36, 0, 1, s10
	s_and_b32 s10, s11, s27
	v_cndmask_b32_e64 v33, 0, 1, s14
	s_and_b32 s14, s12, s24
	v_cndmask_b32_e64 v37, 0, 1, s10
	s_and_b32 s10, s12, s28
	v_cndmask_b32_e64 v34, 0, 1, s14
	s_and_b32 s14, s13, s25
	v_cndmask_b32_e64 v38, 0, 1, s10
	s_and_b32 s10, s13, s29
	v_cndmask_b32_e64 v35, 0, 1, s14
	v_cndmask_b32_e64 v39, 0, 1, s10
	v_cmp_ne_u32_e64 s10, 0, v1
	v_cmp_ne_u32_e64 s14, 0, v28
	;; [unrolled: 1-line block ×11, first 2 shown]
	s_bcnt1_i32_b32 s10, s10
	s_bcnt1_i32_b32 s14, s14
	;; [unrolled: 1-line block ×4, first 2 shown]
	v_cmp_ne_u32_e64 s13, 0, v4
	v_cmp_ne_u32_e64 s17, 0, v31
	;; [unrolled: 1-line block ×4, first 2 shown]
	s_bcnt1_i32_b32 s11, s11
	s_bcnt1_i32_b32 s15, s15
	s_bcnt1_i32_b32 s19, s19
	s_bcnt1_i32_b32 s23, s23
	s_add_i32 s10, s10, s89
	s_add_i32 s14, s14, s88
	s_add_i32 s18, s18, s87
	s_add_i32 s22, s22, s86
	s_bcnt1_i32_b32 s12, s12
	s_bcnt1_i32_b32 s16, s16
	s_bcnt1_i32_b32 s20, s20
	s_bcnt1_i32_b32 s24, s24
	s_add_i32 s10, s10, s11
	s_add_i32 s11, s14, s15
	s_add_i32 s14, s18, s19
	s_add_i32 s15, s22, s23
	;; [unrolled: 8-line block ×3, first 2 shown]
	s_add_i32 s89, s10, s13
	s_add_i32 s88, s11, s17
	;; [unrolled: 1-line block ×4, first 2 shown]
	v_mov_b32_e32 v3, s87
	v_dual_mov_b32 v1, s89 :: v_dual_mov_b32 v2, s88
	v_mov_b32_e32 v4, s86
	s_or_b32 s83, vcc_lo, s83
	s_delay_alu instid0(SALU_CYCLE_1)
	s_and_not1_b32 exec_lo, exec_lo, s83
	s_cbranch_execnz .LBB7_39
; %bb.40:                               ;   in Loop: Header=BB7_6 Depth=1
	s_or_b32 exec_lo, exec_lo, s83
	s_delay_alu instid0(SALU_CYCLE_1)
	s_or_b32 exec_lo, exec_lo, s82
	v_mov_b32_e32 v30, 0
	s_and_saveexec_b32 s10, s8
	s_cbranch_execz .LBB7_36
.LBB7_41:                               ;   in Loop: Header=BB7_6 Depth=1
	global_load_u8 v30, v[7:8], off
	s_or_b32 exec_lo, exec_lo, s10
	s_and_saveexec_b32 s14, s8
	s_cbranch_execz .LBB7_47
.LBB7_42:                               ;   in Loop: Header=BB7_6 Depth=1
	v_dual_mov_b32 v27, v20 :: v_dual_mov_b32 v28, v17
	s_and_b32 s16, s74, 0xfe
	s_mov_b32 s15, 0
	s_branch .LBB7_44
.LBB7_43:                               ;   in Loop: Header=BB7_44 Depth=2
	s_or_b32 exec_lo, exec_lo, s11
	s_waitcnt vmcnt(0)
	v_and_b32_e32 v30, 0xff, v30
	s_and_b32 s11, exec_lo, vcc_lo
	v_add_nc_u32_e32 v27, s41, v27
	s_or_b32 s15, s11, s15
	s_delay_alu instid0(VALU_DEP_2) | instskip(SKIP_1) | instid1(VALU_DEP_2)
	v_and_b32_e32 v31, v23, v30
	v_bfe_u32 v30, v30, s16, 2
	v_cmp_eq_u32_e32 vcc_lo, v31, v24
	s_delay_alu instid0(VALU_DEP_2) | instskip(SKIP_3) | instid1(VALU_DEP_4)
	v_cmp_eq_u32_e64 s10, 0, v30
	v_cmp_eq_u32_e64 s11, 1, v30
	;; [unrolled: 1-line block ×4, first 2 shown]
	s_and_b32 s10, vcc_lo, s10
	s_delay_alu instid0(SALU_CYCLE_1) | instskip(SKIP_1) | instid1(SALU_CYCLE_1)
	v_cndmask_b32_e64 v30, 0, 1, s10
	s_and_b32 s10, vcc_lo, s11
	v_cndmask_b32_e64 v31, 0, 1, s10
	s_and_b32 s10, vcc_lo, s12
	s_delay_alu instid0(SALU_CYCLE_1)
	v_cndmask_b32_e64 v32, 0, 1, s10
	s_and_b32 s10, vcc_lo, s13
	v_cmp_ne_u32_e32 vcc_lo, 0, v30
	v_mov_b32_e32 v30, v29
	v_cndmask_b32_e64 v33, 0, 1, s10
	v_cmp_ne_u32_e64 s10, 0, v31
	v_cmp_ne_u32_e64 s11, 0, v32
	s_bcnt1_i32_b32 s13, vcc_lo
	s_delay_alu instid0(VALU_DEP_3) | instskip(NEXT) | instid1(VALU_DEP_3)
	v_cmp_ne_u32_e64 s12, 0, v33
	s_bcnt1_i32_b32 s10, s10
	s_delay_alu instid0(VALU_DEP_2)
	s_bcnt1_i32_b32 s11, s11
	v_add_nc_u32_e32 v1, s13, v1
	v_add_nc_u32_e32 v2, s10, v2
	s_bcnt1_i32_b32 s12, s12
	v_add_nc_u32_e32 v3, s11, v3
	v_add_nc_u32_e32 v4, s12, v4
	s_and_not1_b32 exec_lo, exec_lo, s15
	s_cbranch_execz .LBB7_46
.LBB7_44:                               ;   Parent Loop BB7_6 Depth=1
                                        ; =>  This Inner Loop Header: Depth=2
	s_delay_alu instid0(VALU_DEP_1) | instskip(SKIP_1) | instid1(VALU_DEP_1)
	v_dual_mov_b32 v29, 0 :: v_dual_add_nc_u32 v28, s33, v28
	s_mov_b32 s11, exec_lo
	v_cmp_le_u32_e32 vcc_lo, s36, v28
	v_cmpx_gt_u32_e64 s36, v28
	s_cbranch_execz .LBB7_43
; %bb.45:                               ;   in Loop: Header=BB7_44 Depth=2
	global_load_u8 v29, v27, s[30:31]
	s_branch .LBB7_43
.LBB7_46:                               ;   in Loop: Header=BB7_6 Depth=1
	s_or_b32 exec_lo, exec_lo, s15
.LBB7_47:                               ;   in Loop: Header=BB7_6 Depth=1
	s_delay_alu instid0(SALU_CYCLE_1)
	s_or_b32 exec_lo, exec_lo, s14
	s_branch .LBB7_57
.LBB7_48:                               ;   in Loop: Header=BB7_6 Depth=1
	s_mul_hi_u32 s10, s81, s64
	v_dual_mov_b32 v1, 0 :: v_dual_mov_b32 v2, 0
	s_mul_i32 s10, s10, s55
	v_dual_mov_b32 v3, 0 :: v_dual_mov_b32 v4, 0
	s_sub_i32 s10, s81, s10
	s_mov_b32 s84, 0
	s_sub_i32 s11, s10, s55
	s_cmp_ge_u32 s10, s55
	s_mov_b32 s83, exec_lo
	s_cselect_b32 s10, s11, s10
	s_delay_alu instid0(SALU_CYCLE_1) | instskip(SKIP_2) | instid1(SALU_CYCLE_1)
	s_sub_i32 s11, s10, s55
	s_cmp_ge_u32 s10, s55
	s_cselect_b32 s10, s11, s10
	s_sub_i32 s82, s81, s10
	s_delay_alu instid0(SALU_CYCLE_1)
	v_cmpx_gt_u32_e64 s82, v13
	s_cbranch_execz .LBB7_52
; %bb.49:                               ;   in Loop: Header=BB7_6 Depth=1
	v_mov_b32_e32 v27, v13
	s_and_b32 s85, s74, 0xfe
	s_mov_b32 s86, 0
	s_mov_b32 s87, 0
	;; [unrolled: 1-line block ×4, first 2 shown]
.LBB7_50:                               ;   Parent Loop BB7_6 Depth=1
                                        ; =>  This Inner Loop Header: Depth=2
	ds_load_b32 v1, v27
	s_waitcnt lgkmcnt(0)
	v_and_b32_e32 v2, 0xff, v1
	v_bfe_u32 v3, v1, 8, 8
	v_bfe_u32 v4, v1, 16, 8
	v_lshrrev_b32_e32 v1, 24, v1
	s_delay_alu instid0(VALU_DEP_4)
	v_and_b32_e32 v28, v23, v2
	v_bfe_u32 v2, v2, s85, 2
	v_and_b32_e32 v29, v23, v3
	v_bfe_u32 v3, v3, s85, 2
	s_waitcnt vmcnt(0)
	v_and_b32_e32 v30, v23, v4
	v_bfe_u32 v4, v4, s85, 2
	v_cmp_eq_u32_e64 s10, v28, v24
	v_cmp_eq_u32_e64 s14, 0, v2
	v_and_b32_e32 v31, v23, v1
	v_bfe_u32 v1, v1, s85, 2
	v_cmp_eq_u32_e64 s11, v29, v24
	v_cmp_eq_u32_e64 s15, 0, v3
	;; [unrolled: 1-line block ×4, first 2 shown]
	s_and_b32 s14, s10, s14
	v_cmp_eq_u32_e64 s13, v31, v24
	v_cmp_eq_u32_e64 s17, 0, v1
	;; [unrolled: 1-line block ×5, first 2 shown]
	v_cndmask_b32_e64 v1, 0, 1, s14
	s_and_b32 s14, s11, s15
	v_cmp_eq_u32_e64 s18, 1, v2
	v_cmp_eq_u32_e64 s22, 2, v2
	v_cmp_eq_u32_e64 s26, 3, v2
	v_cndmask_b32_e64 v2, 0, 1, s14
	s_and_b32 s14, s12, s16
	v_cmp_eq_u32_e64 s19, 1, v3
	v_cmp_eq_u32_e64 s23, 2, v3
	v_cmp_eq_u32_e64 s27, 3, v3
	v_cndmask_b32_e64 v3, 0, 1, s14
	s_and_b32 s14, s13, s17
	v_cmp_eq_u32_e64 s20, 1, v4
	v_cmp_eq_u32_e64 s24, 2, v4
	v_cmp_eq_u32_e64 s28, 3, v4
	v_cndmask_b32_e64 v4, 0, 1, s14
	s_and_b32 s14, s10, s18
	s_delay_alu instid0(SALU_CYCLE_1) | instskip(SKIP_1) | instid1(SALU_CYCLE_1)
	v_cndmask_b32_e64 v28, 0, 1, s14
	s_and_b32 s14, s11, s19
	v_cndmask_b32_e64 v29, 0, 1, s14
	s_and_b32 s14, s12, s20
	s_delay_alu instid0(SALU_CYCLE_1) | instskip(SKIP_1) | instid1(VALU_DEP_2)
	v_cndmask_b32_e64 v30, 0, 1, s14
	s_and_b32 s14, s13, s21
	v_cmp_ne_u32_e64 s15, 0, v29
	v_cndmask_b32_e64 v31, 0, 1, s14
	s_and_b32 s14, s10, s22
	s_and_b32 s10, s10, s26
	v_cndmask_b32_e64 v32, 0, 1, s14
	s_and_b32 s14, s11, s23
	v_cndmask_b32_e64 v36, 0, 1, s10
	;; [unrolled: 2-line block ×7, first 2 shown]
	v_cndmask_b32_e64 v39, 0, 1, s10
	v_cmp_ne_u32_e64 s10, 0, v1
	v_cmp_ne_u32_e64 s14, 0, v28
	;; [unrolled: 1-line block ×6, first 2 shown]
	s_bcnt1_i32_b32 s10, s10
	s_bcnt1_i32_b32 s14, s14
	v_cmp_ne_u32_e64 s17, 0, v31
	v_cmp_ne_u32_e64 s19, 0, v33
	;; [unrolled: 1-line block ×3, first 2 shown]
	s_bcnt1_i32_b32 s11, s11
	s_bcnt1_i32_b32 s15, s15
	s_add_i32 s10, s10, s89
	s_add_i32 s14, s14, s88
	v_cmp_ne_u32_e64 s12, 0, v3
	v_cmp_ne_u32_e64 s20, 0, v34
	;; [unrolled: 1-line block ×3, first 2 shown]
	s_bcnt1_i32_b32 s16, s16
	s_add_i32 s10, s10, s11
	s_add_i32 s11, s14, s15
	s_bcnt1_i32_b32 s18, s18
	s_bcnt1_i32_b32 s22, s22
	v_cmp_ne_u32_e64 s13, 0, v4
	v_cmp_ne_u32_e64 s21, 0, v35
	v_cmp_ne_u32_e64 s25, 0, v39
	s_bcnt1_i32_b32 s17, s17
	s_add_i32 s11, s11, s16
	s_bcnt1_i32_b32 s19, s19
	s_bcnt1_i32_b32 s23, s23
	s_add_i32 s18, s18, s87
	s_add_i32 s22, s22, s86
	;; [unrolled: 1-line block ×3, first 2 shown]
	s_delay_alu instid0(SALU_CYCLE_1)
	v_dual_mov_b32 v2, s88 :: v_dual_add_nc_u32 v27, s55, v27
	s_bcnt1_i32_b32 s12, s12
	s_bcnt1_i32_b32 s20, s20
	;; [unrolled: 1-line block ×3, first 2 shown]
	s_add_i32 s14, s18, s19
	s_add_i32 s15, s22, s23
	s_bcnt1_i32_b32 s13, s13
	s_bcnt1_i32_b32 s21, s21
	;; [unrolled: 1-line block ×3, first 2 shown]
	s_add_i32 s10, s10, s12
	s_add_i32 s12, s14, s20
	;; [unrolled: 1-line block ×3, first 2 shown]
	v_cmp_le_u32_e32 vcc_lo, s82, v27
	s_add_i32 s89, s10, s13
	s_add_i32 s87, s12, s21
	;; [unrolled: 1-line block ×3, first 2 shown]
	v_mov_b32_e32 v1, s89
	v_dual_mov_b32 v3, s87 :: v_dual_mov_b32 v4, s86
	s_or_b32 s84, vcc_lo, s84
	s_delay_alu instid0(SALU_CYCLE_1)
	s_and_not1_b32 exec_lo, exec_lo, s84
	s_cbranch_execnz .LBB7_50
; %bb.51:                               ;   in Loop: Header=BB7_6 Depth=1
	s_or_b32 exec_lo, exec_lo, s84
.LBB7_52:                               ;   in Loop: Header=BB7_6 Depth=1
	s_delay_alu instid0(SALU_CYCLE_1) | instskip(SKIP_2) | instid1(VALU_DEP_1)
	s_or_b32 exec_lo, exec_lo, s83
	v_add_nc_u32_e32 v27, s82, v0
	s_mov_b32 s15, exec_lo
	v_cmpx_gt_u32_e64 s81, v27
	s_cbranch_execz .LBB7_56
; %bb.53:                               ;   in Loop: Header=BB7_6 Depth=1
	s_and_b32 s17, s74, 0xfe
	s_mov_b32 s16, 0
	s_set_inst_prefetch_distance 0x1
	.p2align	6
.LBB7_54:                               ;   Parent Loop BB7_6 Depth=1
                                        ; =>  This Inner Loop Header: Depth=2
	ds_load_u8 v28, v27
	v_add_nc_u32_e32 v27, s33, v27
	s_delay_alu instid0(VALU_DEP_1) | instskip(SKIP_3) | instid1(VALU_DEP_2)
	v_cmp_le_u32_e32 vcc_lo, s81, v27
	s_waitcnt lgkmcnt(0)
	v_and_b32_e32 v29, v23, v28
	v_bfe_u32 v28, v28, s17, 2
	v_cmp_eq_u32_e64 s10, v29, v24
	s_delay_alu instid0(VALU_DEP_2) | instskip(SKIP_3) | instid1(VALU_DEP_4)
	v_cmp_eq_u32_e64 s11, 0, v28
	v_cmp_eq_u32_e64 s12, 1, v28
	;; [unrolled: 1-line block ×4, first 2 shown]
	s_and_b32 s11, s10, s11
	s_delay_alu instid0(SALU_CYCLE_1) | instskip(SKIP_1) | instid1(SALU_CYCLE_1)
	v_cndmask_b32_e64 v28, 0, 1, s11
	s_and_b32 s11, s10, s12
	v_cndmask_b32_e64 v29, 0, 1, s11
	s_and_b32 s11, s10, s13
	s_and_b32 s10, s10, s14
	s_waitcnt vmcnt(0)
	v_cndmask_b32_e64 v30, 0, 1, s11
	v_cndmask_b32_e64 v31, 0, 1, s10
	v_cmp_ne_u32_e64 s10, 0, v28
	v_cmp_ne_u32_e64 s11, 0, v29
	s_delay_alu instid0(VALU_DEP_4) | instskip(NEXT) | instid1(VALU_DEP_4)
	v_cmp_ne_u32_e64 s12, 0, v30
	v_cmp_ne_u32_e64 s13, 0, v31
	s_delay_alu instid0(VALU_DEP_4) | instskip(NEXT) | instid1(VALU_DEP_3)
	s_bcnt1_i32_b32 s10, s10
	s_bcnt1_i32_b32 s11, s11
	v_add_nc_u32_e32 v1, s10, v1
	s_bcnt1_i32_b32 s12, s12
	s_bcnt1_i32_b32 s13, s13
	v_add_nc_u32_e32 v2, s11, v2
	v_add_nc_u32_e32 v3, s12, v3
	;; [unrolled: 1-line block ×3, first 2 shown]
	s_or_b32 s16, vcc_lo, s16
	s_delay_alu instid0(SALU_CYCLE_1)
	s_and_not1_b32 exec_lo, exec_lo, s16
	s_cbranch_execnz .LBB7_54
; %bb.55:                               ;   in Loop: Header=BB7_6 Depth=1
	s_set_inst_prefetch_distance 0x2
	s_or_b32 exec_lo, exec_lo, s16
.LBB7_56:                               ;   in Loop: Header=BB7_6 Depth=1
	s_delay_alu instid0(SALU_CYCLE_1)
	s_or_b32 exec_lo, exec_lo, s15
.LBB7_57:                               ;   in Loop: Header=BB7_6 Depth=1
	s_lshl_b32 s10, s70, 7
	s_and_saveexec_b32 s11, s2
	s_cbranch_execz .LBB7_59
; %bb.58:                               ;   in Loop: Header=BB7_6 Depth=1
	v_or_b32_e32 v27, s10, v16
	s_delay_alu instid0(VALU_DEP_1)
	v_lshlrev_b32_e32 v27, 2, v27
	ds_store_b128 v27, v[1:4] offset:3072
.LBB7_59:                               ;   in Loop: Header=BB7_6 Depth=1
	s_or_b32 exec_lo, exec_lo, s11
	s_waitcnt vmcnt(0) lgkmcnt(0)
	s_barrier
	buffer_gl0_inv
	s_and_saveexec_b32 s11, s56
	s_cbranch_execz .LBB7_69
; %bb.60:                               ;   in Loop: Header=BB7_6 Depth=1
	v_mov_b32_e32 v1, 0
	s_and_not1_b32 vcc_lo, exec_lo, s58
	s_cbranch_vccnz .LBB7_68
; %bb.61:                               ;   in Loop: Header=BB7_6 Depth=1
	v_mov_b32_e32 v1, 0
	s_and_not1_b32 vcc_lo, exec_lo, s61
	s_mov_b32 s12, 0
	s_cbranch_vccnz .LBB7_65
; %bb.62:                               ;   in Loop: Header=BB7_6 Depth=1
	v_lshl_add_u32 v2, s70, 9, v21
	v_mov_b32_e32 v1, 0
	.p2align	6
.LBB7_63:                               ;   Parent Loop BB7_6 Depth=1
                                        ; =>  This Inner Loop Header: Depth=2
	ds_load_2addr_b32 v[3:4], v2 offset1:4
	ds_load_2addr_b32 v[27:28], v2 offset0:8 offset1:12
	ds_load_2addr_b32 v[29:30], v2 offset0:16 offset1:20
	;; [unrolled: 1-line block ×3, first 2 shown]
	v_add_nc_u32_e32 v2, 0x80, v2
	s_add_i32 s12, s12, 8
	s_delay_alu instid0(SALU_CYCLE_1) | instskip(SKIP_3) | instid1(VALU_DEP_1)
	s_cmp_eq_u32 s62, s12
	s_waitcnt lgkmcnt(3)
	v_add3_u32 v1, v3, v1, v4
	s_waitcnt lgkmcnt(2)
	v_add3_u32 v1, v27, v1, v28
	s_waitcnt lgkmcnt(1)
	s_delay_alu instid0(VALU_DEP_1) | instskip(SKIP_1) | instid1(VALU_DEP_1)
	v_add3_u32 v1, v29, v1, v30
	s_waitcnt lgkmcnt(0)
	v_add3_u32 v1, v31, v1, v32
	s_cbranch_scc0 .LBB7_63
; %bb.64:                               ;   in Loop: Header=BB7_6 Depth=1
	s_mov_b32 s12, s62
.LBB7_65:                               ;   in Loop: Header=BB7_6 Depth=1
	s_and_not1_b32 vcc_lo, exec_lo, s63
	s_cbranch_vccnz .LBB7_68
; %bb.66:                               ;   in Loop: Header=BB7_6 Depth=1
	s_lshl_b32 s13, s70, 9
	s_lshl_b32 s12, s12, 4
	s_delay_alu instid0(SALU_CYCLE_1)
	v_add3_u32 v2, s13, s12, v21
	s_mov_b32 s12, s60
.LBB7_67:                               ;   Parent Loop BB7_6 Depth=1
                                        ; =>  This Inner Loop Header: Depth=2
	ds_load_b32 v3, v2
	v_add_nc_u32_e32 v2, 16, v2
	s_add_i32 s12, s12, -1
	s_delay_alu instid0(SALU_CYCLE_1)
	s_cmp_lg_u32 s12, 0
	s_waitcnt lgkmcnt(0)
	v_add_nc_u32_e32 v1, v3, v1
	s_cbranch_scc1 .LBB7_67
.LBB7_68:                               ;   in Loop: Header=BB7_6 Depth=1
	v_add_lshl_u32 v2, s10, v12, 2
	ds_store_b32 v2, v1 offset:3072
.LBB7_69:                               ;   in Loop: Header=BB7_6 Depth=1
	s_or_b32 exec_lo, exec_lo, s11
	s_lshl_b32 s10, s10, 2
	s_waitcnt lgkmcnt(0)
	v_mov_b32_e32 v1, s10
	s_barrier
	buffer_gl0_inv
	s_and_b32 s17, s74, 0xfe
	v_cmp_eq_u32_e64 s10, 1, v26
	ds_load_b128 v[1:4], v1 offset:3072
	s_lshl_b32 s13, 3, s17
	s_and_not1_b32 vcc_lo, exec_lo, s54
	s_not_b32 s14, s13
	s_waitcnt lgkmcnt(0)
	v_readfirstlane_b32 s12, v1
	v_readfirstlane_b32 s16, v2
	;; [unrolled: 1-line block ×4, first 2 shown]
	s_cbranch_vccnz .LBB7_81
; %bb.70:                               ;   in Loop: Header=BB7_6 Depth=1
	s_cmp_eq_u32 s12, 1
	v_dual_mov_b32 v1, v24 :: v_dual_mov_b32 v2, v23
	v_mov_b32_e32 v3, v25
	s_cselect_b32 s11, -1, 0
	s_mov_b32 s26, -1
	s_and_b32 s25, s11, s10
                                        ; implicit-def: $sgpr15
                                        ; implicit-def: $sgpr22
                                        ; implicit-def: $sgpr21
	s_delay_alu instid0(SALU_CYCLE_1)
	s_and_saveexec_b32 s20, s25
	s_cbranch_execz .LBB7_99
; %bb.71:                               ;   in Loop: Header=BB7_6 Depth=1
	ds_load_b32 v1, v22 offset:4096
	s_waitcnt lgkmcnt(0)
	s_barrier
	buffer_gl0_inv
	v_readfirstlane_b32 s15, v1
	s_and_saveexec_b32 s11, s6
	s_cbranch_execz .LBB7_73
; %bb.72:                               ;   in Loop: Header=BB7_6 Depth=1
	ds_store_b8 v0, v15 offset:3072
.LBB7_73:                               ;   in Loop: Header=BB7_6 Depth=1
	s_or_b32 exec_lo, exec_lo, s11
	v_and_b32_e32 v1, s14, v24
	v_or_b32_e32 v2, s13, v23
	s_cmp_eq_u32 s15, 0
	s_waitcnt lgkmcnt(0)
	s_barrier
	buffer_gl0_inv
	s_cbranch_scc1 .LBB7_86
; %bb.74:                               ;   in Loop: Header=BB7_6 Depth=1
	s_add_i32 s11, s15, s59
                                        ; implicit-def: $vgpr3
	s_delay_alu instid0(SALU_CYCLE_1) | instskip(NEXT) | instid1(SALU_CYCLE_1)
	s_mul_hi_u32 s21, s11, s65
	s_mul_i32 s21, s21, s33
	s_delay_alu instid0(SALU_CYCLE_1) | instskip(NEXT) | instid1(SALU_CYCLE_1)
	s_sub_i32 s21, s11, s21
	s_sub_i32 s22, s21, s33
	s_cmp_ge_u32 s21, s33
	s_cselect_b32 s21, s22, s21
	s_delay_alu instid0(SALU_CYCLE_1) | instskip(SKIP_2) | instid1(SALU_CYCLE_1)
	s_sub_i32 s22, s21, s33
	s_cmp_ge_u32 s21, s33
	s_cselect_b32 s21, s22, s21
	s_sub_i32 s22, s11, s21
	s_mov_b32 s11, 0
	s_mov_b32 s21, exec_lo
	v_cmpx_gt_u32_e64 s22, v0
	s_cbranch_execz .LBB7_88
; %bb.75:                               ;   in Loop: Header=BB7_6 Depth=1
	v_mov_b32_e32 v3, v0
	s_mov_b32 s23, 0
                                        ; implicit-def: $sgpr24
	s_set_inst_prefetch_distance 0x1
	s_branch .LBB7_77
	.p2align	6
.LBB7_76:                               ;   in Loop: Header=BB7_77 Depth=2
	s_or_b32 exec_lo, exec_lo, s11
	s_waitcnt lgkmcnt(0)
	s_barrier
	buffer_gl0_inv
	ds_load_u16 v4, v22 offset:3072
	v_add_nc_u32_e32 v3, s33, v3
	s_waitcnt lgkmcnt(0)
	s_barrier
	buffer_gl0_inv
	v_cmp_le_u32_e32 vcc_lo, s22, v3
	v_and_b32_e32 v27, 0xff, v4
	s_delay_alu instid0(VALU_DEP_1) | instskip(NEXT) | instid1(VALU_DEP_1)
	v_cmp_ne_u16_e64 s11, 0, v27
	s_or_b32 s26, vcc_lo, s11
	s_delay_alu instid0(SALU_CYCLE_1) | instskip(NEXT) | instid1(SALU_CYCLE_1)
	s_and_b32 s26, exec_lo, s26
	s_or_b32 s23, s26, s23
	s_and_not1_b32 s24, s24, exec_lo
	s_and_b32 s11, s11, exec_lo
	s_delay_alu instid0(SALU_CYCLE_1)
	s_or_b32 s24, s24, s11
	s_and_not1_b32 exec_lo, exec_lo, s23
	s_cbranch_execz .LBB7_87
.LBB7_77:                               ;   Parent Loop BB7_6 Depth=1
                                        ; =>  This Inner Loop Header: Depth=2
	s_delay_alu instid0(VALU_DEP_1)
	v_cmp_gt_u32_e32 vcc_lo, s15, v3
	v_mov_b32_e32 v4, 0
	s_and_saveexec_b32 s11, vcc_lo
	s_cbranch_execz .LBB7_79
; %bb.78:                               ;   in Loop: Header=BB7_77 Depth=2
	ds_load_u8 v4, v3
.LBB7_79:                               ;   in Loop: Header=BB7_77 Depth=2
	s_or_b32 exec_lo, exec_lo, s11
	s_waitcnt lgkmcnt(0)
	v_and_b32_e32 v27, v4, v2
	s_delay_alu instid0(VALU_DEP_1) | instskip(NEXT) | instid1(VALU_DEP_1)
	v_and_b32_e32 v27, 0xff, v27
	v_cmp_eq_u32_e64 s11, v27, v1
	s_delay_alu instid0(VALU_DEP_1) | instskip(NEXT) | instid1(SALU_CYCLE_1)
	s_and_b32 s26, vcc_lo, s11
	s_and_saveexec_b32 s11, s26
	s_cbranch_execz .LBB7_76
; %bb.80:                               ;   in Loop: Header=BB7_77 Depth=2
	v_lshlrev_b16 v4, 8, v4
	s_delay_alu instid0(VALU_DEP_1)
	v_or_b32_e32 v4, 1, v4
	ds_store_b16 v22, v4 offset:3072
	s_branch .LBB7_76
.LBB7_81:                               ;   in Loop: Header=BB7_6 Depth=1
	s_mov_b32 s20, 0
	s_mov_b32 s11, 0
                                        ; implicit-def: $sgpr21
                                        ; implicit-def: $sgpr22
                                        ; implicit-def: $sgpr15
                                        ; implicit-def: $vgpr27
                                        ; implicit-def: $vgpr4
                                        ; implicit-def: $vgpr1
                                        ; implicit-def: $vgpr2
                                        ; implicit-def: $vgpr3
	s_cbranch_execnz .LBB7_229
.LBB7_82:                               ;   in Loop: Header=BB7_6 Depth=1
	s_mov_b32 s23, s15
	s_mov_b32 s24, s15
	s_and_saveexec_b32 s10, s20
	s_cbranch_execnz .LBB7_383
	s_branch .LBB7_384
.LBB7_83:                               ;   in Loop: Header=BB7_6 Depth=1
	s_or_b32 exec_lo, exec_lo, s12
	s_waitcnt lgkmcnt(0)
	s_barrier
	buffer_gl0_inv
	s_and_saveexec_b32 s10, s5
	s_cbranch_execz .LBB7_85
; %bb.84:                               ;   in Loop: Header=BB7_6 Depth=1
	ds_load_b32 v1, v22 offset:4104
	s_waitcnt lgkmcnt(0)
	ds_store_b32 v22, v1 offset:4096
.LBB7_85:                               ;   in Loop: Header=BB7_6 Depth=1
	s_or_b32 exec_lo, exec_lo, s10
	s_waitcnt lgkmcnt(0)
	s_mov_b32 s10, -1
	s_barrier
	s_and_b32 vcc_lo, exec_lo, s81
	s_cbranch_vccnz .LBB7_21
	s_branch .LBB7_31
.LBB7_86:                               ;   in Loop: Header=BB7_6 Depth=1
	s_mov_b32 s15, -1
	s_mov_b32 s11, 0
                                        ; implicit-def: $sgpr21
                                        ; implicit-def: $vgpr3
	s_mov_b32 s22, s15
	s_cbranch_execnz .LBB7_89
	s_branch .LBB7_98
.LBB7_87:                               ;   in Loop: Header=BB7_6 Depth=1
	s_set_inst_prefetch_distance 0x2
	s_or_b32 exec_lo, exec_lo, s23
	v_lshrrev_b16 v3, 8, v4
	s_and_b32 s11, s24, exec_lo
.LBB7_88:                               ;   in Loop: Header=BB7_6 Depth=1
	s_or_b32 exec_lo, exec_lo, s21
	s_mov_b32 s21, -1
	s_mov_b32 s15, 0
	s_delay_alu instid0(SALU_CYCLE_1)
	s_mov_b32 s22, s15
	s_branch .LBB7_98
.LBB7_89:                               ;   in Loop: Header=BB7_6 Depth=1
	s_mov_b32 s11, 0
                                        ; implicit-def: $vgpr3
	s_and_saveexec_b32 s15, s9
	s_cbranch_execz .LBB7_97
; %bb.90:                               ;   in Loop: Header=BB7_6 Depth=1
	v_dual_mov_b32 v3, v14 :: v_dual_mov_b32 v4, v0
	s_mov_b32 s21, 0
                                        ; implicit-def: $sgpr22
	s_set_inst_prefetch_distance 0x1
	s_branch .LBB7_92
	.p2align	6
.LBB7_91:                               ;   in Loop: Header=BB7_92 Depth=2
	s_or_b32 exec_lo, exec_lo, s11
	s_waitcnt lgkmcnt(0)
	s_barrier
	buffer_gl0_inv
	ds_load_u16 v27, v22 offset:3072
	v_add_nc_u32_e32 v4, s33, v4
	v_add_nc_u32_e32 v3, s41, v3
	s_waitcnt lgkmcnt(0)
	s_barrier
	buffer_gl0_inv
	v_cmp_le_u32_e32 vcc_lo, s67, v4
	v_and_b32_e32 v28, 0xff, v27
	s_delay_alu instid0(VALU_DEP_1) | instskip(NEXT) | instid1(VALU_DEP_1)
	v_cmp_ne_u16_e64 s11, 0, v28
	s_or_b32 s23, vcc_lo, s11
	s_delay_alu instid0(SALU_CYCLE_1) | instskip(NEXT) | instid1(SALU_CYCLE_1)
	s_and_b32 s23, exec_lo, s23
	s_or_b32 s21, s23, s21
	s_and_not1_b32 s22, s22, exec_lo
	s_and_b32 s11, s11, exec_lo
	s_delay_alu instid0(SALU_CYCLE_1)
	s_or_b32 s22, s22, s11
	s_and_not1_b32 exec_lo, exec_lo, s21
	s_cbranch_execz .LBB7_96
.LBB7_92:                               ;   Parent Loop BB7_6 Depth=1
                                        ; =>  This Inner Loop Header: Depth=2
	s_delay_alu instid0(VALU_DEP_1)
	v_cmp_gt_u32_e32 vcc_lo, s36, v4
	v_mov_b32_e32 v27, 0
	s_and_saveexec_b32 s11, vcc_lo
	s_cbranch_execz .LBB7_94
; %bb.93:                               ;   in Loop: Header=BB7_92 Depth=2
	global_load_u8 v27, v3, s[30:31]
.LBB7_94:                               ;   in Loop: Header=BB7_92 Depth=2
	s_or_b32 exec_lo, exec_lo, s11
	s_waitcnt vmcnt(0)
	v_and_b32_e32 v28, v27, v2
	s_delay_alu instid0(VALU_DEP_1) | instskip(NEXT) | instid1(VALU_DEP_1)
	v_and_b32_e32 v28, 0xff, v28
	v_cmp_eq_u32_e64 s11, v28, v1
	s_delay_alu instid0(VALU_DEP_1) | instskip(NEXT) | instid1(SALU_CYCLE_1)
	s_and_b32 s23, vcc_lo, s11
	s_and_saveexec_b32 s11, s23
	s_cbranch_execz .LBB7_91
; %bb.95:                               ;   in Loop: Header=BB7_92 Depth=2
	v_lshlrev_b16 v27, 8, v27
	s_delay_alu instid0(VALU_DEP_1)
	v_or_b32_e32 v27, 1, v27
	ds_store_b16 v22, v27 offset:3072
	s_branch .LBB7_91
.LBB7_96:                               ;   in Loop: Header=BB7_6 Depth=1
	s_set_inst_prefetch_distance 0x2
	s_or_b32 exec_lo, exec_lo, s21
	v_lshrrev_b16 v3, 8, v27
	s_and_b32 s11, s22, exec_lo
.LBB7_97:                               ;   in Loop: Header=BB7_6 Depth=1
	s_or_b32 exec_lo, exec_lo, s15
	s_mov_b32 s22, -1
	s_mov_b32 s15, 0
	s_mov_b32 s21, 0
.LBB7_98:                               ;   in Loop: Header=BB7_6 Depth=1
	s_or_not1_b32 s26, s11, exec_lo
.LBB7_99:                               ;   in Loop: Header=BB7_6 Depth=1
	s_or_b32 exec_lo, exec_lo, s20
	s_mov_b32 s23, 0
	s_mov_b32 s20, 0
	s_mov_b32 s11, 0
                                        ; implicit-def: $vgpr27
                                        ; implicit-def: $vgpr4
	s_and_saveexec_b32 s24, s26
	s_cbranch_execz .LBB7_228
; %bb.100:                              ;   in Loop: Header=BB7_6 Depth=1
	v_dual_mov_b32 v4, 1 :: v_dual_mov_b32 v27, 1
	s_xor_b32 s25, s25, -1
	s_delay_alu instid0(SALU_CYCLE_1)
	s_and_saveexec_b32 s11, s25
	s_cbranch_execz .LBB7_110
; %bb.101:                              ;   in Loop: Header=BB7_6 Depth=1
	s_mov_b32 s25, exec_lo
                                        ; implicit-def: $sgpr26
                                        ; implicit-def: $sgpr20
	v_cmpx_ge_u32_e64 s12, v26
	s_xor_b32 s25, exec_lo, s25
	s_cbranch_execz .LBB7_107
; %bb.102:                              ;   in Loop: Header=BB7_6 Depth=1
	ds_load_b32 v4, v22 offset:4096
	s_waitcnt lgkmcnt(0)
	v_cmp_ne_u32_e32 vcc_lo, 0, v4
	s_cbranch_vccnz .LBB7_106
; %bb.103:                              ;   in Loop: Header=BB7_6 Depth=1
	s_and_saveexec_b32 s20, s5
	s_cbranch_execz .LBB7_105
; %bb.104:                              ;   in Loop: Header=BB7_6 Depth=1
	v_mov_b32_e32 v4, s12
	ds_store_b32 v22, v4 offset:4100
.LBB7_105:                              ;   in Loop: Header=BB7_6 Depth=1
	s_or_b32 exec_lo, exec_lo, s20
	s_waitcnt lgkmcnt(0)
	s_barrier
	buffer_gl0_inv
.LBB7_106:                              ;   in Loop: Header=BB7_6 Depth=1
	v_and_b32_e32 v1, s14, v1
	v_or_b32_e32 v2, s13, v2
	s_mov_b32 s20, 0
	s_mov_b32 s26, 8
.LBB7_107:                              ;   in Loop: Header=BB7_6 Depth=1
	s_or_saveexec_b32 s25, s25
	v_dual_mov_b32 v27, s26 :: v_dual_mov_b32 v4, v26
	s_xor_b32 exec_lo, exec_lo, s25
; %bb.108:                              ;   in Loop: Header=BB7_6 Depth=1
	v_subrev_nc_u32_e32 v4, s12, v26
	v_mov_b32_e32 v27, 0
	s_or_b32 s20, s20, exec_lo
; %bb.109:                              ;   in Loop: Header=BB7_6 Depth=1
	s_or_b32 exec_lo, exec_lo, s25
	s_delay_alu instid0(SALU_CYCLE_1)
	s_and_b32 s20, s20, exec_lo
.LBB7_110:                              ;   in Loop: Header=BB7_6 Depth=1
	s_or_b32 exec_lo, exec_lo, s11
	s_mov_b32 s11, -1
                                        ; implicit-def: $sgpr25
                                        ; implicit-def: $sgpr27
                                        ; implicit-def: $sgpr28
	s_and_saveexec_b32 s26, s20
	s_delay_alu instid0(SALU_CYCLE_1)
	s_xor_b32 s20, exec_lo, s26
	s_cbranch_execz .LBB7_225
; %bb.111:                              ;   in Loop: Header=BB7_6 Depth=1
	v_cmp_eq_u32_e32 vcc_lo, 1, v4
	s_cmp_eq_u32 s16, 1
                                        ; implicit-def: $sgpr25
                                        ; implicit-def: $sgpr27
                                        ; implicit-def: $sgpr26
	s_cselect_b32 s11, -1, 0
	s_delay_alu instid0(SALU_CYCLE_1)
	s_and_b32 s29, s11, vcc_lo
	s_mov_b32 s11, -1
	s_and_saveexec_b32 s28, s29
	s_cbranch_execz .LBB7_135
; %bb.112:                              ;   in Loop: Header=BB7_6 Depth=1
	ds_load_b32 v3, v22 offset:4096
	s_waitcnt lgkmcnt(0)
	s_barrier
	buffer_gl0_inv
	v_readfirstlane_b32 s25, v3
	s_and_saveexec_b32 s11, s6
	s_cbranch_execz .LBB7_114
; %bb.113:                              ;   in Loop: Header=BB7_6 Depth=1
	ds_store_b8 v0, v15 offset:3072
.LBB7_114:                              ;   in Loop: Header=BB7_6 Depth=1
	s_or_b32 exec_lo, exec_lo, s11
	s_lshl_b32 s11, 1, s17
	v_or_b32_e32 v2, s13, v2
	v_and_or_b32 v1, v1, s14, s11
	s_cmp_eq_u32 s25, 0
	s_waitcnt lgkmcnt(0)
	s_barrier
	buffer_gl0_inv
	s_cbranch_scc1 .LBB7_122
; %bb.115:                              ;   in Loop: Header=BB7_6 Depth=1
	s_add_i32 s11, s25, s59
                                        ; implicit-def: $vgpr3
	s_delay_alu instid0(SALU_CYCLE_1) | instskip(NEXT) | instid1(SALU_CYCLE_1)
	s_mul_hi_u32 s26, s11, s65
	s_mul_i32 s26, s26, s33
	s_delay_alu instid0(SALU_CYCLE_1) | instskip(NEXT) | instid1(SALU_CYCLE_1)
	s_sub_i32 s26, s11, s26
	s_sub_i32 s27, s26, s33
	s_cmp_ge_u32 s26, s33
	s_cselect_b32 s26, s27, s26
	s_delay_alu instid0(SALU_CYCLE_1) | instskip(SKIP_2) | instid1(SALU_CYCLE_1)
	s_sub_i32 s27, s26, s33
	s_cmp_ge_u32 s26, s33
	s_cselect_b32 s26, s27, s26
	s_sub_i32 s27, s11, s26
	s_mov_b32 s11, 0
	s_mov_b32 s26, exec_lo
	v_cmpx_gt_u32_e64 s27, v0
	s_cbranch_execz .LBB7_124
; %bb.116:                              ;   in Loop: Header=BB7_6 Depth=1
	v_mov_b32_e32 v3, v0
	s_mov_b32 s81, 0
                                        ; implicit-def: $sgpr82
	s_set_inst_prefetch_distance 0x1
	s_branch .LBB7_118
	.p2align	6
.LBB7_117:                              ;   in Loop: Header=BB7_118 Depth=2
	s_or_b32 exec_lo, exec_lo, s11
	s_waitcnt lgkmcnt(0)
	s_barrier
	buffer_gl0_inv
	ds_load_u16 v27, v22 offset:3072
	v_add_nc_u32_e32 v3, s33, v3
	s_waitcnt lgkmcnt(0)
	s_barrier
	buffer_gl0_inv
	v_cmp_le_u32_e32 vcc_lo, s27, v3
	v_and_b32_e32 v28, 0xff, v27
	s_delay_alu instid0(VALU_DEP_1) | instskip(NEXT) | instid1(VALU_DEP_1)
	v_cmp_ne_u16_e64 s11, 0, v28
	s_or_b32 s83, vcc_lo, s11
	s_delay_alu instid0(SALU_CYCLE_1) | instskip(NEXT) | instid1(SALU_CYCLE_1)
	s_and_b32 s83, exec_lo, s83
	s_or_b32 s81, s83, s81
	s_and_not1_b32 s82, s82, exec_lo
	s_and_b32 s11, s11, exec_lo
	s_delay_alu instid0(SALU_CYCLE_1)
	s_or_b32 s82, s82, s11
	s_and_not1_b32 exec_lo, exec_lo, s81
	s_cbranch_execz .LBB7_123
.LBB7_118:                              ;   Parent Loop BB7_6 Depth=1
                                        ; =>  This Inner Loop Header: Depth=2
	s_delay_alu instid0(VALU_DEP_1)
	v_cmp_gt_u32_e32 vcc_lo, s25, v3
	v_mov_b32_e32 v27, 0
	s_and_saveexec_b32 s11, vcc_lo
	s_cbranch_execz .LBB7_120
; %bb.119:                              ;   in Loop: Header=BB7_118 Depth=2
	ds_load_u8 v27, v3
.LBB7_120:                              ;   in Loop: Header=BB7_118 Depth=2
	s_or_b32 exec_lo, exec_lo, s11
	s_waitcnt lgkmcnt(0)
	v_and_b32_e32 v28, v27, v2
	s_delay_alu instid0(VALU_DEP_1) | instskip(NEXT) | instid1(VALU_DEP_1)
	v_and_b32_e32 v28, 0xff, v28
	v_cmp_eq_u32_e64 s11, v28, v1
	s_delay_alu instid0(VALU_DEP_1) | instskip(NEXT) | instid1(SALU_CYCLE_1)
	s_and_b32 s83, vcc_lo, s11
	s_and_saveexec_b32 s11, s83
	s_cbranch_execz .LBB7_117
; %bb.121:                              ;   in Loop: Header=BB7_118 Depth=2
	v_lshlrev_b16 v27, 8, v27
	s_delay_alu instid0(VALU_DEP_1)
	v_or_b32_e32 v27, 1, v27
	ds_store_b16 v22, v27 offset:3072
	s_branch .LBB7_117
.LBB7_122:                              ;   in Loop: Header=BB7_6 Depth=1
	s_mov_b32 s25, -1
	s_mov_b32 s11, 0
                                        ; implicit-def: $sgpr26
                                        ; implicit-def: $vgpr3
	s_mov_b32 s27, s25
	s_cbranch_execnz .LBB7_125
	s_branch .LBB7_134
.LBB7_123:                              ;   in Loop: Header=BB7_6 Depth=1
	s_set_inst_prefetch_distance 0x2
	s_or_b32 exec_lo, exec_lo, s81
	v_lshrrev_b16 v3, 8, v27
	s_and_b32 s11, s82, exec_lo
.LBB7_124:                              ;   in Loop: Header=BB7_6 Depth=1
	s_or_b32 exec_lo, exec_lo, s26
	s_mov_b32 s26, -1
	s_mov_b32 s25, 0
	s_delay_alu instid0(SALU_CYCLE_1)
	s_mov_b32 s27, s25
	s_branch .LBB7_134
.LBB7_125:                              ;   in Loop: Header=BB7_6 Depth=1
	s_mov_b32 s11, 0
                                        ; implicit-def: $vgpr3
	s_and_saveexec_b32 s25, s9
	s_cbranch_execz .LBB7_133
; %bb.126:                              ;   in Loop: Header=BB7_6 Depth=1
	v_mov_b32_e32 v3, v14
	v_mov_b32_e32 v27, v0
	s_mov_b32 s26, 0
                                        ; implicit-def: $sgpr27
	s_set_inst_prefetch_distance 0x1
	s_branch .LBB7_128
	.p2align	6
.LBB7_127:                              ;   in Loop: Header=BB7_128 Depth=2
	s_or_b32 exec_lo, exec_lo, s11
	s_waitcnt lgkmcnt(0)
	s_barrier
	buffer_gl0_inv
	ds_load_u16 v28, v22 offset:3072
	v_add_nc_u32_e32 v27, s33, v27
	v_add_nc_u32_e32 v3, s41, v3
	s_waitcnt lgkmcnt(0)
	s_barrier
	buffer_gl0_inv
	v_cmp_le_u32_e32 vcc_lo, s67, v27
	v_and_b32_e32 v29, 0xff, v28
	s_delay_alu instid0(VALU_DEP_1) | instskip(NEXT) | instid1(VALU_DEP_1)
	v_cmp_ne_u16_e64 s11, 0, v29
	s_or_b32 s81, vcc_lo, s11
	s_delay_alu instid0(SALU_CYCLE_1) | instskip(NEXT) | instid1(SALU_CYCLE_1)
	s_and_b32 s81, exec_lo, s81
	s_or_b32 s26, s81, s26
	s_and_not1_b32 s27, s27, exec_lo
	s_and_b32 s11, s11, exec_lo
	s_delay_alu instid0(SALU_CYCLE_1)
	s_or_b32 s27, s27, s11
	s_and_not1_b32 exec_lo, exec_lo, s26
	s_cbranch_execz .LBB7_132
.LBB7_128:                              ;   Parent Loop BB7_6 Depth=1
                                        ; =>  This Inner Loop Header: Depth=2
	s_delay_alu instid0(VALU_DEP_1)
	v_cmp_gt_u32_e32 vcc_lo, s36, v27
	v_mov_b32_e32 v28, 0
	s_and_saveexec_b32 s11, vcc_lo
	s_cbranch_execz .LBB7_130
; %bb.129:                              ;   in Loop: Header=BB7_128 Depth=2
	global_load_u8 v28, v3, s[30:31]
.LBB7_130:                              ;   in Loop: Header=BB7_128 Depth=2
	s_or_b32 exec_lo, exec_lo, s11
	s_waitcnt vmcnt(0)
	v_and_b32_e32 v29, v28, v2
	s_delay_alu instid0(VALU_DEP_1) | instskip(NEXT) | instid1(VALU_DEP_1)
	v_and_b32_e32 v29, 0xff, v29
	v_cmp_eq_u32_e64 s11, v29, v1
	s_delay_alu instid0(VALU_DEP_1) | instskip(NEXT) | instid1(SALU_CYCLE_1)
	s_and_b32 s81, vcc_lo, s11
	s_and_saveexec_b32 s11, s81
	s_cbranch_execz .LBB7_127
; %bb.131:                              ;   in Loop: Header=BB7_128 Depth=2
	v_lshlrev_b16 v28, 8, v28
	s_delay_alu instid0(VALU_DEP_1)
	v_or_b32_e32 v28, 1, v28
	ds_store_b16 v22, v28 offset:3072
	s_branch .LBB7_127
.LBB7_132:                              ;   in Loop: Header=BB7_6 Depth=1
	s_set_inst_prefetch_distance 0x2
	s_or_b32 exec_lo, exec_lo, s26
	v_lshrrev_b16 v3, 8, v28
	s_and_b32 s11, s27, exec_lo
.LBB7_133:                              ;   in Loop: Header=BB7_6 Depth=1
	s_or_b32 exec_lo, exec_lo, s25
	s_mov_b32 s27, -1
	s_mov_b32 s25, 0
	s_mov_b32 s26, 0
.LBB7_134:                              ;   in Loop: Header=BB7_6 Depth=1
	s_or_not1_b32 s11, s11, exec_lo
.LBB7_135:                              ;   in Loop: Header=BB7_6 Depth=1
	s_or_b32 exec_lo, exec_lo, s28
	s_mov_b32 s81, 0
                                        ; implicit-def: $vgpr27
	s_and_saveexec_b32 s28, s11
	s_cbranch_execz .LBB7_224
; %bb.136:                              ;   in Loop: Header=BB7_6 Depth=1
	v_dual_mov_b32 v28, 1 :: v_dual_mov_b32 v27, 1
	s_xor_b32 s29, s29, -1
	s_mov_b32 s82, 0
	s_and_saveexec_b32 s11, s29
	s_cbranch_execz .LBB7_146
; %bb.137:                              ;   in Loop: Header=BB7_6 Depth=1
	s_mov_b32 s81, exec_lo
                                        ; implicit-def: $sgpr82
                                        ; implicit-def: $sgpr29
	v_cmpx_ge_u32_e64 s16, v4
	s_xor_b32 s81, exec_lo, s81
	s_cbranch_execz .LBB7_143
; %bb.138:                              ;   in Loop: Header=BB7_6 Depth=1
	ds_load_b32 v27, v22 offset:4096
	s_waitcnt lgkmcnt(0)
	v_cmp_ne_u32_e32 vcc_lo, 0, v27
	s_cbranch_vccnz .LBB7_142
; %bb.139:                              ;   in Loop: Header=BB7_6 Depth=1
	s_and_saveexec_b32 s29, s5
	s_cbranch_execz .LBB7_141
; %bb.140:                              ;   in Loop: Header=BB7_6 Depth=1
	v_mov_b32_e32 v27, s16
	ds_store_b32 v22, v27 offset:4100
.LBB7_141:                              ;   in Loop: Header=BB7_6 Depth=1
	s_or_b32 exec_lo, exec_lo, s29
	s_waitcnt lgkmcnt(0)
	s_barrier
	buffer_gl0_inv
.LBB7_142:                              ;   in Loop: Header=BB7_6 Depth=1
	s_lshl_b32 s29, 1, s17
	v_or_b32_e32 v2, s13, v2
	v_and_or_b32 v1, v1, s14, s29
	s_mov_b32 s29, 0
	s_mov_b32 s82, 8
.LBB7_143:                              ;   in Loop: Header=BB7_6 Depth=1
	s_or_saveexec_b32 s81, s81
	v_mov_b32_e32 v27, s82
	s_xor_b32 exec_lo, exec_lo, s81
; %bb.144:                              ;   in Loop: Header=BB7_6 Depth=1
	v_subrev_nc_u32_e32 v4, s16, v4
	v_mov_b32_e32 v27, 0
	s_or_b32 s29, s29, exec_lo
; %bb.145:                              ;   in Loop: Header=BB7_6 Depth=1
	s_or_b32 exec_lo, exec_lo, s81
	s_delay_alu instid0(VALU_DEP_2)
	v_mov_b32_e32 v28, v4
	s_and_b32 s82, s29, exec_lo
.LBB7_146:                              ;   in Loop: Header=BB7_6 Depth=1
	s_or_b32 exec_lo, exec_lo, s11
	s_mov_b32 s11, -1
                                        ; implicit-def: $sgpr81
                                        ; implicit-def: $sgpr83
                                        ; implicit-def: $sgpr84
	s_and_saveexec_b32 s29, s82
	s_cbranch_execz .LBB7_223
; %bb.147:                              ;   in Loop: Header=BB7_6 Depth=1
	v_cmp_eq_u32_e32 vcc_lo, 1, v28
	s_cmp_eq_u32 s18, 1
                                        ; implicit-def: $sgpr81
                                        ; implicit-def: $sgpr83
                                        ; implicit-def: $sgpr82
	s_cselect_b32 s11, -1, 0
	s_delay_alu instid0(SALU_CYCLE_1)
	s_and_b32 s85, s11, vcc_lo
	s_mov_b32 s11, -1
	s_and_saveexec_b32 s84, s85
	s_cbranch_execz .LBB7_171
; %bb.148:                              ;   in Loop: Header=BB7_6 Depth=1
	ds_load_b32 v3, v22 offset:4096
	s_waitcnt lgkmcnt(0)
	s_barrier
	buffer_gl0_inv
	v_readfirstlane_b32 s81, v3
	s_and_saveexec_b32 s11, s6
	s_cbranch_execz .LBB7_150
; %bb.149:                              ;   in Loop: Header=BB7_6 Depth=1
	ds_store_b8 v0, v15 offset:3072
.LBB7_150:                              ;   in Loop: Header=BB7_6 Depth=1
	s_or_b32 exec_lo, exec_lo, s11
	s_lshl_b32 s11, 2, s17
	v_or_b32_e32 v2, s13, v2
	v_and_or_b32 v1, v1, s14, s11
	s_cmp_eq_u32 s81, 0
	s_waitcnt lgkmcnt(0)
	s_barrier
	buffer_gl0_inv
	s_cbranch_scc1 .LBB7_158
; %bb.151:                              ;   in Loop: Header=BB7_6 Depth=1
	s_add_i32 s11, s81, s59
                                        ; implicit-def: $vgpr3
	s_delay_alu instid0(SALU_CYCLE_1) | instskip(NEXT) | instid1(SALU_CYCLE_1)
	s_mul_hi_u32 s82, s11, s65
	s_mul_i32 s82, s82, s33
	s_delay_alu instid0(SALU_CYCLE_1) | instskip(NEXT) | instid1(SALU_CYCLE_1)
	s_sub_i32 s82, s11, s82
	s_sub_i32 s83, s82, s33
	s_cmp_ge_u32 s82, s33
	s_cselect_b32 s82, s83, s82
	s_delay_alu instid0(SALU_CYCLE_1) | instskip(SKIP_2) | instid1(SALU_CYCLE_1)
	s_sub_i32 s83, s82, s33
	s_cmp_ge_u32 s82, s33
	s_cselect_b32 s82, s83, s82
	s_sub_i32 s83, s11, s82
	s_mov_b32 s11, 0
	s_mov_b32 s82, exec_lo
	v_cmpx_gt_u32_e64 s83, v0
	s_cbranch_execz .LBB7_160
; %bb.152:                              ;   in Loop: Header=BB7_6 Depth=1
	v_mov_b32_e32 v3, v0
	s_mov_b32 s86, 0
                                        ; implicit-def: $sgpr87
	s_set_inst_prefetch_distance 0x1
	s_branch .LBB7_154
	.p2align	6
.LBB7_153:                              ;   in Loop: Header=BB7_154 Depth=2
	s_or_b32 exec_lo, exec_lo, s11
	s_waitcnt lgkmcnt(0)
	s_barrier
	buffer_gl0_inv
	ds_load_u16 v4, v22 offset:3072
	v_add_nc_u32_e32 v3, s33, v3
	s_waitcnt lgkmcnt(0)
	s_barrier
	buffer_gl0_inv
	v_cmp_le_u32_e32 vcc_lo, s83, v3
	v_and_b32_e32 v27, 0xff, v4
	s_delay_alu instid0(VALU_DEP_1) | instskip(NEXT) | instid1(VALU_DEP_1)
	v_cmp_ne_u16_e64 s11, 0, v27
	s_or_b32 s88, vcc_lo, s11
	s_delay_alu instid0(SALU_CYCLE_1) | instskip(NEXT) | instid1(SALU_CYCLE_1)
	s_and_b32 s88, exec_lo, s88
	s_or_b32 s86, s88, s86
	s_and_not1_b32 s87, s87, exec_lo
	s_and_b32 s11, s11, exec_lo
	s_delay_alu instid0(SALU_CYCLE_1)
	s_or_b32 s87, s87, s11
	s_and_not1_b32 exec_lo, exec_lo, s86
	s_cbranch_execz .LBB7_159
.LBB7_154:                              ;   Parent Loop BB7_6 Depth=1
                                        ; =>  This Inner Loop Header: Depth=2
	s_delay_alu instid0(VALU_DEP_1)
	v_cmp_gt_u32_e32 vcc_lo, s81, v3
	v_mov_b32_e32 v4, 0
	s_and_saveexec_b32 s11, vcc_lo
	s_cbranch_execz .LBB7_156
; %bb.155:                              ;   in Loop: Header=BB7_154 Depth=2
	ds_load_u8 v4, v3
.LBB7_156:                              ;   in Loop: Header=BB7_154 Depth=2
	s_or_b32 exec_lo, exec_lo, s11
	s_waitcnt lgkmcnt(0)
	v_and_b32_e32 v27, v4, v2
	s_delay_alu instid0(VALU_DEP_1) | instskip(NEXT) | instid1(VALU_DEP_1)
	v_and_b32_e32 v27, 0xff, v27
	v_cmp_eq_u32_e64 s11, v27, v1
	s_delay_alu instid0(VALU_DEP_1) | instskip(NEXT) | instid1(SALU_CYCLE_1)
	s_and_b32 s88, vcc_lo, s11
	s_and_saveexec_b32 s11, s88
	s_cbranch_execz .LBB7_153
; %bb.157:                              ;   in Loop: Header=BB7_154 Depth=2
	v_lshlrev_b16 v4, 8, v4
	s_delay_alu instid0(VALU_DEP_1)
	v_or_b32_e32 v4, 1, v4
	ds_store_b16 v22, v4 offset:3072
	s_branch .LBB7_153
.LBB7_158:                              ;   in Loop: Header=BB7_6 Depth=1
	s_mov_b32 s81, -1
	s_mov_b32 s11, 0
                                        ; implicit-def: $sgpr82
                                        ; implicit-def: $vgpr3
	s_mov_b32 s83, s81
	s_cbranch_execnz .LBB7_161
	s_branch .LBB7_170
.LBB7_159:                              ;   in Loop: Header=BB7_6 Depth=1
	s_set_inst_prefetch_distance 0x2
	s_or_b32 exec_lo, exec_lo, s86
	v_lshrrev_b16 v3, 8, v4
	s_and_b32 s11, s87, exec_lo
.LBB7_160:                              ;   in Loop: Header=BB7_6 Depth=1
	s_or_b32 exec_lo, exec_lo, s82
	s_mov_b32 s82, -1
	s_mov_b32 s81, 0
	s_delay_alu instid0(SALU_CYCLE_1)
	s_mov_b32 s83, s81
	s_branch .LBB7_170
.LBB7_161:                              ;   in Loop: Header=BB7_6 Depth=1
	s_mov_b32 s11, 0
                                        ; implicit-def: $vgpr3
	s_and_saveexec_b32 s81, s9
	s_cbranch_execz .LBB7_169
; %bb.162:                              ;   in Loop: Header=BB7_6 Depth=1
	v_dual_mov_b32 v3, v14 :: v_dual_mov_b32 v4, v0
	s_mov_b32 s82, 0
                                        ; implicit-def: $sgpr83
	s_set_inst_prefetch_distance 0x1
	s_branch .LBB7_164
	.p2align	6
.LBB7_163:                              ;   in Loop: Header=BB7_164 Depth=2
	s_or_b32 exec_lo, exec_lo, s11
	s_waitcnt lgkmcnt(0)
	s_barrier
	buffer_gl0_inv
	ds_load_u16 v27, v22 offset:3072
	v_add_nc_u32_e32 v4, s33, v4
	v_add_nc_u32_e32 v3, s41, v3
	s_waitcnt lgkmcnt(0)
	s_barrier
	buffer_gl0_inv
	v_cmp_le_u32_e32 vcc_lo, s67, v4
	v_and_b32_e32 v29, 0xff, v27
	s_delay_alu instid0(VALU_DEP_1) | instskip(NEXT) | instid1(VALU_DEP_1)
	v_cmp_ne_u16_e64 s11, 0, v29
	s_or_b32 s86, vcc_lo, s11
	s_delay_alu instid0(SALU_CYCLE_1) | instskip(NEXT) | instid1(SALU_CYCLE_1)
	s_and_b32 s86, exec_lo, s86
	s_or_b32 s82, s86, s82
	s_and_not1_b32 s83, s83, exec_lo
	s_and_b32 s11, s11, exec_lo
	s_delay_alu instid0(SALU_CYCLE_1)
	s_or_b32 s83, s83, s11
	s_and_not1_b32 exec_lo, exec_lo, s82
	s_cbranch_execz .LBB7_168
.LBB7_164:                              ;   Parent Loop BB7_6 Depth=1
                                        ; =>  This Inner Loop Header: Depth=2
	s_delay_alu instid0(VALU_DEP_1)
	v_cmp_gt_u32_e32 vcc_lo, s36, v4
	v_mov_b32_e32 v27, 0
	s_and_saveexec_b32 s11, vcc_lo
	s_cbranch_execz .LBB7_166
; %bb.165:                              ;   in Loop: Header=BB7_164 Depth=2
	global_load_u8 v27, v3, s[30:31]
.LBB7_166:                              ;   in Loop: Header=BB7_164 Depth=2
	s_or_b32 exec_lo, exec_lo, s11
	s_waitcnt vmcnt(0)
	v_and_b32_e32 v29, v27, v2
	s_delay_alu instid0(VALU_DEP_1) | instskip(NEXT) | instid1(VALU_DEP_1)
	v_and_b32_e32 v29, 0xff, v29
	v_cmp_eq_u32_e64 s11, v29, v1
	s_delay_alu instid0(VALU_DEP_1) | instskip(NEXT) | instid1(SALU_CYCLE_1)
	s_and_b32 s86, vcc_lo, s11
	s_and_saveexec_b32 s11, s86
	s_cbranch_execz .LBB7_163
; %bb.167:                              ;   in Loop: Header=BB7_164 Depth=2
	v_lshlrev_b16 v27, 8, v27
	s_delay_alu instid0(VALU_DEP_1)
	v_or_b32_e32 v27, 1, v27
	ds_store_b16 v22, v27 offset:3072
	s_branch .LBB7_163
.LBB7_168:                              ;   in Loop: Header=BB7_6 Depth=1
	s_set_inst_prefetch_distance 0x2
	s_or_b32 exec_lo, exec_lo, s82
	v_lshrrev_b16 v3, 8, v27
	s_and_b32 s11, s83, exec_lo
.LBB7_169:                              ;   in Loop: Header=BB7_6 Depth=1
	s_or_b32 exec_lo, exec_lo, s81
	s_mov_b32 s83, -1
	s_mov_b32 s81, 0
	s_mov_b32 s82, 0
.LBB7_170:                              ;   in Loop: Header=BB7_6 Depth=1
	s_or_not1_b32 s11, s11, exec_lo
.LBB7_171:                              ;   in Loop: Header=BB7_6 Depth=1
	s_or_b32 exec_lo, exec_lo, s84
	s_mov_b32 s86, 0
                                        ; implicit-def: $vgpr27
	s_and_saveexec_b32 s84, s11
	s_cbranch_execz .LBB7_222
; %bb.172:                              ;   in Loop: Header=BB7_6 Depth=1
	v_dual_mov_b32 v4, 1 :: v_dual_mov_b32 v27, 1
	s_xor_b32 s85, s85, -1
	s_mov_b32 s87, 0
	s_and_saveexec_b32 s11, s85
	s_cbranch_execz .LBB7_182
; %bb.173:                              ;   in Loop: Header=BB7_6 Depth=1
	s_mov_b32 s86, exec_lo
                                        ; implicit-def: $sgpr87
                                        ; implicit-def: $sgpr85
	v_cmpx_ge_u32_e64 s18, v28
	s_xor_b32 s86, exec_lo, s86
	s_cbranch_execz .LBB7_179
; %bb.174:                              ;   in Loop: Header=BB7_6 Depth=1
	ds_load_b32 v4, v22 offset:4096
	s_waitcnt lgkmcnt(0)
	v_cmp_ne_u32_e32 vcc_lo, 0, v4
	s_cbranch_vccnz .LBB7_178
; %bb.175:                              ;   in Loop: Header=BB7_6 Depth=1
	s_and_saveexec_b32 s85, s5
	s_cbranch_execz .LBB7_177
; %bb.176:                              ;   in Loop: Header=BB7_6 Depth=1
	v_mov_b32_e32 v4, s18
	ds_store_b32 v22, v4 offset:4100
.LBB7_177:                              ;   in Loop: Header=BB7_6 Depth=1
	s_or_b32 exec_lo, exec_lo, s85
	s_waitcnt lgkmcnt(0)
	s_barrier
	buffer_gl0_inv
.LBB7_178:                              ;   in Loop: Header=BB7_6 Depth=1
	s_lshl_b32 s85, 2, s17
	v_or_b32_e32 v2, s13, v2
	v_and_or_b32 v1, v1, s14, s85
	s_mov_b32 s85, 0
	s_mov_b32 s87, 8
.LBB7_179:                              ;   in Loop: Header=BB7_6 Depth=1
	s_or_saveexec_b32 s86, s86
	v_mov_b32_e32 v27, s87
	s_xor_b32 exec_lo, exec_lo, s86
; %bb.180:                              ;   in Loop: Header=BB7_6 Depth=1
	v_subrev_nc_u32_e32 v28, s18, v28
	v_mov_b32_e32 v27, 0
	s_or_b32 s85, s85, exec_lo
; %bb.181:                              ;   in Loop: Header=BB7_6 Depth=1
	s_or_b32 exec_lo, exec_lo, s86
	s_delay_alu instid0(VALU_DEP_2)
	v_mov_b32_e32 v4, v28
	s_and_b32 s87, s85, exec_lo
.LBB7_182:                              ;   in Loop: Header=BB7_6 Depth=1
	s_or_b32 exec_lo, exec_lo, s11
	s_mov_b32 s86, -1
                                        ; implicit-def: $sgpr11
                                        ; implicit-def: $sgpr89
                                        ; implicit-def: $sgpr88
	s_and_saveexec_b32 s85, s87
	s_cbranch_execz .LBB7_221
; %bb.183:                              ;   in Loop: Header=BB7_6 Depth=1
	v_cmp_eq_u32_e32 vcc_lo, 1, v4
	s_cmp_eq_u32 s19, 1
	s_mov_b32 s90, -1
	s_cselect_b32 s11, -1, 0
                                        ; implicit-def: $sgpr89
                                        ; implicit-def: $sgpr88
	s_delay_alu instid0(SALU_CYCLE_1) | instskip(NEXT) | instid1(SALU_CYCLE_1)
	s_and_b32 s86, s11, vcc_lo
                                        ; implicit-def: $sgpr11
	s_and_saveexec_b32 s87, s86
	s_cbranch_execz .LBB7_208
; %bb.184:                              ;   in Loop: Header=BB7_6 Depth=1
	ds_load_b32 v3, v22 offset:4096
	s_waitcnt lgkmcnt(0)
	s_barrier
	buffer_gl0_inv
	v_readfirstlane_b32 s88, v3
	s_and_saveexec_b32 s11, s6
	s_cbranch_execz .LBB7_186
; %bb.185:                              ;   in Loop: Header=BB7_6 Depth=1
	ds_store_b8 v0, v15 offset:3072
.LBB7_186:                              ;   in Loop: Header=BB7_6 Depth=1
	s_or_b32 exec_lo, exec_lo, s11
	v_or_b32_e32 v1, s13, v1
	v_or_b32_e32 v2, s13, v2
	s_cmp_eq_u32 s88, 0
	s_waitcnt lgkmcnt(0)
	s_barrier
	buffer_gl0_inv
	s_cbranch_scc1 .LBB7_194
; %bb.187:                              ;   in Loop: Header=BB7_6 Depth=1
	s_add_i32 s11, s88, s59
                                        ; implicit-def: $vgpr3
	s_delay_alu instid0(SALU_CYCLE_1) | instskip(NEXT) | instid1(SALU_CYCLE_1)
	s_mul_hi_u32 s89, s11, s65
	s_mul_i32 s89, s89, s33
	s_delay_alu instid0(SALU_CYCLE_1) | instskip(NEXT) | instid1(SALU_CYCLE_1)
	s_sub_i32 s89, s11, s89
	s_sub_i32 s90, s89, s33
	s_cmp_ge_u32 s89, s33
	s_cselect_b32 s89, s90, s89
	s_delay_alu instid0(SALU_CYCLE_1)
	s_sub_i32 s90, s89, s33
	s_cmp_ge_u32 s89, s33
	s_cselect_b32 s89, s90, s89
	s_mov_b32 s90, 0
	s_sub_i32 s91, s11, s89
	s_mov_b32 s89, exec_lo
	v_cmpx_gt_u32_e64 s91, v0
	s_cbranch_execz .LBB7_196
; %bb.188:                              ;   in Loop: Header=BB7_6 Depth=1
	v_mov_b32_e32 v3, v0
                                        ; implicit-def: $sgpr92
	s_set_inst_prefetch_distance 0x1
	s_branch .LBB7_190
	.p2align	6
.LBB7_189:                              ;   in Loop: Header=BB7_190 Depth=2
	s_or_b32 exec_lo, exec_lo, s11
	s_waitcnt lgkmcnt(0)
	s_barrier
	buffer_gl0_inv
	ds_load_u16 v27, v22 offset:3072
	v_add_nc_u32_e32 v3, s33, v3
	s_waitcnt lgkmcnt(0)
	s_barrier
	buffer_gl0_inv
	v_cmp_le_u32_e32 vcc_lo, s91, v3
	v_and_b32_e32 v28, 0xff, v27
	s_delay_alu instid0(VALU_DEP_1) | instskip(NEXT) | instid1(VALU_DEP_1)
	v_cmp_ne_u16_e64 s11, 0, v28
	s_or_b32 s93, vcc_lo, s11
	s_delay_alu instid0(SALU_CYCLE_1) | instskip(NEXT) | instid1(SALU_CYCLE_1)
	s_and_b32 s93, exec_lo, s93
	s_or_b32 s90, s93, s90
	s_and_not1_b32 s92, s92, exec_lo
	s_and_b32 s11, s11, exec_lo
	s_delay_alu instid0(SALU_CYCLE_1)
	s_or_b32 s92, s92, s11
	s_and_not1_b32 exec_lo, exec_lo, s90
	s_cbranch_execz .LBB7_195
.LBB7_190:                              ;   Parent Loop BB7_6 Depth=1
                                        ; =>  This Inner Loop Header: Depth=2
	s_delay_alu instid0(VALU_DEP_1)
	v_cmp_gt_u32_e32 vcc_lo, s88, v3
	v_mov_b32_e32 v27, 0
	s_and_saveexec_b32 s11, vcc_lo
	s_cbranch_execz .LBB7_192
; %bb.191:                              ;   in Loop: Header=BB7_190 Depth=2
	ds_load_u8 v27, v3
.LBB7_192:                              ;   in Loop: Header=BB7_190 Depth=2
	s_or_b32 exec_lo, exec_lo, s11
	s_waitcnt lgkmcnt(0)
	v_and_b32_e32 v28, v27, v2
	s_delay_alu instid0(VALU_DEP_1) | instskip(NEXT) | instid1(VALU_DEP_1)
	v_and_b32_e32 v28, 0xff, v28
	v_cmp_eq_u32_e64 s11, v28, v1
	s_delay_alu instid0(VALU_DEP_1) | instskip(NEXT) | instid1(SALU_CYCLE_1)
	s_and_b32 s93, vcc_lo, s11
	s_and_saveexec_b32 s11, s93
	s_cbranch_execz .LBB7_189
; %bb.193:                              ;   in Loop: Header=BB7_190 Depth=2
	v_lshlrev_b16 v27, 8, v27
	s_delay_alu instid0(VALU_DEP_1)
	v_or_b32_e32 v27, 1, v27
	ds_store_b16 v22, v27 offset:3072
	s_branch .LBB7_189
.LBB7_194:                              ;   in Loop: Header=BB7_6 Depth=1
	s_mov_b32 s11, -1
	s_mov_b32 s90, 0
                                        ; implicit-def: $sgpr88
                                        ; implicit-def: $vgpr3
	s_branch .LBB7_197
.LBB7_195:                              ;   in Loop: Header=BB7_6 Depth=1
	s_set_inst_prefetch_distance 0x2
	s_or_b32 exec_lo, exec_lo, s90
	v_lshrrev_b16 v3, 8, v27
	s_and_b32 s90, s92, exec_lo
.LBB7_196:                              ;   in Loop: Header=BB7_6 Depth=1
	s_or_b32 exec_lo, exec_lo, s89
	s_mov_b32 s88, -1
	s_mov_b32 s11, 0
.LBB7_197:                              ;   in Loop: Header=BB7_6 Depth=1
	s_delay_alu instid0(SALU_CYCLE_1)
	s_and_b32 vcc_lo, exec_lo, s11
	s_mov_b32 s89, s11
	s_cbranch_vccz .LBB7_207
; %bb.198:                              ;   in Loop: Header=BB7_6 Depth=1
	s_mov_b32 s90, 0
                                        ; implicit-def: $vgpr3
	s_and_saveexec_b32 s88, s9
	s_cbranch_execz .LBB7_206
; %bb.199:                              ;   in Loop: Header=BB7_6 Depth=1
	v_mov_b32_e32 v3, v14
	v_mov_b32_e32 v27, v0
	s_mov_b32 s89, 0
                                        ; implicit-def: $sgpr90
	s_set_inst_prefetch_distance 0x1
	s_branch .LBB7_201
	.p2align	6
.LBB7_200:                              ;   in Loop: Header=BB7_201 Depth=2
	s_or_b32 exec_lo, exec_lo, s11
	s_waitcnt lgkmcnt(0)
	s_barrier
	buffer_gl0_inv
	ds_load_u16 v28, v22 offset:3072
	v_add_nc_u32_e32 v27, s33, v27
	v_add_nc_u32_e32 v3, s41, v3
	s_waitcnt lgkmcnt(0)
	s_barrier
	buffer_gl0_inv
	v_cmp_le_u32_e32 vcc_lo, s67, v27
	v_and_b32_e32 v29, 0xff, v28
	s_delay_alu instid0(VALU_DEP_1) | instskip(NEXT) | instid1(VALU_DEP_1)
	v_cmp_ne_u16_e64 s11, 0, v29
	s_or_b32 s91, vcc_lo, s11
	s_delay_alu instid0(SALU_CYCLE_1) | instskip(NEXT) | instid1(SALU_CYCLE_1)
	s_and_b32 s91, exec_lo, s91
	s_or_b32 s89, s91, s89
	s_and_not1_b32 s90, s90, exec_lo
	s_and_b32 s11, s11, exec_lo
	s_delay_alu instid0(SALU_CYCLE_1)
	s_or_b32 s90, s90, s11
	s_and_not1_b32 exec_lo, exec_lo, s89
	s_cbranch_execz .LBB7_205
.LBB7_201:                              ;   Parent Loop BB7_6 Depth=1
                                        ; =>  This Inner Loop Header: Depth=2
	s_delay_alu instid0(VALU_DEP_1)
	v_cmp_gt_u32_e32 vcc_lo, s36, v27
	v_mov_b32_e32 v28, 0
	s_and_saveexec_b32 s11, vcc_lo
	s_cbranch_execz .LBB7_203
; %bb.202:                              ;   in Loop: Header=BB7_201 Depth=2
	global_load_u8 v28, v3, s[30:31]
.LBB7_203:                              ;   in Loop: Header=BB7_201 Depth=2
	s_or_b32 exec_lo, exec_lo, s11
	s_waitcnt vmcnt(0)
	v_and_b32_e32 v29, v28, v2
	s_delay_alu instid0(VALU_DEP_1) | instskip(NEXT) | instid1(VALU_DEP_1)
	v_and_b32_e32 v29, 0xff, v29
	v_cmp_eq_u32_e64 s11, v29, v1
	s_delay_alu instid0(VALU_DEP_1) | instskip(NEXT) | instid1(SALU_CYCLE_1)
	s_and_b32 s91, vcc_lo, s11
	s_and_saveexec_b32 s11, s91
	s_cbranch_execz .LBB7_200
; %bb.204:                              ;   in Loop: Header=BB7_201 Depth=2
	v_lshlrev_b16 v28, 8, v28
	s_delay_alu instid0(VALU_DEP_1)
	v_or_b32_e32 v28, 1, v28
	ds_store_b16 v22, v28 offset:3072
	s_branch .LBB7_200
.LBB7_205:                              ;   in Loop: Header=BB7_6 Depth=1
	s_set_inst_prefetch_distance 0x2
	s_or_b32 exec_lo, exec_lo, s89
	v_lshrrev_b16 v3, 8, v28
	s_and_b32 s90, s90, exec_lo
.LBB7_206:                              ;   in Loop: Header=BB7_6 Depth=1
	s_or_b32 exec_lo, exec_lo, s88
	s_mov_b32 s89, -1
	s_mov_b32 s11, 0
	s_mov_b32 s88, 0
.LBB7_207:                              ;   in Loop: Header=BB7_6 Depth=1
	s_or_not1_b32 s90, s90, exec_lo
.LBB7_208:                              ;   in Loop: Header=BB7_6 Depth=1
	s_or_b32 exec_lo, exec_lo, s87
	s_mov_b32 s91, 0
                                        ; implicit-def: $vgpr27
                                        ; implicit-def: $vgpr28
	s_and_saveexec_b32 s87, s90
	s_cbranch_execz .LBB7_220
; %bb.209:                              ;   in Loop: Header=BB7_6 Depth=1
	v_dual_mov_b32 v27, 1 :: v_dual_mov_b32 v28, 1
	s_xor_b32 s90, s86, -1
	s_delay_alu instid0(SALU_CYCLE_1)
	s_and_saveexec_b32 s86, s90
	s_cbranch_execz .LBB7_219
; %bb.210:                              ;   in Loop: Header=BB7_6 Depth=1
	s_mov_b32 s90, exec_lo
                                        ; implicit-def: $sgpr91
	v_cmpx_ge_u32_e64 s19, v4
	s_xor_b32 s90, exec_lo, s90
	s_cbranch_execz .LBB7_216
; %bb.211:                              ;   in Loop: Header=BB7_6 Depth=1
	ds_load_b32 v27, v22 offset:4096
	s_waitcnt lgkmcnt(0)
	v_cmp_ne_u32_e32 vcc_lo, 0, v27
	s_cbranch_vccnz .LBB7_215
; %bb.212:                              ;   in Loop: Header=BB7_6 Depth=1
	s_and_saveexec_b32 s91, s5
	s_cbranch_execz .LBB7_214
; %bb.213:                              ;   in Loop: Header=BB7_6 Depth=1
	v_mov_b32_e32 v27, s19
	ds_store_b32 v22, v27 offset:4100
.LBB7_214:                              ;   in Loop: Header=BB7_6 Depth=1
	s_or_b32 exec_lo, exec_lo, s91
	s_waitcnt lgkmcnt(0)
	s_barrier
	buffer_gl0_inv
.LBB7_215:                              ;   in Loop: Header=BB7_6 Depth=1
	v_or_b32_e32 v1, s13, v1
	v_or_b32_e32 v2, s13, v2
	s_mov_b32 s91, 8
.LBB7_216:                              ;   in Loop: Header=BB7_6 Depth=1
	s_or_saveexec_b32 s90, s90
	v_mov_b32_e32 v27, s91
	s_xor_b32 exec_lo, exec_lo, s90
; %bb.217:                              ;   in Loop: Header=BB7_6 Depth=1
	v_subrev_nc_u32_e32 v4, s19, v4
	v_mov_b32_e32 v27, 8
; %bb.218:                              ;   in Loop: Header=BB7_6 Depth=1
	s_or_b32 exec_lo, exec_lo, s90
	s_delay_alu instid0(VALU_DEP_2)
	v_mov_b32_e32 v28, v4
.LBB7_219:                              ;   in Loop: Header=BB7_6 Depth=1
	s_or_b32 exec_lo, exec_lo, s86
	s_delay_alu instid0(SALU_CYCLE_1)
	s_mov_b32 s91, exec_lo
.LBB7_220:                              ;   in Loop: Header=BB7_6 Depth=1
	s_or_b32 exec_lo, exec_lo, s87
	s_delay_alu instid0(VALU_DEP_1)
	v_mov_b32_e32 v4, v28
	s_or_not1_b32 s86, s91, exec_lo
.LBB7_221:                              ;   in Loop: Header=BB7_6 Depth=1
	s_or_b32 exec_lo, exec_lo, s85
	s_delay_alu instid0(SALU_CYCLE_1)
	s_and_not1_b32 s81, s81, exec_lo
	s_and_b32 s11, s11, exec_lo
	v_mov_b32_e32 v28, v4
	s_or_b32 s81, s81, s11
	s_and_not1_b32 s11, s83, exec_lo
	s_and_b32 s83, s89, exec_lo
	s_and_not1_b32 s82, s82, exec_lo
	s_and_b32 s85, s88, exec_lo
	s_or_b32 s83, s11, s83
	s_or_b32 s82, s82, s85
	s_and_b32 s86, s86, exec_lo
.LBB7_222:                              ;   in Loop: Header=BB7_6 Depth=1
	s_or_b32 exec_lo, exec_lo, s84
	s_delay_alu instid0(SALU_CYCLE_1)
	s_and_b32 s84, s81, exec_lo
	s_and_b32 s83, s83, exec_lo
	;; [unrolled: 1-line block ×3, first 2 shown]
	s_or_not1_b32 s11, s86, exec_lo
.LBB7_223:                              ;   in Loop: Header=BB7_6 Depth=1
	s_or_b32 exec_lo, exec_lo, s29
	s_delay_alu instid0(SALU_CYCLE_1)
	s_and_not1_b32 s25, s25, exec_lo
	s_and_b32 s29, s84, exec_lo
	v_mov_b32_e32 v4, v28
	s_or_b32 s25, s25, s29
	s_and_not1_b32 s27, s27, exec_lo
	s_and_b32 s29, s83, exec_lo
	s_and_not1_b32 s26, s26, exec_lo
	s_and_b32 s81, s81, exec_lo
	s_or_b32 s27, s27, s29
	s_or_b32 s26, s26, s81
	s_and_b32 s81, s11, exec_lo
.LBB7_224:                              ;   in Loop: Header=BB7_6 Depth=1
	s_or_b32 exec_lo, exec_lo, s28
	s_delay_alu instid0(SALU_CYCLE_1)
	s_and_b32 s28, s25, exec_lo
	s_and_b32 s27, s27, exec_lo
	;; [unrolled: 1-line block ×3, first 2 shown]
	s_or_not1_b32 s11, s81, exec_lo
.LBB7_225:                              ;   in Loop: Header=BB7_6 Depth=1
	s_or_b32 exec_lo, exec_lo, s20
	s_mov_b32 s20, 0
	s_mov_b32 s26, 0
	s_and_saveexec_b32 s29, s11
	s_delay_alu instid0(SALU_CYCLE_1)
	s_xor_b32 s29, exec_lo, s29
; %bb.226:                              ;   in Loop: Header=BB7_6 Depth=1
	v_cmp_ne_u32_e32 vcc_lo, 8, v27
	v_cmp_eq_u32_e64 s11, 8, v27
	s_and_not1_b32 s28, s28, exec_lo
	s_and_not1_b32 s27, s27, exec_lo
	;; [unrolled: 1-line block ×3, first 2 shown]
	s_and_b32 s26, vcc_lo, exec_lo
	s_and_b32 s20, s11, exec_lo
; %bb.227:                              ;   in Loop: Header=BB7_6 Depth=1
	s_or_b32 exec_lo, exec_lo, s29
	s_delay_alu instid0(SALU_CYCLE_1)
	s_and_not1_b32 s11, s15, exec_lo
	s_and_b32 s15, s28, exec_lo
	s_and_not1_b32 s21, s21, exec_lo
	s_or_b32 s15, s11, s15
	s_and_not1_b32 s11, s22, exec_lo
	s_and_b32 s22, s27, exec_lo
	s_and_b32 s25, s25, exec_lo
	s_or_b32 s22, s11, s22
	s_or_b32 s21, s21, s25
	s_and_b32 s11, s26, exec_lo
	s_and_b32 s20, s20, exec_lo
.LBB7_228:                              ;   in Loop: Header=BB7_6 Depth=1
	s_or_b32 exec_lo, exec_lo, s24
	s_delay_alu instid0(SALU_CYCLE_1)
	s_and_b32 vcc_lo, exec_lo, s23
	s_cbranch_vccz .LBB7_82
.LBB7_229:                              ;   in Loop: Header=BB7_6 Depth=1
	s_cmp_eq_u32 s19, 1
                                        ; implicit-def: $sgpr23
                                        ; implicit-def: $sgpr24
	s_cselect_b32 s15, -1, 0
	s_delay_alu instid0(SALU_CYCLE_1)
	s_and_b32 s22, s15, s10
	s_mov_b32 s10, -1
                                        ; implicit-def: $sgpr15
	s_and_saveexec_b32 s21, s22
	s_cbranch_execz .LBB7_253
; %bb.230:                              ;   in Loop: Header=BB7_6 Depth=1
	ds_load_b32 v1, v22 offset:4096
	s_waitcnt lgkmcnt(0)
	s_barrier
	buffer_gl0_inv
	v_readfirstlane_b32 s15, v1
	s_and_saveexec_b32 s10, s6
	s_cbranch_execz .LBB7_232
; %bb.231:                              ;   in Loop: Header=BB7_6 Depth=1
	ds_store_b8 v0, v15 offset:3072
.LBB7_232:                              ;   in Loop: Header=BB7_6 Depth=1
	s_or_b32 exec_lo, exec_lo, s10
	v_or_b32_e32 v24, s13, v24
	v_or_b32_e32 v23, s13, v23
	s_cmp_eq_u32 s15, 0
	s_waitcnt lgkmcnt(0)
	s_barrier
	buffer_gl0_inv
	s_cbranch_scc1 .LBB7_240
; %bb.233:                              ;   in Loop: Header=BB7_6 Depth=1
	s_add_i32 s10, s15, s59
                                        ; implicit-def: $vgpr25
	s_delay_alu instid0(SALU_CYCLE_1) | instskip(NEXT) | instid1(SALU_CYCLE_1)
	s_mul_hi_u32 s23, s10, s65
	s_mul_i32 s23, s23, s33
	s_delay_alu instid0(SALU_CYCLE_1) | instskip(NEXT) | instid1(SALU_CYCLE_1)
	s_sub_i32 s23, s10, s23
	s_sub_i32 s24, s23, s33
	s_cmp_ge_u32 s23, s33
	s_cselect_b32 s23, s24, s23
	s_delay_alu instid0(SALU_CYCLE_1) | instskip(SKIP_2) | instid1(SALU_CYCLE_1)
	s_sub_i32 s24, s23, s33
	s_cmp_ge_u32 s23, s33
	s_cselect_b32 s23, s24, s23
	s_sub_i32 s24, s10, s23
	s_mov_b32 s10, 0
	s_mov_b32 s23, exec_lo
	v_cmpx_gt_u32_e64 s24, v0
	s_cbranch_execz .LBB7_242
; %bb.234:                              ;   in Loop: Header=BB7_6 Depth=1
	v_mov_b32_e32 v1, v0
	s_mov_b32 s25, 0
                                        ; implicit-def: $sgpr26
	s_set_inst_prefetch_distance 0x1
	s_branch .LBB7_236
	.p2align	6
.LBB7_235:                              ;   in Loop: Header=BB7_236 Depth=2
	s_or_b32 exec_lo, exec_lo, s10
	s_waitcnt lgkmcnt(0)
	s_barrier
	buffer_gl0_inv
	ds_load_u16 v2, v22 offset:3072
	v_add_nc_u32_e32 v1, s33, v1
	s_waitcnt lgkmcnt(0)
	s_barrier
	buffer_gl0_inv
	v_cmp_le_u32_e32 vcc_lo, s24, v1
	v_and_b32_e32 v3, 0xff, v2
	s_delay_alu instid0(VALU_DEP_1) | instskip(NEXT) | instid1(VALU_DEP_1)
	v_cmp_ne_u16_e64 s10, 0, v3
	s_or_b32 s27, vcc_lo, s10
	s_delay_alu instid0(SALU_CYCLE_1) | instskip(NEXT) | instid1(SALU_CYCLE_1)
	s_and_b32 s27, exec_lo, s27
	s_or_b32 s25, s27, s25
	s_and_not1_b32 s26, s26, exec_lo
	s_and_b32 s10, s10, exec_lo
	s_delay_alu instid0(SALU_CYCLE_1)
	s_or_b32 s26, s26, s10
	s_and_not1_b32 exec_lo, exec_lo, s25
	s_cbranch_execz .LBB7_241
.LBB7_236:                              ;   Parent Loop BB7_6 Depth=1
                                        ; =>  This Inner Loop Header: Depth=2
	s_delay_alu instid0(VALU_DEP_1)
	v_cmp_gt_u32_e32 vcc_lo, s15, v1
	v_mov_b32_e32 v2, 0
	s_and_saveexec_b32 s10, vcc_lo
	s_cbranch_execz .LBB7_238
; %bb.237:                              ;   in Loop: Header=BB7_236 Depth=2
	ds_load_u8 v2, v1
.LBB7_238:                              ;   in Loop: Header=BB7_236 Depth=2
	s_or_b32 exec_lo, exec_lo, s10
	s_waitcnt lgkmcnt(0)
	v_and_b32_e32 v3, v2, v23
	s_delay_alu instid0(VALU_DEP_1) | instskip(NEXT) | instid1(VALU_DEP_1)
	v_and_b32_e32 v3, 0xff, v3
	v_cmp_eq_u32_e64 s10, v3, v24
	s_delay_alu instid0(VALU_DEP_1) | instskip(NEXT) | instid1(SALU_CYCLE_1)
	s_and_b32 s27, vcc_lo, s10
	s_and_saveexec_b32 s10, s27
	s_cbranch_execz .LBB7_235
; %bb.239:                              ;   in Loop: Header=BB7_236 Depth=2
	v_lshlrev_b16 v2, 8, v2
	s_delay_alu instid0(VALU_DEP_1)
	v_or_b32_e32 v2, 1, v2
	ds_store_b16 v22, v2 offset:3072
	s_branch .LBB7_235
.LBB7_240:                              ;   in Loop: Header=BB7_6 Depth=1
	s_mov_b32 s23, -1
	s_mov_b32 s10, 0
                                        ; implicit-def: $sgpr24
                                        ; implicit-def: $vgpr25
	s_mov_b32 s15, s23
	s_cbranch_execnz .LBB7_243
	s_branch .LBB7_252
.LBB7_241:                              ;   in Loop: Header=BB7_6 Depth=1
	s_set_inst_prefetch_distance 0x2
	s_or_b32 exec_lo, exec_lo, s25
	v_lshrrev_b16 v25, 8, v2
	s_and_b32 s10, s26, exec_lo
.LBB7_242:                              ;   in Loop: Header=BB7_6 Depth=1
	s_or_b32 exec_lo, exec_lo, s23
	s_mov_b32 s23, 0
	s_mov_b32 s24, -1
	s_mov_b32 s15, s23
	s_branch .LBB7_252
.LBB7_243:                              ;   in Loop: Header=BB7_6 Depth=1
	s_mov_b32 s10, 0
                                        ; implicit-def: $vgpr25
	s_and_saveexec_b32 s15, s9
	s_cbranch_execz .LBB7_251
; %bb.244:                              ;   in Loop: Header=BB7_6 Depth=1
	v_dual_mov_b32 v1, v14 :: v_dual_mov_b32 v2, v0
	s_mov_b32 s23, 0
                                        ; implicit-def: $sgpr24
	s_set_inst_prefetch_distance 0x1
	s_branch .LBB7_246
	.p2align	6
.LBB7_245:                              ;   in Loop: Header=BB7_246 Depth=2
	s_or_b32 exec_lo, exec_lo, s10
	s_waitcnt lgkmcnt(0)
	s_barrier
	buffer_gl0_inv
	ds_load_u16 v3, v22 offset:3072
	v_add_nc_u32_e32 v2, s33, v2
	v_add_nc_u32_e32 v1, s41, v1
	s_waitcnt lgkmcnt(0)
	s_barrier
	buffer_gl0_inv
	v_cmp_le_u32_e32 vcc_lo, s67, v2
	v_and_b32_e32 v4, 0xff, v3
	s_delay_alu instid0(VALU_DEP_1) | instskip(NEXT) | instid1(VALU_DEP_1)
	v_cmp_ne_u16_e64 s10, 0, v4
	s_or_b32 s25, vcc_lo, s10
	s_delay_alu instid0(SALU_CYCLE_1) | instskip(NEXT) | instid1(SALU_CYCLE_1)
	s_and_b32 s25, exec_lo, s25
	s_or_b32 s23, s25, s23
	s_and_not1_b32 s24, s24, exec_lo
	s_and_b32 s10, s10, exec_lo
	s_delay_alu instid0(SALU_CYCLE_1)
	s_or_b32 s24, s24, s10
	s_and_not1_b32 exec_lo, exec_lo, s23
	s_cbranch_execz .LBB7_250
.LBB7_246:                              ;   Parent Loop BB7_6 Depth=1
                                        ; =>  This Inner Loop Header: Depth=2
	s_delay_alu instid0(VALU_DEP_1)
	v_cmp_gt_u32_e32 vcc_lo, s36, v2
	v_mov_b32_e32 v3, 0
	s_and_saveexec_b32 s10, vcc_lo
	s_cbranch_execz .LBB7_248
; %bb.247:                              ;   in Loop: Header=BB7_246 Depth=2
	global_load_u8 v3, v1, s[30:31]
.LBB7_248:                              ;   in Loop: Header=BB7_246 Depth=2
	s_or_b32 exec_lo, exec_lo, s10
	s_waitcnt vmcnt(0)
	v_and_b32_e32 v4, v3, v23
	s_delay_alu instid0(VALU_DEP_1) | instskip(NEXT) | instid1(VALU_DEP_1)
	v_and_b32_e32 v4, 0xff, v4
	v_cmp_eq_u32_e64 s10, v4, v24
	s_delay_alu instid0(VALU_DEP_1) | instskip(NEXT) | instid1(SALU_CYCLE_1)
	s_and_b32 s25, vcc_lo, s10
	s_and_saveexec_b32 s10, s25
	s_cbranch_execz .LBB7_245
; %bb.249:                              ;   in Loop: Header=BB7_246 Depth=2
	v_lshlrev_b16 v3, 8, v3
	s_delay_alu instid0(VALU_DEP_1)
	v_or_b32_e32 v3, 1, v3
	ds_store_b16 v22, v3 offset:3072
	s_branch .LBB7_245
.LBB7_250:                              ;   in Loop: Header=BB7_6 Depth=1
	s_set_inst_prefetch_distance 0x2
	s_or_b32 exec_lo, exec_lo, s23
	v_lshrrev_b16 v25, 8, v3
	s_and_b32 s10, s24, exec_lo
.LBB7_251:                              ;   in Loop: Header=BB7_6 Depth=1
	s_or_b32 exec_lo, exec_lo, s15
	s_mov_b32 s24, 0
	s_mov_b32 s23, -1
	s_mov_b32 s15, 0
.LBB7_252:                              ;   in Loop: Header=BB7_6 Depth=1
	s_or_not1_b32 s10, s10, exec_lo
.LBB7_253:                              ;   in Loop: Header=BB7_6 Depth=1
	s_or_b32 exec_lo, exec_lo, s21
                                        ; implicit-def: $vgpr27
                                        ; implicit-def: $vgpr4
                                        ; implicit-def: $vgpr1
                                        ; implicit-def: $vgpr2
                                        ; implicit-def: $vgpr3
	s_and_saveexec_b32 s21, s10
	s_cbranch_execz .LBB7_382
; %bb.254:                              ;   in Loop: Header=BB7_6 Depth=1
	v_dual_mov_b32 v4, 1 :: v_dual_mov_b32 v27, 1
	s_xor_b32 s22, s22, -1
	s_mov_b32 s28, 0
	s_and_saveexec_b32 s10, s22
	s_cbranch_execz .LBB7_264
; %bb.255:                              ;   in Loop: Header=BB7_6 Depth=1
	s_mov_b32 s25, exec_lo
                                        ; implicit-def: $sgpr26
                                        ; implicit-def: $sgpr22
	v_cmpx_ge_u32_e64 s19, v26
	s_xor_b32 s25, exec_lo, s25
	s_cbranch_execz .LBB7_261
; %bb.256:                              ;   in Loop: Header=BB7_6 Depth=1
	ds_load_b32 v1, v22 offset:4096
	s_waitcnt lgkmcnt(0)
	v_cmp_ne_u32_e32 vcc_lo, 0, v1
	s_cbranch_vccnz .LBB7_260
; %bb.257:                              ;   in Loop: Header=BB7_6 Depth=1
	s_and_saveexec_b32 s22, s5
	s_cbranch_execz .LBB7_259
; %bb.258:                              ;   in Loop: Header=BB7_6 Depth=1
	v_mov_b32_e32 v1, s19
	ds_store_b32 v22, v1 offset:4100
.LBB7_259:                              ;   in Loop: Header=BB7_6 Depth=1
	s_or_b32 exec_lo, exec_lo, s22
	s_waitcnt lgkmcnt(0)
	s_barrier
	buffer_gl0_inv
.LBB7_260:                              ;   in Loop: Header=BB7_6 Depth=1
	v_or_b32_e32 v24, s13, v24
	v_or_b32_e32 v23, s13, v23
	s_mov_b32 s22, 0
	s_mov_b32 s26, 5
.LBB7_261:                              ;   in Loop: Header=BB7_6 Depth=1
	s_or_saveexec_b32 s25, s25
	v_mov_b32_e32 v27, s26
	s_xor_b32 exec_lo, exec_lo, s25
; %bb.262:                              ;   in Loop: Header=BB7_6 Depth=1
	v_subrev_nc_u32_e32 v26, s19, v26
	v_mov_b32_e32 v27, 0
	s_or_b32 s22, s22, exec_lo
; %bb.263:                              ;   in Loop: Header=BB7_6 Depth=1
	s_or_b32 exec_lo, exec_lo, s25
	s_delay_alu instid0(VALU_DEP_2)
	v_mov_b32_e32 v4, v26
	s_and_b32 s28, s22, exec_lo
.LBB7_264:                              ;   in Loop: Header=BB7_6 Depth=1
	s_or_b32 exec_lo, exec_lo, s10
	s_mov_b32 s26, -1
                                        ; implicit-def: $sgpr22
                                        ; implicit-def: $sgpr25
                                        ; implicit-def: $sgpr27
	s_and_saveexec_b32 s10, s28
	s_delay_alu instid0(SALU_CYCLE_1)
	s_xor_b32 s19, exec_lo, s10
	s_cbranch_execz .LBB7_379
; %bb.265:                              ;   in Loop: Header=BB7_6 Depth=1
	v_cmp_eq_u32_e32 vcc_lo, 1, v4
	s_cmp_eq_u32 s18, 1
                                        ; implicit-def: $sgpr22
                                        ; implicit-def: $sgpr25
                                        ; implicit-def: $sgpr26
	s_cselect_b32 s10, -1, 0
	s_delay_alu instid0(SALU_CYCLE_1)
	s_and_b32 s28, s10, vcc_lo
	s_mov_b32 s10, -1
	s_and_saveexec_b32 s27, s28
	s_cbranch_execz .LBB7_289
; %bb.266:                              ;   in Loop: Header=BB7_6 Depth=1
	ds_load_b32 v1, v22 offset:4096
	s_waitcnt lgkmcnt(0)
	s_barrier
	buffer_gl0_inv
	v_readfirstlane_b32 s22, v1
	s_and_saveexec_b32 s10, s6
	s_cbranch_execz .LBB7_268
; %bb.267:                              ;   in Loop: Header=BB7_6 Depth=1
	ds_store_b8 v0, v15 offset:3072
.LBB7_268:                              ;   in Loop: Header=BB7_6 Depth=1
	s_or_b32 exec_lo, exec_lo, s10
	s_lshl_b32 s10, 2, s17
	v_or_b32_e32 v23, s13, v23
	v_and_or_b32 v24, v24, s14, s10
	s_cmp_eq_u32 s22, 0
	s_waitcnt lgkmcnt(0)
	s_barrier
	buffer_gl0_inv
	s_cbranch_scc1 .LBB7_276
; %bb.269:                              ;   in Loop: Header=BB7_6 Depth=1
	s_add_i32 s10, s22, s59
                                        ; implicit-def: $vgpr25
	s_delay_alu instid0(SALU_CYCLE_1) | instskip(NEXT) | instid1(SALU_CYCLE_1)
	s_mul_hi_u32 s25, s10, s65
	s_mul_i32 s25, s25, s33
	s_delay_alu instid0(SALU_CYCLE_1) | instskip(NEXT) | instid1(SALU_CYCLE_1)
	s_sub_i32 s25, s10, s25
	s_sub_i32 s26, s25, s33
	s_cmp_ge_u32 s25, s33
	s_cselect_b32 s25, s26, s25
	s_delay_alu instid0(SALU_CYCLE_1) | instskip(SKIP_2) | instid1(SALU_CYCLE_1)
	s_sub_i32 s26, s25, s33
	s_cmp_ge_u32 s25, s33
	s_cselect_b32 s25, s26, s25
	s_sub_i32 s26, s10, s25
	s_mov_b32 s10, 0
	s_mov_b32 s25, exec_lo
	v_cmpx_gt_u32_e64 s26, v0
	s_cbranch_execz .LBB7_278
; %bb.270:                              ;   in Loop: Header=BB7_6 Depth=1
	v_mov_b32_e32 v1, v0
	s_mov_b32 s29, 0
                                        ; implicit-def: $sgpr81
	s_set_inst_prefetch_distance 0x1
	s_branch .LBB7_272
	.p2align	6
.LBB7_271:                              ;   in Loop: Header=BB7_272 Depth=2
	s_or_b32 exec_lo, exec_lo, s10
	s_waitcnt lgkmcnt(0)
	s_barrier
	buffer_gl0_inv
	ds_load_u16 v2, v22 offset:3072
	v_add_nc_u32_e32 v1, s33, v1
	s_waitcnt lgkmcnt(0)
	s_barrier
	buffer_gl0_inv
	v_cmp_le_u32_e32 vcc_lo, s26, v1
	v_and_b32_e32 v3, 0xff, v2
	s_delay_alu instid0(VALU_DEP_1) | instskip(NEXT) | instid1(VALU_DEP_1)
	v_cmp_ne_u16_e64 s10, 0, v3
	s_or_b32 s82, vcc_lo, s10
	s_delay_alu instid0(SALU_CYCLE_1) | instskip(NEXT) | instid1(SALU_CYCLE_1)
	s_and_b32 s82, exec_lo, s82
	s_or_b32 s29, s82, s29
	s_and_not1_b32 s81, s81, exec_lo
	s_and_b32 s10, s10, exec_lo
	s_delay_alu instid0(SALU_CYCLE_1)
	s_or_b32 s81, s81, s10
	s_and_not1_b32 exec_lo, exec_lo, s29
	s_cbranch_execz .LBB7_277
.LBB7_272:                              ;   Parent Loop BB7_6 Depth=1
                                        ; =>  This Inner Loop Header: Depth=2
	s_delay_alu instid0(VALU_DEP_1)
	v_cmp_gt_u32_e32 vcc_lo, s22, v1
	v_mov_b32_e32 v2, 0
	s_and_saveexec_b32 s10, vcc_lo
	s_cbranch_execz .LBB7_274
; %bb.273:                              ;   in Loop: Header=BB7_272 Depth=2
	ds_load_u8 v2, v1
.LBB7_274:                              ;   in Loop: Header=BB7_272 Depth=2
	s_or_b32 exec_lo, exec_lo, s10
	s_waitcnt lgkmcnt(0)
	v_and_b32_e32 v3, v2, v23
	s_delay_alu instid0(VALU_DEP_1) | instskip(NEXT) | instid1(VALU_DEP_1)
	v_and_b32_e32 v3, 0xff, v3
	v_cmp_eq_u32_e64 s10, v3, v24
	s_delay_alu instid0(VALU_DEP_1) | instskip(NEXT) | instid1(SALU_CYCLE_1)
	s_and_b32 s82, vcc_lo, s10
	s_and_saveexec_b32 s10, s82
	s_cbranch_execz .LBB7_271
; %bb.275:                              ;   in Loop: Header=BB7_272 Depth=2
	v_lshlrev_b16 v2, 8, v2
	s_delay_alu instid0(VALU_DEP_1)
	v_or_b32_e32 v2, 1, v2
	ds_store_b16 v22, v2 offset:3072
	s_branch .LBB7_271
.LBB7_276:                              ;   in Loop: Header=BB7_6 Depth=1
	s_mov_b32 s22, -1
	s_mov_b32 s10, 0
                                        ; implicit-def: $sgpr25
                                        ; implicit-def: $vgpr25
	s_mov_b32 s26, s22
	s_cbranch_execnz .LBB7_279
	s_branch .LBB7_288
.LBB7_277:                              ;   in Loop: Header=BB7_6 Depth=1
	s_set_inst_prefetch_distance 0x2
	s_or_b32 exec_lo, exec_lo, s29
	v_lshrrev_b16 v25, 8, v2
	s_and_b32 s10, s81, exec_lo
.LBB7_278:                              ;   in Loop: Header=BB7_6 Depth=1
	s_or_b32 exec_lo, exec_lo, s25
	s_mov_b32 s22, 0
	s_mov_b32 s25, -1
	s_mov_b32 s26, s22
	s_branch .LBB7_288
.LBB7_279:                              ;   in Loop: Header=BB7_6 Depth=1
	s_mov_b32 s10, 0
                                        ; implicit-def: $vgpr25
	s_and_saveexec_b32 s22, s9
	s_cbranch_execz .LBB7_287
; %bb.280:                              ;   in Loop: Header=BB7_6 Depth=1
	v_dual_mov_b32 v1, v14 :: v_dual_mov_b32 v2, v0
	s_mov_b32 s25, 0
                                        ; implicit-def: $sgpr26
	s_set_inst_prefetch_distance 0x1
	s_branch .LBB7_282
	.p2align	6
.LBB7_281:                              ;   in Loop: Header=BB7_282 Depth=2
	s_or_b32 exec_lo, exec_lo, s10
	s_waitcnt lgkmcnt(0)
	s_barrier
	buffer_gl0_inv
	ds_load_u16 v3, v22 offset:3072
	v_add_nc_u32_e32 v2, s33, v2
	v_add_nc_u32_e32 v1, s41, v1
	s_waitcnt lgkmcnt(0)
	s_barrier
	buffer_gl0_inv
	v_cmp_le_u32_e32 vcc_lo, s67, v2
	v_and_b32_e32 v25, 0xff, v3
	s_delay_alu instid0(VALU_DEP_1) | instskip(NEXT) | instid1(VALU_DEP_1)
	v_cmp_ne_u16_e64 s10, 0, v25
	s_or_b32 s29, vcc_lo, s10
	s_delay_alu instid0(SALU_CYCLE_1) | instskip(NEXT) | instid1(SALU_CYCLE_1)
	s_and_b32 s29, exec_lo, s29
	s_or_b32 s25, s29, s25
	s_and_not1_b32 s26, s26, exec_lo
	s_and_b32 s10, s10, exec_lo
	s_delay_alu instid0(SALU_CYCLE_1)
	s_or_b32 s26, s26, s10
	s_and_not1_b32 exec_lo, exec_lo, s25
	s_cbranch_execz .LBB7_286
.LBB7_282:                              ;   Parent Loop BB7_6 Depth=1
                                        ; =>  This Inner Loop Header: Depth=2
	s_delay_alu instid0(VALU_DEP_1)
	v_cmp_gt_u32_e32 vcc_lo, s36, v2
	v_mov_b32_e32 v3, 0
	s_and_saveexec_b32 s10, vcc_lo
	s_cbranch_execz .LBB7_284
; %bb.283:                              ;   in Loop: Header=BB7_282 Depth=2
	global_load_u8 v3, v1, s[30:31]
.LBB7_284:                              ;   in Loop: Header=BB7_282 Depth=2
	s_or_b32 exec_lo, exec_lo, s10
	s_waitcnt vmcnt(0)
	v_and_b32_e32 v25, v3, v23
	s_delay_alu instid0(VALU_DEP_1) | instskip(NEXT) | instid1(VALU_DEP_1)
	v_and_b32_e32 v25, 0xff, v25
	v_cmp_eq_u32_e64 s10, v25, v24
	s_delay_alu instid0(VALU_DEP_1) | instskip(NEXT) | instid1(SALU_CYCLE_1)
	s_and_b32 s29, vcc_lo, s10
	s_and_saveexec_b32 s10, s29
	s_cbranch_execz .LBB7_281
; %bb.285:                              ;   in Loop: Header=BB7_282 Depth=2
	v_lshlrev_b16 v3, 8, v3
	s_delay_alu instid0(VALU_DEP_1)
	v_or_b32_e32 v3, 1, v3
	ds_store_b16 v22, v3 offset:3072
	s_branch .LBB7_281
.LBB7_286:                              ;   in Loop: Header=BB7_6 Depth=1
	s_set_inst_prefetch_distance 0x2
	s_or_b32 exec_lo, exec_lo, s25
	v_lshrrev_b16 v25, 8, v3
	s_and_b32 s10, s26, exec_lo
.LBB7_287:                              ;   in Loop: Header=BB7_6 Depth=1
	s_or_b32 exec_lo, exec_lo, s22
	s_mov_b32 s25, 0
	s_mov_b32 s22, -1
	s_mov_b32 s26, 0
.LBB7_288:                              ;   in Loop: Header=BB7_6 Depth=1
	s_or_not1_b32 s10, s10, exec_lo
.LBB7_289:                              ;   in Loop: Header=BB7_6 Depth=1
	s_or_b32 exec_lo, exec_lo, s27
	s_mov_b32 s29, 0
                                        ; implicit-def: $vgpr27
	s_and_saveexec_b32 s27, s10
	s_cbranch_execz .LBB7_378
; %bb.290:                              ;   in Loop: Header=BB7_6 Depth=1
	v_mov_b32_e32 v1, 1
	v_mov_b32_e32 v27, 1
	s_xor_b32 s28, s28, -1
	s_mov_b32 s81, 0
	s_and_saveexec_b32 s10, s28
	s_cbranch_execz .LBB7_300
; %bb.291:                              ;   in Loop: Header=BB7_6 Depth=1
	s_mov_b32 s29, exec_lo
                                        ; implicit-def: $sgpr81
                                        ; implicit-def: $sgpr28
	v_cmpx_ge_u32_e64 s18, v4
	s_xor_b32 s29, exec_lo, s29
	s_cbranch_execz .LBB7_297
; %bb.292:                              ;   in Loop: Header=BB7_6 Depth=1
	ds_load_b32 v1, v22 offset:4096
	s_waitcnt lgkmcnt(0)
	v_cmp_ne_u32_e32 vcc_lo, 0, v1
	s_cbranch_vccnz .LBB7_296
; %bb.293:                              ;   in Loop: Header=BB7_6 Depth=1
	s_and_saveexec_b32 s28, s5
	s_cbranch_execz .LBB7_295
; %bb.294:                              ;   in Loop: Header=BB7_6 Depth=1
	v_mov_b32_e32 v1, s18
	ds_store_b32 v22, v1 offset:4100
.LBB7_295:                              ;   in Loop: Header=BB7_6 Depth=1
	s_or_b32 exec_lo, exec_lo, s28
	s_waitcnt lgkmcnt(0)
	s_barrier
	buffer_gl0_inv
.LBB7_296:                              ;   in Loop: Header=BB7_6 Depth=1
	s_lshl_b32 s28, 2, s17
	v_or_b32_e32 v23, s13, v23
	v_and_or_b32 v24, v24, s14, s28
	s_mov_b32 s28, 0
	s_mov_b32 s81, 5
.LBB7_297:                              ;   in Loop: Header=BB7_6 Depth=1
	s_or_saveexec_b32 s29, s29
	v_mov_b32_e32 v27, s81
	s_xor_b32 exec_lo, exec_lo, s29
; %bb.298:                              ;   in Loop: Header=BB7_6 Depth=1
	v_subrev_nc_u32_e32 v4, s18, v4
	v_mov_b32_e32 v27, 0
	s_or_b32 s28, s28, exec_lo
; %bb.299:                              ;   in Loop: Header=BB7_6 Depth=1
	s_or_b32 exec_lo, exec_lo, s29
	s_delay_alu instid0(VALU_DEP_2)
	v_mov_b32_e32 v1, v4
	s_and_b32 s81, s28, exec_lo
.LBB7_300:                              ;   in Loop: Header=BB7_6 Depth=1
	s_or_b32 exec_lo, exec_lo, s10
	s_mov_b32 s10, -1
                                        ; implicit-def: $sgpr28
                                        ; implicit-def: $sgpr29
                                        ; implicit-def: $sgpr82
	s_and_saveexec_b32 s18, s81
	s_cbranch_execz .LBB7_377
; %bb.301:                              ;   in Loop: Header=BB7_6 Depth=1
	v_cmp_eq_u32_e32 vcc_lo, 1, v1
	s_cmp_eq_u32 s16, 1
                                        ; implicit-def: $sgpr28
                                        ; implicit-def: $sgpr29
                                        ; implicit-def: $sgpr81
	s_cselect_b32 s10, -1, 0
	s_delay_alu instid0(SALU_CYCLE_1)
	s_and_b32 s83, s10, vcc_lo
	s_mov_b32 s10, -1
	s_and_saveexec_b32 s82, s83
	s_cbranch_execz .LBB7_325
; %bb.302:                              ;   in Loop: Header=BB7_6 Depth=1
	ds_load_b32 v2, v22 offset:4096
	s_waitcnt lgkmcnt(0)
	s_barrier
	buffer_gl0_inv
	v_readfirstlane_b32 s28, v2
	s_and_saveexec_b32 s10, s6
	s_cbranch_execz .LBB7_304
; %bb.303:                              ;   in Loop: Header=BB7_6 Depth=1
	ds_store_b8 v0, v15 offset:3072
.LBB7_304:                              ;   in Loop: Header=BB7_6 Depth=1
	s_or_b32 exec_lo, exec_lo, s10
	s_lshl_b32 s10, 1, s17
	v_or_b32_e32 v23, s13, v23
	v_and_or_b32 v24, v24, s14, s10
	s_cmp_eq_u32 s28, 0
	s_waitcnt lgkmcnt(0)
	s_barrier
	buffer_gl0_inv
	s_cbranch_scc1 .LBB7_312
; %bb.305:                              ;   in Loop: Header=BB7_6 Depth=1
	s_add_i32 s10, s28, s59
                                        ; implicit-def: $vgpr25
	s_delay_alu instid0(SALU_CYCLE_1) | instskip(NEXT) | instid1(SALU_CYCLE_1)
	s_mul_hi_u32 s29, s10, s65
	s_mul_i32 s29, s29, s33
	s_delay_alu instid0(SALU_CYCLE_1) | instskip(NEXT) | instid1(SALU_CYCLE_1)
	s_sub_i32 s29, s10, s29
	s_sub_i32 s81, s29, s33
	s_cmp_ge_u32 s29, s33
	s_cselect_b32 s29, s81, s29
	s_delay_alu instid0(SALU_CYCLE_1) | instskip(SKIP_2) | instid1(SALU_CYCLE_1)
	s_sub_i32 s81, s29, s33
	s_cmp_ge_u32 s29, s33
	s_cselect_b32 s29, s81, s29
	s_sub_i32 s81, s10, s29
	s_mov_b32 s10, 0
	s_mov_b32 s29, exec_lo
	v_cmpx_gt_u32_e64 s81, v0
	s_cbranch_execz .LBB7_314
; %bb.306:                              ;   in Loop: Header=BB7_6 Depth=1
	v_mov_b32_e32 v2, v0
	s_mov_b32 s84, 0
                                        ; implicit-def: $sgpr85
	s_set_inst_prefetch_distance 0x1
	s_branch .LBB7_308
	.p2align	6
.LBB7_307:                              ;   in Loop: Header=BB7_308 Depth=2
	s_or_b32 exec_lo, exec_lo, s10
	s_waitcnt lgkmcnt(0)
	s_barrier
	buffer_gl0_inv
	ds_load_u16 v3, v22 offset:3072
	v_add_nc_u32_e32 v2, s33, v2
	s_waitcnt lgkmcnt(0)
	s_barrier
	buffer_gl0_inv
	v_cmp_le_u32_e32 vcc_lo, s81, v2
	v_and_b32_e32 v4, 0xff, v3
	s_delay_alu instid0(VALU_DEP_1) | instskip(NEXT) | instid1(VALU_DEP_1)
	v_cmp_ne_u16_e64 s10, 0, v4
	s_or_b32 s86, vcc_lo, s10
	s_delay_alu instid0(SALU_CYCLE_1) | instskip(NEXT) | instid1(SALU_CYCLE_1)
	s_and_b32 s86, exec_lo, s86
	s_or_b32 s84, s86, s84
	s_and_not1_b32 s85, s85, exec_lo
	s_and_b32 s10, s10, exec_lo
	s_delay_alu instid0(SALU_CYCLE_1)
	s_or_b32 s85, s85, s10
	s_and_not1_b32 exec_lo, exec_lo, s84
	s_cbranch_execz .LBB7_313
.LBB7_308:                              ;   Parent Loop BB7_6 Depth=1
                                        ; =>  This Inner Loop Header: Depth=2
	s_delay_alu instid0(VALU_DEP_1)
	v_cmp_gt_u32_e32 vcc_lo, s28, v2
	v_mov_b32_e32 v3, 0
	s_and_saveexec_b32 s10, vcc_lo
	s_cbranch_execz .LBB7_310
; %bb.309:                              ;   in Loop: Header=BB7_308 Depth=2
	ds_load_u8 v3, v2
.LBB7_310:                              ;   in Loop: Header=BB7_308 Depth=2
	s_or_b32 exec_lo, exec_lo, s10
	s_waitcnt lgkmcnt(0)
	v_and_b32_e32 v4, v3, v23
	s_delay_alu instid0(VALU_DEP_1) | instskip(NEXT) | instid1(VALU_DEP_1)
	v_and_b32_e32 v4, 0xff, v4
	v_cmp_eq_u32_e64 s10, v4, v24
	s_delay_alu instid0(VALU_DEP_1) | instskip(NEXT) | instid1(SALU_CYCLE_1)
	s_and_b32 s86, vcc_lo, s10
	s_and_saveexec_b32 s10, s86
	s_cbranch_execz .LBB7_307
; %bb.311:                              ;   in Loop: Header=BB7_308 Depth=2
	v_lshlrev_b16 v3, 8, v3
	s_delay_alu instid0(VALU_DEP_1)
	v_or_b32_e32 v3, 1, v3
	ds_store_b16 v22, v3 offset:3072
	s_branch .LBB7_307
.LBB7_312:                              ;   in Loop: Header=BB7_6 Depth=1
	s_mov_b32 s28, -1
	s_mov_b32 s10, 0
                                        ; implicit-def: $sgpr29
                                        ; implicit-def: $vgpr25
	s_mov_b32 s81, s28
	s_cbranch_execnz .LBB7_315
	s_branch .LBB7_324
.LBB7_313:                              ;   in Loop: Header=BB7_6 Depth=1
	s_set_inst_prefetch_distance 0x2
	s_or_b32 exec_lo, exec_lo, s84
	v_lshrrev_b16 v25, 8, v3
	s_and_b32 s10, s85, exec_lo
.LBB7_314:                              ;   in Loop: Header=BB7_6 Depth=1
	s_or_b32 exec_lo, exec_lo, s29
	s_mov_b32 s28, 0
	s_mov_b32 s29, -1
	s_mov_b32 s81, s28
	s_branch .LBB7_324
.LBB7_315:                              ;   in Loop: Header=BB7_6 Depth=1
	s_mov_b32 s10, 0
                                        ; implicit-def: $vgpr25
	s_and_saveexec_b32 s28, s9
	s_cbranch_execz .LBB7_323
; %bb.316:                              ;   in Loop: Header=BB7_6 Depth=1
	v_dual_mov_b32 v2, v14 :: v_dual_mov_b32 v3, v0
	s_mov_b32 s29, 0
                                        ; implicit-def: $sgpr81
	s_set_inst_prefetch_distance 0x1
	s_branch .LBB7_318
	.p2align	6
.LBB7_317:                              ;   in Loop: Header=BB7_318 Depth=2
	s_or_b32 exec_lo, exec_lo, s10
	s_waitcnt lgkmcnt(0)
	s_barrier
	buffer_gl0_inv
	ds_load_u16 v4, v22 offset:3072
	v_add_nc_u32_e32 v3, s33, v3
	v_add_nc_u32_e32 v2, s41, v2
	s_waitcnt lgkmcnt(0)
	s_barrier
	buffer_gl0_inv
	v_cmp_le_u32_e32 vcc_lo, s67, v3
	v_and_b32_e32 v25, 0xff, v4
	s_delay_alu instid0(VALU_DEP_1) | instskip(NEXT) | instid1(VALU_DEP_1)
	v_cmp_ne_u16_e64 s10, 0, v25
	s_or_b32 s84, vcc_lo, s10
	s_delay_alu instid0(SALU_CYCLE_1) | instskip(NEXT) | instid1(SALU_CYCLE_1)
	s_and_b32 s84, exec_lo, s84
	s_or_b32 s29, s84, s29
	s_and_not1_b32 s81, s81, exec_lo
	s_and_b32 s10, s10, exec_lo
	s_delay_alu instid0(SALU_CYCLE_1)
	s_or_b32 s81, s81, s10
	s_and_not1_b32 exec_lo, exec_lo, s29
	s_cbranch_execz .LBB7_322
.LBB7_318:                              ;   Parent Loop BB7_6 Depth=1
                                        ; =>  This Inner Loop Header: Depth=2
	s_delay_alu instid0(VALU_DEP_1)
	v_cmp_gt_u32_e32 vcc_lo, s36, v3
	v_mov_b32_e32 v4, 0
	s_and_saveexec_b32 s10, vcc_lo
	s_cbranch_execz .LBB7_320
; %bb.319:                              ;   in Loop: Header=BB7_318 Depth=2
	global_load_u8 v4, v2, s[30:31]
.LBB7_320:                              ;   in Loop: Header=BB7_318 Depth=2
	s_or_b32 exec_lo, exec_lo, s10
	s_waitcnt vmcnt(0)
	v_and_b32_e32 v25, v4, v23
	s_delay_alu instid0(VALU_DEP_1) | instskip(NEXT) | instid1(VALU_DEP_1)
	v_and_b32_e32 v25, 0xff, v25
	v_cmp_eq_u32_e64 s10, v25, v24
	s_delay_alu instid0(VALU_DEP_1) | instskip(NEXT) | instid1(SALU_CYCLE_1)
	s_and_b32 s84, vcc_lo, s10
	s_and_saveexec_b32 s10, s84
	s_cbranch_execz .LBB7_317
; %bb.321:                              ;   in Loop: Header=BB7_318 Depth=2
	v_lshlrev_b16 v4, 8, v4
	s_delay_alu instid0(VALU_DEP_1)
	v_or_b32_e32 v4, 1, v4
	ds_store_b16 v22, v4 offset:3072
	s_branch .LBB7_317
.LBB7_322:                              ;   in Loop: Header=BB7_6 Depth=1
	s_set_inst_prefetch_distance 0x2
	s_or_b32 exec_lo, exec_lo, s29
	v_lshrrev_b16 v25, 8, v4
	s_and_b32 s10, s81, exec_lo
.LBB7_323:                              ;   in Loop: Header=BB7_6 Depth=1
	s_or_b32 exec_lo, exec_lo, s28
	s_mov_b32 s29, 0
	s_mov_b32 s28, -1
	s_mov_b32 s81, 0
.LBB7_324:                              ;   in Loop: Header=BB7_6 Depth=1
	s_or_not1_b32 s10, s10, exec_lo
.LBB7_325:                              ;   in Loop: Header=BB7_6 Depth=1
	s_or_b32 exec_lo, exec_lo, s82
	s_mov_b32 s84, 0
                                        ; implicit-def: $vgpr27
	s_and_saveexec_b32 s82, s10
	s_cbranch_execz .LBB7_376
; %bb.326:                              ;   in Loop: Header=BB7_6 Depth=1
	v_dual_mov_b32 v2, 1 :: v_dual_mov_b32 v27, 1
	s_xor_b32 s84, s83, -1
	s_mov_b32 s83, 0
	s_and_saveexec_b32 s10, s84
	s_cbranch_execz .LBB7_336
; %bb.327:                              ;   in Loop: Header=BB7_6 Depth=1
	s_mov_b32 s84, exec_lo
                                        ; implicit-def: $sgpr85
                                        ; implicit-def: $sgpr83
	v_cmpx_ge_u32_e64 s16, v1
	s_xor_b32 s84, exec_lo, s84
	s_cbranch_execz .LBB7_333
; %bb.328:                              ;   in Loop: Header=BB7_6 Depth=1
	ds_load_b32 v2, v22 offset:4096
	s_waitcnt lgkmcnt(0)
	v_cmp_ne_u32_e32 vcc_lo, 0, v2
	s_cbranch_vccnz .LBB7_332
; %bb.329:                              ;   in Loop: Header=BB7_6 Depth=1
	s_and_saveexec_b32 s83, s5
	s_cbranch_execz .LBB7_331
; %bb.330:                              ;   in Loop: Header=BB7_6 Depth=1
	v_mov_b32_e32 v2, s16
	ds_store_b32 v22, v2 offset:4100
.LBB7_331:                              ;   in Loop: Header=BB7_6 Depth=1
	s_or_b32 exec_lo, exec_lo, s83
	s_waitcnt lgkmcnt(0)
	s_barrier
	buffer_gl0_inv
.LBB7_332:                              ;   in Loop: Header=BB7_6 Depth=1
	s_lshl_b32 s17, 1, s17
	v_or_b32_e32 v23, s13, v23
	v_and_or_b32 v24, v24, s14, s17
	s_mov_b32 s83, 0
	s_mov_b32 s85, 5
.LBB7_333:                              ;   in Loop: Header=BB7_6 Depth=1
	s_or_saveexec_b32 s17, s84
	v_mov_b32_e32 v27, s85
	s_xor_b32 exec_lo, exec_lo, s17
; %bb.334:                              ;   in Loop: Header=BB7_6 Depth=1
	v_subrev_nc_u32_e32 v1, s16, v1
	v_mov_b32_e32 v27, 0
	s_or_b32 s83, s83, exec_lo
; %bb.335:                              ;   in Loop: Header=BB7_6 Depth=1
	s_or_b32 exec_lo, exec_lo, s17
	s_delay_alu instid0(VALU_DEP_2)
	v_mov_b32_e32 v2, v1
	s_and_b32 s83, s83, exec_lo
.LBB7_336:                              ;   in Loop: Header=BB7_6 Depth=1
	s_or_b32 exec_lo, exec_lo, s10
	s_mov_b32 s17, -1
                                        ; implicit-def: $sgpr10
                                        ; implicit-def: $sgpr84
                                        ; implicit-def: $sgpr85
	s_and_saveexec_b32 s16, s83
	s_cbranch_execz .LBB7_375
; %bb.337:                              ;   in Loop: Header=BB7_6 Depth=1
	v_cmp_eq_u32_e32 vcc_lo, 1, v2
	s_cmp_eq_u32 s12, 1
	s_mov_b32 s86, -1
	s_cselect_b32 s10, -1, 0
                                        ; implicit-def: $sgpr84
                                        ; implicit-def: $sgpr85
	s_delay_alu instid0(SALU_CYCLE_1) | instskip(NEXT) | instid1(SALU_CYCLE_1)
	s_and_b32 s17, s10, vcc_lo
                                        ; implicit-def: $sgpr10
	s_and_saveexec_b32 s83, s17
	s_cbranch_execz .LBB7_362
; %bb.338:                              ;   in Loop: Header=BB7_6 Depth=1
	ds_load_b32 v1, v22 offset:4096
	s_waitcnt lgkmcnt(0)
	s_barrier
	buffer_gl0_inv
	v_readfirstlane_b32 s84, v1
	s_and_saveexec_b32 s10, s6
	s_cbranch_execz .LBB7_340
; %bb.339:                              ;   in Loop: Header=BB7_6 Depth=1
	ds_store_b8 v0, v15 offset:3072
.LBB7_340:                              ;   in Loop: Header=BB7_6 Depth=1
	s_or_b32 exec_lo, exec_lo, s10
	v_and_b32_e32 v24, s14, v24
	v_or_b32_e32 v23, s13, v23
	s_cmp_eq_u32 s84, 0
	s_waitcnt lgkmcnt(0)
	s_barrier
	buffer_gl0_inv
	s_cbranch_scc1 .LBB7_348
; %bb.341:                              ;   in Loop: Header=BB7_6 Depth=1
	s_add_i32 s10, s84, s59
                                        ; implicit-def: $vgpr25
	s_delay_alu instid0(SALU_CYCLE_1) | instskip(NEXT) | instid1(SALU_CYCLE_1)
	s_mul_hi_u32 s85, s10, s65
	s_mul_i32 s85, s85, s33
	s_delay_alu instid0(SALU_CYCLE_1) | instskip(NEXT) | instid1(SALU_CYCLE_1)
	s_sub_i32 s85, s10, s85
	s_sub_i32 s86, s85, s33
	s_cmp_ge_u32 s85, s33
	s_cselect_b32 s85, s86, s85
	s_delay_alu instid0(SALU_CYCLE_1)
	s_sub_i32 s86, s85, s33
	s_cmp_ge_u32 s85, s33
	s_cselect_b32 s85, s86, s85
	s_mov_b32 s86, 0
	s_sub_i32 s87, s10, s85
	s_mov_b32 s85, exec_lo
	v_cmpx_gt_u32_e64 s87, v0
	s_cbranch_execz .LBB7_350
; %bb.342:                              ;   in Loop: Header=BB7_6 Depth=1
	v_mov_b32_e32 v1, v0
                                        ; implicit-def: $sgpr88
	s_set_inst_prefetch_distance 0x1
	s_branch .LBB7_344
	.p2align	6
.LBB7_343:                              ;   in Loop: Header=BB7_344 Depth=2
	s_or_b32 exec_lo, exec_lo, s10
	s_waitcnt lgkmcnt(0)
	s_barrier
	buffer_gl0_inv
	ds_load_u16 v3, v22 offset:3072
	v_add_nc_u32_e32 v1, s33, v1
	s_waitcnt lgkmcnt(0)
	s_barrier
	buffer_gl0_inv
	v_cmp_le_u32_e32 vcc_lo, s87, v1
	v_and_b32_e32 v4, 0xff, v3
	s_delay_alu instid0(VALU_DEP_1) | instskip(NEXT) | instid1(VALU_DEP_1)
	v_cmp_ne_u16_e64 s10, 0, v4
	s_or_b32 s89, vcc_lo, s10
	s_delay_alu instid0(SALU_CYCLE_1) | instskip(NEXT) | instid1(SALU_CYCLE_1)
	s_and_b32 s89, exec_lo, s89
	s_or_b32 s86, s89, s86
	s_and_not1_b32 s88, s88, exec_lo
	s_and_b32 s10, s10, exec_lo
	s_delay_alu instid0(SALU_CYCLE_1)
	s_or_b32 s88, s88, s10
	s_and_not1_b32 exec_lo, exec_lo, s86
	s_cbranch_execz .LBB7_349
.LBB7_344:                              ;   Parent Loop BB7_6 Depth=1
                                        ; =>  This Inner Loop Header: Depth=2
	s_delay_alu instid0(VALU_DEP_1)
	v_cmp_gt_u32_e32 vcc_lo, s84, v1
	v_mov_b32_e32 v3, 0
	s_and_saveexec_b32 s10, vcc_lo
	s_cbranch_execz .LBB7_346
; %bb.345:                              ;   in Loop: Header=BB7_344 Depth=2
	ds_load_u8 v3, v1
.LBB7_346:                              ;   in Loop: Header=BB7_344 Depth=2
	s_or_b32 exec_lo, exec_lo, s10
	s_waitcnt lgkmcnt(0)
	v_and_b32_e32 v4, v3, v23
	s_delay_alu instid0(VALU_DEP_1) | instskip(NEXT) | instid1(VALU_DEP_1)
	v_and_b32_e32 v4, 0xff, v4
	v_cmp_eq_u32_e64 s10, v4, v24
	s_delay_alu instid0(VALU_DEP_1) | instskip(NEXT) | instid1(SALU_CYCLE_1)
	s_and_b32 s89, vcc_lo, s10
	s_and_saveexec_b32 s10, s89
	s_cbranch_execz .LBB7_343
; %bb.347:                              ;   in Loop: Header=BB7_344 Depth=2
	v_lshlrev_b16 v3, 8, v3
	s_delay_alu instid0(VALU_DEP_1)
	v_or_b32_e32 v3, 1, v3
	ds_store_b16 v22, v3 offset:3072
	s_branch .LBB7_343
.LBB7_348:                              ;   in Loop: Header=BB7_6 Depth=1
	s_mov_b32 s10, -1
	s_mov_b32 s86, 0
                                        ; implicit-def: $sgpr84
                                        ; implicit-def: $vgpr25
	s_branch .LBB7_351
.LBB7_349:                              ;   in Loop: Header=BB7_6 Depth=1
	s_set_inst_prefetch_distance 0x2
	s_or_b32 exec_lo, exec_lo, s86
	v_lshrrev_b16 v25, 8, v3
	s_and_b32 s86, s88, exec_lo
.LBB7_350:                              ;   in Loop: Header=BB7_6 Depth=1
	s_or_b32 exec_lo, exec_lo, s85
	s_mov_b32 s10, 0
	s_mov_b32 s84, -1
.LBB7_351:                              ;   in Loop: Header=BB7_6 Depth=1
	s_and_b32 vcc_lo, exec_lo, s10
	s_mov_b32 s85, s10
	s_cbranch_vccz .LBB7_361
; %bb.352:                              ;   in Loop: Header=BB7_6 Depth=1
	s_mov_b32 s86, 0
                                        ; implicit-def: $vgpr25
	s_and_saveexec_b32 s84, s9
	s_cbranch_execz .LBB7_360
; %bb.353:                              ;   in Loop: Header=BB7_6 Depth=1
	v_mov_b32_e32 v1, v14
	v_mov_b32_e32 v3, v0
	s_mov_b32 s85, 0
                                        ; implicit-def: $sgpr86
	s_set_inst_prefetch_distance 0x1
	s_branch .LBB7_355
	.p2align	6
.LBB7_354:                              ;   in Loop: Header=BB7_355 Depth=2
	s_or_b32 exec_lo, exec_lo, s10
	s_waitcnt lgkmcnt(0)
	s_barrier
	buffer_gl0_inv
	ds_load_u16 v4, v22 offset:3072
	v_add_nc_u32_e32 v3, s33, v3
	v_add_nc_u32_e32 v1, s41, v1
	s_waitcnt lgkmcnt(0)
	s_barrier
	buffer_gl0_inv
	v_cmp_le_u32_e32 vcc_lo, s67, v3
	v_and_b32_e32 v25, 0xff, v4
	s_delay_alu instid0(VALU_DEP_1) | instskip(NEXT) | instid1(VALU_DEP_1)
	v_cmp_ne_u16_e64 s10, 0, v25
	s_or_b32 s87, vcc_lo, s10
	s_delay_alu instid0(SALU_CYCLE_1) | instskip(NEXT) | instid1(SALU_CYCLE_1)
	s_and_b32 s87, exec_lo, s87
	s_or_b32 s85, s87, s85
	s_and_not1_b32 s86, s86, exec_lo
	s_and_b32 s10, s10, exec_lo
	s_delay_alu instid0(SALU_CYCLE_1)
	s_or_b32 s86, s86, s10
	s_and_not1_b32 exec_lo, exec_lo, s85
	s_cbranch_execz .LBB7_359
.LBB7_355:                              ;   Parent Loop BB7_6 Depth=1
                                        ; =>  This Inner Loop Header: Depth=2
	s_delay_alu instid0(VALU_DEP_1)
	v_cmp_gt_u32_e32 vcc_lo, s36, v3
	v_mov_b32_e32 v4, 0
	s_and_saveexec_b32 s10, vcc_lo
	s_cbranch_execz .LBB7_357
; %bb.356:                              ;   in Loop: Header=BB7_355 Depth=2
	global_load_u8 v4, v1, s[30:31]
.LBB7_357:                              ;   in Loop: Header=BB7_355 Depth=2
	s_or_b32 exec_lo, exec_lo, s10
	s_waitcnt vmcnt(0)
	v_and_b32_e32 v25, v4, v23
	s_delay_alu instid0(VALU_DEP_1) | instskip(NEXT) | instid1(VALU_DEP_1)
	v_and_b32_e32 v25, 0xff, v25
	v_cmp_eq_u32_e64 s10, v25, v24
	s_delay_alu instid0(VALU_DEP_1) | instskip(NEXT) | instid1(SALU_CYCLE_1)
	s_and_b32 s87, vcc_lo, s10
	s_and_saveexec_b32 s10, s87
	s_cbranch_execz .LBB7_354
; %bb.358:                              ;   in Loop: Header=BB7_355 Depth=2
	v_lshlrev_b16 v4, 8, v4
	s_delay_alu instid0(VALU_DEP_1)
	v_or_b32_e32 v4, 1, v4
	ds_store_b16 v22, v4 offset:3072
	s_branch .LBB7_354
.LBB7_359:                              ;   in Loop: Header=BB7_6 Depth=1
	s_set_inst_prefetch_distance 0x2
	s_or_b32 exec_lo, exec_lo, s85
	v_lshrrev_b16 v25, 8, v4
	s_and_b32 s86, s86, exec_lo
.LBB7_360:                              ;   in Loop: Header=BB7_6 Depth=1
	s_or_b32 exec_lo, exec_lo, s84
	s_mov_b32 s84, 0
	s_mov_b32 s10, -1
	s_mov_b32 s85, 0
.LBB7_361:                              ;   in Loop: Header=BB7_6 Depth=1
	s_or_not1_b32 s86, s86, exec_lo
.LBB7_362:                              ;   in Loop: Header=BB7_6 Depth=1
	s_or_b32 exec_lo, exec_lo, s83
	s_mov_b32 s87, 0
                                        ; implicit-def: $vgpr27
                                        ; implicit-def: $vgpr1
	s_and_saveexec_b32 s83, s86
	s_cbranch_execz .LBB7_374
; %bb.363:                              ;   in Loop: Header=BB7_6 Depth=1
	v_mov_b32_e32 v27, 1
	v_mov_b32_e32 v1, 1
	s_xor_b32 s86, s17, -1
	s_delay_alu instid0(SALU_CYCLE_1)
	s_and_saveexec_b32 s17, s86
	s_cbranch_execz .LBB7_373
; %bb.364:                              ;   in Loop: Header=BB7_6 Depth=1
	s_mov_b32 s86, exec_lo
                                        ; implicit-def: $sgpr87
	v_cmpx_ge_u32_e64 s12, v2
	s_xor_b32 s86, exec_lo, s86
	s_cbranch_execz .LBB7_370
; %bb.365:                              ;   in Loop: Header=BB7_6 Depth=1
	ds_load_b32 v1, v22 offset:4096
	s_waitcnt lgkmcnt(0)
	v_cmp_ne_u32_e32 vcc_lo, 0, v1
	s_cbranch_vccnz .LBB7_369
; %bb.366:                              ;   in Loop: Header=BB7_6 Depth=1
	s_and_saveexec_b32 s87, s5
	s_cbranch_execz .LBB7_368
; %bb.367:                              ;   in Loop: Header=BB7_6 Depth=1
	v_mov_b32_e32 v1, s12
	ds_store_b32 v22, v1 offset:4100
.LBB7_368:                              ;   in Loop: Header=BB7_6 Depth=1
	s_or_b32 exec_lo, exec_lo, s87
	s_waitcnt lgkmcnt(0)
	s_barrier
	buffer_gl0_inv
.LBB7_369:                              ;   in Loop: Header=BB7_6 Depth=1
	v_and_b32_e32 v24, s14, v24
	v_or_b32_e32 v23, s13, v23
	s_mov_b32 s87, 5
.LBB7_370:                              ;   in Loop: Header=BB7_6 Depth=1
	s_or_saveexec_b32 s13, s86
	v_mov_b32_e32 v27, s87
	s_xor_b32 exec_lo, exec_lo, s13
; %bb.371:                              ;   in Loop: Header=BB7_6 Depth=1
	v_subrev_nc_u32_e32 v2, s12, v2
	v_mov_b32_e32 v27, 5
; %bb.372:                              ;   in Loop: Header=BB7_6 Depth=1
	s_or_b32 exec_lo, exec_lo, s13
	s_delay_alu instid0(VALU_DEP_2)
	v_mov_b32_e32 v1, v2
.LBB7_373:                              ;   in Loop: Header=BB7_6 Depth=1
	s_or_b32 exec_lo, exec_lo, s17
	s_delay_alu instid0(SALU_CYCLE_1)
	s_mov_b32 s87, exec_lo
.LBB7_374:                              ;   in Loop: Header=BB7_6 Depth=1
	s_or_b32 exec_lo, exec_lo, s83
	s_delay_alu instid0(VALU_DEP_1)
	v_mov_b32_e32 v2, v1
	s_or_not1_b32 s17, s87, exec_lo
.LBB7_375:                              ;   in Loop: Header=BB7_6 Depth=1
	s_or_b32 exec_lo, exec_lo, s16
	s_delay_alu instid0(SALU_CYCLE_1)
	s_and_not1_b32 s12, s28, exec_lo
	s_and_b32 s10, s10, exec_lo
	s_and_not1_b32 s13, s81, exec_lo
	s_or_b32 s28, s12, s10
	s_and_not1_b32 s10, s29, exec_lo
	s_and_b32 s12, s84, exec_lo
	s_and_b32 s14, s85, exec_lo
	v_mov_b32_e32 v1, v2
	s_or_b32 s29, s10, s12
	s_or_b32 s81, s13, s14
	s_and_b32 s84, s17, exec_lo
.LBB7_376:                              ;   in Loop: Header=BB7_6 Depth=1
	s_or_b32 exec_lo, exec_lo, s82
	s_delay_alu instid0(SALU_CYCLE_1)
	s_and_b32 s82, s28, exec_lo
	s_and_b32 s29, s29, exec_lo
	;; [unrolled: 1-line block ×3, first 2 shown]
	s_or_not1_b32 s10, s84, exec_lo
.LBB7_377:                              ;   in Loop: Header=BB7_6 Depth=1
	s_or_b32 exec_lo, exec_lo, s18
	s_delay_alu instid0(SALU_CYCLE_1)
	s_and_not1_b32 s12, s22, exec_lo
	s_and_b32 s13, s82, exec_lo
	s_and_not1_b32 s14, s26, exec_lo
	s_or_b32 s22, s12, s13
	s_and_not1_b32 s12, s25, exec_lo
	s_and_b32 s13, s29, exec_lo
	s_and_b32 s16, s28, exec_lo
	v_mov_b32_e32 v4, v1
	s_or_b32 s25, s12, s13
	s_or_b32 s26, s14, s16
	s_and_b32 s29, s10, exec_lo
.LBB7_378:                              ;   in Loop: Header=BB7_6 Depth=1
	s_or_b32 exec_lo, exec_lo, s27
	s_delay_alu instid0(SALU_CYCLE_1)
	s_and_b32 s27, s22, exec_lo
	s_and_b32 s25, s25, exec_lo
	;; [unrolled: 1-line block ×3, first 2 shown]
	s_or_not1_b32 s26, s29, exec_lo
.LBB7_379:                              ;   in Loop: Header=BB7_6 Depth=1
	s_or_b32 exec_lo, exec_lo, s19
	s_mov_b32 s10, s20
	s_mov_b32 s12, s11
	s_and_saveexec_b32 s13, s26
; %bb.380:                              ;   in Loop: Header=BB7_6 Depth=1
	v_cmp_eq_u32_e32 vcc_lo, 5, v27
	v_cmp_ne_u32_e64 s10, 5, v27
	s_and_not1_b32 s12, s11, exec_lo
	s_and_not1_b32 s14, s20, exec_lo
	s_and_not1_b32 s27, s27, exec_lo
	s_and_b32 s16, vcc_lo, exec_lo
	s_and_b32 s10, s10, exec_lo
	s_and_not1_b32 s25, s25, exec_lo
	s_and_not1_b32 s22, s22, exec_lo
	s_or_b32 s12, s12, s10
	s_or_b32 s10, s14, s16
; %bb.381:                              ;   in Loop: Header=BB7_6 Depth=1
	s_or_b32 exec_lo, exec_lo, s13
	s_delay_alu instid0(SALU_CYCLE_1)
	s_and_not1_b32 s13, s23, exec_lo
	s_and_b32 s14, s27, exec_lo
	v_dual_mov_b32 v1, v24 :: v_dual_mov_b32 v2, v23
	s_or_b32 s23, s13, s14
	s_and_not1_b32 s13, s24, exec_lo
	s_and_b32 s14, s25, exec_lo
	v_mov_b32_e32 v3, v25
	s_and_not1_b32 s15, s15, exec_lo
	s_and_b32 s16, s22, exec_lo
	s_or_b32 s24, s13, s14
	s_and_not1_b32 s11, s11, exec_lo
	s_and_b32 s12, s12, exec_lo
	s_and_not1_b32 s13, s20, exec_lo
	s_and_b32 s10, s10, exec_lo
	s_or_b32 s15, s15, s16
	s_or_b32 s11, s11, s12
	;; [unrolled: 1-line block ×3, first 2 shown]
.LBB7_382:                              ;   in Loop: Header=BB7_6 Depth=1
	s_or_b32 exec_lo, exec_lo, s21
	s_mov_b32 s22, s15
	s_mov_b32 s21, s15
	s_and_saveexec_b32 s10, s20
.LBB7_383:                              ;   in Loop: Header=BB7_6 Depth=1
	v_mov_b32_e32 v27, 0
	s_and_not1_b32 s15, s15, exec_lo
	s_and_not1_b32 s23, s23, exec_lo
	;; [unrolled: 1-line block ×5, first 2 shown]
	s_or_b32 s11, s11, exec_lo
.LBB7_384:                              ;   in Loop: Header=BB7_6 Depth=1
	s_or_b32 exec_lo, exec_lo, s10
	s_delay_alu instid0(SALU_CYCLE_1)
	s_and_not1_b32 s10, s80, exec_lo
	s_and_b32 s13, s15, exec_lo
	s_and_not1_b32 s14, s77, exec_lo
	s_or_b32 s80, s10, s13
	s_and_not1_b32 s10, s79, exec_lo
	s_and_b32 s13, s23, exec_lo
	s_and_b32 s15, s24, exec_lo
	s_or_b32 s79, s10, s13
	s_or_b32 s77, s14, s15
	s_and_not1_b32 s10, s78, exec_lo
	s_and_b32 s13, s22, exec_lo
	s_and_not1_b32 s14, s76, exec_lo
	s_and_b32 s15, s21, exec_lo
	s_mov_b32 s12, -1
	s_or_b32 s78, s10, s13
	s_or_b32 s76, s14, s15
                                        ; implicit-def: $vgpr23
                                        ; implicit-def: $vgpr24
                                        ; implicit-def: $vgpr26
                                        ; implicit-def: $vgpr25
	s_and_saveexec_b32 s10, s11
	s_delay_alu instid0(SALU_CYCLE_1)
	s_xor_b32 s10, exec_lo, s10
	s_cbranch_execz .LBB7_5
; %bb.385:                              ;   in Loop: Header=BB7_6 Depth=1
	s_mov_b32 s11, -1
	s_mov_b32 s13, exec_lo
	v_cmpx_eq_u32_e32 0, v27
	s_cbranch_execz .LBB7_4
; %bb.386:                              ;   in Loop: Header=BB7_6 Depth=1
	s_xor_b32 s70, s70, 1
	s_add_i32 s14, s74, -2
	s_cmp_eq_u32 s74, 0
	s_mov_b32 s74, s14
	s_cselect_b32 s11, -1, 0
	s_xor_b32 s12, exec_lo, -1
	s_or_not1_b32 s11, s11, exec_lo
	s_branch .LBB7_4
.LBB7_387:
	s_or_b32 exec_lo, exec_lo, s53
	s_xor_b32 s7, s75, -1
	s_xor_b32 s12, s72, -1
	;; [unrolled: 1-line block ×5, first 2 shown]
	s_mov_b32 s9, 0
	s_and_saveexec_b32 s10, s8
	s_delay_alu instid0(SALU_CYCLE_1)
	s_xor_b32 s8, exec_lo, s10
	s_cbranch_execz .LBB7_444
; %bb.388:
	s_mov_b32 s10, 0
	s_and_saveexec_b32 s9, s11
	s_delay_alu instid0(SALU_CYCLE_1)
	s_xor_b32 s9, exec_lo, s9
	s_cbranch_execz .LBB7_442
; %bb.389:
	;; [unrolled: 6-line block ×4, first 2 shown]
	s_and_saveexec_b32 s7, s6
	s_delay_alu instid0(SALU_CYCLE_1)
	s_xor_b32 s6, exec_lo, s7
; %bb.392:
	v_mov_b32_e32 v3, v1
; %bb.393:
	s_or_b32 exec_lo, exec_lo, s6
	s_and_saveexec_b32 s6, s5
	s_cbranch_execz .LBB7_395
; %bb.394:
	v_mov_b32_e32 v1, 0
	ds_store_b32 v1, v1 offset:4108
.LBB7_395:
	s_or_b32 exec_lo, exec_lo, s6
	v_mov_b32_e32 v8, 0
	s_waitcnt lgkmcnt(0)
	s_barrier
	buffer_gl0_inv
	s_and_saveexec_b32 s5, s4
	s_cbranch_execz .LBB7_397
; %bb.396:
	global_load_u8 v8, v[5:6], off
.LBB7_397:
	s_or_b32 exec_lo, exec_lo, s5
	s_mul_i32 s6, s52, s50
	s_add_i32 s5, s36, 31
	s_sub_i32 s6, s48, s6
	s_and_not1_b32 s5, s5, 31
	s_add_i32 s7, s52, 1
	s_sub_i32 s12, s6, s50
	s_cmp_ge_u32 s6, s50
	v_add_nc_u32_e32 v1, s33, v0
	s_cselect_b32 s7, s7, s52
	s_cselect_b32 s6, s12, s6
	s_add_i32 s12, s7, 1
	s_cmp_ge_u32 s6, s50
	s_mul_i32 s6, s51, s49
	s_cselect_b32 s7, s12, s7
	s_sub_i32 s6, s48, s6
	s_mul_i32 s12, s7, s50
	s_mul_i32 s7, s7, s46
	s_sub_i32 s12, s48, s12
	s_add_i32 s13, s51, 1
	s_mul_i32 s12, s12, s47
	s_sub_i32 s14, s6, s49
	s_add_i32 s7, s7, s12
	s_cmp_ge_u32 s6, s49
	v_mul_lo_u32 v4, s40, v1
	s_cselect_b32 s15, s13, s51
	s_clause 0x1
	s_load_b32 s12, s[0:1], 0x1c8
	s_load_b32 s13, s[0:1], 0x2a8
	s_cselect_b32 s6, s14, s6
	s_add_i32 s14, s15, 1
	s_cmp_ge_u32 s6, s49
	s_mov_b32 s1, 0
	s_cselect_b32 s0, s14, s15
	v_and_b32_e32 v7, 0xff, v3
	s_mul_i32 s6, s0, s49
	s_mul_i32 s0, s0, s44
	s_sub_i32 s6, s48, s6
	s_mov_b32 s16, 0
	s_mul_i32 s6, s6, s45
	s_mov_b32 s17, exec_lo
	s_add_i32 s0, s0, s6
	s_add_u32 s6, s34, s7
	s_addc_u32 s7, s35, 0
	s_lshl_b64 s[14:15], s[0:1], 3
	s_mov_b32 s0, -1
	s_add_u32 s14, s42, s14
	s_addc_u32 s15, s43, s15
	v_cmpx_gt_u32_e64 s5, v0
	s_cbranch_execz .LBB7_413
; %bb.398:
	v_mul_lo_u32 v9, s40, v1
	v_dual_mov_b32 v2, 0 :: v_dual_mov_b32 v1, v0
                                        ; implicit-def: $sgpr18
                                        ; implicit-def: $vgpr13
	s_branch .LBB7_400
.LBB7_399:                              ;   in Loop: Header=BB7_400 Depth=1
	s_or_b32 exec_lo, exec_lo, s19
	s_xor_b32 s19, s20, -1
	s_and_b32 s0, exec_lo, s0
	v_dual_mov_b32 v8, v12 :: v_dual_mov_b32 v1, v10
	s_or_b32 s16, s0, s16
	s_and_not1_b32 s0, s18, exec_lo
	s_and_b32 s18, s19, exec_lo
	s_delay_alu instid0(SALU_CYCLE_1)
	s_or_b32 s18, s0, s18
	s_and_not1_b32 exec_lo, exec_lo, s16
	s_cbranch_execz .LBB7_412
.LBB7_400:                              ; =>This Inner Loop Header: Depth=1
	s_delay_alu instid0(VALU_DEP_1) | instskip(SKIP_2) | instid1(VALU_DEP_2)
	v_add_nc_u32_e32 v10, s33, v1
	v_mov_b32_e32 v12, 0
	s_mov_b32 s0, exec_lo
	v_cmpx_gt_u32_e64 s36, v10
	s_cbranch_execz .LBB7_402
; %bb.401:                              ;   in Loop: Header=BB7_400 Depth=1
	global_load_u8 v12, v9, s[30:31]
.LBB7_402:                              ;   in Loop: Header=BB7_400 Depth=1
	s_or_b32 exec_lo, exec_lo, s0
	s_waitcnt vmcnt(0)
	v_and_b32_e32 v14, 0xff, v8
	s_delay_alu instid0(VALU_DEP_1) | instskip(SKIP_4) | instid1(VALU_DEP_2)
	v_cmp_gt_u16_e32 vcc_lo, v14, v7
	v_cndmask_b32_e64 v15, 0, 1, vcc_lo
	v_cmp_lt_u16_e32 vcc_lo, v14, v7
	v_cndmask_b32_e64 v14, 0, 1, vcc_lo
	v_cmp_gt_u32_e32 vcc_lo, s36, v1
	v_cndmask_b32_e64 v14, v14, v15, s3
	s_delay_alu instid0(VALU_DEP_1) | instskip(NEXT) | instid1(VALU_DEP_1)
	v_and_b32_e32 v14, 1, v14
	v_cmp_eq_u32_e64 s0, 1, v14
	s_delay_alu instid0(VALU_DEP_1) | instskip(NEXT) | instid1(SALU_CYCLE_1)
	s_and_b32 s19, vcc_lo, s0
	v_cndmask_b32_e64 v14, 0, 1, s19
	s_delay_alu instid0(VALU_DEP_1) | instskip(SKIP_2) | instid1(SALU_CYCLE_1)
	v_cmp_ne_u32_e32 vcc_lo, 0, v14
	s_cmp_lg_u32 vcc_lo, 0
	s_cselect_b32 s0, -1, 0
	s_and_b32 s0, s2, s0
	s_delay_alu instid0(SALU_CYCLE_1)
	s_and_saveexec_b32 s20, s0
	s_cbranch_execz .LBB7_406
; %bb.403:                              ;   in Loop: Header=BB7_400 Depth=1
	s_mov_b32 s23, exec_lo
	s_bcnt1_i32_b32 s21, vcc_lo
	s_waitcnt lgkmcnt(0)
	v_mbcnt_lo_u32_b32 v13, s23, 0
	s_mov_b32 s22, exec_lo
                                        ; implicit-def: $vgpr14
	s_delay_alu instid0(VALU_DEP_1)
	v_cmpx_eq_u32_e32 0, v13
	s_cbranch_execz .LBB7_405
; %bb.404:                              ;   in Loop: Header=BB7_400 Depth=1
	s_bcnt1_i32_b32 s0, s23
	s_delay_alu instid0(SALU_CYCLE_1) | instskip(NEXT) | instid1(SALU_CYCLE_1)
	s_mul_i32 s0, s21, s0
	v_mov_b32_e32 v14, s0
	ds_add_rtn_u32 v14, v2, v14 offset:4108
.LBB7_405:                              ;   in Loop: Header=BB7_400 Depth=1
	s_or_b32 exec_lo, exec_lo, s22
	s_waitcnt lgkmcnt(0)
	v_readfirstlane_b32 s0, v14
	s_delay_alu instid0(VALU_DEP_1)
	v_mad_u32_u24 v13, s21, v13, s0
.LBB7_406:                              ;   in Loop: Header=BB7_400 Depth=1
	s_or_b32 exec_lo, exec_lo, s20
	s_waitcnt lgkmcnt(0)
	ds_bpermute_b32 v13, v2, v13
	s_mov_b32 s0, -1
	s_mov_b32 s22, -1
                                        ; implicit-def: $sgpr20
	s_and_saveexec_b32 s21, s19
	s_cbranch_execz .LBB7_410
; %bb.407:                              ;   in Loop: Header=BB7_400 Depth=1
	v_and_b32_e32 v14, vcc_lo, v11
	s_mov_b32 s19, 0
	s_mov_b32 s20, exec_lo
	s_waitcnt lgkmcnt(0)
	s_delay_alu instid0(VALU_DEP_1) | instskip(NEXT) | instid1(VALU_DEP_1)
	v_bcnt_u32_b32 v14, v14, v13
	v_cmpx_gt_u32_e64 s37, v14
	s_cbranch_execz .LBB7_409
; %bb.408:                              ;   in Loop: Header=BB7_400 Depth=1
	v_mul_lo_u32 v15, v14, s13
	v_mov_b32_e32 v16, v2
	v_mul_lo_u32 v17, v14, s12
	s_mov_b32 s19, exec_lo
	s_delay_alu instid0(VALU_DEP_2) | instskip(NEXT) | instid1(VALU_DEP_1)
	v_lshlrev_b64 v[15:16], 3, v[15:16]
	v_add_co_u32 v14, vcc_lo, s14, v15
	s_delay_alu instid0(VALU_DEP_2)
	v_add_co_ci_u32_e32 v15, vcc_lo, s15, v16, vcc_lo
	global_store_b8 v17, v8, s[6:7]
	global_store_b64 v[14:15], v[1:2], off
.LBB7_409:                              ;   in Loop: Header=BB7_400 Depth=1
	s_or_b32 exec_lo, exec_lo, s20
	s_mov_b32 s20, -1
	s_or_not1_b32 s22, s19, exec_lo
.LBB7_410:                              ;   in Loop: Header=BB7_400 Depth=1
	s_or_b32 exec_lo, exec_lo, s21
	s_and_saveexec_b32 s19, s22
	s_cbranch_execz .LBB7_399
; %bb.411:                              ;   in Loop: Header=BB7_400 Depth=1
	v_cmp_le_u32_e32 vcc_lo, s5, v10
	v_add_nc_u32_e32 v9, s41, v9
	s_and_not1_b32 s20, s20, exec_lo
	s_or_not1_b32 s0, vcc_lo, exec_lo
	s_branch .LBB7_399
.LBB7_412:
	s_or_b32 exec_lo, exec_lo, s16
	s_delay_alu instid0(SALU_CYCLE_1)
	s_mov_b32 s16, exec_lo
	s_or_not1_b32 s0, s18, exec_lo
.LBB7_413:
	s_or_b32 exec_lo, exec_lo, s17
	s_and_saveexec_b32 s3, s0
	s_cbranch_execz .LBB7_436
; %bb.414:
	s_waitcnt vmcnt(0)
	v_dual_mov_b32 v1, 0 :: v_dual_mov_b32 v8, 0
	s_waitcnt lgkmcnt(0)
	s_waitcnt_vscnt null, 0x0
	s_barrier
	buffer_gl0_inv
	s_and_saveexec_b32 s0, s4
	s_cbranch_execz .LBB7_416
; %bb.415:
	global_load_u8 v8, v[5:6], off
.LBB7_416:
	s_or_b32 exec_lo, exec_lo, s0
	s_mov_b32 s4, 0
                                        ; implicit-def: $sgpr1
                                        ; implicit-def: $sgpr17
                                        ; implicit-def: $sgpr18
                                        ; implicit-def: $vgpr2
	s_branch .LBB7_419
.LBB7_417:                              ;   in Loop: Header=BB7_419 Depth=1
	s_or_b32 exec_lo, exec_lo, s21
	v_mov_b32_e32 v0, v5
	s_and_not1_b32 s0, s18, exec_lo
	s_and_b32 s18, s23, exec_lo
	s_and_not1_b32 s17, s17, exec_lo
	s_and_b32 s20, s20, exec_lo
	s_or_b32 s18, s0, s18
	s_or_b32 s17, s17, s20
.LBB7_418:                              ;   in Loop: Header=BB7_419 Depth=1
	s_or_b32 exec_lo, exec_lo, s19
	s_xor_b32 s0, s18, -1
	s_and_b32 s19, exec_lo, s17
	s_delay_alu instid0(SALU_CYCLE_1) | instskip(SKIP_2) | instid1(SALU_CYCLE_1)
	s_or_b32 s4, s19, s4
	s_and_not1_b32 s1, s1, exec_lo
	s_and_b32 s0, s0, exec_lo
	s_or_b32 s1, s1, s0
	s_and_not1_b32 exec_lo, exec_lo, s4
	s_cbranch_execz .LBB7_434
.LBB7_419:                              ; =>This Inner Loop Header: Depth=1
	s_or_b32 s18, s18, exec_lo
	s_or_b32 s17, s17, exec_lo
	s_mov_b32 s19, exec_lo
	v_cmpx_gt_u32_e64 s5, v0
	s_cbranch_execz .LBB7_418
; %bb.420:                              ;   in Loop: Header=BB7_419 Depth=1
	v_dual_mov_b32 v6, 0 :: v_dual_add_nc_u32 v5, s33, v0
	s_mov_b32 s0, exec_lo
	s_delay_alu instid0(VALU_DEP_1)
	v_cmpx_gt_u32_e64 s36, v5
	s_cbranch_execz .LBB7_422
; %bb.421:                              ;   in Loop: Header=BB7_419 Depth=1
	global_load_u8 v6, v4, s[30:31]
.LBB7_422:                              ;   in Loop: Header=BB7_419 Depth=1
	s_or_b32 exec_lo, exec_lo, s0
	s_waitcnt vmcnt(0)
	v_and_b32_e32 v9, 0xff, v8
	v_cmp_gt_u32_e32 vcc_lo, s36, v0
	s_delay_alu instid0(VALU_DEP_2) | instskip(NEXT) | instid1(VALU_DEP_1)
	v_cmp_eq_u16_e64 s0, v9, v7
	s_and_b32 s21, vcc_lo, s0
	s_delay_alu instid0(SALU_CYCLE_1) | instskip(NEXT) | instid1(VALU_DEP_1)
	v_cndmask_b32_e64 v9, 0, 1, s21
	v_cmp_ne_u32_e32 vcc_lo, 0, v9
	s_cmp_lg_u32 vcc_lo, 0
	s_cselect_b32 s0, -1, 0
	s_delay_alu instid0(SALU_CYCLE_1) | instskip(NEXT) | instid1(SALU_CYCLE_1)
	s_and_b32 s0, s2, s0
	s_and_saveexec_b32 s20, s0
	s_cbranch_execz .LBB7_426
; %bb.423:                              ;   in Loop: Header=BB7_419 Depth=1
	s_mov_b32 s24, exec_lo
	s_bcnt1_i32_b32 s22, vcc_lo
	v_mbcnt_lo_u32_b32 v2, s24, 0
	s_mov_b32 s23, exec_lo
                                        ; implicit-def: $vgpr9
	s_delay_alu instid0(VALU_DEP_1)
	v_cmpx_eq_u32_e32 0, v2
	s_cbranch_execz .LBB7_425
; %bb.424:                              ;   in Loop: Header=BB7_419 Depth=1
	s_bcnt1_i32_b32 s0, s24
	s_delay_alu instid0(SALU_CYCLE_1) | instskip(NEXT) | instid1(SALU_CYCLE_1)
	s_mul_i32 s0, s22, s0
	v_mov_b32_e32 v9, s0
	ds_add_rtn_u32 v9, v1, v9 offset:4108
.LBB7_425:                              ;   in Loop: Header=BB7_419 Depth=1
	s_or_b32 exec_lo, exec_lo, s23
	s_waitcnt lgkmcnt(0)
	v_readfirstlane_b32 s0, v9
	s_delay_alu instid0(VALU_DEP_1)
	v_mad_u32_u24 v2, s22, v2, s0
.LBB7_426:                              ;   in Loop: Header=BB7_419 Depth=1
	s_or_b32 exec_lo, exec_lo, s20
	ds_bpermute_b32 v2, v1, v2
	s_cmp_eq_u32 vcc_lo, 0
	s_mov_b32 s20, -1
	s_cselect_b32 s22, -1, 0
	s_mov_b32 s23, -1
	s_waitcnt lgkmcnt(0)
	v_cmp_gt_u32_e64 s0, s37, v2
	s_delay_alu instid0(VALU_DEP_1) | instskip(SKIP_3) | instid1(SALU_CYCLE_1)
	s_or_b32 s0, s22, s0
	s_mov_b32 s22, -1
	v_cndmask_b32_e64 v8, v8, v6, s0
	s_and_b32 s24, s21, s0
	s_and_saveexec_b32 s21, s24
	s_cbranch_execz .LBB7_432
; %bb.427:                              ;   in Loop: Header=BB7_419 Depth=1
	v_and_b32_e32 v8, vcc_lo, v11
	v_sub_nc_u32_e32 v9, s37, v2
	s_mov_b32 s24, -1
	s_mov_b32 s23, exec_lo
	s_delay_alu instid0(VALU_DEP_2) | instskip(NEXT) | instid1(VALU_DEP_1)
	v_bcnt_u32_b32 v8, v8, 0
	v_cmp_le_u32_e64 s22, v9, v8
	v_cmpx_gt_u32_e64 v9, v8
	s_cbranch_execz .LBB7_431
; %bb.428:                              ;   in Loop: Header=BB7_419 Depth=1
	v_add_nc_u32_e32 v8, v2, v8
	s_delay_alu instid0(VALU_DEP_3) | instskip(SKIP_1) | instid1(VALU_DEP_1)
	s_mov_b32 s25, s22
	s_mov_b32 s24, exec_lo
	v_cmpx_gt_u32_e64 s37, v8
	s_cbranch_execz .LBB7_430
; %bb.429:                              ;   in Loop: Header=BB7_419 Depth=1
	v_mul_lo_u32 v9, v8, s13
	v_mov_b32_e32 v10, v1
	v_mul_lo_u32 v12, v8, s12
	s_or_b32 s25, s22, exec_lo
	s_delay_alu instid0(VALU_DEP_2)
	v_lshlrev_b64 v[9:10], 3, v[9:10]
	global_store_b8 v12, v3, s[6:7]
	v_add_co_u32 v8, vcc_lo, s14, v9
	v_add_co_ci_u32_e32 v9, vcc_lo, s15, v10, vcc_lo
	global_store_b64 v[8:9], v[0:1], off
.LBB7_430:                              ;   in Loop: Header=BB7_419 Depth=1
	s_or_b32 exec_lo, exec_lo, s24
	s_delay_alu instid0(SALU_CYCLE_1)
	s_and_not1_b32 s22, s22, exec_lo
	s_and_b32 s25, s25, exec_lo
	s_xor_b32 s24, exec_lo, -1
	s_or_b32 s22, s22, s25
.LBB7_431:                              ;   in Loop: Header=BB7_419 Depth=1
	s_or_b32 exec_lo, exec_lo, s23
	v_mov_b32_e32 v8, v6
	s_or_not1_b32 s23, s24, exec_lo
	s_or_b32 s0, s0, exec_lo
	s_or_not1_b32 s22, s22, exec_lo
.LBB7_432:                              ;   in Loop: Header=BB7_419 Depth=1
	s_or_b32 exec_lo, exec_lo, s21
	s_and_saveexec_b32 s21, s22
	s_cbranch_execz .LBB7_417
; %bb.433:                              ;   in Loop: Header=BB7_419 Depth=1
	v_add_nc_u32_e32 v4, s41, v4
	s_xor_b32 s0, s0, -1
	s_or_b32 s23, s23, exec_lo
	s_or_not1_b32 s20, s0, exec_lo
	s_branch .LBB7_417
.LBB7_434:
	s_or_b32 exec_lo, exec_lo, s4
	s_mov_b32 s0, 0
	s_and_saveexec_b32 s2, s1
	s_delay_alu instid0(SALU_CYCLE_1)
	s_xor_b32 s1, exec_lo, s2
	s_cbranch_execnz .LBB7_466
.LBB7_435:
	s_or_b32 exec_lo, exec_lo, s1
	s_delay_alu instid0(SALU_CYCLE_1)
	s_and_b32 s1, s0, exec_lo
	s_and_not1_b32 s16, s16, exec_lo
.LBB7_436:
	s_or_b32 exec_lo, exec_lo, s3
	s_and_saveexec_b32 s0, s16
	s_delay_alu instid0(SALU_CYCLE_1)
	s_xor_b32 s0, exec_lo, s0
	s_cbranch_execnz .LBB7_462
.LBB7_437:
	s_or_b32 exec_lo, exec_lo, s0
	s_waitcnt lgkmcnt(0)
	s_and_b32 s12, s1, exec_lo
.LBB7_438:
	s_and_not1_saveexec_b32 s0, s11
	s_cbranch_execnz .LBB7_458
.LBB7_439:
	s_or_b32 exec_lo, exec_lo, s0
	s_delay_alu instid0(SALU_CYCLE_1)
	s_and_b32 s11, s12, exec_lo
.LBB7_440:
	s_and_not1_saveexec_b32 s0, s10
	s_cbranch_execnz .LBB7_454
.LBB7_441:
	s_or_b32 exec_lo, exec_lo, s0
	s_delay_alu instid0(SALU_CYCLE_1)
	s_and_b32 s10, s11, exec_lo
.LBB7_442:
	s_and_not1_saveexec_b32 s0, s9
	s_cbranch_execnz .LBB7_450
.LBB7_443:
	s_or_b32 exec_lo, exec_lo, s0
	s_delay_alu instid0(SALU_CYCLE_1)
	s_and_b32 s9, s10, exec_lo
.LBB7_444:
	s_and_not1_saveexec_b32 s0, s8
	s_cbranch_execnz .LBB7_448
; %bb.445:
	s_or_b32 exec_lo, exec_lo, s0
	s_and_saveexec_b32 s0, s9
.LBB7_446:
	; divergent unreachable
.LBB7_447:
	s_nop 0
	s_sendmsg sendmsg(MSG_DEALLOC_VGPRS)
	s_endpgm
.LBB7_448:
	s_cbranch_execnz .LBB7_452
; %bb.449:
	s_or_b32 s9, s9, exec_lo
	s_or_b32 exec_lo, exec_lo, s0
	s_and_saveexec_b32 s0, s9
	s_cbranch_execnz .LBB7_446
	s_branch .LBB7_447
.LBB7_450:
	s_cbranch_execnz .LBB7_456
; %bb.451:
	s_or_b32 s10, s10, exec_lo
	s_branch .LBB7_443
.LBB7_452:
	s_trap 2
	s_sendmsg_rtn_b32 s0, sendmsg(MSG_RTN_GET_DOORBELL)
	s_mov_b32 ttmp2, m0
	s_waitcnt lgkmcnt(0)
	s_and_b32 s0, s0, 0x3ff
	s_delay_alu instid0(SALU_CYCLE_1) | instskip(NEXT) | instid1(SALU_CYCLE_1)
	s_bitset1_b32 s0, 10
	s_mov_b32 m0, s0
	s_sendmsg sendmsg(MSG_INTERRUPT)
	s_mov_b32 m0, ttmp2
.LBB7_453:                              ; =>This Inner Loop Header: Depth=1
	s_sethalt 5
	s_branch .LBB7_453
.LBB7_454:
	s_cbranch_execnz .LBB7_460
; %bb.455:
	s_or_b32 s11, s11, exec_lo
	s_branch .LBB7_441
.LBB7_456:
	s_trap 2
	s_sendmsg_rtn_b32 s0, sendmsg(MSG_RTN_GET_DOORBELL)
	s_mov_b32 ttmp2, m0
	s_waitcnt lgkmcnt(0)
	s_and_b32 s0, s0, 0x3ff
	s_delay_alu instid0(SALU_CYCLE_1) | instskip(NEXT) | instid1(SALU_CYCLE_1)
	s_bitset1_b32 s0, 10
	s_mov_b32 m0, s0
	s_sendmsg sendmsg(MSG_INTERRUPT)
	s_mov_b32 m0, ttmp2
.LBB7_457:                              ; =>This Inner Loop Header: Depth=1
	s_sethalt 5
	s_branch .LBB7_457
.LBB7_458:
	s_cbranch_execnz .LBB7_464
; %bb.459:
	s_or_b32 s12, s12, exec_lo
	s_branch .LBB7_439
.LBB7_460:
	s_trap 2
	s_sendmsg_rtn_b32 s0, sendmsg(MSG_RTN_GET_DOORBELL)
	s_mov_b32 ttmp2, m0
	s_waitcnt lgkmcnt(0)
	s_and_b32 s0, s0, 0x3ff
	s_delay_alu instid0(SALU_CYCLE_1) | instskip(NEXT) | instid1(SALU_CYCLE_1)
	s_bitset1_b32 s0, 10
	s_mov_b32 m0, s0
	s_sendmsg sendmsg(MSG_INTERRUPT)
	s_mov_b32 m0, ttmp2
.LBB7_461:                              ; =>This Inner Loop Header: Depth=1
	s_sethalt 5
	s_branch .LBB7_461
.LBB7_462:
	s_cbranch_execnz .LBB7_468
; %bb.463:
	s_or_b32 s1, s1, exec_lo
	s_branch .LBB7_437
.LBB7_464:
	s_trap 2
	s_sendmsg_rtn_b32 s0, sendmsg(MSG_RTN_GET_DOORBELL)
	s_mov_b32 ttmp2, m0
	s_waitcnt lgkmcnt(0)
	s_and_b32 s0, s0, 0x3ff
	s_delay_alu instid0(SALU_CYCLE_1) | instskip(NEXT) | instid1(SALU_CYCLE_1)
	s_bitset1_b32 s0, 10
	s_mov_b32 m0, s0
	s_sendmsg sendmsg(MSG_INTERRUPT)
	s_mov_b32 m0, ttmp2
.LBB7_465:                              ; =>This Inner Loop Header: Depth=1
	s_sethalt 5
	s_branch .LBB7_465
.LBB7_466:
	s_cbranch_execnz .LBB7_470
; %bb.467:
	s_mov_b32 s0, exec_lo
	s_branch .LBB7_435
.LBB7_468:
	s_trap 2
	s_sendmsg_rtn_b32 s0, sendmsg(MSG_RTN_GET_DOORBELL)
	s_mov_b32 ttmp2, m0
	s_waitcnt lgkmcnt(0)
	s_and_b32 s0, s0, 0x3ff
	s_delay_alu instid0(SALU_CYCLE_1) | instskip(NEXT) | instid1(SALU_CYCLE_1)
	s_bitset1_b32 s0, 10
	s_mov_b32 m0, s0
	s_sendmsg sendmsg(MSG_INTERRUPT)
	s_mov_b32 m0, ttmp2
.LBB7_469:                              ; =>This Inner Loop Header: Depth=1
	s_sethalt 5
	s_branch .LBB7_469
.LBB7_470:
	s_trap 2
	s_sendmsg_rtn_b32 s0, sendmsg(MSG_RTN_GET_DOORBELL)
	s_mov_b32 ttmp2, m0
	s_waitcnt lgkmcnt(0)
	s_and_b32 s0, s0, 0x3ff
	s_delay_alu instid0(SALU_CYCLE_1) | instskip(NEXT) | instid1(SALU_CYCLE_1)
	s_bitset1_b32 s0, 10
	s_mov_b32 m0, s0
	s_sendmsg sendmsg(MSG_INTERRUPT)
	s_mov_b32 m0, ttmp2
.LBB7_471:                              ; =>This Inner Loop Header: Depth=1
	s_sethalt 5
	s_branch .LBB7_471
	.section	.rodata,"a",@progbits
	.p2align	6, 0x0
	.amdhsa_kernel _ZN2at6native6sbtopk10gatherTopKIhjLi2ELb0EEEvNS_4cuda6detail10TensorInfoIKT_T0_EES8_S8_bS8_S8_NS5_IS6_S8_EES8_NS5_IlS8_EES8_PS6_
		.amdhsa_group_segment_fixed_size 4112
		.amdhsa_private_segment_fixed_size 0
		.amdhsa_kernarg_size 952
		.amdhsa_user_sgpr_count 13
		.amdhsa_user_sgpr_dispatch_ptr 0
		.amdhsa_user_sgpr_queue_ptr 0
		.amdhsa_user_sgpr_kernarg_segment_ptr 1
		.amdhsa_user_sgpr_dispatch_id 0
		.amdhsa_user_sgpr_private_segment_size 0
		.amdhsa_wavefront_size32 1
		.amdhsa_uses_dynamic_stack 0
		.amdhsa_enable_private_segment 0
		.amdhsa_system_sgpr_workgroup_id_x 1
		.amdhsa_system_sgpr_workgroup_id_y 1
		.amdhsa_system_sgpr_workgroup_id_z 1
		.amdhsa_system_sgpr_workgroup_info 0
		.amdhsa_system_vgpr_workitem_id 0
		.amdhsa_next_free_vgpr 40
		.amdhsa_next_free_sgpr 94
		.amdhsa_reserve_vcc 1
		.amdhsa_float_round_mode_32 0
		.amdhsa_float_round_mode_16_64 0
		.amdhsa_float_denorm_mode_32 3
		.amdhsa_float_denorm_mode_16_64 3
		.amdhsa_dx10_clamp 1
		.amdhsa_ieee_mode 1
		.amdhsa_fp16_overflow 0
		.amdhsa_workgroup_processor_mode 1
		.amdhsa_memory_ordered 1
		.amdhsa_forward_progress 0
		.amdhsa_shared_vgpr_count 0
		.amdhsa_exception_fp_ieee_invalid_op 0
		.amdhsa_exception_fp_denorm_src 0
		.amdhsa_exception_fp_ieee_div_zero 0
		.amdhsa_exception_fp_ieee_overflow 0
		.amdhsa_exception_fp_ieee_underflow 0
		.amdhsa_exception_fp_ieee_inexact 0
		.amdhsa_exception_int_div_zero 0
	.end_amdhsa_kernel
	.section	.text._ZN2at6native6sbtopk10gatherTopKIhjLi2ELb0EEEvNS_4cuda6detail10TensorInfoIKT_T0_EES8_S8_bS8_S8_NS5_IS6_S8_EES8_NS5_IlS8_EES8_PS6_,"axG",@progbits,_ZN2at6native6sbtopk10gatherTopKIhjLi2ELb0EEEvNS_4cuda6detail10TensorInfoIKT_T0_EES8_S8_bS8_S8_NS5_IS6_S8_EES8_NS5_IlS8_EES8_PS6_,comdat
.Lfunc_end7:
	.size	_ZN2at6native6sbtopk10gatherTopKIhjLi2ELb0EEEvNS_4cuda6detail10TensorInfoIKT_T0_EES8_S8_bS8_S8_NS5_IS6_S8_EES8_NS5_IlS8_EES8_PS6_, .Lfunc_end7-_ZN2at6native6sbtopk10gatherTopKIhjLi2ELb0EEEvNS_4cuda6detail10TensorInfoIKT_T0_EES8_S8_bS8_S8_NS5_IS6_S8_EES8_NS5_IlS8_EES8_PS6_
                                        ; -- End function
	.section	.AMDGPU.csdata,"",@progbits
; Kernel info:
; codeLenInByte = 15344
; NumSgprs: 96
; NumVgprs: 40
; ScratchSize: 0
; MemoryBound: 0
; FloatMode: 240
; IeeeMode: 1
; LDSByteSize: 4112 bytes/workgroup (compile time only)
; SGPRBlocks: 11
; VGPRBlocks: 4
; NumSGPRsForWavesPerEU: 96
; NumVGPRsForWavesPerEU: 40
; Occupancy: 16
; WaveLimiterHint : 1
; COMPUTE_PGM_RSRC2:SCRATCH_EN: 0
; COMPUTE_PGM_RSRC2:USER_SGPR: 13
; COMPUTE_PGM_RSRC2:TRAP_HANDLER: 0
; COMPUTE_PGM_RSRC2:TGID_X_EN: 1
; COMPUTE_PGM_RSRC2:TGID_Y_EN: 1
; COMPUTE_PGM_RSRC2:TGID_Z_EN: 1
; COMPUTE_PGM_RSRC2:TIDIG_COMP_CNT: 0
	.section	.text._ZN2at6native6mbtopk23computeBlockDigitCountsIhjjLi3EEEvNS_4cuda6detail10TensorInfoIKT_T0_EEjPjjS8_iijT1_PSB_Ps,"axG",@progbits,_ZN2at6native6mbtopk23computeBlockDigitCountsIhjjLi3EEEvNS_4cuda6detail10TensorInfoIKT_T0_EEjPjjS8_iijT1_PSB_Ps,comdat
	.protected	_ZN2at6native6mbtopk23computeBlockDigitCountsIhjjLi3EEEvNS_4cuda6detail10TensorInfoIKT_T0_EEjPjjS8_iijT1_PSB_Ps ; -- Begin function _ZN2at6native6mbtopk23computeBlockDigitCountsIhjjLi3EEEvNS_4cuda6detail10TensorInfoIKT_T0_EEjPjjS8_iijT1_PSB_Ps
	.globl	_ZN2at6native6mbtopk23computeBlockDigitCountsIhjjLi3EEEvNS_4cuda6detail10TensorInfoIKT_T0_EEjPjjS8_iijT1_PSB_Ps
	.p2align	8
	.type	_ZN2at6native6mbtopk23computeBlockDigitCountsIhjjLi3EEEvNS_4cuda6detail10TensorInfoIKT_T0_EEjPjjS8_iijT1_PSB_Ps,@function
_ZN2at6native6mbtopk23computeBlockDigitCountsIhjjLi3EEEvNS_4cuda6detail10TensorInfoIKT_T0_EEjPjjS8_iijT1_PSB_Ps: ; @_ZN2at6native6mbtopk23computeBlockDigitCountsIhjjLi3EEEvNS_4cuda6detail10TensorInfoIKT_T0_EEjPjjS8_iijT1_PSB_Ps
; %bb.0:
	s_clause 0x2
	s_load_b64 s[2:3], s[0:1], 0xf8
	s_load_b128 s[8:11], s[0:1], 0xe8
	s_load_b64 s[4:5], s[0:1], 0x110
	s_waitcnt lgkmcnt(0)
	v_cvt_f32_u32_e32 v1, s2
	s_sub_i32 s7, 0, s2
	s_mul_i32 s5, s5, s15
	s_mov_b32 s15, 0
	s_add_i32 s5, s5, s14
	v_rcp_iflag_f32_e32 v1, v1
	s_mul_i32 s16, s5, s4
	s_delay_alu instid0(SALU_CYCLE_1) | instskip(SKIP_2) | instid1(VALU_DEP_1)
	s_add_i32 s16, s16, s13
	s_waitcnt_depctr 0xfff
	v_mul_f32_e32 v1, 0x4f7ffffe, v1
	v_cvt_u32_f32_e32 v1, v1
	s_delay_alu instid0(VALU_DEP_1) | instskip(NEXT) | instid1(VALU_DEP_1)
	v_readfirstlane_b32 s6, v1
	s_mul_i32 s7, s7, s6
	s_delay_alu instid0(SALU_CYCLE_1) | instskip(NEXT) | instid1(SALU_CYCLE_1)
	s_mul_hi_u32 s4, s6, s7
	s_add_i32 s6, s6, s4
	s_delay_alu instid0(SALU_CYCLE_1) | instskip(NEXT) | instid1(SALU_CYCLE_1)
	s_mul_hi_u32 s4, s16, s6
	s_mul_i32 s5, s4, s2
	s_add_i32 s6, s4, 1
	s_sub_i32 s5, s16, s5
	s_delay_alu instid0(SALU_CYCLE_1)
	s_sub_i32 s7, s5, s2
	s_cmp_ge_u32 s5, s2
	s_cselect_b32 s4, s6, s4
	s_cselect_b32 s5, s7, s5
	s_add_i32 s6, s4, 1
	s_cmp_ge_u32 s5, s2
	s_cselect_b32 s14, s6, s4
	s_delay_alu instid0(SALU_CYCLE_1)
	s_cmp_ge_u32 s14, s8
	s_cbranch_scc1 .LBB8_29
; %bb.1:
	s_clause 0x1
	s_load_b64 s[12:13], s[0:1], 0xc
	s_load_b128 s[4:7], s[0:1], 0x100
	s_lshl_b64 s[18:19], s[14:15], 2
	v_cmp_gt_u32_e32 vcc_lo, 0x100, v0
	s_waitcnt lgkmcnt(0)
	v_cvt_f32_u32_e32 v1, s13
	v_cvt_f32_u32_e32 v2, s12
	s_add_u32 s4, s4, s18
	s_addc_u32 s5, s5, s19
	s_sub_i32 s15, 0, s13
	v_rcp_iflag_f32_e32 v1, v1
	v_rcp_iflag_f32_e32 v2, v2
	s_waitcnt_depctr 0xfff
	v_mul_f32_e32 v1, 0x4f7ffffe, v1
	s_delay_alu instid0(VALU_DEP_1) | instskip(NEXT) | instid1(VALU_DEP_1)
	v_cvt_u32_f32_e32 v1, v1
	v_readfirstlane_b32 s8, v1
	v_mul_f32_e32 v1, 0x4f7ffffe, v2
	s_delay_alu instid0(VALU_DEP_2) | instskip(NEXT) | instid1(VALU_DEP_1)
	s_mul_i32 s15, s15, s8
	v_cvt_u32_f32_e32 v1, v1
	s_mul_hi_u32 s15, s8, s15
	s_delay_alu instid0(SALU_CYCLE_1) | instskip(NEXT) | instid1(VALU_DEP_1)
	s_add_i32 s8, s8, s15
	v_readfirstlane_b32 s19, v1
	s_mul_hi_u32 s8, s14, s8
	v_lshlrev_b32_e32 v1, 2, v0
	s_mul_i32 s15, s8, s13
	s_add_i32 s17, s8, 1
	s_sub_i32 s15, s14, s15
	s_delay_alu instid0(SALU_CYCLE_1)
	s_sub_i32 s18, s15, s13
	s_cmp_ge_u32 s15, s13
	s_cselect_b32 s8, s17, s8
	s_cselect_b32 s15, s18, s15
	s_add_i32 s17, s8, 1
	s_cmp_ge_u32 s15, s13
	s_cselect_b32 s18, s17, s8
	s_and_saveexec_b32 s8, vcc_lo
	s_cbranch_execz .LBB8_3
; %bb.2:
	v_mov_b32_e32 v2, 0
	ds_store_b32 v1, v2
.LBB8_3:
	s_or_b32 exec_lo, exec_lo, s8
	s_load_b32 s8, s[0:1], 0xd8
	s_mul_i32 s15, s14, s2
	s_waitcnt lgkmcnt(0)
	s_sub_i32 s17, s16, s15
	s_barrier
	s_mul_i32 s15, s11, s17
	s_add_i32 s17, s17, 1
	s_lshl_b32 s15, s15, 8
	buffer_gl0_inv
	s_sub_i32 s20, s8, s15
	s_delay_alu instid0(SALU_CYCLE_1) | instskip(SKIP_4) | instid1(VALU_DEP_1)
	s_add_u32 s20, s20, 0xff
	s_addc_u32 s21, 0, 0
	s_cmp_lt_u32 s17, s2
	v_alignbit_b32 v2, s21, s20, 8
	s_mov_b32 s17, 0
	v_readfirstlane_b32 s20, v2
	s_delay_alu instid0(VALU_DEP_1) | instskip(NEXT) | instid1(SALU_CYCLE_1)
	s_cselect_b32 s11, s11, s20
	s_cmp_lt_i32 s11, 1
	s_cbranch_scc1 .LBB8_25
; %bb.4:
	s_sub_i32 s2, 0, s12
	s_clause 0x1
	s_load_b128 s[20:23], s[0:1], 0x6c
	s_load_b64 s[24:25], s[0:1], 0x0
	s_mul_i32 s2, s2, s19
	s_mul_i32 s1, s18, s13
	s_mul_hi_u32 s2, s19, s2
	s_sub_i32 s13, s14, s1
	s_add_i32 s19, s19, s2
	s_load_b32 s1, s[4:5], 0x0
	s_mul_hi_u32 s0, s18, s19
	s_delay_alu instid0(SALU_CYCLE_1) | instskip(SKIP_2) | instid1(SALU_CYCLE_1)
	s_mul_i32 s2, s0, s12
	s_add_i32 s14, s0, 1
	s_sub_i32 s2, s18, s2
	s_sub_i32 s19, s2, s12
	s_cmp_ge_u32 s2, s12
	s_cselect_b32 s0, s14, s0
	s_cselect_b32 s2, s19, s2
	s_add_i32 s4, s0, 1
	s_cmp_ge_u32 s2, s12
	s_waitcnt lgkmcnt(0)
	s_mul_i32 s13, s13, s22
	s_cselect_b32 s0, s4, s0
	s_delay_alu instid0(SALU_CYCLE_1) | instskip(SKIP_2) | instid1(SALU_CYCLE_1)
	s_mul_i32 s2, s0, s12
	s_mul_i32 s0, s0, s20
	s_sub_i32 s2, s18, s2
	s_mul_i32 s2, s2, s21
	s_delay_alu instid0(SALU_CYCLE_1) | instskip(NEXT) | instid1(SALU_CYCLE_1)
	s_add_i32 s2, s2, s13
	s_add_i32 s2, s2, s0
	s_delay_alu instid0(SALU_CYCLE_1)
	s_add_u32 s4, s24, s2
	s_addc_u32 s5, s25, 0
	s_and_b32 s2, s10, 0xff
	s_cmp_lt_u32 s11, 4
	s_cbranch_scc1 .LBB8_19
; %bb.5:
	v_dual_mov_b32 v7, 1 :: v_dual_add_nc_u32 v6, s15, v0
	s_and_b32 s17, s11, 0x7ffffffc
	s_lshl_b32 s10, s9, 10
	s_mov_b32 s12, 0
	s_delay_alu instid0(VALU_DEP_1)
	v_add_nc_u32_e32 v2, 0x300, v6
	v_add_nc_u32_e32 v4, 0x200, v6
	;; [unrolled: 1-line block ×3, first 2 shown]
	v_mul_lo_u32 v6, s9, v6
	s_mov_b32 s13, 0
	v_mul_lo_u32 v3, s9, v2
	v_mul_lo_u32 v4, s9, v4
	;; [unrolled: 1-line block ×3, first 2 shown]
	s_branch .LBB8_7
.LBB8_6:                                ;   in Loop: Header=BB8_7 Depth=1
	s_or_b32 exec_lo, exec_lo, s14
	v_add_nc_u32_e32 v2, 0x400, v2
	s_add_i32 s13, s13, 4
	s_add_i32 s12, s12, s10
	s_cmp_eq_u32 s17, s13
	s_cbranch_scc1 .LBB8_19
.LBB8_7:                                ; =>This Inner Loop Header: Depth=1
	v_add_nc_u32_e32 v8, 0xfffffd00, v2
	s_mov_b32 s14, exec_lo
	s_delay_alu instid0(VALU_DEP_1)
	v_cmpx_gt_u32_e64 s8, v8
	s_cbranch_execz .LBB8_10
; %bb.8:                                ;   in Loop: Header=BB8_7 Depth=1
	v_add_nc_u32_e32 v8, s12, v6
	global_load_u8 v8, v8, s[4:5]
	s_waitcnt vmcnt(0)
	v_xor_b32_e32 v9, s1, v8
	s_delay_alu instid0(VALU_DEP_1) | instskip(NEXT) | instid1(VALU_DEP_1)
	v_and_b32_e32 v9, s3, v9
	v_cmp_eq_u32_e64 s0, 0, v9
	s_delay_alu instid0(VALU_DEP_1)
	s_and_b32 exec_lo, exec_lo, s0
	s_cbranch_execz .LBB8_10
; %bb.9:                                ;   in Loop: Header=BB8_7 Depth=1
	v_lshrrev_b32_e32 v8, s2, v8
	s_delay_alu instid0(VALU_DEP_1)
	v_lshlrev_b32_e32 v8, 2, v8
	ds_add_u32 v8, v7
.LBB8_10:                               ;   in Loop: Header=BB8_7 Depth=1
	s_or_b32 exec_lo, exec_lo, s14
	v_add_nc_u32_e32 v8, 0xfffffe00, v2
	s_mov_b32 s14, exec_lo
	s_delay_alu instid0(VALU_DEP_1)
	v_cmpx_gt_u32_e64 s8, v8
	s_cbranch_execz .LBB8_13
; %bb.11:                               ;   in Loop: Header=BB8_7 Depth=1
	v_add_nc_u32_e32 v8, s12, v5
	global_load_u8 v8, v8, s[4:5]
	s_waitcnt vmcnt(0)
	v_xor_b32_e32 v9, s1, v8
	s_delay_alu instid0(VALU_DEP_1) | instskip(NEXT) | instid1(VALU_DEP_1)
	v_and_b32_e32 v9, s3, v9
	v_cmp_eq_u32_e64 s0, 0, v9
	s_delay_alu instid0(VALU_DEP_1)
	s_and_b32 exec_lo, exec_lo, s0
	s_cbranch_execz .LBB8_13
; %bb.12:                               ;   in Loop: Header=BB8_7 Depth=1
	v_lshrrev_b32_e32 v8, s2, v8
	s_delay_alu instid0(VALU_DEP_1)
	v_lshlrev_b32_e32 v8, 2, v8
	ds_add_u32 v8, v7
.LBB8_13:                               ;   in Loop: Header=BB8_7 Depth=1
	s_or_b32 exec_lo, exec_lo, s14
	v_add_nc_u32_e32 v8, 0xffffff00, v2
	s_mov_b32 s14, exec_lo
	s_delay_alu instid0(VALU_DEP_1)
	v_cmpx_gt_u32_e64 s8, v8
	s_cbranch_execz .LBB8_16
; %bb.14:                               ;   in Loop: Header=BB8_7 Depth=1
	v_add_nc_u32_e32 v8, s12, v4
	global_load_u8 v8, v8, s[4:5]
	s_waitcnt vmcnt(0)
	v_xor_b32_e32 v9, s1, v8
	s_delay_alu instid0(VALU_DEP_1) | instskip(NEXT) | instid1(VALU_DEP_1)
	v_and_b32_e32 v9, s3, v9
	v_cmp_eq_u32_e64 s0, 0, v9
	s_delay_alu instid0(VALU_DEP_1)
	s_and_b32 exec_lo, exec_lo, s0
	s_cbranch_execz .LBB8_16
; %bb.15:                               ;   in Loop: Header=BB8_7 Depth=1
	v_lshrrev_b32_e32 v8, s2, v8
	s_delay_alu instid0(VALU_DEP_1)
	v_lshlrev_b32_e32 v8, 2, v8
	ds_add_u32 v8, v7
.LBB8_16:                               ;   in Loop: Header=BB8_7 Depth=1
	s_or_b32 exec_lo, exec_lo, s14
	s_delay_alu instid0(SALU_CYCLE_1)
	s_mov_b32 s14, exec_lo
	v_cmpx_gt_u32_e64 s8, v2
	s_cbranch_execz .LBB8_6
; %bb.17:                               ;   in Loop: Header=BB8_7 Depth=1
	v_add_nc_u32_e32 v8, s12, v3
	global_load_u8 v8, v8, s[4:5]
	s_waitcnt vmcnt(0)
	v_xor_b32_e32 v9, s1, v8
	s_delay_alu instid0(VALU_DEP_1) | instskip(NEXT) | instid1(VALU_DEP_1)
	v_and_b32_e32 v9, s3, v9
	v_cmp_eq_u32_e64 s0, 0, v9
	s_delay_alu instid0(VALU_DEP_1)
	s_and_b32 exec_lo, exec_lo, s0
	s_cbranch_execz .LBB8_6
; %bb.18:                               ;   in Loop: Header=BB8_7 Depth=1
	v_lshrrev_b32_e32 v8, s2, v8
	s_delay_alu instid0(VALU_DEP_1)
	v_lshlrev_b32_e32 v8, 2, v8
	ds_add_u32 v8, v7
	s_branch .LBB8_6
.LBB8_19:
	s_and_b32 s10, s11, 3
	s_delay_alu instid0(SALU_CYCLE_1)
	s_cmp_eq_u32 s10, 0
	s_cbranch_scc1 .LBB8_25
; %bb.20:
	s_lshl_b32 s0, s17, 8
	v_mov_b32_e32 v4, 1
	v_add3_u32 v2, s0, s15, v0
	s_delay_alu instid0(VALU_DEP_1)
	v_mul_lo_u32 v3, s9, v2
	s_lshl_b32 s9, s9, 8
	s_branch .LBB8_22
	.p2align	6
.LBB8_21:                               ;   in Loop: Header=BB8_22 Depth=1
	s_or_b32 exec_lo, exec_lo, s11
	s_delay_alu instid0(VALU_DEP_2) | instskip(SKIP_2) | instid1(SALU_CYCLE_1)
	v_add_nc_u32_e32 v3, s9, v3
	v_add_nc_u32_e32 v2, 0x100, v2
	s_add_i32 s10, s10, -1
	s_cmp_lg_u32 s10, 0
	s_cbranch_scc0 .LBB8_25
.LBB8_22:                               ; =>This Inner Loop Header: Depth=1
	s_mov_b32 s11, exec_lo
	v_cmpx_gt_u32_e64 s8, v2
	s_cbranch_execz .LBB8_21
; %bb.23:                               ;   in Loop: Header=BB8_22 Depth=1
	global_load_u8 v5, v3, s[4:5]
	s_waitcnt vmcnt(0)
	v_xor_b32_e32 v6, s1, v5
	s_delay_alu instid0(VALU_DEP_1) | instskip(NEXT) | instid1(VALU_DEP_1)
	v_and_b32_e32 v6, s3, v6
	v_cmp_eq_u32_e64 s0, 0, v6
	s_delay_alu instid0(VALU_DEP_1)
	s_and_b32 exec_lo, exec_lo, s0
	s_cbranch_execz .LBB8_21
; %bb.24:                               ;   in Loop: Header=BB8_22 Depth=1
	v_lshrrev_b32_e32 v5, s2, v5
	s_delay_alu instid0(VALU_DEP_1)
	v_lshlrev_b32_e32 v5, 2, v5
	ds_add_u32 v5, v4
	s_branch .LBB8_21
.LBB8_25:
	v_mov_b32_e32 v2, 0
	s_waitcnt lgkmcnt(0)
	s_barrier
	buffer_gl0_inv
	s_and_saveexec_b32 s0, vcc_lo
	s_cbranch_execz .LBB8_27
; %bb.26:
	ds_load_b32 v2, v1
.LBB8_27:
	s_or_b32 exec_lo, exec_lo, s0
	s_and_saveexec_b32 s0, vcc_lo
	s_cbranch_execz .LBB8_29
; %bb.28:
	v_lshl_or_b32 v0, s16, 8, v0
	v_mov_b32_e32 v1, 0
	s_delay_alu instid0(VALU_DEP_1) | instskip(NEXT) | instid1(VALU_DEP_1)
	v_lshlrev_b64 v[0:1], 1, v[0:1]
	v_add_co_u32 v0, vcc_lo, s6, v0
	s_delay_alu instid0(VALU_DEP_2)
	v_add_co_ci_u32_e32 v1, vcc_lo, s7, v1, vcc_lo
	s_waitcnt lgkmcnt(0)
	global_store_b16 v[0:1], v2, off
.LBB8_29:
	s_nop 0
	s_sendmsg sendmsg(MSG_DEALLOC_VGPRS)
	s_endpgm
	.section	.rodata,"a",@progbits
	.p2align	6, 0x0
	.amdhsa_kernel _ZN2at6native6mbtopk23computeBlockDigitCountsIhjjLi3EEEvNS_4cuda6detail10TensorInfoIKT_T0_EEjPjjS8_iijT1_PSB_Ps
		.amdhsa_group_segment_fixed_size 1024
		.amdhsa_private_segment_fixed_size 0
		.amdhsa_kernarg_size 528
		.amdhsa_user_sgpr_count 13
		.amdhsa_user_sgpr_dispatch_ptr 0
		.amdhsa_user_sgpr_queue_ptr 0
		.amdhsa_user_sgpr_kernarg_segment_ptr 1
		.amdhsa_user_sgpr_dispatch_id 0
		.amdhsa_user_sgpr_private_segment_size 0
		.amdhsa_wavefront_size32 1
		.amdhsa_uses_dynamic_stack 0
		.amdhsa_enable_private_segment 0
		.amdhsa_system_sgpr_workgroup_id_x 1
		.amdhsa_system_sgpr_workgroup_id_y 1
		.amdhsa_system_sgpr_workgroup_id_z 1
		.amdhsa_system_sgpr_workgroup_info 0
		.amdhsa_system_vgpr_workitem_id 0
		.amdhsa_next_free_vgpr 10
		.amdhsa_next_free_sgpr 26
		.amdhsa_reserve_vcc 1
		.amdhsa_float_round_mode_32 0
		.amdhsa_float_round_mode_16_64 0
		.amdhsa_float_denorm_mode_32 3
		.amdhsa_float_denorm_mode_16_64 3
		.amdhsa_dx10_clamp 1
		.amdhsa_ieee_mode 1
		.amdhsa_fp16_overflow 0
		.amdhsa_workgroup_processor_mode 1
		.amdhsa_memory_ordered 1
		.amdhsa_forward_progress 0
		.amdhsa_shared_vgpr_count 0
		.amdhsa_exception_fp_ieee_invalid_op 0
		.amdhsa_exception_fp_denorm_src 0
		.amdhsa_exception_fp_ieee_div_zero 0
		.amdhsa_exception_fp_ieee_overflow 0
		.amdhsa_exception_fp_ieee_underflow 0
		.amdhsa_exception_fp_ieee_inexact 0
		.amdhsa_exception_int_div_zero 0
	.end_amdhsa_kernel
	.section	.text._ZN2at6native6mbtopk23computeBlockDigitCountsIhjjLi3EEEvNS_4cuda6detail10TensorInfoIKT_T0_EEjPjjS8_iijT1_PSB_Ps,"axG",@progbits,_ZN2at6native6mbtopk23computeBlockDigitCountsIhjjLi3EEEvNS_4cuda6detail10TensorInfoIKT_T0_EEjPjjS8_iijT1_PSB_Ps,comdat
.Lfunc_end8:
	.size	_ZN2at6native6mbtopk23computeBlockDigitCountsIhjjLi3EEEvNS_4cuda6detail10TensorInfoIKT_T0_EEjPjjS8_iijT1_PSB_Ps, .Lfunc_end8-_ZN2at6native6mbtopk23computeBlockDigitCountsIhjjLi3EEEvNS_4cuda6detail10TensorInfoIKT_T0_EEjPjjS8_iijT1_PSB_Ps
                                        ; -- End function
	.section	.AMDGPU.csdata,"",@progbits
; Kernel info:
; codeLenInByte = 1432
; NumSgprs: 28
; NumVgprs: 10
; ScratchSize: 0
; MemoryBound: 0
; FloatMode: 240
; IeeeMode: 1
; LDSByteSize: 1024 bytes/workgroup (compile time only)
; SGPRBlocks: 3
; VGPRBlocks: 1
; NumSGPRsForWavesPerEU: 28
; NumVGPRsForWavesPerEU: 10
; Occupancy: 16
; WaveLimiterHint : 1
; COMPUTE_PGM_RSRC2:SCRATCH_EN: 0
; COMPUTE_PGM_RSRC2:USER_SGPR: 13
; COMPUTE_PGM_RSRC2:TRAP_HANDLER: 0
; COMPUTE_PGM_RSRC2:TGID_X_EN: 1
; COMPUTE_PGM_RSRC2:TGID_Y_EN: 1
; COMPUTE_PGM_RSRC2:TGID_Z_EN: 1
; COMPUTE_PGM_RSRC2:TIDIG_COMP_CNT: 0
	.section	.text._ZN2at6native6mbtopk10gatherTopKIhjLi3EEEvNS_4cuda6detail10TensorInfoIKT_T0_EES8_S8_bjS8_NS5_IS6_S8_EES8_NS5_IlS8_EES8_jjPS6_PjSD_j,"axG",@progbits,_ZN2at6native6mbtopk10gatherTopKIhjLi3EEEvNS_4cuda6detail10TensorInfoIKT_T0_EES8_S8_bjS8_NS5_IS6_S8_EES8_NS5_IlS8_EES8_jjPS6_PjSD_j,comdat
	.protected	_ZN2at6native6mbtopk10gatherTopKIhjLi3EEEvNS_4cuda6detail10TensorInfoIKT_T0_EES8_S8_bjS8_NS5_IS6_S8_EES8_NS5_IlS8_EES8_jjPS6_PjSD_j ; -- Begin function _ZN2at6native6mbtopk10gatherTopKIhjLi3EEEvNS_4cuda6detail10TensorInfoIKT_T0_EES8_S8_bjS8_NS5_IS6_S8_EES8_NS5_IlS8_EES8_jjPS6_PjSD_j
	.globl	_ZN2at6native6mbtopk10gatherTopKIhjLi3EEEvNS_4cuda6detail10TensorInfoIKT_T0_EES8_S8_bjS8_NS5_IS6_S8_EES8_NS5_IlS8_EES8_jjPS6_PjSD_j
	.p2align	8
	.type	_ZN2at6native6mbtopk10gatherTopKIhjLi3EEEvNS_4cuda6detail10TensorInfoIKT_T0_EES8_S8_bjS8_NS5_IS6_S8_EES8_NS5_IlS8_EES8_jjPS6_PjSD_j,@function
_ZN2at6native6mbtopk10gatherTopKIhjLi3EEEvNS_4cuda6detail10TensorInfoIKT_T0_EES8_S8_bjS8_NS5_IS6_S8_EES8_NS5_IlS8_EES8_jjPS6_PjSD_j: ; @_ZN2at6native6mbtopk10gatherTopKIhjLi3EEEvNS_4cuda6detail10TensorInfoIKT_T0_EES8_S8_bjS8_NS5_IS6_S8_EES8_NS5_IlS8_EES8_jjPS6_PjSD_j
; %bb.0:
	s_clause 0x1
	s_load_b64 s[2:3], s[0:1], 0x2d8
	s_load_b32 s4, s[0:1], 0x2d0
	s_waitcnt lgkmcnt(0)
	s_mul_i32 s3, s3, s15
	s_delay_alu instid0(SALU_CYCLE_1) | instskip(NEXT) | instid1(SALU_CYCLE_1)
	s_add_i32 s3, s3, s14
	s_mul_i32 s2, s3, s2
	s_delay_alu instid0(SALU_CYCLE_1) | instskip(NEXT) | instid1(SALU_CYCLE_1)
	s_add_i32 s2, s2, s13
	s_cmp_ge_u32 s2, s4
	s_cbranch_scc1 .LBB9_40
; %bb.1:
	s_clause 0x6
	s_load_b256 s[4:11], s[0:1], 0x2a8
	s_load_b64 s[40:41], s[0:1], 0xc
	s_load_b64 s[38:39], s[0:1], 0xfc
	;; [unrolled: 1-line block ×3, first 2 shown]
	s_load_b128 s[16:19], s[0:1], 0x15c
	s_load_b64 s[30:31], s[0:1], 0x1d0
	s_load_b64 s[34:35], s[0:1], 0x1dc
	s_waitcnt lgkmcnt(0)
	v_cvt_f32_u32_e32 v1, s6
	v_cvt_f32_u32_e32 v2, s40
	s_sub_i32 s7, 0, s6
	s_delay_alu instid0(VALU_DEP_2) | instskip(NEXT) | instid1(VALU_DEP_1)
	v_rcp_iflag_f32_e32 v1, v1
	v_rcp_iflag_f32_e32 v2, v2
	v_cvt_f32_u32_e32 v3, s34
	s_waitcnt_depctr 0xfff
	v_dual_mul_f32 v1, 0x4f7ffffe, v1 :: v_dual_mul_f32 v2, 0x4f7ffffe, v2
	s_delay_alu instid0(VALU_DEP_1) | instskip(NEXT) | instid1(VALU_DEP_2)
	v_cvt_u32_f32_e32 v1, v1
	v_cvt_u32_f32_e32 v2, v2
	s_delay_alu instid0(VALU_DEP_2) | instskip(NEXT) | instid1(VALU_DEP_1)
	v_readfirstlane_b32 s3, v1
	s_mul_i32 s7, s7, s3
	s_delay_alu instid0(SALU_CYCLE_1) | instskip(NEXT) | instid1(SALU_CYCLE_1)
	s_mul_hi_u32 s7, s3, s7
	s_add_i32 s3, s3, s7
	s_delay_alu instid0(SALU_CYCLE_1) | instskip(NEXT) | instid1(SALU_CYCLE_1)
	s_mul_hi_u32 s3, s2, s3
	s_mul_i32 s7, s3, s6
	s_add_i32 s12, s3, 1
	s_sub_i32 s7, s2, s7
	s_delay_alu instid0(SALU_CYCLE_1)
	s_sub_i32 s13, s7, s6
	s_cmp_ge_u32 s7, s6
	s_cselect_b32 s3, s12, s3
	s_cselect_b32 s7, s13, s7
	s_add_i32 s12, s3, 1
	s_cmp_ge_u32 s7, s6
	s_cselect_b32 s7, s12, s3
	s_load_b128 s[12:15], s[0:1], 0x23c
	v_mov_b32_e32 v1, s7
	global_load_u8 v6, v1, s[8:9]
	v_cvt_f32_u32_e32 v1, s41
	s_sub_i32 s8, 0, s41
	s_clause 0x1
	s_load_b64 s[36:37], s[0:1], 0xf0
	s_load_b128 s[20:23], s[0:1], 0x6c
	v_rcp_iflag_f32_e32 v1, v1
	s_waitcnt_depctr 0xfff
	v_mul_f32_e32 v1, 0x4f7ffffe, v1
	s_delay_alu instid0(VALU_DEP_1) | instskip(NEXT) | instid1(VALU_DEP_1)
	v_cvt_u32_f32_e32 v1, v1
	v_readfirstlane_b32 s3, v1
	v_cvt_f32_u32_e32 v1, s39
	s_delay_alu instid0(VALU_DEP_2) | instskip(NEXT) | instid1(VALU_DEP_1)
	s_mul_i32 s8, s8, s3
	v_rcp_iflag_f32_e32 v1, v1
	s_mul_hi_u32 s8, s3, s8
	s_delay_alu instid0(SALU_CYCLE_1)
	s_add_i32 s3, s3, s8
	s_mul_i32 s8, s7, s6
	s_mul_hi_u32 s3, s7, s3
	s_waitcnt lgkmcnt(0)
	s_sub_i32 s15, s2, s8
	s_mul_i32 s9, s3, s41
	s_delay_alu instid0(SALU_CYCLE_1)
	s_sub_i32 s2, s7, s9
	s_waitcnt_depctr 0xfff
	v_mul_f32_e32 v1, 0x4f7ffffe, v1
	s_add_i32 s9, s3, 1
	s_sub_i32 s19, s2, s41
	s_cmp_ge_u32 s2, s41
	s_delay_alu instid0(VALU_DEP_1)
	v_cvt_u32_f32_e32 v1, v1
	s_cselect_b32 s3, s9, s3
	s_cselect_b32 s2, s19, s2
	s_add_i32 s9, s3, 1
	s_cmp_ge_u32 s2, s41
	v_readfirstlane_b32 s2, v1
	v_cvt_f32_u32_e32 v1, s35
	s_cselect_b32 s23, s9, s3
	v_readfirstlane_b32 s9, v2
	v_cvt_f32_u32_e32 v2, s38
	s_sub_i32 s19, 0, s39
	v_rcp_iflag_f32_e32 v1, v1
	s_mul_i32 s19, s19, s2
	s_sub_i32 s3, 0, s40
	s_mul_hi_u32 s19, s2, s19
	v_rcp_iflag_f32_e32 v2, v2
	s_add_i32 s2, s2, s19
	s_mul_i32 s3, s3, s9
	s_mul_hi_u32 s2, s7, s2
	s_mul_hi_u32 s3, s9, s3
	s_mul_i32 s19, s2, s39
	s_waitcnt_depctr 0xfff
	v_mul_f32_e32 v1, 0x4f7ffffe, v1
	s_add_i32 s3, s9, s3
	s_sub_i32 s9, s7, s19
	s_add_i32 s19, s2, 1
	v_mul_f32_e32 v2, 0x4f7ffffe, v2
	s_sub_i32 s24, s9, s39
	s_cmp_ge_u32 s9, s39
	v_cvt_u32_f32_e32 v1, v1
	s_cselect_b32 s2, s19, s2
	s_cselect_b32 s9, s24, s9
	s_add_i32 s19, s2, 1
	v_cvt_u32_f32_e32 v2, v2
	s_cmp_ge_u32 s9, s39
	v_readfirstlane_b32 s9, v1
	v_rcp_iflag_f32_e32 v1, v3
	s_cselect_b32 s33, s19, s2
	s_sub_i32 s19, 0, s35
	v_readfirstlane_b32 s2, v2
	s_mul_i32 s19, s19, s9
	s_sub_i32 s24, 0, s38
	s_mul_hi_u32 s19, s9, s19
	s_mul_hi_u32 s50, s23, s3
	s_mul_i32 s24, s24, s2
	s_add_i32 s9, s9, s19
	s_mul_hi_u32 s19, s2, s24
	s_mul_hi_u32 s9, s7, s9
	s_waitcnt_depctr 0xfff
	v_mul_f32_e32 v1, 0x4f7ffffe, v1
	s_add_i32 s24, s2, s19
	s_mul_i32 s2, s9, s35
	s_add_i32 s19, s9, 1
	s_sub_i32 s2, s7, s2
	v_cvt_u32_f32_e32 v1, v1
	s_sub_i32 s25, s2, s35
	s_cmp_ge_u32 s2, s35
	v_cmp_eq_u32_e64 s3, 0, v0
	s_cselect_b32 s9, s19, s9
	s_cselect_b32 s2, s25, s2
	s_add_i32 s19, s9, 1
	v_readfirstlane_b32 s25, v1
	s_cmp_ge_u32 s2, s35
	s_mul_hi_u32 s49, s33, s24
	s_cselect_b32 s19, s19, s9
	s_sub_i32 s2, 0, s34
	s_mov_b32 s9, 0
	s_mul_i32 s2, s2, s25
	s_delay_alu instid0(SALU_CYCLE_1) | instskip(SKIP_2) | instid1(SALU_CYCLE_1)
	s_mul_hi_u32 s26, s25, s2
	v_cmp_ne_u32_e64 s2, 0, v0
	s_add_i32 s25, s25, s26
	s_mul_hi_u32 s48, s19, s25
	s_and_saveexec_b32 s51, s3
	s_cbranch_execz .LBB9_17
; %bb.2:
	s_load_b64 s[42:43], s[0:1], 0x2c8
	s_lshl_b64 s[44:45], s[8:9], 2
	s_mov_b32 s8, 0
	s_add_u32 s24, s10, s44
	s_addc_u32 s25, s11, s45
	s_mov_b32 s52, 0
	s_waitcnt lgkmcnt(0)
	s_add_u32 s26, s42, s44
	s_addc_u32 s27, s43, s45
	s_cmp_lt_u32 s6, 4
	s_cbranch_scc1 .LBB9_14
; %bb.3:
	s_mov_b32 s53, 0
.LBB9_4:                                ; =>This Inner Loop Header: Depth=1
	s_add_u32 s24, s10, s44
	s_addc_u32 s25, s11, s45
	s_add_u32 s46, s42, s44
	s_load_b128 s[24:27], s[24:25], 0x0
	s_addc_u32 s47, s43, s45
	s_cmp_ge_u32 s53, s15
	s_cbranch_scc0 .LBB9_11
; %bb.5:                                ;   in Loop: Header=BB9_4 Depth=1
	s_add_i32 s54, s53, 1
	s_delay_alu instid0(SALU_CYCLE_1)
	s_cmp_ge_u32 s54, s15
	s_cbranch_scc0 .LBB9_12
.LBB9_6:                                ;   in Loop: Header=BB9_4 Depth=1
	s_add_i32 s54, s54, 1
	s_delay_alu instid0(SALU_CYCLE_1)
	s_cmp_ge_u32 s54, s15
	s_cbranch_scc0 .LBB9_13
.LBB9_7:                                ;   in Loop: Header=BB9_4 Depth=1
	s_add_i32 s54, s54, 1
	s_delay_alu instid0(SALU_CYCLE_1)
	s_cmp_ge_u32 s54, s15
	s_cbranch_scc1 .LBB9_9
.LBB9_8:                                ;   in Loop: Header=BB9_4 Depth=1
	s_load_b32 s46, s[46:47], 0xc
	s_waitcnt lgkmcnt(0)
	s_add_i32 s9, s9, s27
	s_add_i32 s8, s46, s8
.LBB9_9:                                ;   in Loop: Header=BB9_4 Depth=1
	s_waitcnt lgkmcnt(0)
	s_add_i32 s24, s24, s52
	s_delay_alu instid0(SALU_CYCLE_1) | instskip(NEXT) | instid1(SALU_CYCLE_1)
	s_add_i32 s24, s24, s25
	s_add_i32 s24, s24, s26
	s_delay_alu instid0(SALU_CYCLE_1)
	s_add_i32 s52, s24, s27
	s_add_u32 s10, s10, 16
	s_addc_u32 s11, s11, 0
	s_add_u32 s42, s42, 16
	s_addc_u32 s43, s43, 0
	s_add_i32 s47, s54, 4
	s_add_u32 s26, s42, s44
	s_addc_u32 s27, s43, s45
	s_add_u32 s24, s10, s44
	s_addc_u32 s25, s11, s45
	s_add_i32 s46, s54, 1
	s_cmp_ge_u32 s47, s6
	s_cbranch_scc1 .LBB9_15
; %bb.10:                               ;   in Loop: Header=BB9_4 Depth=1
	s_mov_b32 s53, s46
	s_branch .LBB9_4
.LBB9_11:                               ;   in Loop: Header=BB9_4 Depth=1
	s_load_b32 s54, s[46:47], 0x0
	s_waitcnt lgkmcnt(0)
	s_add_i32 s9, s24, s9
	s_add_i32 s8, s54, s8
	;; [unrolled: 1-line block ×3, first 2 shown]
	s_delay_alu instid0(SALU_CYCLE_1)
	s_cmp_ge_u32 s54, s15
	s_cbranch_scc1 .LBB9_6
.LBB9_12:                               ;   in Loop: Header=BB9_4 Depth=1
	s_load_b32 s55, s[46:47], 0x4
	s_waitcnt lgkmcnt(0)
	s_add_i32 s9, s9, s25
	s_add_i32 s8, s55, s8
	;; [unrolled: 1-line block ×3, first 2 shown]
	s_delay_alu instid0(SALU_CYCLE_1)
	s_cmp_ge_u32 s54, s15
	s_cbranch_scc1 .LBB9_7
.LBB9_13:                               ;   in Loop: Header=BB9_4 Depth=1
	s_load_b32 s55, s[46:47], 0x8
	s_waitcnt lgkmcnt(0)
	s_add_i32 s9, s9, s26
	s_add_i32 s8, s55, s8
	;; [unrolled: 1-line block ×3, first 2 shown]
	s_delay_alu instid0(SALU_CYCLE_1)
	s_cmp_ge_u32 s54, s15
	s_cbranch_scc0 .LBB9_8
	s_branch .LBB9_9
.LBB9_14:
	s_mov_b32 s10, 0
	s_delay_alu instid0(SALU_CYCLE_1)
	s_cmp_ge_u32 s10, s6
	s_cbranch_scc0 .LBB9_38
	s_branch .LBB9_16
.LBB9_15:
	s_add_i32 s10, s53, 4
	s_delay_alu instid0(SALU_CYCLE_1)
	s_cmp_ge_u32 s10, s6
	s_cbranch_scc0 .LBB9_38
.LBB9_16:
	v_dual_mov_b32 v1, s8 :: v_dual_mov_b32 v2, s52
	v_dual_mov_b32 v3, s9 :: v_dual_mov_b32 v4, 0
	ds_store_b96 v4, v[1:3] offset:1056
.LBB9_17:
	s_or_b32 exec_lo, exec_lo, s51
	s_load_b128 s[8:11], s[0:1], 0xd8
	s_waitcnt lgkmcnt(0)
	s_mul_i32 s11, s5, s15
	s_add_i32 s15, s15, 1
	s_lshl_b32 s24, s11, 8
	s_waitcnt vmcnt(0)
	s_barrier
	buffer_gl0_inv
	s_sub_i32 s11, s8, s24
	s_delay_alu instid0(SALU_CYCLE_1) | instskip(SKIP_4) | instid1(VALU_DEP_1)
	s_add_u32 s11, s11, 0xff
	s_addc_u32 s25, 0, 0
	s_cmp_lt_u32 s15, s6
	v_alignbit_b32 v1, s25, s11, 8
	s_mov_b32 s15, 0
	v_readfirstlane_b32 s11, v1
	s_delay_alu instid0(VALU_DEP_1) | instskip(NEXT) | instid1(SALU_CYCLE_1)
	s_cselect_b32 s5, s5, s11
	s_cmp_eq_u32 s5, 0
	s_cbranch_scc1 .LBB9_40
; %bb.18:
	s_mul_i32 s11, s50, s40
	s_mul_i32 s6, s23, s41
	s_sub_i32 s11, s23, s11
	s_sub_i32 s6, s7, s6
	s_add_i32 s25, s50, 1
	s_sub_i32 s26, s11, s40
	s_cmp_ge_u32 s11, s40
	s_mul_i32 s6, s6, s22
	s_cselect_b32 s25, s25, s50
	s_cselect_b32 s11, s26, s11
	s_add_i32 s26, s25, 1
	s_cmp_ge_u32 s11, s40
	s_mul_i32 s11, s33, s39
	s_cselect_b32 s25, s26, s25
	s_mul_i32 s26, s49, s38
	s_mul_i32 s27, s25, s40
	;; [unrolled: 1-line block ×3, first 2 shown]
	s_sub_i32 s22, s23, s27
	s_sub_i32 s20, s33, s26
	s_mul_i32 s21, s22, s21
	s_sub_i32 s11, s7, s11
	s_add_i32 s6, s21, s6
	s_add_i32 s21, s49, 1
	s_add_i32 s6, s6, s25
	s_sub_i32 s22, s20, s38
	s_cmp_ge_u32 s20, s38
	s_mul_i32 s23, s48, s34
	s_cselect_b32 s21, s21, s49
	s_cselect_b32 s20, s22, s20
	s_add_i32 s22, s21, 1
	s_cmp_ge_u32 s20, s38
	s_mul_i32 s11, s11, s18
	s_cselect_b32 s20, s22, s21
	s_mul_i32 s21, s19, s35
	s_mul_i32 s22, s20, s38
	;; [unrolled: 1-line block ×3, first 2 shown]
	s_sub_i32 s22, s33, s22
	s_sub_i32 s16, s19, s23
	s_mul_i32 s17, s22, s17
	s_sub_i32 s7, s7, s21
	s_add_i32 s11, s17, s11
	s_add_i32 s17, s48, 1
	;; [unrolled: 1-line block ×3, first 2 shown]
	s_sub_i32 s18, s16, s34
	s_cmp_ge_u32 s16, s34
	v_dual_mov_b32 v5, 0 :: v_dual_add_nc_u32 v8, -1, v0
	s_cselect_b32 s17, s17, s48
	s_cselect_b32 s16, s18, s16
	s_add_i32 s18, s17, 1
	s_cmp_ge_u32 s16, s34
	ds_load_b96 v[1:3], v5 offset:1056
	s_cselect_b32 s16, s18, s17
	s_mul_i32 s7, s7, s14
	s_mul_i32 s17, s16, s34
	;; [unrolled: 1-line block ×3, first 2 shown]
	s_sub_i32 s17, s19, s17
	v_lshrrev_b32_e32 v4, 5, v0
	s_mul_i32 s13, s17, s13
	v_lshlrev_b32_e32 v7, 3, v0
	s_add_i32 s7, s13, s7
	v_lshrrev_b32_e32 v9, 2, v0
	s_add_i32 s14, s7, s16
	s_load_b32 s16, s[0:1], 0xe8
	s_add_u32 s6, s28, s6
	s_addc_u32 s7, s29, 0
	s_add_u32 s12, s36, s11
	s_addc_u32 s13, s37, 0
	s_lshl_b64 s[14:15], s[14:15], 3
	v_lshrrev_b32_e32 v10, 5, v8
	s_add_u32 s11, s30, s14
	s_addc_u32 s14, s31, s15
	s_bitcmp1_b32 s10, 0
	s_load_b32 s10, s[0:1], 0x1c8
	s_waitcnt lgkmcnt(0)
	v_add_nc_u32_e32 v1, v1, v2
	v_add_lshl_u32 v2, v4, v0, 2
	v_add_nc_u32_e32 v4, s24, v0
	v_cmp_gt_u32_e64 s0, 32, v0
	v_mbcnt_lo_u32_b32 v0, -1, 0
	v_add_lshl_u32 v7, v9, v7, 2
	v_add_lshl_u32 v8, v10, v8, 2
	v_and_b32_e32 v6, 0xff, v6
	s_cselect_b32 s1, -1, 0
	v_mul_lo_u32 v9, s16, v4
	v_and_b32_e32 v10, 15, v0
	v_bfe_i32 v11, v0, 4, 1
	v_add_nc_u32_e32 v12, -1, v0
	s_lshl_b32 s15, s16, 8
                                        ; implicit-def: $vgpr13
	s_branch .LBB9_21
.LBB9_19:                               ;   in Loop: Header=BB9_21 Depth=1
	s_or_b32 exec_lo, exec_lo, s16
	v_add_nc_u32_e32 v1, v16, v1
.LBB9_20:                               ;   in Loop: Header=BB9_21 Depth=1
	v_add_nc_u32_e32 v3, v15, v3
	v_add_nc_u32_e32 v9, s15, v9
	;; [unrolled: 1-line block ×3, first 2 shown]
	s_add_i32 s5, s5, -1
	s_delay_alu instid0(SALU_CYCLE_1)
	s_cmp_lg_u32 s5, 0
	s_cbranch_scc0 .LBB9_40
.LBB9_21:                               ; =>This Inner Loop Header: Depth=1
	v_mov_b32_e32 v16, 0
	v_mov_b32_e32 v14, 0
	s_mov_b32 s16, exec_lo
	v_cmpx_gt_u32_e64 s8, v4
	s_cbranch_execz .LBB9_23
; %bb.22:                               ;   in Loop: Header=BB9_21 Depth=1
	global_load_u8 v13, v9, s[6:7]
	s_waitcnt vmcnt(0)
	v_cmp_gt_u16_e32 vcc_lo, v13, v6
	v_cndmask_b32_e64 v14, 0, 1, vcc_lo
	v_cmp_lt_u16_e32 vcc_lo, v13, v6
	v_cndmask_b32_e64 v15, 0, 1, vcc_lo
	v_cmp_eq_u16_e32 vcc_lo, v13, v6
	s_delay_alu instid0(VALU_DEP_2) | instskip(NEXT) | instid1(VALU_DEP_1)
	v_cndmask_b32_e64 v14, v15, v14, s1
	v_and_b32_e32 v16, 1, v14
	v_cndmask_b32_e64 v14, 0, 1, vcc_lo
.LBB9_23:                               ;   in Loop: Header=BB9_21 Depth=1
	s_or_b32 exec_lo, exec_lo, s16
	ds_store_b32 v2, v16
	s_waitcnt lgkmcnt(0)
	s_waitcnt_vscnt null, 0x0
	s_barrier
	buffer_gl0_inv
	s_and_saveexec_b32 s16, s0
	s_cbranch_execz .LBB9_25
; %bb.24:                               ;   in Loop: Header=BB9_21 Depth=1
	ds_load_2addr_b32 v[17:18], v7 offset1:1
	ds_load_2addr_b32 v[19:20], v7 offset0:2 offset1:3
	ds_load_2addr_b32 v[21:22], v7 offset0:4 offset1:5
	;; [unrolled: 1-line block ×3, first 2 shown]
	v_cmp_ne_u32_e32 vcc_lo, 0, v10
	; wave barrier
	s_waitcnt lgkmcnt(3)
	v_add_nc_u32_e32 v15, v18, v17
	s_waitcnt lgkmcnt(2)
	s_delay_alu instid0(VALU_DEP_1) | instskip(SKIP_1) | instid1(VALU_DEP_1)
	v_add3_u32 v15, v15, v19, v20
	s_waitcnt lgkmcnt(1)
	v_add3_u32 v15, v15, v21, v22
	s_waitcnt lgkmcnt(0)
	s_delay_alu instid0(VALU_DEP_1) | instskip(NEXT) | instid1(VALU_DEP_1)
	v_add3_u32 v15, v15, v23, v24
	v_mov_b32_dpp v18, v15 row_shr:1 row_mask:0xf bank_mask:0xf
	s_delay_alu instid0(VALU_DEP_1) | instskip(SKIP_1) | instid1(VALU_DEP_2)
	v_cndmask_b32_e32 v18, 0, v18, vcc_lo
	v_cmp_lt_u32_e32 vcc_lo, 1, v10
	v_add_nc_u32_e32 v15, v18, v15
	s_delay_alu instid0(VALU_DEP_1) | instskip(NEXT) | instid1(VALU_DEP_1)
	v_mov_b32_dpp v18, v15 row_shr:2 row_mask:0xf bank_mask:0xf
	v_cndmask_b32_e32 v18, 0, v18, vcc_lo
	v_cmp_lt_u32_e32 vcc_lo, 3, v10
	s_delay_alu instid0(VALU_DEP_2) | instskip(NEXT) | instid1(VALU_DEP_1)
	v_add_nc_u32_e32 v15, v15, v18
	v_mov_b32_dpp v18, v15 row_shr:4 row_mask:0xf bank_mask:0xf
	s_delay_alu instid0(VALU_DEP_1) | instskip(SKIP_1) | instid1(VALU_DEP_2)
	v_cndmask_b32_e32 v18, 0, v18, vcc_lo
	v_cmp_lt_u32_e32 vcc_lo, 7, v10
	v_add_nc_u32_e32 v15, v15, v18
	s_delay_alu instid0(VALU_DEP_1) | instskip(NEXT) | instid1(VALU_DEP_1)
	v_mov_b32_dpp v18, v15 row_shr:8 row_mask:0xf bank_mask:0xf
	v_cndmask_b32_e32 v18, 0, v18, vcc_lo
	v_cmp_gt_i32_e32 vcc_lo, 0, v12
	v_cndmask_b32_e32 v19, v12, v0, vcc_lo
	s_delay_alu instid0(VALU_DEP_1) | instskip(NEXT) | instid1(VALU_DEP_4)
	v_lshlrev_b32_e32 v19, 2, v19
	v_add_nc_u32_e32 v15, v15, v18
	ds_swizzle_b32 v18, v15 offset:swizzle(BROADCAST,32,15)
	s_waitcnt lgkmcnt(0)
	v_and_b32_e32 v18, v11, v18
	s_delay_alu instid0(VALU_DEP_1) | instskip(SKIP_3) | instid1(VALU_DEP_1)
	v_add_nc_u32_e32 v15, v15, v18
	ds_bpermute_b32 v15, v19, v15
	s_waitcnt lgkmcnt(0)
	v_add_nc_u32_e32 v15, v15, v17
	v_cndmask_b32_e64 v15, v15, v16, s3
	ds_store_b32 v7, v15
	; wave barrier
	ds_load_2addr_b32 v[17:18], v7 offset0:1 offset1:2
	ds_load_2addr_b32 v[19:20], v7 offset0:3 offset1:4
	;; [unrolled: 1-line block ×3, first 2 shown]
	ds_load_b32 v23, v7 offset:28
	s_waitcnt lgkmcnt(3)
	v_add_nc_u32_e32 v15, v17, v15
	s_delay_alu instid0(VALU_DEP_1) | instskip(SKIP_1) | instid1(VALU_DEP_1)
	v_add_nc_u32_e32 v17, v18, v15
	s_waitcnt lgkmcnt(2)
	v_add_nc_u32_e32 v18, v19, v17
	s_delay_alu instid0(VALU_DEP_1) | instskip(SKIP_1) | instid1(VALU_DEP_1)
	v_add_nc_u32_e32 v19, v20, v18
	;; [unrolled: 4-line block ×3, first 2 shown]
	s_waitcnt lgkmcnt(0)
	v_add_nc_u32_e32 v22, v23, v21
	ds_store_2addr_b32 v7, v15, v17 offset0:1 offset1:2
	ds_store_2addr_b32 v7, v18, v19 offset0:3 offset1:4
	;; [unrolled: 1-line block ×3, first 2 shown]
	ds_store_b32 v7, v22 offset:28
.LBB9_25:                               ;   in Loop: Header=BB9_21 Depth=1
	s_or_b32 exec_lo, exec_lo, s16
	v_mov_b32_e32 v17, 0
	s_waitcnt lgkmcnt(0)
	s_barrier
	buffer_gl0_inv
	s_and_saveexec_b32 s16, s2
	s_cbranch_execz .LBB9_27
; %bb.26:                               ;   in Loop: Header=BB9_21 Depth=1
	ds_load_b32 v17, v8
.LBB9_27:                               ;   in Loop: Header=BB9_21 Depth=1
	s_or_b32 exec_lo, exec_lo, s16
	ds_load_b32 v15, v5 offset:1048
	s_mov_b32 s16, exec_lo
	s_waitcnt lgkmcnt(0)
	s_barrier
	buffer_gl0_inv
	v_cmpx_ne_u32_e32 0, v16
	s_cbranch_execz .LBB9_29
; %bb.28:                               ;   in Loop: Header=BB9_21 Depth=1
	v_add_nc_u32_e32 v18, v17, v3
	v_mov_b32_e32 v17, v5
	s_delay_alu instid0(VALU_DEP_2) | instskip(SKIP_1) | instid1(VALU_DEP_2)
	v_mul_lo_u32 v16, v18, s4
	v_mul_lo_u32 v18, v18, s10
	v_lshlrev_b64 v[16:17], 3, v[16:17]
	s_delay_alu instid0(VALU_DEP_1) | instskip(NEXT) | instid1(VALU_DEP_2)
	v_add_co_u32 v16, vcc_lo, s11, v16
	v_add_co_ci_u32_e32 v17, vcc_lo, s14, v17, vcc_lo
	global_store_b8 v18, v13, s[12:13]
	global_store_b64 v[16:17], v[4:5], off
.LBB9_29:                               ;   in Loop: Header=BB9_21 Depth=1
	s_or_b32 exec_lo, exec_lo, s16
	v_cmp_le_u32_e32 vcc_lo, s9, v1
	s_cbranch_vccnz .LBB9_20
; %bb.30:                               ;   in Loop: Header=BB9_21 Depth=1
	ds_store_b32 v2, v14
	s_waitcnt lgkmcnt(0)
	s_waitcnt_vscnt null, 0x0
	s_barrier
	buffer_gl0_inv
	s_and_saveexec_b32 s16, s0
	s_cbranch_execz .LBB9_32
; %bb.31:                               ;   in Loop: Header=BB9_21 Depth=1
	ds_load_2addr_b32 v[16:17], v7 offset1:1
	ds_load_2addr_b32 v[18:19], v7 offset0:2 offset1:3
	ds_load_2addr_b32 v[20:21], v7 offset0:4 offset1:5
	;; [unrolled: 1-line block ×3, first 2 shown]
	v_cmp_ne_u32_e32 vcc_lo, 0, v10
	; wave barrier
	s_waitcnt lgkmcnt(3)
	v_add_nc_u32_e32 v17, v17, v16
	s_waitcnt lgkmcnt(2)
	s_delay_alu instid0(VALU_DEP_1) | instskip(SKIP_1) | instid1(VALU_DEP_1)
	v_add3_u32 v17, v17, v18, v19
	s_waitcnt lgkmcnt(1)
	v_add3_u32 v17, v17, v20, v21
	s_waitcnt lgkmcnt(0)
	s_delay_alu instid0(VALU_DEP_1) | instskip(NEXT) | instid1(VALU_DEP_1)
	v_add3_u32 v17, v17, v22, v23
	v_mov_b32_dpp v18, v17 row_shr:1 row_mask:0xf bank_mask:0xf
	s_delay_alu instid0(VALU_DEP_1) | instskip(SKIP_1) | instid1(VALU_DEP_2)
	v_cndmask_b32_e32 v18, 0, v18, vcc_lo
	v_cmp_lt_u32_e32 vcc_lo, 1, v10
	v_add_nc_u32_e32 v17, v18, v17
	s_delay_alu instid0(VALU_DEP_1) | instskip(NEXT) | instid1(VALU_DEP_1)
	v_mov_b32_dpp v18, v17 row_shr:2 row_mask:0xf bank_mask:0xf
	v_cndmask_b32_e32 v18, 0, v18, vcc_lo
	v_cmp_lt_u32_e32 vcc_lo, 3, v10
	s_delay_alu instid0(VALU_DEP_2) | instskip(NEXT) | instid1(VALU_DEP_1)
	v_add_nc_u32_e32 v17, v17, v18
	v_mov_b32_dpp v18, v17 row_shr:4 row_mask:0xf bank_mask:0xf
	s_delay_alu instid0(VALU_DEP_1) | instskip(SKIP_1) | instid1(VALU_DEP_2)
	v_cndmask_b32_e32 v18, 0, v18, vcc_lo
	v_cmp_lt_u32_e32 vcc_lo, 7, v10
	v_add_nc_u32_e32 v17, v17, v18
	s_delay_alu instid0(VALU_DEP_1) | instskip(NEXT) | instid1(VALU_DEP_1)
	v_mov_b32_dpp v18, v17 row_shr:8 row_mask:0xf bank_mask:0xf
	v_cndmask_b32_e32 v18, 0, v18, vcc_lo
	v_cmp_gt_i32_e32 vcc_lo, 0, v12
	v_cndmask_b32_e32 v19, v12, v0, vcc_lo
	s_delay_alu instid0(VALU_DEP_1) | instskip(NEXT) | instid1(VALU_DEP_4)
	v_lshlrev_b32_e32 v19, 2, v19
	v_add_nc_u32_e32 v17, v17, v18
	ds_swizzle_b32 v18, v17 offset:swizzle(BROADCAST,32,15)
	s_waitcnt lgkmcnt(0)
	v_and_b32_e32 v18, v11, v18
	s_delay_alu instid0(VALU_DEP_1) | instskip(SKIP_3) | instid1(VALU_DEP_1)
	v_add_nc_u32_e32 v17, v17, v18
	ds_bpermute_b32 v17, v19, v17
	s_waitcnt lgkmcnt(0)
	v_add_nc_u32_e32 v16, v17, v16
	v_cndmask_b32_e64 v22, v16, v14, s3
	ds_store_b32 v7, v22
	; wave barrier
	ds_load_2addr_b32 v[16:17], v7 offset0:1 offset1:2
	ds_load_2addr_b32 v[18:19], v7 offset0:3 offset1:4
	;; [unrolled: 1-line block ×3, first 2 shown]
	ds_load_b32 v23, v7 offset:28
	s_waitcnt lgkmcnt(3)
	v_add_nc_u32_e32 v16, v16, v22
	s_delay_alu instid0(VALU_DEP_1) | instskip(SKIP_1) | instid1(VALU_DEP_1)
	v_add_nc_u32_e32 v17, v17, v16
	s_waitcnt lgkmcnt(2)
	v_add_nc_u32_e32 v18, v18, v17
	s_delay_alu instid0(VALU_DEP_1) | instskip(SKIP_1) | instid1(VALU_DEP_1)
	v_add_nc_u32_e32 v19, v19, v18
	;; [unrolled: 4-line block ×3, first 2 shown]
	s_waitcnt lgkmcnt(0)
	v_add_nc_u32_e32 v22, v23, v21
	ds_store_2addr_b32 v7, v16, v17 offset0:1 offset1:2
	ds_store_2addr_b32 v7, v18, v19 offset0:3 offset1:4
	;; [unrolled: 1-line block ×3, first 2 shown]
	ds_store_b32 v7, v22 offset:28
.LBB9_32:                               ;   in Loop: Header=BB9_21 Depth=1
	s_or_b32 exec_lo, exec_lo, s16
	v_mov_b32_e32 v17, 0
	s_waitcnt lgkmcnt(0)
	s_barrier
	buffer_gl0_inv
	s_and_saveexec_b32 s16, s2
	s_cbranch_execz .LBB9_34
; %bb.33:                               ;   in Loop: Header=BB9_21 Depth=1
	ds_load_b32 v17, v8
.LBB9_34:                               ;   in Loop: Header=BB9_21 Depth=1
	s_or_b32 exec_lo, exec_lo, s16
	ds_load_b32 v16, v5 offset:1048
	s_mov_b32 s16, exec_lo
	s_waitcnt lgkmcnt(0)
	s_barrier
	buffer_gl0_inv
	v_cmpx_ne_u32_e32 0, v14
	s_cbranch_execz .LBB9_19
; %bb.35:                               ;   in Loop: Header=BB9_21 Depth=1
	v_add_nc_u32_e32 v14, v17, v1
	s_delay_alu instid0(VALU_DEP_1)
	v_cmp_gt_u32_e32 vcc_lo, s9, v14
	s_and_b32 exec_lo, exec_lo, vcc_lo
	s_cbranch_execz .LBB9_19
; %bb.36:                               ;   in Loop: Header=BB9_21 Depth=1
	v_mul_lo_u32 v17, v14, s4
	v_mov_b32_e32 v18, v5
	v_mul_lo_u32 v14, v14, s10
	s_delay_alu instid0(VALU_DEP_2) | instskip(NEXT) | instid1(VALU_DEP_1)
	v_lshlrev_b64 v[17:18], 3, v[17:18]
	v_add_co_u32 v17, vcc_lo, s11, v17
	s_delay_alu instid0(VALU_DEP_2)
	v_add_co_ci_u32_e32 v18, vcc_lo, s14, v18, vcc_lo
	global_store_b8 v14, v13, s[12:13]
	global_store_b64 v[17:18], v[4:5], off
	s_branch .LBB9_19
	.p2align	6
.LBB9_37:                               ;   in Loop: Header=BB9_38 Depth=1
	s_add_u32 s24, s24, 4
	s_addc_u32 s25, s25, 0
	s_waitcnt lgkmcnt(0)
	s_add_i32 s52, s11, s52
	s_add_u32 s26, s26, 4
	s_addc_u32 s27, s27, 0
	s_add_i32 s10, s10, 1
	s_delay_alu instid0(SALU_CYCLE_1)
	s_cmp_lt_u32 s10, s6
	s_cbranch_scc0 .LBB9_16
.LBB9_38:                               ; =>This Inner Loop Header: Depth=1
	s_load_b32 s11, s[24:25], 0x0
	s_cmp_ge_u32 s10, s15
	s_cbranch_scc1 .LBB9_37
; %bb.39:                               ;   in Loop: Header=BB9_38 Depth=1
	s_load_b32 s42, s[26:27], 0x0
	s_waitcnt lgkmcnt(0)
	s_add_i32 s9, s11, s9
	s_add_i32 s8, s42, s8
	s_branch .LBB9_37
.LBB9_40:
	s_nop 0
	s_sendmsg sendmsg(MSG_DEALLOC_VGPRS)
	s_endpgm
	.section	.rodata,"a",@progbits
	.p2align	6, 0x0
	.amdhsa_kernel _ZN2at6native6mbtopk10gatherTopKIhjLi3EEEvNS_4cuda6detail10TensorInfoIKT_T0_EES8_S8_bjS8_NS5_IS6_S8_EES8_NS5_IlS8_EES8_jjPS6_PjSD_j
		.amdhsa_group_segment_fixed_size 1068
		.amdhsa_private_segment_fixed_size 0
		.amdhsa_kernarg_size 984
		.amdhsa_user_sgpr_count 13
		.amdhsa_user_sgpr_dispatch_ptr 0
		.amdhsa_user_sgpr_queue_ptr 0
		.amdhsa_user_sgpr_kernarg_segment_ptr 1
		.amdhsa_user_sgpr_dispatch_id 0
		.amdhsa_user_sgpr_private_segment_size 0
		.amdhsa_wavefront_size32 1
		.amdhsa_uses_dynamic_stack 0
		.amdhsa_enable_private_segment 0
		.amdhsa_system_sgpr_workgroup_id_x 1
		.amdhsa_system_sgpr_workgroup_id_y 1
		.amdhsa_system_sgpr_workgroup_id_z 1
		.amdhsa_system_sgpr_workgroup_info 0
		.amdhsa_system_vgpr_workitem_id 0
		.amdhsa_next_free_vgpr 25
		.amdhsa_next_free_sgpr 56
		.amdhsa_reserve_vcc 1
		.amdhsa_float_round_mode_32 0
		.amdhsa_float_round_mode_16_64 0
		.amdhsa_float_denorm_mode_32 3
		.amdhsa_float_denorm_mode_16_64 3
		.amdhsa_dx10_clamp 1
		.amdhsa_ieee_mode 1
		.amdhsa_fp16_overflow 0
		.amdhsa_workgroup_processor_mode 1
		.amdhsa_memory_ordered 1
		.amdhsa_forward_progress 0
		.amdhsa_shared_vgpr_count 0
		.amdhsa_exception_fp_ieee_invalid_op 0
		.amdhsa_exception_fp_denorm_src 0
		.amdhsa_exception_fp_ieee_div_zero 0
		.amdhsa_exception_fp_ieee_overflow 0
		.amdhsa_exception_fp_ieee_underflow 0
		.amdhsa_exception_fp_ieee_inexact 0
		.amdhsa_exception_int_div_zero 0
	.end_amdhsa_kernel
	.section	.text._ZN2at6native6mbtopk10gatherTopKIhjLi3EEEvNS_4cuda6detail10TensorInfoIKT_T0_EES8_S8_bjS8_NS5_IS6_S8_EES8_NS5_IlS8_EES8_jjPS6_PjSD_j,"axG",@progbits,_ZN2at6native6mbtopk10gatherTopKIhjLi3EEEvNS_4cuda6detail10TensorInfoIKT_T0_EES8_S8_bjS8_NS5_IS6_S8_EES8_NS5_IlS8_EES8_jjPS6_PjSD_j,comdat
.Lfunc_end9:
	.size	_ZN2at6native6mbtopk10gatherTopKIhjLi3EEEvNS_4cuda6detail10TensorInfoIKT_T0_EES8_S8_bjS8_NS5_IS6_S8_EES8_NS5_IlS8_EES8_jjPS6_PjSD_j, .Lfunc_end9-_ZN2at6native6mbtopk10gatherTopKIhjLi3EEEvNS_4cuda6detail10TensorInfoIKT_T0_EES8_S8_bjS8_NS5_IS6_S8_EES8_NS5_IlS8_EES8_jjPS6_PjSD_j
                                        ; -- End function
	.section	.AMDGPU.csdata,"",@progbits
; Kernel info:
; codeLenInByte = 3020
; NumSgprs: 58
; NumVgprs: 25
; ScratchSize: 0
; MemoryBound: 0
; FloatMode: 240
; IeeeMode: 1
; LDSByteSize: 1068 bytes/workgroup (compile time only)
; SGPRBlocks: 7
; VGPRBlocks: 3
; NumSGPRsForWavesPerEU: 58
; NumVGPRsForWavesPerEU: 25
; Occupancy: 16
; WaveLimiterHint : 1
; COMPUTE_PGM_RSRC2:SCRATCH_EN: 0
; COMPUTE_PGM_RSRC2:USER_SGPR: 13
; COMPUTE_PGM_RSRC2:TRAP_HANDLER: 0
; COMPUTE_PGM_RSRC2:TGID_X_EN: 1
; COMPUTE_PGM_RSRC2:TGID_Y_EN: 1
; COMPUTE_PGM_RSRC2:TGID_Z_EN: 1
; COMPUTE_PGM_RSRC2:TIDIG_COMP_CNT: 0
	.section	.text._ZN2at6native6sbtopk10gatherTopKIhjLi3ELb0EEEvNS_4cuda6detail10TensorInfoIKT_T0_EES8_S8_bS8_S8_NS5_IS6_S8_EES8_NS5_IlS8_EES8_PS6_,"axG",@progbits,_ZN2at6native6sbtopk10gatherTopKIhjLi3ELb0EEEvNS_4cuda6detail10TensorInfoIKT_T0_EES8_S8_bS8_S8_NS5_IS6_S8_EES8_NS5_IlS8_EES8_PS6_,comdat
	.protected	_ZN2at6native6sbtopk10gatherTopKIhjLi3ELb0EEEvNS_4cuda6detail10TensorInfoIKT_T0_EES8_S8_bS8_S8_NS5_IS6_S8_EES8_NS5_IlS8_EES8_PS6_ ; -- Begin function _ZN2at6native6sbtopk10gatherTopKIhjLi3ELb0EEEvNS_4cuda6detail10TensorInfoIKT_T0_EES8_S8_bS8_S8_NS5_IS6_S8_EES8_NS5_IlS8_EES8_PS6_
	.globl	_ZN2at6native6sbtopk10gatherTopKIhjLi3ELb0EEEvNS_4cuda6detail10TensorInfoIKT_T0_EES8_S8_bS8_S8_NS5_IS6_S8_EES8_NS5_IlS8_EES8_PS6_
	.p2align	8
	.type	_ZN2at6native6sbtopk10gatherTopKIhjLi3ELb0EEEvNS_4cuda6detail10TensorInfoIKT_T0_EES8_S8_bS8_S8_NS5_IS6_S8_EES8_NS5_IlS8_EES8_PS6_,@function
_ZN2at6native6sbtopk10gatherTopKIhjLi3ELb0EEEvNS_4cuda6detail10TensorInfoIKT_T0_EES8_S8_bS8_S8_NS5_IS6_S8_EES8_NS5_IlS8_EES8_PS6_: ; @_ZN2at6native6sbtopk10gatherTopKIhjLi3ELb0EEEvNS_4cuda6detail10TensorInfoIKT_T0_EES8_S8_bS8_S8_NS5_IS6_S8_EES8_NS5_IlS8_EES8_PS6_
; %bb.0:
	s_clause 0x1
	s_load_b64 s[4:5], s[0:1], 0x2b8
	s_load_b128 s[36:39], s[0:1], 0xd8
	s_add_u32 s6, s0, 0x2b8
	s_addc_u32 s7, s1, 0
	s_waitcnt lgkmcnt(0)
	s_mul_i32 s2, s5, s15
	s_delay_alu instid0(SALU_CYCLE_1) | instskip(NEXT) | instid1(SALU_CYCLE_1)
	s_add_i32 s2, s2, s14
	s_mul_i32 s55, s2, s4
	s_delay_alu instid0(SALU_CYCLE_1) | instskip(NEXT) | instid1(SALU_CYCLE_1)
	s_add_i32 s55, s55, s13
	s_cmp_ge_u32 s55, s39
	s_cbranch_scc1 .LBB10_447
; %bb.1:
	s_clause 0x9
	s_load_b64 s[14:15], s[0:1], 0xc
	s_load_b64 s[52:53], s[0:1], 0xfc
	s_load_b64 s[50:51], s[0:1], 0x1dc
	s_load_b64 s[2:3], s[0:1], 0x0
	s_load_b128 s[40:43], s[0:1], 0x23c
	s_load_b64 s[34:35], s[0:1], 0x1d0
	s_load_b128 s[44:47], s[0:1], 0x15c
	s_load_b64 s[48:49], s[0:1], 0xf0
	s_load_b32 s54, s[0:1], 0xe8
	s_load_b128 s[8:11], s[0:1], 0x6c
	s_mov_b32 s59, 0
	s_waitcnt lgkmcnt(0)
	v_cvt_f32_u32_e32 v1, s15
	v_cvt_f32_u32_e32 v2, s14
	v_cvt_f32_u32_e32 v3, s53
	v_cvt_f32_u32_e32 v4, s52
	s_sub_i32 s11, 0, s15
	v_rcp_iflag_f32_e32 v1, v1
	v_rcp_iflag_f32_e32 v2, v2
	;; [unrolled: 1-line block ×4, first 2 shown]
	v_cvt_f32_u32_e32 v5, s51
	v_cvt_f32_u32_e32 v6, s50
	s_delay_alu instid0(VALU_DEP_2)
	v_rcp_iflag_f32_e32 v5, v5
	v_dual_mul_f32 v1, 0x4f7ffffe, v1 :: v_dual_mul_f32 v2, 0x4f7ffffe, v2
	s_waitcnt_depctr 0xfff
	v_dual_mul_f32 v3, 0x4f7ffffe, v3 :: v_dual_mul_f32 v4, 0x4f7ffffe, v4
	v_cvt_u32_f32_e32 v1, v1
	v_cvt_u32_f32_e32 v2, v2
	s_delay_alu instid0(VALU_DEP_3) | instskip(SKIP_1) | instid1(VALU_DEP_4)
	v_cvt_u32_f32_e32 v3, v3
	v_mul_f32_e32 v5, 0x4f7ffffe, v5
	v_readfirstlane_b32 s5, v1
	v_rcp_iflag_f32_e32 v1, v6
	s_delay_alu instid0(VALU_DEP_3) | instskip(SKIP_1) | instid1(VALU_DEP_3)
	v_readfirstlane_b32 s17, v3
	v_cvt_u32_f32_e32 v3, v4
	s_mul_i32 s11, s11, s5
	s_delay_alu instid0(SALU_CYCLE_1) | instskip(NEXT) | instid1(SALU_CYCLE_1)
	s_mul_hi_u32 s11, s5, s11
	s_add_i32 s5, s5, s11
	s_waitcnt_depctr 0xfff
	v_mul_f32_e32 v1, 0x4f7ffffe, v1
	s_mul_hi_u32 s5, s55, s5
	s_delay_alu instid0(SALU_CYCLE_1)
	s_mul_i32 s11, s5, s15
	s_add_i32 s12, s5, 1
	s_sub_i32 s11, s55, s11
	v_cvt_u32_f32_e32 v1, v1
	s_sub_i32 s16, s11, s15
	s_cmp_ge_u32 s11, s15
	s_cselect_b32 s5, s12, s5
	s_cselect_b32 s11, s16, s11
	s_add_i32 s12, s5, 1
	s_cmp_ge_u32 s11, s15
	v_readfirstlane_b32 s20, v1
	s_cselect_b32 s11, s12, s5
	s_sub_i32 s5, 0, s53
	v_readfirstlane_b32 s12, v2
	s_mul_i32 s5, s5, s17
	s_sub_i32 s16, 0, s14
	s_mul_hi_u32 s5, s17, s5
	v_cvt_u32_f32_e32 v2, v5
	s_add_i32 s17, s17, s5
	s_mul_i32 s16, s16, s12
	s_mul_hi_u32 s5, s55, s17
	s_mul_hi_u32 s16, s12, s16
	s_mul_i32 s17, s5, s53
	s_add_i32 s12, s12, s16
	s_sub_i32 s16, s55, s17
	s_add_i32 s17, s5, 1
	s_sub_i32 s18, s16, s53
	s_cmp_ge_u32 s16, s53
	v_readfirstlane_b32 s19, v2
	s_cselect_b32 s5, s17, s5
	s_cselect_b32 s16, s18, s16
	s_add_i32 s17, s5, 1
	s_cmp_ge_u32 s16, s53
	v_readfirstlane_b32 s16, v3
	s_cselect_b32 s47, s17, s5
	s_sub_i32 s5, 0, s51
	s_sub_i32 s17, 0, s52
	s_mul_i32 s5, s5, s19
	s_mul_i32 s17, s17, s16
	s_mul_hi_u32 s5, s19, s5
	s_mul_hi_u32 s17, s16, s17
	s_add_i32 s19, s19, s5
	s_add_i32 s16, s16, s17
	s_mul_hi_u32 s5, s55, s19
	s_mul_hi_u32 s12, s11, s12
	s_mul_i32 s18, s5, s51
	s_mul_hi_u32 s58, s47, s16
	s_sub_i32 s17, s55, s18
	s_add_i32 s18, s5, 1
	s_sub_i32 s19, s17, s51
	s_cmp_ge_u32 s17, s51
	s_cselect_b32 s5, s18, s5
	s_cselect_b32 s17, s19, s17
	s_add_i32 s18, s5, 1
	s_cmp_ge_u32 s17, s51
	s_cselect_b32 s56, s18, s5
	s_sub_i32 s5, 0, s50
	s_delay_alu instid0(SALU_CYCLE_1) | instskip(NEXT) | instid1(SALU_CYCLE_1)
	s_mul_i32 s5, s5, s20
	s_mul_hi_u32 s17, s20, s5
	v_cmp_eq_u32_e64 s5, 0, v0
	s_add_i32 s20, s20, s17
	s_delay_alu instid0(SALU_CYCLE_1) | instskip(NEXT) | instid1(VALU_DEP_1)
	s_mul_hi_u32 s57, s56, s20
	s_and_saveexec_b32 s16, s5
	s_cbranch_execz .LBB10_3
; %bb.2:
	v_dual_mov_b32 v1, 0 :: v_dual_mov_b32 v2, s36
	s_delay_alu instid0(VALU_DEP_1)
	v_mov_b32_e32 v3, v1
	ds_store_b96 v1, v[1:3] offset:4096
.LBB10_3:
	s_or_b32 exec_lo, exec_lo, s16
	s_mul_i32 s16, s12, s14
	s_mul_i32 s15, s11, s15
	s_sub_i32 s16, s11, s16
	s_sub_i32 s15, s55, s15
	s_add_i32 s17, s12, 1
	s_sub_i32 s18, s16, s14
	s_cmp_ge_u32 s16, s14
	s_waitcnt lgkmcnt(0)
	s_cselect_b32 s12, s17, s12
	s_cselect_b32 s16, s18, s16
	s_add_i32 s17, s12, 1
	s_cmp_ge_u32 s16, s14
	s_barrier
	buffer_gl0_inv
	s_load_b32 s16, s[6:7], 0xc
	s_cselect_b32 s12, s17, s12
	s_mul_i32 s15, s15, s10
	s_mul_i32 s14, s12, s14
	;; [unrolled: 1-line block ×3, first 2 shown]
	s_sub_i32 s11, s11, s14
	v_mbcnt_lo_u32_b32 v12, -1, 0
	s_mul_i32 s9, s11, s9
	v_cmp_gt_u32_e32 vcc_lo, 32, v0
	s_add_i32 s8, s9, s15
	v_mul_lo_u32 v14, v0, s54
	s_add_i32 s8, s8, s12
	v_dual_mov_b32 v26, s37 :: v_dual_lshlrev_b32 v13, 2, v0
	s_add_u32 s30, s2, s8
	s_addc_u32 s31, s3, 0
	s_bitcmp1_b32 s38, 0
	v_cmp_gt_i32_e64 s2, 4, v12
	s_cselect_b32 s3, -1, 0
	v_or_b32_e32 v3, 3, v13
	s_waitcnt lgkmcnt(0)
	s_and_b32 s33, s16, 0xffff
	s_xor_b32 s60, s3, -1
	s_lshl_b32 s61, s33, 2
	s_bfe_u32 s8, s16, 0xb0005
	v_cvt_f32_u32_e32 v1, s61
	s_and_b32 s62, vcc_lo, s2
	s_cmpk_gt_u32 s36, 0xc00
	v_cvt_f32_u32_e32 v2, s33
	s_cselect_b32 s63, -1, 0
	v_rcp_iflag_f32_e32 v1, v1
	s_cmp_gt_u32 s33, 31
	v_mad_u64_u32 v[9:10], null, s54, v13, s[54:55]
	s_cselect_b32 s64, -1, 0
	s_add_i32 s65, s33, -1
	v_mov_b32_e32 v22, 0
	s_add_i32 s9, s65, s36
	s_cmp_lt_u32 s13, s4
	v_mul_lo_u32 v18, s54, v3
	s_waitcnt_depctr 0xfff
	v_mul_f32_e32 v1, 0x4f7ffffe, v1
	s_cselect_b32 s2, 12, 18
	v_lshlrev_b32_e32 v19, 2, v14
	s_add_u32 s38, s6, s2
	s_addc_u32 s39, s7, 0
	v_cvt_u32_f32_e32 v1, v1
	s_add_i32 s2, s8, -1
	s_bfe_u32 s66, s33, 0x30005
	s_cmp_gt_u32 s2, 6
	v_lshl_or_b32 v21, v12, 2, 0xc00
	s_cselect_b32 s67, -1, 0
	s_and_b32 s68, s8, 0x7f8
	v_readfirstlane_b32 s2, v1
	s_cmp_lg_u32 s66, 0
	v_rcp_iflag_f32_e32 v1, v2
	s_cselect_b32 s69, -1, 0
	s_sub_i32 s4, 0, s61
	v_mov_b32_e32 v24, 0
	s_mul_i32 s4, s4, s2
	v_lshrrev_b32_e32 v2, 3, v0
	s_mul_hi_u32 s4, s2, s4
	v_mov_b32_e32 v15, 0
	s_add_i32 s70, s2, s4
	s_delay_alu instid0(VALU_DEP_2)
	v_dual_mov_b32 v25, 0 :: v_dual_and_b32 v16, 0x7c, v2
	s_mul_hi_u32 s2, s36, s70
	s_waitcnt_depctr 0xfff
	v_mul_f32_e32 v1, 0x4f7ffffe, v1
	s_mul_i32 s2, s2, s61
	v_mov_b32_e32 v23, 0
	s_sub_i32 s2, s36, s2
	s_mul_i32 s43, s54, s33
	s_sub_i32 s4, s2, s61
	v_cvt_u32_f32_e32 v1, v1
	s_cmp_ge_u32 s2, s61
	s_mov_b32 s80, 6
	s_cselect_b32 s4, s4, s2
	v_cmp_eq_u32_e64 s2, 0, v12
	s_sub_i32 s6, s4, s61
	v_readfirstlane_b32 s7, v1
	s_cmp_ge_u32 s4, s61
	v_lshlrev_b64 v[1:2], v12, -1
	s_cselect_b32 s10, s6, s4
	s_sub_i32 s4, 0, s33
	v_add_co_u32 v5, s6, s30, v14
	s_delay_alu instid0(VALU_DEP_1)
	v_add_co_ci_u32_e64 v6, null, s31, 0, s6
	s_mul_i32 s6, s4, s7
	s_sub_i32 s72, s36, s10
	s_mul_hi_u32 s6, s7, s6
	v_add_nc_u32_e32 v17, s72, v0
	s_add_i32 s71, s7, s6
	v_not_b32_e32 v11, v1
	s_mul_hi_u32 s7, s9, s71
	v_or_b32_e32 v2, 2, v13
	s_mul_i32 s7, s7, s33
	v_mul_lo_u32 v1, v17, s54
	s_sub_i32 s7, s9, s7
	v_cmp_gt_u32_e64 s4, s36, v0
	s_sub_i32 s8, s7, s33
	s_cmp_ge_u32 s7, s33
	v_mul_lo_u32 v10, s54, v2
	s_cselect_b32 s8, s8, s7
	v_cmp_gt_u32_e64 s6, 2, v0
	s_sub_i32 s11, s8, s33
	s_cmp_ge_u32 s8, s33
	v_cmp_gt_u32_e64 s7, s72, v13
	s_cselect_b32 s11, s11, s8
	v_cmp_gt_u32_e64 s8, s36, v17
	s_sub_i32 s73, s9, s11
	v_add_co_u32 v7, s9, s30, v1
	v_add3_u32 v1, s33, s36, v0
	v_add_co_ci_u32_e64 v8, null, s31, 0, s9
	v_cmp_gt_u32_e64 s9, s73, v0
	s_lshl_b32 s75, s43, 2
	s_delay_alu instid0(VALU_DEP_3) | instskip(SKIP_1) | instid1(VALU_DEP_1)
	v_subrev_nc_u32_e32 v1, s10, v1
	s_mov_b32 s76, 0
                                        ; implicit-def: $sgpr74
                                        ; implicit-def: $sgpr79
                                        ; implicit-def: $sgpr78
                                        ; implicit-def: $sgpr81
                                        ; implicit-def: $sgpr77
                                        ; implicit-def: $sgpr82
                                        ; implicit-def: $sgpr84
                                        ; implicit-def: $sgpr83
                                        ; implicit-def: $sgpr85
                                        ; implicit-def: $sgpr86
	v_mul_lo_u32 v20, s54, v1
	s_branch .LBB10_6
.LBB10_4:                               ;   in Loop: Header=BB10_6 Depth=1
	s_or_b32 exec_lo, exec_lo, s13
	v_dual_mov_b32 v23, v2 :: v_dual_mov_b32 v24, v1
	v_dual_mov_b32 v26, v4 :: v_dual_mov_b32 v25, v3
	s_and_not1_b32 s13, s86, exec_lo
	s_and_b32 s12, s12, exec_lo
	s_and_not1_b32 s85, s85, exec_lo
	s_or_b32 s86, s13, s12
	s_and_not1_b32 s83, s83, exec_lo
	s_and_not1_b32 s84, s84, exec_lo
	;; [unrolled: 1-line block ×3, first 2 shown]
	s_or_not1_b32 s12, s11, exec_lo
.LBB10_5:                               ;   in Loop: Header=BB10_6 Depth=1
	s_or_b32 exec_lo, exec_lo, s10
	s_delay_alu instid0(SALU_CYCLE_1) | instskip(NEXT) | instid1(SALU_CYCLE_1)
	s_and_b32 s10, exec_lo, s12
	s_or_b32 s59, s10, s59
	s_and_not1_b32 s10, s77, exec_lo
	s_and_b32 s11, s86, exec_lo
	s_and_not1_b32 s12, s81, exec_lo
	s_or_b32 s77, s10, s11
	s_and_b32 s10, s85, exec_lo
	s_and_not1_b32 s11, s78, exec_lo
	s_and_b32 s13, s83, exec_lo
	s_or_b32 s81, s12, s10
	s_or_b32 s78, s11, s13
	s_and_not1_b32 s10, s79, exec_lo
	s_and_b32 s11, s84, exec_lo
	s_and_not1_b32 s12, s74, exec_lo
	s_and_b32 s13, s82, exec_lo
	s_or_b32 s79, s10, s11
	s_or_b32 s74, s12, s13
	s_and_not1_b32 exec_lo, exec_lo, s59
	s_cbranch_execz .LBB10_387
.LBB10_6:                               ; =>This Loop Header: Depth=1
                                        ;     Child Loop BB10_11 Depth 2
                                        ;     Child Loop BB10_26 Depth 2
	;; [unrolled: 1-line block ×24, first 2 shown]
	ds_load_b64 v[1:2], v22 offset:4096
	s_waitcnt lgkmcnt(0)
	v_readfirstlane_b32 s87, v1
	s_delay_alu instid0(VALU_DEP_1)
	s_cmp_lg_u32 s87, 0
	s_cbranch_scc1 .LBB10_33
; %bb.7:                                ;   in Loop: Header=BB10_6 Depth=1
	s_and_b32 vcc_lo, exec_lo, s63
	s_cbranch_vccz .LBB10_19
; %bb.8:                                ;   in Loop: Header=BB10_6 Depth=1
	v_cmp_gt_u32_e32 vcc_lo, 0xc01, v2
	s_mov_b32 s87, 0
	s_mov_b32 s10, 0
	s_cbranch_vccz .LBB10_20
; %bb.9:                                ;   in Loop: Header=BB10_6 Depth=1
	global_load_u16 v1, v22, s[38:39]
	global_load_u8 v4, v[5:6], off
	v_mov_b32_e32 v27, v0
	s_mov_b32 s12, 0
	s_waitcnt vmcnt(1)
	v_add_nc_u32_e32 v2, v0, v1
	v_mul_lo_u32 v3, s54, v1
	s_delay_alu instid0(VALU_DEP_2)
	v_mul_lo_u32 v2, s54, v2
	s_branch .LBB10_11
.LBB10_10:                              ;   in Loop: Header=BB10_11 Depth=2
	s_or_b32 exec_lo, exec_lo, s11
	v_add_nc_u32_e32 v2, v2, v3
	v_mov_b32_e32 v4, v28
	s_and_not1_b32 exec_lo, exec_lo, s12
	s_cbranch_execz .LBB10_83
.LBB10_11:                              ;   Parent Loop BB10_6 Depth=1
                                        ; =>  This Inner Loop Header: Depth=2
	v_dual_mov_b32 v28, 0 :: v_dual_add_nc_u32 v27, v27, v1
	s_waitcnt lgkmcnt(0)
	v_mov_b32_e32 v29, 0
	s_mov_b32 s11, exec_lo
	s_delay_alu instid0(VALU_DEP_2)
	v_cmp_le_u32_e32 vcc_lo, s36, v27
	v_cmpx_gt_u32_e64 s36, v27
	s_cbranch_execz .LBB10_13
; %bb.12:                               ;   in Loop: Header=BB10_11 Depth=2
	global_load_u8 v28, v2, s[30:31]
.LBB10_13:                              ;   in Loop: Header=BB10_11 Depth=2
	s_or_b32 exec_lo, exec_lo, s11
	s_waitcnt vmcnt(0)
	v_and_b32_e32 v30, v4, v23
	s_delay_alu instid0(VALU_DEP_1) | instskip(NEXT) | instid1(VALU_DEP_1)
	v_and_b32_e32 v30, 0xff, v30
	v_cmp_eq_u32_e64 s10, v30, v24
	s_delay_alu instid0(VALU_DEP_1) | instskip(SKIP_1) | instid1(SALU_CYCLE_1)
	s_cmp_lg_u32 s10, 0
	s_cselect_b32 s11, -1, 0
	s_and_b32 s11, s2, s11
	s_delay_alu instid0(SALU_CYCLE_1)
	s_and_saveexec_b32 s13, s11
	s_cbranch_execz .LBB10_17
; %bb.14:                               ;   in Loop: Header=BB10_11 Depth=2
	s_mov_b32 s16, exec_lo
	s_bcnt1_i32_b32 s14, s10
	v_mbcnt_lo_u32_b32 v29, s16, 0
	s_mov_b32 s15, exec_lo
                                        ; implicit-def: $vgpr30
	s_delay_alu instid0(VALU_DEP_1)
	v_cmpx_eq_u32_e32 0, v29
	s_cbranch_execz .LBB10_16
; %bb.15:                               ;   in Loop: Header=BB10_11 Depth=2
	s_bcnt1_i32_b32 s11, s16
	s_delay_alu instid0(SALU_CYCLE_1) | instskip(NEXT) | instid1(SALU_CYCLE_1)
	s_mul_i32 s11, s14, s11
	v_mov_b32_e32 v30, s11
	ds_add_rtn_u32 v30, v22, v30 offset:4104
.LBB10_16:                              ;   in Loop: Header=BB10_11 Depth=2
	s_or_b32 exec_lo, exec_lo, s15
	s_waitcnt lgkmcnt(0)
	v_readfirstlane_b32 s11, v30
	s_delay_alu instid0(VALU_DEP_1)
	v_mad_u32_u24 v29, s14, v29, s11
.LBB10_17:                              ;   in Loop: Header=BB10_11 Depth=2
	s_or_b32 exec_lo, exec_lo, s13
	ds_bpermute_b32 v29, v22, v29
	s_and_b32 s11, exec_lo, vcc_lo
	s_delay_alu instid0(SALU_CYCLE_1)
	s_or_b32 s12, s11, s12
	s_and_saveexec_b32 s11, s10
	s_cbranch_execz .LBB10_10
; %bb.18:                               ;   in Loop: Header=BB10_11 Depth=2
	v_and_b32_e32 v30, s10, v11
	s_waitcnt lgkmcnt(0)
	s_delay_alu instid0(VALU_DEP_1)
	v_bcnt_u32_b32 v29, v30, v29
	ds_store_b8 v29, v4
	s_branch .LBB10_10
.LBB10_19:                              ;   in Loop: Header=BB10_6 Depth=1
	s_mov_b32 s87, -1
	s_mov_b32 s10, 0
.LBB10_20:                              ;   in Loop: Header=BB10_6 Depth=1
	s_and_b32 vcc_lo, exec_lo, s87
	s_cbranch_vccz .LBB10_31
.LBB10_21:                              ;   in Loop: Header=BB10_6 Depth=1
	v_mov_b32_e32 v1, 0
	s_and_saveexec_b32 s10, s4
	s_cbranch_execz .LBB10_23
; %bb.22:                               ;   in Loop: Header=BB10_6 Depth=1
	global_load_u8 v1, v[5:6], off
.LBB10_23:                              ;   in Loop: Header=BB10_6 Depth=1
	s_or_b32 exec_lo, exec_lo, s10
	s_and_saveexec_b32 s11, s4
	s_cbranch_execz .LBB10_28
; %bb.24:                               ;   in Loop: Header=BB10_6 Depth=1
	global_load_u16 v2, v22, s[38:39]
	v_mov_b32_e32 v27, v0
	s_mov_b32 s12, 0
	s_waitcnt vmcnt(0)
	v_add_nc_u32_e32 v3, v0, v2
	v_mul_lo_u32 v4, s54, v2
	s_delay_alu instid0(VALU_DEP_2)
	v_mul_lo_u32 v3, s54, v3
	s_branch .LBB10_26
	.p2align	6
.LBB10_25:                              ;   in Loop: Header=BB10_26 Depth=2
	s_or_b32 exec_lo, exec_lo, s13
	ds_store_b8 v27, v1
	v_add_nc_u32_e32 v3, v3, v4
	s_waitcnt vmcnt(0)
	v_mov_b32_e32 v1, v29
	v_mov_b32_e32 v27, v28
	s_and_b32 s10, exec_lo, vcc_lo
	s_delay_alu instid0(SALU_CYCLE_1) | instskip(NEXT) | instid1(SALU_CYCLE_1)
	s_or_b32 s12, s10, s12
	s_and_not1_b32 exec_lo, exec_lo, s12
	s_cbranch_execz .LBB10_28
.LBB10_26:                              ;   Parent Loop BB10_6 Depth=1
                                        ; =>  This Inner Loop Header: Depth=2
	v_dual_mov_b32 v29, 0 :: v_dual_add_nc_u32 v28, v27, v2
	s_mov_b32 s13, exec_lo
	s_delay_alu instid0(VALU_DEP_1)
	v_cmp_le_u32_e32 vcc_lo, s36, v28
	v_cmpx_gt_u32_e64 s36, v28
	s_cbranch_execz .LBB10_25
; %bb.27:                               ;   in Loop: Header=BB10_26 Depth=2
	global_load_u8 v29, v3, s[30:31]
	s_branch .LBB10_25
.LBB10_28:                              ;   in Loop: Header=BB10_6 Depth=1
	s_or_b32 exec_lo, exec_lo, s11
	s_waitcnt vmcnt(0) lgkmcnt(0)
	s_barrier
	buffer_gl0_inv
	s_and_saveexec_b32 s10, s5
	s_cbranch_execz .LBB10_30
; %bb.29:                               ;   in Loop: Header=BB10_6 Depth=1
	v_mov_b32_e32 v1, s36
	ds_store_b32 v22, v1 offset:4096
.LBB10_30:                              ;   in Loop: Header=BB10_6 Depth=1
	s_or_b32 exec_lo, exec_lo, s10
	s_mov_b32 s10, -1
	s_waitcnt lgkmcnt(0)
	s_barrier
                                        ; implicit-def: $sgpr87
.LBB10_31:                              ;   in Loop: Header=BB10_6 Depth=1
	s_and_b32 vcc_lo, exec_lo, s10
	s_cbranch_vccz .LBB10_33
; %bb.32:                               ;   in Loop: Header=BB10_6 Depth=1
	buffer_gl0_inv
	ds_load_b32 v1, v22 offset:4096
	s_waitcnt lgkmcnt(0)
	v_readfirstlane_b32 s87, v1
.LBB10_33:                              ;   in Loop: Header=BB10_6 Depth=1
	s_delay_alu instid0(VALU_DEP_1)
	s_cmp_lt_i32 s87, 1
	s_cbranch_scc0 .LBB10_37
; %bb.34:                               ;   in Loop: Header=BB10_6 Depth=1
	v_dual_mov_b32 v1, 0 :: v_dual_mov_b32 v2, 0
	v_dual_mov_b32 v3, 0 :: v_dual_mov_b32 v4, 0
	s_mov_b32 s89, 0
	s_and_saveexec_b32 s88, s7
	s_cbranch_execnz .LBB10_38
; %bb.35:                               ;   in Loop: Header=BB10_6 Depth=1
	s_or_b32 exec_lo, exec_lo, s88
	v_mov_b32_e32 v30, 0
	s_and_saveexec_b32 s10, s8
	s_cbranch_execnz .LBB10_41
.LBB10_36:                              ;   in Loop: Header=BB10_6 Depth=1
	s_or_b32 exec_lo, exec_lo, s10
	s_and_saveexec_b32 s14, s8
	s_cbranch_execnz .LBB10_42
	s_branch .LBB10_47
.LBB10_37:                              ;   in Loop: Header=BB10_6 Depth=1
                                        ; implicit-def: $vgpr4
	s_cbranch_execnz .LBB10_48
	s_branch .LBB10_57
.LBB10_38:                              ;   in Loop: Header=BB10_6 Depth=1
	v_mov_b32_e32 v27, v13
	s_and_b32 s90, s80, 0xfe
	s_mov_b32 s91, 0
	s_mov_b32 s92, 0
	;; [unrolled: 1-line block ×5, first 2 shown]
.LBB10_39:                              ;   Parent Loop BB10_6 Depth=1
                                        ; =>  This Inner Loop Header: Depth=2
	v_add_nc_u32_e32 v1, s91, v19
	v_add_nc_u32_e32 v2, s91, v9
	v_add_nc_u32_e32 v3, s91, v10
	v_add_nc_u32_e32 v4, s91, v18
	v_add_nc_u32_e32 v27, s61, v27
	s_clause 0x3
	global_load_u8 v1, v1, s[30:31]
	global_load_u8 v2, v2, s[30:31]
	global_load_u8 v3, v3, s[30:31]
	global_load_u8 v4, v4, s[30:31]
	s_add_i32 s91, s91, s75
	v_cmp_le_u32_e32 vcc_lo, s72, v27
	s_waitcnt vmcnt(3)
	v_and_b32_e32 v28, v23, v1
	v_bfe_u32 v1, v1, s90, 2
	s_waitcnt vmcnt(2)
	v_and_b32_e32 v29, v23, v2
	v_bfe_u32 v2, v2, s90, 2
	;; [unrolled: 3-line block ×3, first 2 shown]
	v_cmp_eq_u32_e64 s10, v28, v24
	v_cmp_eq_u32_e64 s14, 0, v1
	s_waitcnt vmcnt(0)
	v_and_b32_e32 v31, v23, v4
	v_bfe_u32 v4, v4, s90, 2
	v_cmp_eq_u32_e64 s11, v29, v24
	v_cmp_eq_u32_e64 s15, 0, v2
	;; [unrolled: 1-line block ×4, first 2 shown]
	s_and_b32 s14, s10, s14
	v_cmp_eq_u32_e64 s13, v31, v24
	v_cmp_eq_u32_e64 s17, 0, v4
	;; [unrolled: 1-line block ×5, first 2 shown]
	v_cndmask_b32_e64 v1, 0, 1, s14
	s_and_b32 s14, s11, s15
	v_cmp_eq_u32_e64 s19, 1, v2
	v_cmp_eq_u32_e64 s23, 2, v2
	v_cmp_eq_u32_e64 s27, 3, v2
	v_cndmask_b32_e64 v2, 0, 1, s14
	s_and_b32 s14, s12, s16
	v_cmp_eq_u32_e64 s20, 1, v3
	v_cmp_eq_u32_e64 s24, 2, v3
	v_cmp_eq_u32_e64 s28, 3, v3
	;; [unrolled: 5-line block ×3, first 2 shown]
	v_cndmask_b32_e64 v4, 0, 1, s14
	s_and_b32 s14, s10, s18
	s_delay_alu instid0(SALU_CYCLE_1) | instskip(SKIP_1) | instid1(SALU_CYCLE_1)
	v_cndmask_b32_e64 v28, 0, 1, s14
	s_and_b32 s14, s11, s19
	v_cndmask_b32_e64 v29, 0, 1, s14
	s_and_b32 s14, s12, s20
	s_delay_alu instid0(SALU_CYCLE_1) | instskip(SKIP_1) | instid1(VALU_DEP_2)
	v_cndmask_b32_e64 v30, 0, 1, s14
	s_and_b32 s14, s13, s21
	v_cmp_ne_u32_e64 s15, 0, v29
	v_cndmask_b32_e64 v31, 0, 1, s14
	s_and_b32 s14, s10, s22
	s_and_b32 s10, s10, s26
	v_cndmask_b32_e64 v32, 0, 1, s14
	s_and_b32 s14, s11, s23
	v_cndmask_b32_e64 v36, 0, 1, s10
	;; [unrolled: 2-line block ×7, first 2 shown]
	v_cndmask_b32_e64 v39, 0, 1, s10
	v_cmp_ne_u32_e64 s10, 0, v1
	v_cmp_ne_u32_e64 s14, 0, v28
	;; [unrolled: 1-line block ×11, first 2 shown]
	s_bcnt1_i32_b32 s10, s10
	s_bcnt1_i32_b32 s14, s14
	;; [unrolled: 1-line block ×4, first 2 shown]
	v_cmp_ne_u32_e64 s13, 0, v4
	v_cmp_ne_u32_e64 s17, 0, v31
	;; [unrolled: 1-line block ×4, first 2 shown]
	s_bcnt1_i32_b32 s11, s11
	s_bcnt1_i32_b32 s15, s15
	s_bcnt1_i32_b32 s19, s19
	s_bcnt1_i32_b32 s23, s23
	s_add_i32 s10, s10, s95
	s_add_i32 s14, s14, s94
	s_add_i32 s18, s18, s93
	s_add_i32 s22, s22, s92
	s_bcnt1_i32_b32 s12, s12
	s_bcnt1_i32_b32 s16, s16
	s_bcnt1_i32_b32 s20, s20
	s_bcnt1_i32_b32 s24, s24
	s_add_i32 s10, s10, s11
	s_add_i32 s11, s14, s15
	s_add_i32 s14, s18, s19
	s_add_i32 s15, s22, s23
	;; [unrolled: 8-line block ×3, first 2 shown]
	s_add_i32 s95, s10, s13
	s_add_i32 s94, s11, s17
	;; [unrolled: 1-line block ×4, first 2 shown]
	v_mov_b32_e32 v3, s93
	v_dual_mov_b32 v1, s95 :: v_dual_mov_b32 v2, s94
	v_mov_b32_e32 v4, s92
	s_or_b32 s89, vcc_lo, s89
	s_delay_alu instid0(SALU_CYCLE_1)
	s_and_not1_b32 exec_lo, exec_lo, s89
	s_cbranch_execnz .LBB10_39
; %bb.40:                               ;   in Loop: Header=BB10_6 Depth=1
	s_or_b32 exec_lo, exec_lo, s89
	s_delay_alu instid0(SALU_CYCLE_1)
	s_or_b32 exec_lo, exec_lo, s88
	v_mov_b32_e32 v30, 0
	s_and_saveexec_b32 s10, s8
	s_cbranch_execz .LBB10_36
.LBB10_41:                              ;   in Loop: Header=BB10_6 Depth=1
	global_load_u8 v30, v[7:8], off
	s_or_b32 exec_lo, exec_lo, s10
	s_and_saveexec_b32 s14, s8
	s_cbranch_execz .LBB10_47
.LBB10_42:                              ;   in Loop: Header=BB10_6 Depth=1
	v_dual_mov_b32 v27, v20 :: v_dual_mov_b32 v28, v17
	s_and_b32 s16, s80, 0xfe
	s_mov_b32 s15, 0
	s_branch .LBB10_44
.LBB10_43:                              ;   in Loop: Header=BB10_44 Depth=2
	s_or_b32 exec_lo, exec_lo, s11
	s_waitcnt vmcnt(0)
	v_and_b32_e32 v30, 0xff, v30
	s_and_b32 s11, exec_lo, vcc_lo
	v_add_nc_u32_e32 v27, s43, v27
	s_or_b32 s15, s11, s15
	s_delay_alu instid0(VALU_DEP_2) | instskip(SKIP_1) | instid1(VALU_DEP_2)
	v_and_b32_e32 v31, v23, v30
	v_bfe_u32 v30, v30, s16, 2
	v_cmp_eq_u32_e32 vcc_lo, v31, v24
	s_delay_alu instid0(VALU_DEP_2) | instskip(SKIP_3) | instid1(VALU_DEP_4)
	v_cmp_eq_u32_e64 s10, 0, v30
	v_cmp_eq_u32_e64 s11, 1, v30
	;; [unrolled: 1-line block ×4, first 2 shown]
	s_and_b32 s10, vcc_lo, s10
	s_delay_alu instid0(SALU_CYCLE_1) | instskip(SKIP_1) | instid1(SALU_CYCLE_1)
	v_cndmask_b32_e64 v30, 0, 1, s10
	s_and_b32 s10, vcc_lo, s11
	v_cndmask_b32_e64 v31, 0, 1, s10
	s_and_b32 s10, vcc_lo, s12
	s_delay_alu instid0(SALU_CYCLE_1)
	v_cndmask_b32_e64 v32, 0, 1, s10
	s_and_b32 s10, vcc_lo, s13
	v_cmp_ne_u32_e32 vcc_lo, 0, v30
	v_mov_b32_e32 v30, v29
	v_cndmask_b32_e64 v33, 0, 1, s10
	v_cmp_ne_u32_e64 s10, 0, v31
	v_cmp_ne_u32_e64 s11, 0, v32
	s_bcnt1_i32_b32 s13, vcc_lo
	s_delay_alu instid0(VALU_DEP_3) | instskip(NEXT) | instid1(VALU_DEP_3)
	v_cmp_ne_u32_e64 s12, 0, v33
	s_bcnt1_i32_b32 s10, s10
	s_delay_alu instid0(VALU_DEP_2)
	s_bcnt1_i32_b32 s11, s11
	v_add_nc_u32_e32 v1, s13, v1
	v_add_nc_u32_e32 v2, s10, v2
	s_bcnt1_i32_b32 s12, s12
	v_add_nc_u32_e32 v3, s11, v3
	v_add_nc_u32_e32 v4, s12, v4
	s_and_not1_b32 exec_lo, exec_lo, s15
	s_cbranch_execz .LBB10_46
.LBB10_44:                              ;   Parent Loop BB10_6 Depth=1
                                        ; =>  This Inner Loop Header: Depth=2
	s_delay_alu instid0(VALU_DEP_1) | instskip(SKIP_1) | instid1(VALU_DEP_1)
	v_dual_mov_b32 v29, 0 :: v_dual_add_nc_u32 v28, s33, v28
	s_mov_b32 s11, exec_lo
	v_cmp_le_u32_e32 vcc_lo, s36, v28
	v_cmpx_gt_u32_e64 s36, v28
	s_cbranch_execz .LBB10_43
; %bb.45:                               ;   in Loop: Header=BB10_44 Depth=2
	global_load_u8 v29, v27, s[30:31]
	s_branch .LBB10_43
.LBB10_46:                              ;   in Loop: Header=BB10_6 Depth=1
	s_or_b32 exec_lo, exec_lo, s15
.LBB10_47:                              ;   in Loop: Header=BB10_6 Depth=1
	s_delay_alu instid0(SALU_CYCLE_1)
	s_or_b32 exec_lo, exec_lo, s14
	s_branch .LBB10_57
.LBB10_48:                              ;   in Loop: Header=BB10_6 Depth=1
	s_mul_hi_u32 s10, s87, s70
	v_dual_mov_b32 v1, 0 :: v_dual_mov_b32 v2, 0
	s_mul_i32 s10, s10, s61
	v_dual_mov_b32 v3, 0 :: v_dual_mov_b32 v4, 0
	s_sub_i32 s10, s87, s10
	s_mov_b32 s90, 0
	s_sub_i32 s11, s10, s61
	s_cmp_ge_u32 s10, s61
	s_mov_b32 s89, exec_lo
	s_cselect_b32 s10, s11, s10
	s_delay_alu instid0(SALU_CYCLE_1) | instskip(SKIP_2) | instid1(SALU_CYCLE_1)
	s_sub_i32 s11, s10, s61
	s_cmp_ge_u32 s10, s61
	s_cselect_b32 s10, s11, s10
	s_sub_i32 s88, s87, s10
	s_delay_alu instid0(SALU_CYCLE_1)
	v_cmpx_gt_u32_e64 s88, v13
	s_cbranch_execz .LBB10_52
; %bb.49:                               ;   in Loop: Header=BB10_6 Depth=1
	v_mov_b32_e32 v27, v13
	s_and_b32 s91, s80, 0xfe
	s_mov_b32 s92, 0
	s_mov_b32 s93, 0
	;; [unrolled: 1-line block ×4, first 2 shown]
.LBB10_50:                              ;   Parent Loop BB10_6 Depth=1
                                        ; =>  This Inner Loop Header: Depth=2
	ds_load_b32 v1, v27
	s_waitcnt lgkmcnt(0)
	v_and_b32_e32 v2, 0xff, v1
	v_bfe_u32 v3, v1, 8, 8
	v_bfe_u32 v4, v1, 16, 8
	v_lshrrev_b32_e32 v1, 24, v1
	s_delay_alu instid0(VALU_DEP_4)
	v_and_b32_e32 v28, v23, v2
	v_bfe_u32 v2, v2, s91, 2
	v_and_b32_e32 v29, v23, v3
	v_bfe_u32 v3, v3, s91, 2
	s_waitcnt vmcnt(0)
	v_and_b32_e32 v30, v23, v4
	v_bfe_u32 v4, v4, s91, 2
	v_cmp_eq_u32_e64 s10, v28, v24
	v_cmp_eq_u32_e64 s14, 0, v2
	v_and_b32_e32 v31, v23, v1
	v_bfe_u32 v1, v1, s91, 2
	v_cmp_eq_u32_e64 s11, v29, v24
	v_cmp_eq_u32_e64 s15, 0, v3
	;; [unrolled: 1-line block ×4, first 2 shown]
	s_and_b32 s14, s10, s14
	v_cmp_eq_u32_e64 s13, v31, v24
	v_cmp_eq_u32_e64 s17, 0, v1
	;; [unrolled: 1-line block ×5, first 2 shown]
	v_cndmask_b32_e64 v1, 0, 1, s14
	s_and_b32 s14, s11, s15
	v_cmp_eq_u32_e64 s18, 1, v2
	v_cmp_eq_u32_e64 s22, 2, v2
	v_cmp_eq_u32_e64 s26, 3, v2
	v_cndmask_b32_e64 v2, 0, 1, s14
	s_and_b32 s14, s12, s16
	v_cmp_eq_u32_e64 s19, 1, v3
	v_cmp_eq_u32_e64 s23, 2, v3
	v_cmp_eq_u32_e64 s27, 3, v3
	;; [unrolled: 5-line block ×3, first 2 shown]
	v_cndmask_b32_e64 v4, 0, 1, s14
	s_and_b32 s14, s10, s18
	s_delay_alu instid0(SALU_CYCLE_1) | instskip(SKIP_1) | instid1(SALU_CYCLE_1)
	v_cndmask_b32_e64 v28, 0, 1, s14
	s_and_b32 s14, s11, s19
	v_cndmask_b32_e64 v29, 0, 1, s14
	s_and_b32 s14, s12, s20
	s_delay_alu instid0(SALU_CYCLE_1) | instskip(SKIP_1) | instid1(VALU_DEP_2)
	v_cndmask_b32_e64 v30, 0, 1, s14
	s_and_b32 s14, s13, s21
	v_cmp_ne_u32_e64 s15, 0, v29
	v_cndmask_b32_e64 v31, 0, 1, s14
	s_and_b32 s14, s10, s22
	s_and_b32 s10, s10, s26
	v_cndmask_b32_e64 v32, 0, 1, s14
	s_and_b32 s14, s11, s23
	v_cndmask_b32_e64 v36, 0, 1, s10
	;; [unrolled: 2-line block ×7, first 2 shown]
	v_cndmask_b32_e64 v39, 0, 1, s10
	v_cmp_ne_u32_e64 s10, 0, v1
	v_cmp_ne_u32_e64 s14, 0, v28
	;; [unrolled: 1-line block ×6, first 2 shown]
	s_bcnt1_i32_b32 s10, s10
	s_bcnt1_i32_b32 s14, s14
	v_cmp_ne_u32_e64 s17, 0, v31
	v_cmp_ne_u32_e64 s19, 0, v33
	;; [unrolled: 1-line block ×3, first 2 shown]
	s_bcnt1_i32_b32 s11, s11
	s_bcnt1_i32_b32 s15, s15
	s_add_i32 s10, s10, s95
	s_add_i32 s14, s14, s94
	v_cmp_ne_u32_e64 s12, 0, v3
	v_cmp_ne_u32_e64 s20, 0, v34
	;; [unrolled: 1-line block ×3, first 2 shown]
	s_bcnt1_i32_b32 s16, s16
	s_add_i32 s10, s10, s11
	s_add_i32 s11, s14, s15
	s_bcnt1_i32_b32 s18, s18
	s_bcnt1_i32_b32 s22, s22
	v_cmp_ne_u32_e64 s13, 0, v4
	v_cmp_ne_u32_e64 s21, 0, v35
	;; [unrolled: 1-line block ×3, first 2 shown]
	s_bcnt1_i32_b32 s17, s17
	s_add_i32 s11, s11, s16
	s_bcnt1_i32_b32 s19, s19
	s_bcnt1_i32_b32 s23, s23
	s_add_i32 s18, s18, s93
	s_add_i32 s22, s22, s92
	;; [unrolled: 1-line block ×3, first 2 shown]
	s_delay_alu instid0(SALU_CYCLE_1)
	v_dual_mov_b32 v2, s94 :: v_dual_add_nc_u32 v27, s61, v27
	s_bcnt1_i32_b32 s12, s12
	s_bcnt1_i32_b32 s20, s20
	;; [unrolled: 1-line block ×3, first 2 shown]
	s_add_i32 s14, s18, s19
	s_add_i32 s15, s22, s23
	s_bcnt1_i32_b32 s13, s13
	s_bcnt1_i32_b32 s21, s21
	;; [unrolled: 1-line block ×3, first 2 shown]
	s_add_i32 s10, s10, s12
	s_add_i32 s12, s14, s20
	;; [unrolled: 1-line block ×3, first 2 shown]
	v_cmp_le_u32_e32 vcc_lo, s88, v27
	s_add_i32 s95, s10, s13
	s_add_i32 s93, s12, s21
	;; [unrolled: 1-line block ×3, first 2 shown]
	v_mov_b32_e32 v1, s95
	v_dual_mov_b32 v3, s93 :: v_dual_mov_b32 v4, s92
	s_or_b32 s90, vcc_lo, s90
	s_delay_alu instid0(SALU_CYCLE_1)
	s_and_not1_b32 exec_lo, exec_lo, s90
	s_cbranch_execnz .LBB10_50
; %bb.51:                               ;   in Loop: Header=BB10_6 Depth=1
	s_or_b32 exec_lo, exec_lo, s90
.LBB10_52:                              ;   in Loop: Header=BB10_6 Depth=1
	s_delay_alu instid0(SALU_CYCLE_1) | instskip(SKIP_2) | instid1(VALU_DEP_1)
	s_or_b32 exec_lo, exec_lo, s89
	v_add_nc_u32_e32 v27, s88, v0
	s_mov_b32 s15, exec_lo
	v_cmpx_gt_u32_e64 s87, v27
	s_cbranch_execz .LBB10_56
; %bb.53:                               ;   in Loop: Header=BB10_6 Depth=1
	s_and_b32 s17, s80, 0xfe
	s_mov_b32 s16, 0
	s_set_inst_prefetch_distance 0x1
	.p2align	6
.LBB10_54:                              ;   Parent Loop BB10_6 Depth=1
                                        ; =>  This Inner Loop Header: Depth=2
	ds_load_u8 v28, v27
	v_add_nc_u32_e32 v27, s33, v27
	s_delay_alu instid0(VALU_DEP_1) | instskip(SKIP_3) | instid1(VALU_DEP_2)
	v_cmp_le_u32_e32 vcc_lo, s87, v27
	s_waitcnt lgkmcnt(0)
	v_and_b32_e32 v29, v23, v28
	v_bfe_u32 v28, v28, s17, 2
	v_cmp_eq_u32_e64 s10, v29, v24
	s_delay_alu instid0(VALU_DEP_2) | instskip(SKIP_3) | instid1(VALU_DEP_4)
	v_cmp_eq_u32_e64 s11, 0, v28
	v_cmp_eq_u32_e64 s12, 1, v28
	;; [unrolled: 1-line block ×4, first 2 shown]
	s_and_b32 s11, s10, s11
	s_delay_alu instid0(SALU_CYCLE_1) | instskip(SKIP_1) | instid1(SALU_CYCLE_1)
	v_cndmask_b32_e64 v28, 0, 1, s11
	s_and_b32 s11, s10, s12
	v_cndmask_b32_e64 v29, 0, 1, s11
	s_and_b32 s11, s10, s13
	s_and_b32 s10, s10, s14
	s_waitcnt vmcnt(0)
	v_cndmask_b32_e64 v30, 0, 1, s11
	v_cndmask_b32_e64 v31, 0, 1, s10
	v_cmp_ne_u32_e64 s10, 0, v28
	v_cmp_ne_u32_e64 s11, 0, v29
	s_delay_alu instid0(VALU_DEP_4) | instskip(NEXT) | instid1(VALU_DEP_4)
	v_cmp_ne_u32_e64 s12, 0, v30
	v_cmp_ne_u32_e64 s13, 0, v31
	s_delay_alu instid0(VALU_DEP_4) | instskip(NEXT) | instid1(VALU_DEP_3)
	s_bcnt1_i32_b32 s10, s10
	s_bcnt1_i32_b32 s11, s11
	v_add_nc_u32_e32 v1, s10, v1
	s_bcnt1_i32_b32 s12, s12
	s_bcnt1_i32_b32 s13, s13
	v_add_nc_u32_e32 v2, s11, v2
	v_add_nc_u32_e32 v3, s12, v3
	;; [unrolled: 1-line block ×3, first 2 shown]
	s_or_b32 s16, vcc_lo, s16
	s_delay_alu instid0(SALU_CYCLE_1)
	s_and_not1_b32 exec_lo, exec_lo, s16
	s_cbranch_execnz .LBB10_54
; %bb.55:                               ;   in Loop: Header=BB10_6 Depth=1
	s_set_inst_prefetch_distance 0x2
	s_or_b32 exec_lo, exec_lo, s16
.LBB10_56:                              ;   in Loop: Header=BB10_6 Depth=1
	s_delay_alu instid0(SALU_CYCLE_1)
	s_or_b32 exec_lo, exec_lo, s15
.LBB10_57:                              ;   in Loop: Header=BB10_6 Depth=1
	s_lshl_b32 s10, s76, 7
	s_and_saveexec_b32 s11, s2
	s_cbranch_execz .LBB10_59
; %bb.58:                               ;   in Loop: Header=BB10_6 Depth=1
	v_or_b32_e32 v27, s10, v16
	s_delay_alu instid0(VALU_DEP_1)
	v_lshlrev_b32_e32 v27, 2, v27
	ds_store_b128 v27, v[1:4] offset:3072
.LBB10_59:                              ;   in Loop: Header=BB10_6 Depth=1
	s_or_b32 exec_lo, exec_lo, s11
	s_waitcnt vmcnt(0) lgkmcnt(0)
	s_barrier
	buffer_gl0_inv
	s_and_saveexec_b32 s11, s62
	s_cbranch_execz .LBB10_69
; %bb.60:                               ;   in Loop: Header=BB10_6 Depth=1
	v_mov_b32_e32 v1, 0
	s_and_not1_b32 vcc_lo, exec_lo, s64
	s_cbranch_vccnz .LBB10_68
; %bb.61:                               ;   in Loop: Header=BB10_6 Depth=1
	v_mov_b32_e32 v1, 0
	s_and_not1_b32 vcc_lo, exec_lo, s67
	s_mov_b32 s12, 0
	s_cbranch_vccnz .LBB10_65
; %bb.62:                               ;   in Loop: Header=BB10_6 Depth=1
	v_lshl_add_u32 v2, s76, 9, v21
	v_mov_b32_e32 v1, 0
	.p2align	6
.LBB10_63:                              ;   Parent Loop BB10_6 Depth=1
                                        ; =>  This Inner Loop Header: Depth=2
	ds_load_2addr_b32 v[3:4], v2 offset1:4
	ds_load_2addr_b32 v[27:28], v2 offset0:8 offset1:12
	ds_load_2addr_b32 v[29:30], v2 offset0:16 offset1:20
	;; [unrolled: 1-line block ×3, first 2 shown]
	v_add_nc_u32_e32 v2, 0x80, v2
	s_add_i32 s12, s12, 8
	s_delay_alu instid0(SALU_CYCLE_1) | instskip(SKIP_3) | instid1(VALU_DEP_1)
	s_cmp_eq_u32 s68, s12
	s_waitcnt lgkmcnt(3)
	v_add3_u32 v1, v3, v1, v4
	s_waitcnt lgkmcnt(2)
	v_add3_u32 v1, v27, v1, v28
	s_waitcnt lgkmcnt(1)
	s_delay_alu instid0(VALU_DEP_1) | instskip(SKIP_1) | instid1(VALU_DEP_1)
	v_add3_u32 v1, v29, v1, v30
	s_waitcnt lgkmcnt(0)
	v_add3_u32 v1, v31, v1, v32
	s_cbranch_scc0 .LBB10_63
; %bb.64:                               ;   in Loop: Header=BB10_6 Depth=1
	s_mov_b32 s12, s68
.LBB10_65:                              ;   in Loop: Header=BB10_6 Depth=1
	s_and_not1_b32 vcc_lo, exec_lo, s69
	s_cbranch_vccnz .LBB10_68
; %bb.66:                               ;   in Loop: Header=BB10_6 Depth=1
	s_lshl_b32 s13, s76, 9
	s_lshl_b32 s12, s12, 4
	s_delay_alu instid0(SALU_CYCLE_1)
	v_add3_u32 v2, s13, s12, v21
	s_mov_b32 s12, s66
.LBB10_67:                              ;   Parent Loop BB10_6 Depth=1
                                        ; =>  This Inner Loop Header: Depth=2
	ds_load_b32 v3, v2
	v_add_nc_u32_e32 v2, 16, v2
	s_add_i32 s12, s12, -1
	s_delay_alu instid0(SALU_CYCLE_1)
	s_cmp_lg_u32 s12, 0
	s_waitcnt lgkmcnt(0)
	v_add_nc_u32_e32 v1, v3, v1
	s_cbranch_scc1 .LBB10_67
.LBB10_68:                              ;   in Loop: Header=BB10_6 Depth=1
	v_add_lshl_u32 v2, s10, v12, 2
	ds_store_b32 v2, v1 offset:3072
.LBB10_69:                              ;   in Loop: Header=BB10_6 Depth=1
	s_or_b32 exec_lo, exec_lo, s11
	s_lshl_b32 s10, s10, 2
	s_waitcnt lgkmcnt(0)
	v_mov_b32_e32 v1, s10
	s_barrier
	buffer_gl0_inv
	s_and_b32 s17, s80, 0xfe
	v_cmp_eq_u32_e64 s10, 1, v26
	ds_load_b128 v[1:4], v1 offset:3072
	s_lshl_b32 s13, 3, s17
	s_and_not1_b32 vcc_lo, exec_lo, s60
	s_not_b32 s14, s13
	s_waitcnt lgkmcnt(0)
	v_readfirstlane_b32 s12, v1
	v_readfirstlane_b32 s16, v2
	;; [unrolled: 1-line block ×4, first 2 shown]
	s_cbranch_vccnz .LBB10_81
; %bb.70:                               ;   in Loop: Header=BB10_6 Depth=1
	s_cmp_eq_u32 s12, 1
	v_dual_mov_b32 v1, v24 :: v_dual_mov_b32 v2, v23
	v_mov_b32_e32 v3, v25
	s_cselect_b32 s11, -1, 0
	s_mov_b32 s26, -1
	s_and_b32 s25, s11, s10
                                        ; implicit-def: $sgpr15
                                        ; implicit-def: $sgpr22
                                        ; implicit-def: $sgpr21
	s_delay_alu instid0(SALU_CYCLE_1)
	s_and_saveexec_b32 s20, s25
	s_cbranch_execz .LBB10_99
; %bb.71:                               ;   in Loop: Header=BB10_6 Depth=1
	ds_load_b32 v1, v22 offset:4096
	s_waitcnt lgkmcnt(0)
	s_barrier
	buffer_gl0_inv
	v_readfirstlane_b32 s15, v1
	s_and_saveexec_b32 s11, s6
	s_cbranch_execz .LBB10_73
; %bb.72:                               ;   in Loop: Header=BB10_6 Depth=1
	ds_store_b8 v0, v15 offset:3072
.LBB10_73:                              ;   in Loop: Header=BB10_6 Depth=1
	s_or_b32 exec_lo, exec_lo, s11
	v_and_b32_e32 v1, s14, v24
	v_or_b32_e32 v2, s13, v23
	s_cmp_eq_u32 s15, 0
	s_waitcnt lgkmcnt(0)
	s_barrier
	buffer_gl0_inv
	s_cbranch_scc1 .LBB10_86
; %bb.74:                               ;   in Loop: Header=BB10_6 Depth=1
	s_add_i32 s11, s15, s65
                                        ; implicit-def: $vgpr3
	s_delay_alu instid0(SALU_CYCLE_1) | instskip(NEXT) | instid1(SALU_CYCLE_1)
	s_mul_hi_u32 s21, s11, s71
	s_mul_i32 s21, s21, s33
	s_delay_alu instid0(SALU_CYCLE_1) | instskip(NEXT) | instid1(SALU_CYCLE_1)
	s_sub_i32 s21, s11, s21
	s_sub_i32 s22, s21, s33
	s_cmp_ge_u32 s21, s33
	s_cselect_b32 s21, s22, s21
	s_delay_alu instid0(SALU_CYCLE_1) | instskip(SKIP_2) | instid1(SALU_CYCLE_1)
	s_sub_i32 s22, s21, s33
	s_cmp_ge_u32 s21, s33
	s_cselect_b32 s21, s22, s21
	s_sub_i32 s22, s11, s21
	s_mov_b32 s11, 0
	s_mov_b32 s21, exec_lo
	v_cmpx_gt_u32_e64 s22, v0
	s_cbranch_execz .LBB10_88
; %bb.75:                               ;   in Loop: Header=BB10_6 Depth=1
	v_mov_b32_e32 v3, v0
	s_mov_b32 s23, 0
                                        ; implicit-def: $sgpr24
	s_set_inst_prefetch_distance 0x1
	s_branch .LBB10_77
	.p2align	6
.LBB10_76:                              ;   in Loop: Header=BB10_77 Depth=2
	s_or_b32 exec_lo, exec_lo, s11
	s_waitcnt lgkmcnt(0)
	s_barrier
	buffer_gl0_inv
	ds_load_u16 v4, v22 offset:3072
	v_add_nc_u32_e32 v3, s33, v3
	s_waitcnt lgkmcnt(0)
	s_barrier
	buffer_gl0_inv
	v_cmp_le_u32_e32 vcc_lo, s22, v3
	v_and_b32_e32 v27, 0xff, v4
	s_delay_alu instid0(VALU_DEP_1) | instskip(NEXT) | instid1(VALU_DEP_1)
	v_cmp_ne_u16_e64 s11, 0, v27
	s_or_b32 s26, vcc_lo, s11
	s_delay_alu instid0(SALU_CYCLE_1) | instskip(NEXT) | instid1(SALU_CYCLE_1)
	s_and_b32 s26, exec_lo, s26
	s_or_b32 s23, s26, s23
	s_and_not1_b32 s24, s24, exec_lo
	s_and_b32 s11, s11, exec_lo
	s_delay_alu instid0(SALU_CYCLE_1)
	s_or_b32 s24, s24, s11
	s_and_not1_b32 exec_lo, exec_lo, s23
	s_cbranch_execz .LBB10_87
.LBB10_77:                              ;   Parent Loop BB10_6 Depth=1
                                        ; =>  This Inner Loop Header: Depth=2
	s_delay_alu instid0(VALU_DEP_1)
	v_cmp_gt_u32_e32 vcc_lo, s15, v3
	v_mov_b32_e32 v4, 0
	s_and_saveexec_b32 s11, vcc_lo
	s_cbranch_execz .LBB10_79
; %bb.78:                               ;   in Loop: Header=BB10_77 Depth=2
	ds_load_u8 v4, v3
.LBB10_79:                              ;   in Loop: Header=BB10_77 Depth=2
	s_or_b32 exec_lo, exec_lo, s11
	s_waitcnt lgkmcnt(0)
	v_and_b32_e32 v27, v4, v2
	s_delay_alu instid0(VALU_DEP_1) | instskip(NEXT) | instid1(VALU_DEP_1)
	v_and_b32_e32 v27, 0xff, v27
	v_cmp_eq_u32_e64 s11, v27, v1
	s_delay_alu instid0(VALU_DEP_1) | instskip(NEXT) | instid1(SALU_CYCLE_1)
	s_and_b32 s26, vcc_lo, s11
	s_and_saveexec_b32 s11, s26
	s_cbranch_execz .LBB10_76
; %bb.80:                               ;   in Loop: Header=BB10_77 Depth=2
	v_lshlrev_b16 v4, 8, v4
	s_delay_alu instid0(VALU_DEP_1)
	v_or_b32_e32 v4, 1, v4
	ds_store_b16 v22, v4 offset:3072
	s_branch .LBB10_76
.LBB10_81:                              ;   in Loop: Header=BB10_6 Depth=1
	s_mov_b32 s20, 0
	s_mov_b32 s11, 0
                                        ; implicit-def: $sgpr21
                                        ; implicit-def: $sgpr22
                                        ; implicit-def: $sgpr15
                                        ; implicit-def: $vgpr27
                                        ; implicit-def: $vgpr4
                                        ; implicit-def: $vgpr1
                                        ; implicit-def: $vgpr2
                                        ; implicit-def: $vgpr3
	s_cbranch_execnz .LBB10_229
.LBB10_82:                              ;   in Loop: Header=BB10_6 Depth=1
	s_mov_b32 s23, s15
	s_mov_b32 s24, s15
	s_and_saveexec_b32 s10, s20
	s_cbranch_execnz .LBB10_383
	s_branch .LBB10_384
.LBB10_83:                              ;   in Loop: Header=BB10_6 Depth=1
	s_or_b32 exec_lo, exec_lo, s12
	s_waitcnt lgkmcnt(0)
	s_barrier
	buffer_gl0_inv
	s_and_saveexec_b32 s10, s5
	s_cbranch_execz .LBB10_85
; %bb.84:                               ;   in Loop: Header=BB10_6 Depth=1
	ds_load_b32 v1, v22 offset:4104
	s_waitcnt lgkmcnt(0)
	ds_store_b32 v22, v1 offset:4096
.LBB10_85:                              ;   in Loop: Header=BB10_6 Depth=1
	s_or_b32 exec_lo, exec_lo, s10
	s_waitcnt lgkmcnt(0)
	s_mov_b32 s10, -1
	s_barrier
	s_and_b32 vcc_lo, exec_lo, s87
	s_cbranch_vccnz .LBB10_21
	s_branch .LBB10_31
.LBB10_86:                              ;   in Loop: Header=BB10_6 Depth=1
	s_mov_b32 s15, -1
	s_mov_b32 s11, 0
                                        ; implicit-def: $sgpr21
                                        ; implicit-def: $vgpr3
	s_mov_b32 s22, s15
	s_cbranch_execnz .LBB10_89
	s_branch .LBB10_98
.LBB10_87:                              ;   in Loop: Header=BB10_6 Depth=1
	s_set_inst_prefetch_distance 0x2
	s_or_b32 exec_lo, exec_lo, s23
	v_lshrrev_b16 v3, 8, v4
	s_and_b32 s11, s24, exec_lo
.LBB10_88:                              ;   in Loop: Header=BB10_6 Depth=1
	s_or_b32 exec_lo, exec_lo, s21
	s_mov_b32 s21, -1
	s_mov_b32 s15, 0
	s_delay_alu instid0(SALU_CYCLE_1)
	s_mov_b32 s22, s15
	s_branch .LBB10_98
.LBB10_89:                              ;   in Loop: Header=BB10_6 Depth=1
	s_mov_b32 s11, 0
                                        ; implicit-def: $vgpr3
	s_and_saveexec_b32 s15, s9
	s_cbranch_execz .LBB10_97
; %bb.90:                               ;   in Loop: Header=BB10_6 Depth=1
	v_dual_mov_b32 v3, v14 :: v_dual_mov_b32 v4, v0
	s_mov_b32 s21, 0
                                        ; implicit-def: $sgpr22
	s_set_inst_prefetch_distance 0x1
	s_branch .LBB10_92
	.p2align	6
.LBB10_91:                              ;   in Loop: Header=BB10_92 Depth=2
	s_or_b32 exec_lo, exec_lo, s11
	s_waitcnt lgkmcnt(0)
	s_barrier
	buffer_gl0_inv
	ds_load_u16 v27, v22 offset:3072
	v_add_nc_u32_e32 v4, s33, v4
	v_add_nc_u32_e32 v3, s43, v3
	s_waitcnt lgkmcnt(0)
	s_barrier
	buffer_gl0_inv
	v_cmp_le_u32_e32 vcc_lo, s73, v4
	v_and_b32_e32 v28, 0xff, v27
	s_delay_alu instid0(VALU_DEP_1) | instskip(NEXT) | instid1(VALU_DEP_1)
	v_cmp_ne_u16_e64 s11, 0, v28
	s_or_b32 s23, vcc_lo, s11
	s_delay_alu instid0(SALU_CYCLE_1) | instskip(NEXT) | instid1(SALU_CYCLE_1)
	s_and_b32 s23, exec_lo, s23
	s_or_b32 s21, s23, s21
	s_and_not1_b32 s22, s22, exec_lo
	s_and_b32 s11, s11, exec_lo
	s_delay_alu instid0(SALU_CYCLE_1)
	s_or_b32 s22, s22, s11
	s_and_not1_b32 exec_lo, exec_lo, s21
	s_cbranch_execz .LBB10_96
.LBB10_92:                              ;   Parent Loop BB10_6 Depth=1
                                        ; =>  This Inner Loop Header: Depth=2
	s_delay_alu instid0(VALU_DEP_1)
	v_cmp_gt_u32_e32 vcc_lo, s36, v4
	v_mov_b32_e32 v27, 0
	s_and_saveexec_b32 s11, vcc_lo
	s_cbranch_execz .LBB10_94
; %bb.93:                               ;   in Loop: Header=BB10_92 Depth=2
	global_load_u8 v27, v3, s[30:31]
.LBB10_94:                              ;   in Loop: Header=BB10_92 Depth=2
	s_or_b32 exec_lo, exec_lo, s11
	s_waitcnt vmcnt(0)
	v_and_b32_e32 v28, v27, v2
	s_delay_alu instid0(VALU_DEP_1) | instskip(NEXT) | instid1(VALU_DEP_1)
	v_and_b32_e32 v28, 0xff, v28
	v_cmp_eq_u32_e64 s11, v28, v1
	s_delay_alu instid0(VALU_DEP_1) | instskip(NEXT) | instid1(SALU_CYCLE_1)
	s_and_b32 s23, vcc_lo, s11
	s_and_saveexec_b32 s11, s23
	s_cbranch_execz .LBB10_91
; %bb.95:                               ;   in Loop: Header=BB10_92 Depth=2
	v_lshlrev_b16 v27, 8, v27
	s_delay_alu instid0(VALU_DEP_1)
	v_or_b32_e32 v27, 1, v27
	ds_store_b16 v22, v27 offset:3072
	s_branch .LBB10_91
.LBB10_96:                              ;   in Loop: Header=BB10_6 Depth=1
	s_set_inst_prefetch_distance 0x2
	s_or_b32 exec_lo, exec_lo, s21
	v_lshrrev_b16 v3, 8, v27
	s_and_b32 s11, s22, exec_lo
.LBB10_97:                              ;   in Loop: Header=BB10_6 Depth=1
	s_or_b32 exec_lo, exec_lo, s15
	s_mov_b32 s22, -1
	s_mov_b32 s15, 0
	s_mov_b32 s21, 0
.LBB10_98:                              ;   in Loop: Header=BB10_6 Depth=1
	s_or_not1_b32 s26, s11, exec_lo
.LBB10_99:                              ;   in Loop: Header=BB10_6 Depth=1
	s_or_b32 exec_lo, exec_lo, s20
	s_mov_b32 s23, 0
	s_mov_b32 s20, 0
	;; [unrolled: 1-line block ×3, first 2 shown]
                                        ; implicit-def: $vgpr27
                                        ; implicit-def: $vgpr4
	s_and_saveexec_b32 s24, s26
	s_cbranch_execz .LBB10_228
; %bb.100:                              ;   in Loop: Header=BB10_6 Depth=1
	v_dual_mov_b32 v4, 1 :: v_dual_mov_b32 v27, 1
	s_xor_b32 s25, s25, -1
	s_delay_alu instid0(SALU_CYCLE_1)
	s_and_saveexec_b32 s11, s25
	s_cbranch_execz .LBB10_110
; %bb.101:                              ;   in Loop: Header=BB10_6 Depth=1
	s_mov_b32 s25, exec_lo
                                        ; implicit-def: $sgpr26
                                        ; implicit-def: $sgpr20
	v_cmpx_ge_u32_e64 s12, v26
	s_xor_b32 s25, exec_lo, s25
	s_cbranch_execz .LBB10_107
; %bb.102:                              ;   in Loop: Header=BB10_6 Depth=1
	ds_load_b32 v4, v22 offset:4096
	s_waitcnt lgkmcnt(0)
	v_cmp_ne_u32_e32 vcc_lo, 0, v4
	s_cbranch_vccnz .LBB10_106
; %bb.103:                              ;   in Loop: Header=BB10_6 Depth=1
	s_and_saveexec_b32 s20, s5
	s_cbranch_execz .LBB10_105
; %bb.104:                              ;   in Loop: Header=BB10_6 Depth=1
	v_mov_b32_e32 v4, s12
	ds_store_b32 v22, v4 offset:4100
.LBB10_105:                             ;   in Loop: Header=BB10_6 Depth=1
	s_or_b32 exec_lo, exec_lo, s20
	s_waitcnt lgkmcnt(0)
	s_barrier
	buffer_gl0_inv
.LBB10_106:                             ;   in Loop: Header=BB10_6 Depth=1
	v_and_b32_e32 v1, s14, v1
	v_or_b32_e32 v2, s13, v2
	s_mov_b32 s20, 0
	s_mov_b32 s26, 8
.LBB10_107:                             ;   in Loop: Header=BB10_6 Depth=1
	s_or_saveexec_b32 s25, s25
	v_dual_mov_b32 v27, s26 :: v_dual_mov_b32 v4, v26
	s_xor_b32 exec_lo, exec_lo, s25
; %bb.108:                              ;   in Loop: Header=BB10_6 Depth=1
	v_subrev_nc_u32_e32 v4, s12, v26
	v_mov_b32_e32 v27, 0
	s_or_b32 s20, s20, exec_lo
; %bb.109:                              ;   in Loop: Header=BB10_6 Depth=1
	s_or_b32 exec_lo, exec_lo, s25
	s_delay_alu instid0(SALU_CYCLE_1)
	s_and_b32 s20, s20, exec_lo
.LBB10_110:                             ;   in Loop: Header=BB10_6 Depth=1
	s_or_b32 exec_lo, exec_lo, s11
	s_mov_b32 s11, -1
                                        ; implicit-def: $sgpr25
                                        ; implicit-def: $sgpr27
                                        ; implicit-def: $sgpr28
	s_and_saveexec_b32 s26, s20
	s_delay_alu instid0(SALU_CYCLE_1)
	s_xor_b32 s20, exec_lo, s26
	s_cbranch_execz .LBB10_225
; %bb.111:                              ;   in Loop: Header=BB10_6 Depth=1
	v_cmp_eq_u32_e32 vcc_lo, 1, v4
	s_cmp_eq_u32 s16, 1
                                        ; implicit-def: $sgpr25
                                        ; implicit-def: $sgpr27
                                        ; implicit-def: $sgpr26
	s_cselect_b32 s11, -1, 0
	s_delay_alu instid0(SALU_CYCLE_1)
	s_and_b32 s29, s11, vcc_lo
	s_mov_b32 s11, -1
	s_and_saveexec_b32 s28, s29
	s_cbranch_execz .LBB10_135
; %bb.112:                              ;   in Loop: Header=BB10_6 Depth=1
	ds_load_b32 v3, v22 offset:4096
	s_waitcnt lgkmcnt(0)
	s_barrier
	buffer_gl0_inv
	v_readfirstlane_b32 s25, v3
	s_and_saveexec_b32 s11, s6
	s_cbranch_execz .LBB10_114
; %bb.113:                              ;   in Loop: Header=BB10_6 Depth=1
	ds_store_b8 v0, v15 offset:3072
.LBB10_114:                             ;   in Loop: Header=BB10_6 Depth=1
	s_or_b32 exec_lo, exec_lo, s11
	s_lshl_b32 s11, 1, s17
	v_or_b32_e32 v2, s13, v2
	v_and_or_b32 v1, v1, s14, s11
	s_cmp_eq_u32 s25, 0
	s_waitcnt lgkmcnt(0)
	s_barrier
	buffer_gl0_inv
	s_cbranch_scc1 .LBB10_122
; %bb.115:                              ;   in Loop: Header=BB10_6 Depth=1
	s_add_i32 s11, s25, s65
                                        ; implicit-def: $vgpr3
	s_delay_alu instid0(SALU_CYCLE_1) | instskip(NEXT) | instid1(SALU_CYCLE_1)
	s_mul_hi_u32 s26, s11, s71
	s_mul_i32 s26, s26, s33
	s_delay_alu instid0(SALU_CYCLE_1) | instskip(NEXT) | instid1(SALU_CYCLE_1)
	s_sub_i32 s26, s11, s26
	s_sub_i32 s27, s26, s33
	s_cmp_ge_u32 s26, s33
	s_cselect_b32 s26, s27, s26
	s_delay_alu instid0(SALU_CYCLE_1) | instskip(SKIP_2) | instid1(SALU_CYCLE_1)
	s_sub_i32 s27, s26, s33
	s_cmp_ge_u32 s26, s33
	s_cselect_b32 s26, s27, s26
	s_sub_i32 s27, s11, s26
	s_mov_b32 s11, 0
	s_mov_b32 s26, exec_lo
	v_cmpx_gt_u32_e64 s27, v0
	s_cbranch_execz .LBB10_124
; %bb.116:                              ;   in Loop: Header=BB10_6 Depth=1
	v_mov_b32_e32 v3, v0
	s_mov_b32 s87, 0
                                        ; implicit-def: $sgpr88
	s_set_inst_prefetch_distance 0x1
	s_branch .LBB10_118
	.p2align	6
.LBB10_117:                             ;   in Loop: Header=BB10_118 Depth=2
	s_or_b32 exec_lo, exec_lo, s11
	s_waitcnt lgkmcnt(0)
	s_barrier
	buffer_gl0_inv
	ds_load_u16 v27, v22 offset:3072
	v_add_nc_u32_e32 v3, s33, v3
	s_waitcnt lgkmcnt(0)
	s_barrier
	buffer_gl0_inv
	v_cmp_le_u32_e32 vcc_lo, s27, v3
	v_and_b32_e32 v28, 0xff, v27
	s_delay_alu instid0(VALU_DEP_1) | instskip(NEXT) | instid1(VALU_DEP_1)
	v_cmp_ne_u16_e64 s11, 0, v28
	s_or_b32 s89, vcc_lo, s11
	s_delay_alu instid0(SALU_CYCLE_1) | instskip(NEXT) | instid1(SALU_CYCLE_1)
	s_and_b32 s89, exec_lo, s89
	s_or_b32 s87, s89, s87
	s_and_not1_b32 s88, s88, exec_lo
	s_and_b32 s11, s11, exec_lo
	s_delay_alu instid0(SALU_CYCLE_1)
	s_or_b32 s88, s88, s11
	s_and_not1_b32 exec_lo, exec_lo, s87
	s_cbranch_execz .LBB10_123
.LBB10_118:                             ;   Parent Loop BB10_6 Depth=1
                                        ; =>  This Inner Loop Header: Depth=2
	s_delay_alu instid0(VALU_DEP_1)
	v_cmp_gt_u32_e32 vcc_lo, s25, v3
	v_mov_b32_e32 v27, 0
	s_and_saveexec_b32 s11, vcc_lo
	s_cbranch_execz .LBB10_120
; %bb.119:                              ;   in Loop: Header=BB10_118 Depth=2
	ds_load_u8 v27, v3
.LBB10_120:                             ;   in Loop: Header=BB10_118 Depth=2
	s_or_b32 exec_lo, exec_lo, s11
	s_waitcnt lgkmcnt(0)
	v_and_b32_e32 v28, v27, v2
	s_delay_alu instid0(VALU_DEP_1) | instskip(NEXT) | instid1(VALU_DEP_1)
	v_and_b32_e32 v28, 0xff, v28
	v_cmp_eq_u32_e64 s11, v28, v1
	s_delay_alu instid0(VALU_DEP_1) | instskip(NEXT) | instid1(SALU_CYCLE_1)
	s_and_b32 s89, vcc_lo, s11
	s_and_saveexec_b32 s11, s89
	s_cbranch_execz .LBB10_117
; %bb.121:                              ;   in Loop: Header=BB10_118 Depth=2
	v_lshlrev_b16 v27, 8, v27
	s_delay_alu instid0(VALU_DEP_1)
	v_or_b32_e32 v27, 1, v27
	ds_store_b16 v22, v27 offset:3072
	s_branch .LBB10_117
.LBB10_122:                             ;   in Loop: Header=BB10_6 Depth=1
	s_mov_b32 s25, -1
	s_mov_b32 s11, 0
                                        ; implicit-def: $sgpr26
                                        ; implicit-def: $vgpr3
	s_mov_b32 s27, s25
	s_cbranch_execnz .LBB10_125
	s_branch .LBB10_134
.LBB10_123:                             ;   in Loop: Header=BB10_6 Depth=1
	s_set_inst_prefetch_distance 0x2
	s_or_b32 exec_lo, exec_lo, s87
	v_lshrrev_b16 v3, 8, v27
	s_and_b32 s11, s88, exec_lo
.LBB10_124:                             ;   in Loop: Header=BB10_6 Depth=1
	s_or_b32 exec_lo, exec_lo, s26
	s_mov_b32 s26, -1
	s_mov_b32 s25, 0
	s_delay_alu instid0(SALU_CYCLE_1)
	s_mov_b32 s27, s25
	s_branch .LBB10_134
.LBB10_125:                             ;   in Loop: Header=BB10_6 Depth=1
	s_mov_b32 s11, 0
                                        ; implicit-def: $vgpr3
	s_and_saveexec_b32 s25, s9
	s_cbranch_execz .LBB10_133
; %bb.126:                              ;   in Loop: Header=BB10_6 Depth=1
	v_mov_b32_e32 v3, v14
	v_mov_b32_e32 v27, v0
	s_mov_b32 s26, 0
                                        ; implicit-def: $sgpr27
	s_set_inst_prefetch_distance 0x1
	s_branch .LBB10_128
	.p2align	6
.LBB10_127:                             ;   in Loop: Header=BB10_128 Depth=2
	s_or_b32 exec_lo, exec_lo, s11
	s_waitcnt lgkmcnt(0)
	s_barrier
	buffer_gl0_inv
	ds_load_u16 v28, v22 offset:3072
	v_add_nc_u32_e32 v27, s33, v27
	v_add_nc_u32_e32 v3, s43, v3
	s_waitcnt lgkmcnt(0)
	s_barrier
	buffer_gl0_inv
	v_cmp_le_u32_e32 vcc_lo, s73, v27
	v_and_b32_e32 v29, 0xff, v28
	s_delay_alu instid0(VALU_DEP_1) | instskip(NEXT) | instid1(VALU_DEP_1)
	v_cmp_ne_u16_e64 s11, 0, v29
	s_or_b32 s87, vcc_lo, s11
	s_delay_alu instid0(SALU_CYCLE_1) | instskip(NEXT) | instid1(SALU_CYCLE_1)
	s_and_b32 s87, exec_lo, s87
	s_or_b32 s26, s87, s26
	s_and_not1_b32 s27, s27, exec_lo
	s_and_b32 s11, s11, exec_lo
	s_delay_alu instid0(SALU_CYCLE_1)
	s_or_b32 s27, s27, s11
	s_and_not1_b32 exec_lo, exec_lo, s26
	s_cbranch_execz .LBB10_132
.LBB10_128:                             ;   Parent Loop BB10_6 Depth=1
                                        ; =>  This Inner Loop Header: Depth=2
	s_delay_alu instid0(VALU_DEP_1)
	v_cmp_gt_u32_e32 vcc_lo, s36, v27
	v_mov_b32_e32 v28, 0
	s_and_saveexec_b32 s11, vcc_lo
	s_cbranch_execz .LBB10_130
; %bb.129:                              ;   in Loop: Header=BB10_128 Depth=2
	global_load_u8 v28, v3, s[30:31]
.LBB10_130:                             ;   in Loop: Header=BB10_128 Depth=2
	s_or_b32 exec_lo, exec_lo, s11
	s_waitcnt vmcnt(0)
	v_and_b32_e32 v29, v28, v2
	s_delay_alu instid0(VALU_DEP_1) | instskip(NEXT) | instid1(VALU_DEP_1)
	v_and_b32_e32 v29, 0xff, v29
	v_cmp_eq_u32_e64 s11, v29, v1
	s_delay_alu instid0(VALU_DEP_1) | instskip(NEXT) | instid1(SALU_CYCLE_1)
	s_and_b32 s87, vcc_lo, s11
	s_and_saveexec_b32 s11, s87
	s_cbranch_execz .LBB10_127
; %bb.131:                              ;   in Loop: Header=BB10_128 Depth=2
	v_lshlrev_b16 v28, 8, v28
	s_delay_alu instid0(VALU_DEP_1)
	v_or_b32_e32 v28, 1, v28
	ds_store_b16 v22, v28 offset:3072
	s_branch .LBB10_127
.LBB10_132:                             ;   in Loop: Header=BB10_6 Depth=1
	s_set_inst_prefetch_distance 0x2
	s_or_b32 exec_lo, exec_lo, s26
	v_lshrrev_b16 v3, 8, v28
	s_and_b32 s11, s27, exec_lo
.LBB10_133:                             ;   in Loop: Header=BB10_6 Depth=1
	s_or_b32 exec_lo, exec_lo, s25
	s_mov_b32 s27, -1
	s_mov_b32 s25, 0
	s_mov_b32 s26, 0
.LBB10_134:                             ;   in Loop: Header=BB10_6 Depth=1
	s_or_not1_b32 s11, s11, exec_lo
.LBB10_135:                             ;   in Loop: Header=BB10_6 Depth=1
	s_or_b32 exec_lo, exec_lo, s28
	s_mov_b32 s87, 0
                                        ; implicit-def: $vgpr27
	s_and_saveexec_b32 s28, s11
	s_cbranch_execz .LBB10_224
; %bb.136:                              ;   in Loop: Header=BB10_6 Depth=1
	v_dual_mov_b32 v28, 1 :: v_dual_mov_b32 v27, 1
	s_xor_b32 s29, s29, -1
	s_mov_b32 s88, 0
	s_and_saveexec_b32 s11, s29
	s_cbranch_execz .LBB10_146
; %bb.137:                              ;   in Loop: Header=BB10_6 Depth=1
	s_mov_b32 s87, exec_lo
                                        ; implicit-def: $sgpr88
                                        ; implicit-def: $sgpr29
	v_cmpx_ge_u32_e64 s16, v4
	s_xor_b32 s87, exec_lo, s87
	s_cbranch_execz .LBB10_143
; %bb.138:                              ;   in Loop: Header=BB10_6 Depth=1
	ds_load_b32 v27, v22 offset:4096
	s_waitcnt lgkmcnt(0)
	v_cmp_ne_u32_e32 vcc_lo, 0, v27
	s_cbranch_vccnz .LBB10_142
; %bb.139:                              ;   in Loop: Header=BB10_6 Depth=1
	s_and_saveexec_b32 s29, s5
	s_cbranch_execz .LBB10_141
; %bb.140:                              ;   in Loop: Header=BB10_6 Depth=1
	v_mov_b32_e32 v27, s16
	ds_store_b32 v22, v27 offset:4100
.LBB10_141:                             ;   in Loop: Header=BB10_6 Depth=1
	s_or_b32 exec_lo, exec_lo, s29
	s_waitcnt lgkmcnt(0)
	s_barrier
	buffer_gl0_inv
.LBB10_142:                             ;   in Loop: Header=BB10_6 Depth=1
	s_lshl_b32 s29, 1, s17
	v_or_b32_e32 v2, s13, v2
	v_and_or_b32 v1, v1, s14, s29
	s_mov_b32 s29, 0
	s_mov_b32 s88, 8
.LBB10_143:                             ;   in Loop: Header=BB10_6 Depth=1
	s_or_saveexec_b32 s87, s87
	v_mov_b32_e32 v27, s88
	s_xor_b32 exec_lo, exec_lo, s87
; %bb.144:                              ;   in Loop: Header=BB10_6 Depth=1
	v_subrev_nc_u32_e32 v4, s16, v4
	v_mov_b32_e32 v27, 0
	s_or_b32 s29, s29, exec_lo
; %bb.145:                              ;   in Loop: Header=BB10_6 Depth=1
	s_or_b32 exec_lo, exec_lo, s87
	s_delay_alu instid0(VALU_DEP_2)
	v_mov_b32_e32 v28, v4
	s_and_b32 s88, s29, exec_lo
.LBB10_146:                             ;   in Loop: Header=BB10_6 Depth=1
	s_or_b32 exec_lo, exec_lo, s11
	s_mov_b32 s11, -1
                                        ; implicit-def: $sgpr87
                                        ; implicit-def: $sgpr89
                                        ; implicit-def: $sgpr90
	s_and_saveexec_b32 s29, s88
	s_cbranch_execz .LBB10_223
; %bb.147:                              ;   in Loop: Header=BB10_6 Depth=1
	v_cmp_eq_u32_e32 vcc_lo, 1, v28
	s_cmp_eq_u32 s18, 1
                                        ; implicit-def: $sgpr87
                                        ; implicit-def: $sgpr89
                                        ; implicit-def: $sgpr88
	s_cselect_b32 s11, -1, 0
	s_delay_alu instid0(SALU_CYCLE_1)
	s_and_b32 s91, s11, vcc_lo
	s_mov_b32 s11, -1
	s_and_saveexec_b32 s90, s91
	s_cbranch_execz .LBB10_171
; %bb.148:                              ;   in Loop: Header=BB10_6 Depth=1
	ds_load_b32 v3, v22 offset:4096
	s_waitcnt lgkmcnt(0)
	s_barrier
	buffer_gl0_inv
	v_readfirstlane_b32 s87, v3
	s_and_saveexec_b32 s11, s6
	s_cbranch_execz .LBB10_150
; %bb.149:                              ;   in Loop: Header=BB10_6 Depth=1
	ds_store_b8 v0, v15 offset:3072
.LBB10_150:                             ;   in Loop: Header=BB10_6 Depth=1
	s_or_b32 exec_lo, exec_lo, s11
	s_lshl_b32 s11, 2, s17
	v_or_b32_e32 v2, s13, v2
	v_and_or_b32 v1, v1, s14, s11
	s_cmp_eq_u32 s87, 0
	s_waitcnt lgkmcnt(0)
	s_barrier
	buffer_gl0_inv
	s_cbranch_scc1 .LBB10_158
; %bb.151:                              ;   in Loop: Header=BB10_6 Depth=1
	s_add_i32 s11, s87, s65
                                        ; implicit-def: $vgpr3
	s_delay_alu instid0(SALU_CYCLE_1) | instskip(NEXT) | instid1(SALU_CYCLE_1)
	s_mul_hi_u32 s88, s11, s71
	s_mul_i32 s88, s88, s33
	s_delay_alu instid0(SALU_CYCLE_1) | instskip(NEXT) | instid1(SALU_CYCLE_1)
	s_sub_i32 s88, s11, s88
	s_sub_i32 s89, s88, s33
	s_cmp_ge_u32 s88, s33
	s_cselect_b32 s88, s89, s88
	s_delay_alu instid0(SALU_CYCLE_1) | instskip(SKIP_2) | instid1(SALU_CYCLE_1)
	s_sub_i32 s89, s88, s33
	s_cmp_ge_u32 s88, s33
	s_cselect_b32 s88, s89, s88
	s_sub_i32 s89, s11, s88
	s_mov_b32 s11, 0
	s_mov_b32 s88, exec_lo
	v_cmpx_gt_u32_e64 s89, v0
	s_cbranch_execz .LBB10_160
; %bb.152:                              ;   in Loop: Header=BB10_6 Depth=1
	v_mov_b32_e32 v3, v0
	s_mov_b32 s92, 0
                                        ; implicit-def: $sgpr93
	s_set_inst_prefetch_distance 0x1
	s_branch .LBB10_154
	.p2align	6
.LBB10_153:                             ;   in Loop: Header=BB10_154 Depth=2
	s_or_b32 exec_lo, exec_lo, s11
	s_waitcnt lgkmcnt(0)
	s_barrier
	buffer_gl0_inv
	ds_load_u16 v4, v22 offset:3072
	v_add_nc_u32_e32 v3, s33, v3
	s_waitcnt lgkmcnt(0)
	s_barrier
	buffer_gl0_inv
	v_cmp_le_u32_e32 vcc_lo, s89, v3
	v_and_b32_e32 v27, 0xff, v4
	s_delay_alu instid0(VALU_DEP_1) | instskip(NEXT) | instid1(VALU_DEP_1)
	v_cmp_ne_u16_e64 s11, 0, v27
	s_or_b32 s94, vcc_lo, s11
	s_delay_alu instid0(SALU_CYCLE_1) | instskip(NEXT) | instid1(SALU_CYCLE_1)
	s_and_b32 s94, exec_lo, s94
	s_or_b32 s92, s94, s92
	s_and_not1_b32 s93, s93, exec_lo
	s_and_b32 s11, s11, exec_lo
	s_delay_alu instid0(SALU_CYCLE_1)
	s_or_b32 s93, s93, s11
	s_and_not1_b32 exec_lo, exec_lo, s92
	s_cbranch_execz .LBB10_159
.LBB10_154:                             ;   Parent Loop BB10_6 Depth=1
                                        ; =>  This Inner Loop Header: Depth=2
	s_delay_alu instid0(VALU_DEP_1)
	v_cmp_gt_u32_e32 vcc_lo, s87, v3
	v_mov_b32_e32 v4, 0
	s_and_saveexec_b32 s11, vcc_lo
	s_cbranch_execz .LBB10_156
; %bb.155:                              ;   in Loop: Header=BB10_154 Depth=2
	ds_load_u8 v4, v3
.LBB10_156:                             ;   in Loop: Header=BB10_154 Depth=2
	s_or_b32 exec_lo, exec_lo, s11
	s_waitcnt lgkmcnt(0)
	v_and_b32_e32 v27, v4, v2
	s_delay_alu instid0(VALU_DEP_1) | instskip(NEXT) | instid1(VALU_DEP_1)
	v_and_b32_e32 v27, 0xff, v27
	v_cmp_eq_u32_e64 s11, v27, v1
	s_delay_alu instid0(VALU_DEP_1) | instskip(NEXT) | instid1(SALU_CYCLE_1)
	s_and_b32 s94, vcc_lo, s11
	s_and_saveexec_b32 s11, s94
	s_cbranch_execz .LBB10_153
; %bb.157:                              ;   in Loop: Header=BB10_154 Depth=2
	v_lshlrev_b16 v4, 8, v4
	s_delay_alu instid0(VALU_DEP_1)
	v_or_b32_e32 v4, 1, v4
	ds_store_b16 v22, v4 offset:3072
	s_branch .LBB10_153
.LBB10_158:                             ;   in Loop: Header=BB10_6 Depth=1
	s_mov_b32 s87, -1
	s_mov_b32 s11, 0
                                        ; implicit-def: $sgpr88
                                        ; implicit-def: $vgpr3
	s_mov_b32 s89, s87
	s_cbranch_execnz .LBB10_161
	s_branch .LBB10_170
.LBB10_159:                             ;   in Loop: Header=BB10_6 Depth=1
	s_set_inst_prefetch_distance 0x2
	s_or_b32 exec_lo, exec_lo, s92
	v_lshrrev_b16 v3, 8, v4
	s_and_b32 s11, s93, exec_lo
.LBB10_160:                             ;   in Loop: Header=BB10_6 Depth=1
	s_or_b32 exec_lo, exec_lo, s88
	s_mov_b32 s88, -1
	s_mov_b32 s87, 0
	s_delay_alu instid0(SALU_CYCLE_1)
	s_mov_b32 s89, s87
	s_branch .LBB10_170
.LBB10_161:                             ;   in Loop: Header=BB10_6 Depth=1
	s_mov_b32 s11, 0
                                        ; implicit-def: $vgpr3
	s_and_saveexec_b32 s87, s9
	s_cbranch_execz .LBB10_169
; %bb.162:                              ;   in Loop: Header=BB10_6 Depth=1
	v_dual_mov_b32 v3, v14 :: v_dual_mov_b32 v4, v0
	s_mov_b32 s88, 0
                                        ; implicit-def: $sgpr89
	s_set_inst_prefetch_distance 0x1
	s_branch .LBB10_164
	.p2align	6
.LBB10_163:                             ;   in Loop: Header=BB10_164 Depth=2
	s_or_b32 exec_lo, exec_lo, s11
	s_waitcnt lgkmcnt(0)
	s_barrier
	buffer_gl0_inv
	ds_load_u16 v27, v22 offset:3072
	v_add_nc_u32_e32 v4, s33, v4
	v_add_nc_u32_e32 v3, s43, v3
	s_waitcnt lgkmcnt(0)
	s_barrier
	buffer_gl0_inv
	v_cmp_le_u32_e32 vcc_lo, s73, v4
	v_and_b32_e32 v29, 0xff, v27
	s_delay_alu instid0(VALU_DEP_1) | instskip(NEXT) | instid1(VALU_DEP_1)
	v_cmp_ne_u16_e64 s11, 0, v29
	s_or_b32 s92, vcc_lo, s11
	s_delay_alu instid0(SALU_CYCLE_1) | instskip(NEXT) | instid1(SALU_CYCLE_1)
	s_and_b32 s92, exec_lo, s92
	s_or_b32 s88, s92, s88
	s_and_not1_b32 s89, s89, exec_lo
	s_and_b32 s11, s11, exec_lo
	s_delay_alu instid0(SALU_CYCLE_1)
	s_or_b32 s89, s89, s11
	s_and_not1_b32 exec_lo, exec_lo, s88
	s_cbranch_execz .LBB10_168
.LBB10_164:                             ;   Parent Loop BB10_6 Depth=1
                                        ; =>  This Inner Loop Header: Depth=2
	s_delay_alu instid0(VALU_DEP_1)
	v_cmp_gt_u32_e32 vcc_lo, s36, v4
	v_mov_b32_e32 v27, 0
	s_and_saveexec_b32 s11, vcc_lo
	s_cbranch_execz .LBB10_166
; %bb.165:                              ;   in Loop: Header=BB10_164 Depth=2
	global_load_u8 v27, v3, s[30:31]
.LBB10_166:                             ;   in Loop: Header=BB10_164 Depth=2
	s_or_b32 exec_lo, exec_lo, s11
	s_waitcnt vmcnt(0)
	v_and_b32_e32 v29, v27, v2
	s_delay_alu instid0(VALU_DEP_1) | instskip(NEXT) | instid1(VALU_DEP_1)
	v_and_b32_e32 v29, 0xff, v29
	v_cmp_eq_u32_e64 s11, v29, v1
	s_delay_alu instid0(VALU_DEP_1) | instskip(NEXT) | instid1(SALU_CYCLE_1)
	s_and_b32 s92, vcc_lo, s11
	s_and_saveexec_b32 s11, s92
	s_cbranch_execz .LBB10_163
; %bb.167:                              ;   in Loop: Header=BB10_164 Depth=2
	v_lshlrev_b16 v27, 8, v27
	s_delay_alu instid0(VALU_DEP_1)
	v_or_b32_e32 v27, 1, v27
	ds_store_b16 v22, v27 offset:3072
	s_branch .LBB10_163
.LBB10_168:                             ;   in Loop: Header=BB10_6 Depth=1
	s_set_inst_prefetch_distance 0x2
	s_or_b32 exec_lo, exec_lo, s88
	v_lshrrev_b16 v3, 8, v27
	s_and_b32 s11, s89, exec_lo
.LBB10_169:                             ;   in Loop: Header=BB10_6 Depth=1
	s_or_b32 exec_lo, exec_lo, s87
	s_mov_b32 s89, -1
	s_mov_b32 s87, 0
	s_mov_b32 s88, 0
.LBB10_170:                             ;   in Loop: Header=BB10_6 Depth=1
	s_or_not1_b32 s11, s11, exec_lo
.LBB10_171:                             ;   in Loop: Header=BB10_6 Depth=1
	s_or_b32 exec_lo, exec_lo, s90
	s_mov_b32 s92, 0
                                        ; implicit-def: $vgpr27
	s_and_saveexec_b32 s90, s11
	s_cbranch_execz .LBB10_222
; %bb.172:                              ;   in Loop: Header=BB10_6 Depth=1
	v_dual_mov_b32 v4, 1 :: v_dual_mov_b32 v27, 1
	s_xor_b32 s91, s91, -1
	s_mov_b32 s93, 0
	s_and_saveexec_b32 s11, s91
	s_cbranch_execz .LBB10_182
; %bb.173:                              ;   in Loop: Header=BB10_6 Depth=1
	s_mov_b32 s92, exec_lo
                                        ; implicit-def: $sgpr93
                                        ; implicit-def: $sgpr91
	v_cmpx_ge_u32_e64 s18, v28
	s_xor_b32 s92, exec_lo, s92
	s_cbranch_execz .LBB10_179
; %bb.174:                              ;   in Loop: Header=BB10_6 Depth=1
	ds_load_b32 v4, v22 offset:4096
	s_waitcnt lgkmcnt(0)
	v_cmp_ne_u32_e32 vcc_lo, 0, v4
	s_cbranch_vccnz .LBB10_178
; %bb.175:                              ;   in Loop: Header=BB10_6 Depth=1
	s_and_saveexec_b32 s91, s5
	s_cbranch_execz .LBB10_177
; %bb.176:                              ;   in Loop: Header=BB10_6 Depth=1
	v_mov_b32_e32 v4, s18
	ds_store_b32 v22, v4 offset:4100
.LBB10_177:                             ;   in Loop: Header=BB10_6 Depth=1
	s_or_b32 exec_lo, exec_lo, s91
	s_waitcnt lgkmcnt(0)
	s_barrier
	buffer_gl0_inv
.LBB10_178:                             ;   in Loop: Header=BB10_6 Depth=1
	s_lshl_b32 s91, 2, s17
	v_or_b32_e32 v2, s13, v2
	v_and_or_b32 v1, v1, s14, s91
	s_mov_b32 s91, 0
	s_mov_b32 s93, 8
.LBB10_179:                             ;   in Loop: Header=BB10_6 Depth=1
	s_or_saveexec_b32 s92, s92
	v_mov_b32_e32 v27, s93
	s_xor_b32 exec_lo, exec_lo, s92
; %bb.180:                              ;   in Loop: Header=BB10_6 Depth=1
	v_subrev_nc_u32_e32 v28, s18, v28
	v_mov_b32_e32 v27, 0
	s_or_b32 s91, s91, exec_lo
; %bb.181:                              ;   in Loop: Header=BB10_6 Depth=1
	s_or_b32 exec_lo, exec_lo, s92
	s_delay_alu instid0(VALU_DEP_2)
	v_mov_b32_e32 v4, v28
	s_and_b32 s93, s91, exec_lo
.LBB10_182:                             ;   in Loop: Header=BB10_6 Depth=1
	s_or_b32 exec_lo, exec_lo, s11
	s_mov_b32 s92, -1
                                        ; implicit-def: $sgpr11
                                        ; implicit-def: $sgpr95
                                        ; implicit-def: $sgpr94
	s_and_saveexec_b32 s91, s93
	s_cbranch_execz .LBB10_221
; %bb.183:                              ;   in Loop: Header=BB10_6 Depth=1
	v_cmp_eq_u32_e32 vcc_lo, 1, v4
	s_cmp_eq_u32 s19, 1
	s_mov_b32 s96, -1
	s_cselect_b32 s11, -1, 0
                                        ; implicit-def: $sgpr95
                                        ; implicit-def: $sgpr94
	s_delay_alu instid0(SALU_CYCLE_1) | instskip(NEXT) | instid1(SALU_CYCLE_1)
	s_and_b32 s92, s11, vcc_lo
                                        ; implicit-def: $sgpr11
	s_and_saveexec_b32 s93, s92
	s_cbranch_execz .LBB10_208
; %bb.184:                              ;   in Loop: Header=BB10_6 Depth=1
	ds_load_b32 v3, v22 offset:4096
	s_waitcnt lgkmcnt(0)
	s_barrier
	buffer_gl0_inv
	v_readfirstlane_b32 s94, v3
	s_and_saveexec_b32 s11, s6
	s_cbranch_execz .LBB10_186
; %bb.185:                              ;   in Loop: Header=BB10_6 Depth=1
	ds_store_b8 v0, v15 offset:3072
.LBB10_186:                             ;   in Loop: Header=BB10_6 Depth=1
	s_or_b32 exec_lo, exec_lo, s11
	v_or_b32_e32 v1, s13, v1
	v_or_b32_e32 v2, s13, v2
	s_cmp_eq_u32 s94, 0
	s_waitcnt lgkmcnt(0)
	s_barrier
	buffer_gl0_inv
	s_cbranch_scc1 .LBB10_194
; %bb.187:                              ;   in Loop: Header=BB10_6 Depth=1
	s_add_i32 s11, s94, s65
                                        ; implicit-def: $vgpr3
	s_delay_alu instid0(SALU_CYCLE_1) | instskip(NEXT) | instid1(SALU_CYCLE_1)
	s_mul_hi_u32 s95, s11, s71
	s_mul_i32 s95, s95, s33
	s_delay_alu instid0(SALU_CYCLE_1) | instskip(NEXT) | instid1(SALU_CYCLE_1)
	s_sub_i32 s95, s11, s95
	s_sub_i32 s96, s95, s33
	s_cmp_ge_u32 s95, s33
	s_cselect_b32 s95, s96, s95
	s_delay_alu instid0(SALU_CYCLE_1)
	s_sub_i32 s96, s95, s33
	s_cmp_ge_u32 s95, s33
	s_cselect_b32 s95, s96, s95
	s_mov_b32 s96, 0
	s_sub_i32 s97, s11, s95
	s_mov_b32 s95, exec_lo
	v_cmpx_gt_u32_e64 s97, v0
	s_cbranch_execz .LBB10_196
; %bb.188:                              ;   in Loop: Header=BB10_6 Depth=1
	v_mov_b32_e32 v3, v0
                                        ; implicit-def: $sgpr98
	s_set_inst_prefetch_distance 0x1
	s_branch .LBB10_190
	.p2align	6
.LBB10_189:                             ;   in Loop: Header=BB10_190 Depth=2
	s_or_b32 exec_lo, exec_lo, s11
	s_waitcnt lgkmcnt(0)
	s_barrier
	buffer_gl0_inv
	ds_load_u16 v27, v22 offset:3072
	v_add_nc_u32_e32 v3, s33, v3
	s_waitcnt lgkmcnt(0)
	s_barrier
	buffer_gl0_inv
	v_cmp_le_u32_e32 vcc_lo, s97, v3
	v_and_b32_e32 v28, 0xff, v27
	s_delay_alu instid0(VALU_DEP_1) | instskip(NEXT) | instid1(VALU_DEP_1)
	v_cmp_ne_u16_e64 s11, 0, v28
	s_or_b32 s99, vcc_lo, s11
	s_delay_alu instid0(SALU_CYCLE_1) | instskip(NEXT) | instid1(SALU_CYCLE_1)
	s_and_b32 s99, exec_lo, s99
	s_or_b32 s96, s99, s96
	s_and_not1_b32 s98, s98, exec_lo
	s_and_b32 s11, s11, exec_lo
	s_delay_alu instid0(SALU_CYCLE_1)
	s_or_b32 s98, s98, s11
	s_and_not1_b32 exec_lo, exec_lo, s96
	s_cbranch_execz .LBB10_195
.LBB10_190:                             ;   Parent Loop BB10_6 Depth=1
                                        ; =>  This Inner Loop Header: Depth=2
	s_delay_alu instid0(VALU_DEP_1)
	v_cmp_gt_u32_e32 vcc_lo, s94, v3
	v_mov_b32_e32 v27, 0
	s_and_saveexec_b32 s11, vcc_lo
	s_cbranch_execz .LBB10_192
; %bb.191:                              ;   in Loop: Header=BB10_190 Depth=2
	ds_load_u8 v27, v3
.LBB10_192:                             ;   in Loop: Header=BB10_190 Depth=2
	s_or_b32 exec_lo, exec_lo, s11
	s_waitcnt lgkmcnt(0)
	v_and_b32_e32 v28, v27, v2
	s_delay_alu instid0(VALU_DEP_1) | instskip(NEXT) | instid1(VALU_DEP_1)
	v_and_b32_e32 v28, 0xff, v28
	v_cmp_eq_u32_e64 s11, v28, v1
	s_delay_alu instid0(VALU_DEP_1) | instskip(NEXT) | instid1(SALU_CYCLE_1)
	s_and_b32 s99, vcc_lo, s11
	s_and_saveexec_b32 s11, s99
	s_cbranch_execz .LBB10_189
; %bb.193:                              ;   in Loop: Header=BB10_190 Depth=2
	v_lshlrev_b16 v27, 8, v27
	s_delay_alu instid0(VALU_DEP_1)
	v_or_b32_e32 v27, 1, v27
	ds_store_b16 v22, v27 offset:3072
	s_branch .LBB10_189
.LBB10_194:                             ;   in Loop: Header=BB10_6 Depth=1
	s_mov_b32 s11, -1
	s_mov_b32 s96, 0
                                        ; implicit-def: $sgpr94
                                        ; implicit-def: $vgpr3
	s_branch .LBB10_197
.LBB10_195:                             ;   in Loop: Header=BB10_6 Depth=1
	s_set_inst_prefetch_distance 0x2
	s_or_b32 exec_lo, exec_lo, s96
	v_lshrrev_b16 v3, 8, v27
	s_and_b32 s96, s98, exec_lo
.LBB10_196:                             ;   in Loop: Header=BB10_6 Depth=1
	s_or_b32 exec_lo, exec_lo, s95
	s_mov_b32 s94, -1
	s_mov_b32 s11, 0
.LBB10_197:                             ;   in Loop: Header=BB10_6 Depth=1
	s_delay_alu instid0(SALU_CYCLE_1)
	s_and_b32 vcc_lo, exec_lo, s11
	s_mov_b32 s95, s11
	s_cbranch_vccz .LBB10_207
; %bb.198:                              ;   in Loop: Header=BB10_6 Depth=1
	s_mov_b32 s96, 0
                                        ; implicit-def: $vgpr3
	s_and_saveexec_b32 s94, s9
	s_cbranch_execz .LBB10_206
; %bb.199:                              ;   in Loop: Header=BB10_6 Depth=1
	v_mov_b32_e32 v3, v14
	v_mov_b32_e32 v27, v0
	s_mov_b32 s95, 0
                                        ; implicit-def: $sgpr96
	s_set_inst_prefetch_distance 0x1
	s_branch .LBB10_201
	.p2align	6
.LBB10_200:                             ;   in Loop: Header=BB10_201 Depth=2
	s_or_b32 exec_lo, exec_lo, s11
	s_waitcnt lgkmcnt(0)
	s_barrier
	buffer_gl0_inv
	ds_load_u16 v28, v22 offset:3072
	v_add_nc_u32_e32 v27, s33, v27
	v_add_nc_u32_e32 v3, s43, v3
	s_waitcnt lgkmcnt(0)
	s_barrier
	buffer_gl0_inv
	v_cmp_le_u32_e32 vcc_lo, s73, v27
	v_and_b32_e32 v29, 0xff, v28
	s_delay_alu instid0(VALU_DEP_1) | instskip(NEXT) | instid1(VALU_DEP_1)
	v_cmp_ne_u16_e64 s11, 0, v29
	s_or_b32 s97, vcc_lo, s11
	s_delay_alu instid0(SALU_CYCLE_1) | instskip(NEXT) | instid1(SALU_CYCLE_1)
	s_and_b32 s97, exec_lo, s97
	s_or_b32 s95, s97, s95
	s_and_not1_b32 s96, s96, exec_lo
	s_and_b32 s11, s11, exec_lo
	s_delay_alu instid0(SALU_CYCLE_1)
	s_or_b32 s96, s96, s11
	s_and_not1_b32 exec_lo, exec_lo, s95
	s_cbranch_execz .LBB10_205
.LBB10_201:                             ;   Parent Loop BB10_6 Depth=1
                                        ; =>  This Inner Loop Header: Depth=2
	s_delay_alu instid0(VALU_DEP_1)
	v_cmp_gt_u32_e32 vcc_lo, s36, v27
	v_mov_b32_e32 v28, 0
	s_and_saveexec_b32 s11, vcc_lo
	s_cbranch_execz .LBB10_203
; %bb.202:                              ;   in Loop: Header=BB10_201 Depth=2
	global_load_u8 v28, v3, s[30:31]
.LBB10_203:                             ;   in Loop: Header=BB10_201 Depth=2
	s_or_b32 exec_lo, exec_lo, s11
	s_waitcnt vmcnt(0)
	v_and_b32_e32 v29, v28, v2
	s_delay_alu instid0(VALU_DEP_1) | instskip(NEXT) | instid1(VALU_DEP_1)
	v_and_b32_e32 v29, 0xff, v29
	v_cmp_eq_u32_e64 s11, v29, v1
	s_delay_alu instid0(VALU_DEP_1) | instskip(NEXT) | instid1(SALU_CYCLE_1)
	s_and_b32 s97, vcc_lo, s11
	s_and_saveexec_b32 s11, s97
	s_cbranch_execz .LBB10_200
; %bb.204:                              ;   in Loop: Header=BB10_201 Depth=2
	v_lshlrev_b16 v28, 8, v28
	s_delay_alu instid0(VALU_DEP_1)
	v_or_b32_e32 v28, 1, v28
	ds_store_b16 v22, v28 offset:3072
	s_branch .LBB10_200
.LBB10_205:                             ;   in Loop: Header=BB10_6 Depth=1
	s_set_inst_prefetch_distance 0x2
	s_or_b32 exec_lo, exec_lo, s95
	v_lshrrev_b16 v3, 8, v28
	s_and_b32 s96, s96, exec_lo
.LBB10_206:                             ;   in Loop: Header=BB10_6 Depth=1
	s_or_b32 exec_lo, exec_lo, s94
	s_mov_b32 s95, -1
	s_mov_b32 s11, 0
	s_mov_b32 s94, 0
.LBB10_207:                             ;   in Loop: Header=BB10_6 Depth=1
	s_or_not1_b32 s96, s96, exec_lo
.LBB10_208:                             ;   in Loop: Header=BB10_6 Depth=1
	s_or_b32 exec_lo, exec_lo, s93
	s_mov_b32 s97, 0
                                        ; implicit-def: $vgpr27
                                        ; implicit-def: $vgpr28
	s_and_saveexec_b32 s93, s96
	s_cbranch_execz .LBB10_220
; %bb.209:                              ;   in Loop: Header=BB10_6 Depth=1
	v_dual_mov_b32 v27, 1 :: v_dual_mov_b32 v28, 1
	s_xor_b32 s96, s92, -1
	s_delay_alu instid0(SALU_CYCLE_1)
	s_and_saveexec_b32 s92, s96
	s_cbranch_execz .LBB10_219
; %bb.210:                              ;   in Loop: Header=BB10_6 Depth=1
	s_mov_b32 s96, exec_lo
                                        ; implicit-def: $sgpr97
	v_cmpx_ge_u32_e64 s19, v4
	s_xor_b32 s96, exec_lo, s96
	s_cbranch_execz .LBB10_216
; %bb.211:                              ;   in Loop: Header=BB10_6 Depth=1
	ds_load_b32 v27, v22 offset:4096
	s_waitcnt lgkmcnt(0)
	v_cmp_ne_u32_e32 vcc_lo, 0, v27
	s_cbranch_vccnz .LBB10_215
; %bb.212:                              ;   in Loop: Header=BB10_6 Depth=1
	s_and_saveexec_b32 s97, s5
	s_cbranch_execz .LBB10_214
; %bb.213:                              ;   in Loop: Header=BB10_6 Depth=1
	v_mov_b32_e32 v27, s19
	ds_store_b32 v22, v27 offset:4100
.LBB10_214:                             ;   in Loop: Header=BB10_6 Depth=1
	s_or_b32 exec_lo, exec_lo, s97
	s_waitcnt lgkmcnt(0)
	s_barrier
	buffer_gl0_inv
.LBB10_215:                             ;   in Loop: Header=BB10_6 Depth=1
	v_or_b32_e32 v1, s13, v1
	v_or_b32_e32 v2, s13, v2
	s_mov_b32 s97, 8
.LBB10_216:                             ;   in Loop: Header=BB10_6 Depth=1
	s_or_saveexec_b32 s96, s96
	v_mov_b32_e32 v27, s97
	s_xor_b32 exec_lo, exec_lo, s96
; %bb.217:                              ;   in Loop: Header=BB10_6 Depth=1
	v_subrev_nc_u32_e32 v4, s19, v4
	v_mov_b32_e32 v27, 8
; %bb.218:                              ;   in Loop: Header=BB10_6 Depth=1
	s_or_b32 exec_lo, exec_lo, s96
	s_delay_alu instid0(VALU_DEP_2)
	v_mov_b32_e32 v28, v4
.LBB10_219:                             ;   in Loop: Header=BB10_6 Depth=1
	s_or_b32 exec_lo, exec_lo, s92
	s_delay_alu instid0(SALU_CYCLE_1)
	s_mov_b32 s97, exec_lo
.LBB10_220:                             ;   in Loop: Header=BB10_6 Depth=1
	s_or_b32 exec_lo, exec_lo, s93
	s_delay_alu instid0(VALU_DEP_1)
	v_mov_b32_e32 v4, v28
	s_or_not1_b32 s92, s97, exec_lo
.LBB10_221:                             ;   in Loop: Header=BB10_6 Depth=1
	s_or_b32 exec_lo, exec_lo, s91
	s_delay_alu instid0(SALU_CYCLE_1)
	s_and_not1_b32 s87, s87, exec_lo
	s_and_b32 s11, s11, exec_lo
	v_mov_b32_e32 v28, v4
	s_or_b32 s87, s87, s11
	s_and_not1_b32 s11, s89, exec_lo
	s_and_b32 s89, s95, exec_lo
	s_and_not1_b32 s88, s88, exec_lo
	s_and_b32 s91, s94, exec_lo
	s_or_b32 s89, s11, s89
	s_or_b32 s88, s88, s91
	s_and_b32 s92, s92, exec_lo
.LBB10_222:                             ;   in Loop: Header=BB10_6 Depth=1
	s_or_b32 exec_lo, exec_lo, s90
	s_delay_alu instid0(SALU_CYCLE_1)
	s_and_b32 s90, s87, exec_lo
	s_and_b32 s89, s89, exec_lo
	;; [unrolled: 1-line block ×3, first 2 shown]
	s_or_not1_b32 s11, s92, exec_lo
.LBB10_223:                             ;   in Loop: Header=BB10_6 Depth=1
	s_or_b32 exec_lo, exec_lo, s29
	s_delay_alu instid0(SALU_CYCLE_1)
	s_and_not1_b32 s25, s25, exec_lo
	s_and_b32 s29, s90, exec_lo
	v_mov_b32_e32 v4, v28
	s_or_b32 s25, s25, s29
	s_and_not1_b32 s27, s27, exec_lo
	s_and_b32 s29, s89, exec_lo
	s_and_not1_b32 s26, s26, exec_lo
	s_and_b32 s87, s87, exec_lo
	s_or_b32 s27, s27, s29
	s_or_b32 s26, s26, s87
	s_and_b32 s87, s11, exec_lo
.LBB10_224:                             ;   in Loop: Header=BB10_6 Depth=1
	s_or_b32 exec_lo, exec_lo, s28
	s_delay_alu instid0(SALU_CYCLE_1)
	s_and_b32 s28, s25, exec_lo
	s_and_b32 s27, s27, exec_lo
	;; [unrolled: 1-line block ×3, first 2 shown]
	s_or_not1_b32 s11, s87, exec_lo
.LBB10_225:                             ;   in Loop: Header=BB10_6 Depth=1
	s_or_b32 exec_lo, exec_lo, s20
	s_mov_b32 s20, 0
	s_mov_b32 s26, 0
	s_and_saveexec_b32 s29, s11
	s_delay_alu instid0(SALU_CYCLE_1)
	s_xor_b32 s29, exec_lo, s29
; %bb.226:                              ;   in Loop: Header=BB10_6 Depth=1
	v_cmp_ne_u32_e32 vcc_lo, 8, v27
	v_cmp_eq_u32_e64 s11, 8, v27
	s_and_not1_b32 s28, s28, exec_lo
	s_and_not1_b32 s27, s27, exec_lo
	;; [unrolled: 1-line block ×3, first 2 shown]
	s_and_b32 s26, vcc_lo, exec_lo
	s_and_b32 s20, s11, exec_lo
; %bb.227:                              ;   in Loop: Header=BB10_6 Depth=1
	s_or_b32 exec_lo, exec_lo, s29
	s_delay_alu instid0(SALU_CYCLE_1)
	s_and_not1_b32 s11, s15, exec_lo
	s_and_b32 s15, s28, exec_lo
	s_and_not1_b32 s21, s21, exec_lo
	s_or_b32 s15, s11, s15
	s_and_not1_b32 s11, s22, exec_lo
	s_and_b32 s22, s27, exec_lo
	s_and_b32 s25, s25, exec_lo
	s_or_b32 s22, s11, s22
	s_or_b32 s21, s21, s25
	s_and_b32 s11, s26, exec_lo
	s_and_b32 s20, s20, exec_lo
.LBB10_228:                             ;   in Loop: Header=BB10_6 Depth=1
	s_or_b32 exec_lo, exec_lo, s24
	s_delay_alu instid0(SALU_CYCLE_1)
	s_and_b32 vcc_lo, exec_lo, s23
	s_cbranch_vccz .LBB10_82
.LBB10_229:                             ;   in Loop: Header=BB10_6 Depth=1
	s_cmp_eq_u32 s19, 1
                                        ; implicit-def: $sgpr23
                                        ; implicit-def: $sgpr24
	s_cselect_b32 s15, -1, 0
	s_delay_alu instid0(SALU_CYCLE_1)
	s_and_b32 s22, s15, s10
	s_mov_b32 s10, -1
                                        ; implicit-def: $sgpr15
	s_and_saveexec_b32 s21, s22
	s_cbranch_execz .LBB10_253
; %bb.230:                              ;   in Loop: Header=BB10_6 Depth=1
	ds_load_b32 v1, v22 offset:4096
	s_waitcnt lgkmcnt(0)
	s_barrier
	buffer_gl0_inv
	v_readfirstlane_b32 s15, v1
	s_and_saveexec_b32 s10, s6
	s_cbranch_execz .LBB10_232
; %bb.231:                              ;   in Loop: Header=BB10_6 Depth=1
	ds_store_b8 v0, v15 offset:3072
.LBB10_232:                             ;   in Loop: Header=BB10_6 Depth=1
	s_or_b32 exec_lo, exec_lo, s10
	v_or_b32_e32 v24, s13, v24
	v_or_b32_e32 v23, s13, v23
	s_cmp_eq_u32 s15, 0
	s_waitcnt lgkmcnt(0)
	s_barrier
	buffer_gl0_inv
	s_cbranch_scc1 .LBB10_240
; %bb.233:                              ;   in Loop: Header=BB10_6 Depth=1
	s_add_i32 s10, s15, s65
                                        ; implicit-def: $vgpr25
	s_delay_alu instid0(SALU_CYCLE_1) | instskip(NEXT) | instid1(SALU_CYCLE_1)
	s_mul_hi_u32 s23, s10, s71
	s_mul_i32 s23, s23, s33
	s_delay_alu instid0(SALU_CYCLE_1) | instskip(NEXT) | instid1(SALU_CYCLE_1)
	s_sub_i32 s23, s10, s23
	s_sub_i32 s24, s23, s33
	s_cmp_ge_u32 s23, s33
	s_cselect_b32 s23, s24, s23
	s_delay_alu instid0(SALU_CYCLE_1) | instskip(SKIP_2) | instid1(SALU_CYCLE_1)
	s_sub_i32 s24, s23, s33
	s_cmp_ge_u32 s23, s33
	s_cselect_b32 s23, s24, s23
	s_sub_i32 s24, s10, s23
	s_mov_b32 s10, 0
	s_mov_b32 s23, exec_lo
	v_cmpx_gt_u32_e64 s24, v0
	s_cbranch_execz .LBB10_242
; %bb.234:                              ;   in Loop: Header=BB10_6 Depth=1
	v_mov_b32_e32 v1, v0
	s_mov_b32 s25, 0
                                        ; implicit-def: $sgpr26
	s_set_inst_prefetch_distance 0x1
	s_branch .LBB10_236
	.p2align	6
.LBB10_235:                             ;   in Loop: Header=BB10_236 Depth=2
	s_or_b32 exec_lo, exec_lo, s10
	s_waitcnt lgkmcnt(0)
	s_barrier
	buffer_gl0_inv
	ds_load_u16 v2, v22 offset:3072
	v_add_nc_u32_e32 v1, s33, v1
	s_waitcnt lgkmcnt(0)
	s_barrier
	buffer_gl0_inv
	v_cmp_le_u32_e32 vcc_lo, s24, v1
	v_and_b32_e32 v3, 0xff, v2
	s_delay_alu instid0(VALU_DEP_1) | instskip(NEXT) | instid1(VALU_DEP_1)
	v_cmp_ne_u16_e64 s10, 0, v3
	s_or_b32 s27, vcc_lo, s10
	s_delay_alu instid0(SALU_CYCLE_1) | instskip(NEXT) | instid1(SALU_CYCLE_1)
	s_and_b32 s27, exec_lo, s27
	s_or_b32 s25, s27, s25
	s_and_not1_b32 s26, s26, exec_lo
	s_and_b32 s10, s10, exec_lo
	s_delay_alu instid0(SALU_CYCLE_1)
	s_or_b32 s26, s26, s10
	s_and_not1_b32 exec_lo, exec_lo, s25
	s_cbranch_execz .LBB10_241
.LBB10_236:                             ;   Parent Loop BB10_6 Depth=1
                                        ; =>  This Inner Loop Header: Depth=2
	s_delay_alu instid0(VALU_DEP_1)
	v_cmp_gt_u32_e32 vcc_lo, s15, v1
	v_mov_b32_e32 v2, 0
	s_and_saveexec_b32 s10, vcc_lo
	s_cbranch_execz .LBB10_238
; %bb.237:                              ;   in Loop: Header=BB10_236 Depth=2
	ds_load_u8 v2, v1
.LBB10_238:                             ;   in Loop: Header=BB10_236 Depth=2
	s_or_b32 exec_lo, exec_lo, s10
	s_waitcnt lgkmcnt(0)
	v_and_b32_e32 v3, v2, v23
	s_delay_alu instid0(VALU_DEP_1) | instskip(NEXT) | instid1(VALU_DEP_1)
	v_and_b32_e32 v3, 0xff, v3
	v_cmp_eq_u32_e64 s10, v3, v24
	s_delay_alu instid0(VALU_DEP_1) | instskip(NEXT) | instid1(SALU_CYCLE_1)
	s_and_b32 s27, vcc_lo, s10
	s_and_saveexec_b32 s10, s27
	s_cbranch_execz .LBB10_235
; %bb.239:                              ;   in Loop: Header=BB10_236 Depth=2
	v_lshlrev_b16 v2, 8, v2
	s_delay_alu instid0(VALU_DEP_1)
	v_or_b32_e32 v2, 1, v2
	ds_store_b16 v22, v2 offset:3072
	s_branch .LBB10_235
.LBB10_240:                             ;   in Loop: Header=BB10_6 Depth=1
	s_mov_b32 s23, -1
	s_mov_b32 s10, 0
                                        ; implicit-def: $sgpr24
                                        ; implicit-def: $vgpr25
	s_mov_b32 s15, s23
	s_cbranch_execnz .LBB10_243
	s_branch .LBB10_252
.LBB10_241:                             ;   in Loop: Header=BB10_6 Depth=1
	s_set_inst_prefetch_distance 0x2
	s_or_b32 exec_lo, exec_lo, s25
	v_lshrrev_b16 v25, 8, v2
	s_and_b32 s10, s26, exec_lo
.LBB10_242:                             ;   in Loop: Header=BB10_6 Depth=1
	s_or_b32 exec_lo, exec_lo, s23
	s_mov_b32 s23, 0
	s_mov_b32 s24, -1
	s_mov_b32 s15, s23
	s_branch .LBB10_252
.LBB10_243:                             ;   in Loop: Header=BB10_6 Depth=1
	s_mov_b32 s10, 0
                                        ; implicit-def: $vgpr25
	s_and_saveexec_b32 s15, s9
	s_cbranch_execz .LBB10_251
; %bb.244:                              ;   in Loop: Header=BB10_6 Depth=1
	v_dual_mov_b32 v1, v14 :: v_dual_mov_b32 v2, v0
	s_mov_b32 s23, 0
                                        ; implicit-def: $sgpr24
	s_set_inst_prefetch_distance 0x1
	s_branch .LBB10_246
	.p2align	6
.LBB10_245:                             ;   in Loop: Header=BB10_246 Depth=2
	s_or_b32 exec_lo, exec_lo, s10
	s_waitcnt lgkmcnt(0)
	s_barrier
	buffer_gl0_inv
	ds_load_u16 v3, v22 offset:3072
	v_add_nc_u32_e32 v2, s33, v2
	v_add_nc_u32_e32 v1, s43, v1
	s_waitcnt lgkmcnt(0)
	s_barrier
	buffer_gl0_inv
	v_cmp_le_u32_e32 vcc_lo, s73, v2
	v_and_b32_e32 v4, 0xff, v3
	s_delay_alu instid0(VALU_DEP_1) | instskip(NEXT) | instid1(VALU_DEP_1)
	v_cmp_ne_u16_e64 s10, 0, v4
	s_or_b32 s25, vcc_lo, s10
	s_delay_alu instid0(SALU_CYCLE_1) | instskip(NEXT) | instid1(SALU_CYCLE_1)
	s_and_b32 s25, exec_lo, s25
	s_or_b32 s23, s25, s23
	s_and_not1_b32 s24, s24, exec_lo
	s_and_b32 s10, s10, exec_lo
	s_delay_alu instid0(SALU_CYCLE_1)
	s_or_b32 s24, s24, s10
	s_and_not1_b32 exec_lo, exec_lo, s23
	s_cbranch_execz .LBB10_250
.LBB10_246:                             ;   Parent Loop BB10_6 Depth=1
                                        ; =>  This Inner Loop Header: Depth=2
	s_delay_alu instid0(VALU_DEP_1)
	v_cmp_gt_u32_e32 vcc_lo, s36, v2
	v_mov_b32_e32 v3, 0
	s_and_saveexec_b32 s10, vcc_lo
	s_cbranch_execz .LBB10_248
; %bb.247:                              ;   in Loop: Header=BB10_246 Depth=2
	global_load_u8 v3, v1, s[30:31]
.LBB10_248:                             ;   in Loop: Header=BB10_246 Depth=2
	s_or_b32 exec_lo, exec_lo, s10
	s_waitcnt vmcnt(0)
	v_and_b32_e32 v4, v3, v23
	s_delay_alu instid0(VALU_DEP_1) | instskip(NEXT) | instid1(VALU_DEP_1)
	v_and_b32_e32 v4, 0xff, v4
	v_cmp_eq_u32_e64 s10, v4, v24
	s_delay_alu instid0(VALU_DEP_1) | instskip(NEXT) | instid1(SALU_CYCLE_1)
	s_and_b32 s25, vcc_lo, s10
	s_and_saveexec_b32 s10, s25
	s_cbranch_execz .LBB10_245
; %bb.249:                              ;   in Loop: Header=BB10_246 Depth=2
	v_lshlrev_b16 v3, 8, v3
	s_delay_alu instid0(VALU_DEP_1)
	v_or_b32_e32 v3, 1, v3
	ds_store_b16 v22, v3 offset:3072
	s_branch .LBB10_245
.LBB10_250:                             ;   in Loop: Header=BB10_6 Depth=1
	s_set_inst_prefetch_distance 0x2
	s_or_b32 exec_lo, exec_lo, s23
	v_lshrrev_b16 v25, 8, v3
	s_and_b32 s10, s24, exec_lo
.LBB10_251:                             ;   in Loop: Header=BB10_6 Depth=1
	s_or_b32 exec_lo, exec_lo, s15
	s_mov_b32 s24, 0
	s_mov_b32 s23, -1
	s_mov_b32 s15, 0
.LBB10_252:                             ;   in Loop: Header=BB10_6 Depth=1
	s_or_not1_b32 s10, s10, exec_lo
.LBB10_253:                             ;   in Loop: Header=BB10_6 Depth=1
	s_or_b32 exec_lo, exec_lo, s21
                                        ; implicit-def: $vgpr27
                                        ; implicit-def: $vgpr4
                                        ; implicit-def: $vgpr1
                                        ; implicit-def: $vgpr2
                                        ; implicit-def: $vgpr3
	s_and_saveexec_b32 s21, s10
	s_cbranch_execz .LBB10_382
; %bb.254:                              ;   in Loop: Header=BB10_6 Depth=1
	v_dual_mov_b32 v4, 1 :: v_dual_mov_b32 v27, 1
	s_xor_b32 s22, s22, -1
	s_mov_b32 s28, 0
	s_and_saveexec_b32 s10, s22
	s_cbranch_execz .LBB10_264
; %bb.255:                              ;   in Loop: Header=BB10_6 Depth=1
	s_mov_b32 s25, exec_lo
                                        ; implicit-def: $sgpr26
                                        ; implicit-def: $sgpr22
	v_cmpx_ge_u32_e64 s19, v26
	s_xor_b32 s25, exec_lo, s25
	s_cbranch_execz .LBB10_261
; %bb.256:                              ;   in Loop: Header=BB10_6 Depth=1
	ds_load_b32 v1, v22 offset:4096
	s_waitcnt lgkmcnt(0)
	v_cmp_ne_u32_e32 vcc_lo, 0, v1
	s_cbranch_vccnz .LBB10_260
; %bb.257:                              ;   in Loop: Header=BB10_6 Depth=1
	s_and_saveexec_b32 s22, s5
	s_cbranch_execz .LBB10_259
; %bb.258:                              ;   in Loop: Header=BB10_6 Depth=1
	v_mov_b32_e32 v1, s19
	ds_store_b32 v22, v1 offset:4100
.LBB10_259:                             ;   in Loop: Header=BB10_6 Depth=1
	s_or_b32 exec_lo, exec_lo, s22
	s_waitcnt lgkmcnt(0)
	s_barrier
	buffer_gl0_inv
.LBB10_260:                             ;   in Loop: Header=BB10_6 Depth=1
	v_or_b32_e32 v24, s13, v24
	v_or_b32_e32 v23, s13, v23
	s_mov_b32 s22, 0
	s_mov_b32 s26, 5
.LBB10_261:                             ;   in Loop: Header=BB10_6 Depth=1
	s_or_saveexec_b32 s25, s25
	v_mov_b32_e32 v27, s26
	s_xor_b32 exec_lo, exec_lo, s25
; %bb.262:                              ;   in Loop: Header=BB10_6 Depth=1
	v_subrev_nc_u32_e32 v26, s19, v26
	v_mov_b32_e32 v27, 0
	s_or_b32 s22, s22, exec_lo
; %bb.263:                              ;   in Loop: Header=BB10_6 Depth=1
	s_or_b32 exec_lo, exec_lo, s25
	s_delay_alu instid0(VALU_DEP_2)
	v_mov_b32_e32 v4, v26
	s_and_b32 s28, s22, exec_lo
.LBB10_264:                             ;   in Loop: Header=BB10_6 Depth=1
	s_or_b32 exec_lo, exec_lo, s10
	s_mov_b32 s26, -1
                                        ; implicit-def: $sgpr22
                                        ; implicit-def: $sgpr25
                                        ; implicit-def: $sgpr27
	s_and_saveexec_b32 s10, s28
	s_delay_alu instid0(SALU_CYCLE_1)
	s_xor_b32 s19, exec_lo, s10
	s_cbranch_execz .LBB10_379
; %bb.265:                              ;   in Loop: Header=BB10_6 Depth=1
	v_cmp_eq_u32_e32 vcc_lo, 1, v4
	s_cmp_eq_u32 s18, 1
                                        ; implicit-def: $sgpr22
                                        ; implicit-def: $sgpr25
                                        ; implicit-def: $sgpr26
	s_cselect_b32 s10, -1, 0
	s_delay_alu instid0(SALU_CYCLE_1)
	s_and_b32 s28, s10, vcc_lo
	s_mov_b32 s10, -1
	s_and_saveexec_b32 s27, s28
	s_cbranch_execz .LBB10_289
; %bb.266:                              ;   in Loop: Header=BB10_6 Depth=1
	ds_load_b32 v1, v22 offset:4096
	s_waitcnt lgkmcnt(0)
	s_barrier
	buffer_gl0_inv
	v_readfirstlane_b32 s22, v1
	s_and_saveexec_b32 s10, s6
	s_cbranch_execz .LBB10_268
; %bb.267:                              ;   in Loop: Header=BB10_6 Depth=1
	ds_store_b8 v0, v15 offset:3072
.LBB10_268:                             ;   in Loop: Header=BB10_6 Depth=1
	s_or_b32 exec_lo, exec_lo, s10
	s_lshl_b32 s10, 2, s17
	v_or_b32_e32 v23, s13, v23
	v_and_or_b32 v24, v24, s14, s10
	s_cmp_eq_u32 s22, 0
	s_waitcnt lgkmcnt(0)
	s_barrier
	buffer_gl0_inv
	s_cbranch_scc1 .LBB10_276
; %bb.269:                              ;   in Loop: Header=BB10_6 Depth=1
	s_add_i32 s10, s22, s65
                                        ; implicit-def: $vgpr25
	s_delay_alu instid0(SALU_CYCLE_1) | instskip(NEXT) | instid1(SALU_CYCLE_1)
	s_mul_hi_u32 s25, s10, s71
	s_mul_i32 s25, s25, s33
	s_delay_alu instid0(SALU_CYCLE_1) | instskip(NEXT) | instid1(SALU_CYCLE_1)
	s_sub_i32 s25, s10, s25
	s_sub_i32 s26, s25, s33
	s_cmp_ge_u32 s25, s33
	s_cselect_b32 s25, s26, s25
	s_delay_alu instid0(SALU_CYCLE_1) | instskip(SKIP_2) | instid1(SALU_CYCLE_1)
	s_sub_i32 s26, s25, s33
	s_cmp_ge_u32 s25, s33
	s_cselect_b32 s25, s26, s25
	s_sub_i32 s26, s10, s25
	s_mov_b32 s10, 0
	s_mov_b32 s25, exec_lo
	v_cmpx_gt_u32_e64 s26, v0
	s_cbranch_execz .LBB10_278
; %bb.270:                              ;   in Loop: Header=BB10_6 Depth=1
	v_mov_b32_e32 v1, v0
	s_mov_b32 s29, 0
                                        ; implicit-def: $sgpr87
	s_set_inst_prefetch_distance 0x1
	s_branch .LBB10_272
	.p2align	6
.LBB10_271:                             ;   in Loop: Header=BB10_272 Depth=2
	s_or_b32 exec_lo, exec_lo, s10
	s_waitcnt lgkmcnt(0)
	s_barrier
	buffer_gl0_inv
	ds_load_u16 v2, v22 offset:3072
	v_add_nc_u32_e32 v1, s33, v1
	s_waitcnt lgkmcnt(0)
	s_barrier
	buffer_gl0_inv
	v_cmp_le_u32_e32 vcc_lo, s26, v1
	v_and_b32_e32 v3, 0xff, v2
	s_delay_alu instid0(VALU_DEP_1) | instskip(NEXT) | instid1(VALU_DEP_1)
	v_cmp_ne_u16_e64 s10, 0, v3
	s_or_b32 s88, vcc_lo, s10
	s_delay_alu instid0(SALU_CYCLE_1) | instskip(NEXT) | instid1(SALU_CYCLE_1)
	s_and_b32 s88, exec_lo, s88
	s_or_b32 s29, s88, s29
	s_and_not1_b32 s87, s87, exec_lo
	s_and_b32 s10, s10, exec_lo
	s_delay_alu instid0(SALU_CYCLE_1)
	s_or_b32 s87, s87, s10
	s_and_not1_b32 exec_lo, exec_lo, s29
	s_cbranch_execz .LBB10_277
.LBB10_272:                             ;   Parent Loop BB10_6 Depth=1
                                        ; =>  This Inner Loop Header: Depth=2
	s_delay_alu instid0(VALU_DEP_1)
	v_cmp_gt_u32_e32 vcc_lo, s22, v1
	v_mov_b32_e32 v2, 0
	s_and_saveexec_b32 s10, vcc_lo
	s_cbranch_execz .LBB10_274
; %bb.273:                              ;   in Loop: Header=BB10_272 Depth=2
	ds_load_u8 v2, v1
.LBB10_274:                             ;   in Loop: Header=BB10_272 Depth=2
	s_or_b32 exec_lo, exec_lo, s10
	s_waitcnt lgkmcnt(0)
	v_and_b32_e32 v3, v2, v23
	s_delay_alu instid0(VALU_DEP_1) | instskip(NEXT) | instid1(VALU_DEP_1)
	v_and_b32_e32 v3, 0xff, v3
	v_cmp_eq_u32_e64 s10, v3, v24
	s_delay_alu instid0(VALU_DEP_1) | instskip(NEXT) | instid1(SALU_CYCLE_1)
	s_and_b32 s88, vcc_lo, s10
	s_and_saveexec_b32 s10, s88
	s_cbranch_execz .LBB10_271
; %bb.275:                              ;   in Loop: Header=BB10_272 Depth=2
	v_lshlrev_b16 v2, 8, v2
	s_delay_alu instid0(VALU_DEP_1)
	v_or_b32_e32 v2, 1, v2
	ds_store_b16 v22, v2 offset:3072
	s_branch .LBB10_271
.LBB10_276:                             ;   in Loop: Header=BB10_6 Depth=1
	s_mov_b32 s22, -1
	s_mov_b32 s10, 0
                                        ; implicit-def: $sgpr25
                                        ; implicit-def: $vgpr25
	s_mov_b32 s26, s22
	s_cbranch_execnz .LBB10_279
	s_branch .LBB10_288
.LBB10_277:                             ;   in Loop: Header=BB10_6 Depth=1
	s_set_inst_prefetch_distance 0x2
	s_or_b32 exec_lo, exec_lo, s29
	v_lshrrev_b16 v25, 8, v2
	s_and_b32 s10, s87, exec_lo
.LBB10_278:                             ;   in Loop: Header=BB10_6 Depth=1
	s_or_b32 exec_lo, exec_lo, s25
	s_mov_b32 s22, 0
	s_mov_b32 s25, -1
	s_mov_b32 s26, s22
	s_branch .LBB10_288
.LBB10_279:                             ;   in Loop: Header=BB10_6 Depth=1
	s_mov_b32 s10, 0
                                        ; implicit-def: $vgpr25
	s_and_saveexec_b32 s22, s9
	s_cbranch_execz .LBB10_287
; %bb.280:                              ;   in Loop: Header=BB10_6 Depth=1
	v_dual_mov_b32 v1, v14 :: v_dual_mov_b32 v2, v0
	s_mov_b32 s25, 0
                                        ; implicit-def: $sgpr26
	s_set_inst_prefetch_distance 0x1
	s_branch .LBB10_282
	.p2align	6
.LBB10_281:                             ;   in Loop: Header=BB10_282 Depth=2
	s_or_b32 exec_lo, exec_lo, s10
	s_waitcnt lgkmcnt(0)
	s_barrier
	buffer_gl0_inv
	ds_load_u16 v3, v22 offset:3072
	v_add_nc_u32_e32 v2, s33, v2
	v_add_nc_u32_e32 v1, s43, v1
	s_waitcnt lgkmcnt(0)
	s_barrier
	buffer_gl0_inv
	v_cmp_le_u32_e32 vcc_lo, s73, v2
	v_and_b32_e32 v25, 0xff, v3
	s_delay_alu instid0(VALU_DEP_1) | instskip(NEXT) | instid1(VALU_DEP_1)
	v_cmp_ne_u16_e64 s10, 0, v25
	s_or_b32 s29, vcc_lo, s10
	s_delay_alu instid0(SALU_CYCLE_1) | instskip(NEXT) | instid1(SALU_CYCLE_1)
	s_and_b32 s29, exec_lo, s29
	s_or_b32 s25, s29, s25
	s_and_not1_b32 s26, s26, exec_lo
	s_and_b32 s10, s10, exec_lo
	s_delay_alu instid0(SALU_CYCLE_1)
	s_or_b32 s26, s26, s10
	s_and_not1_b32 exec_lo, exec_lo, s25
	s_cbranch_execz .LBB10_286
.LBB10_282:                             ;   Parent Loop BB10_6 Depth=1
                                        ; =>  This Inner Loop Header: Depth=2
	s_delay_alu instid0(VALU_DEP_1)
	v_cmp_gt_u32_e32 vcc_lo, s36, v2
	v_mov_b32_e32 v3, 0
	s_and_saveexec_b32 s10, vcc_lo
	s_cbranch_execz .LBB10_284
; %bb.283:                              ;   in Loop: Header=BB10_282 Depth=2
	global_load_u8 v3, v1, s[30:31]
.LBB10_284:                             ;   in Loop: Header=BB10_282 Depth=2
	s_or_b32 exec_lo, exec_lo, s10
	s_waitcnt vmcnt(0)
	v_and_b32_e32 v25, v3, v23
	s_delay_alu instid0(VALU_DEP_1) | instskip(NEXT) | instid1(VALU_DEP_1)
	v_and_b32_e32 v25, 0xff, v25
	v_cmp_eq_u32_e64 s10, v25, v24
	s_delay_alu instid0(VALU_DEP_1) | instskip(NEXT) | instid1(SALU_CYCLE_1)
	s_and_b32 s29, vcc_lo, s10
	s_and_saveexec_b32 s10, s29
	s_cbranch_execz .LBB10_281
; %bb.285:                              ;   in Loop: Header=BB10_282 Depth=2
	v_lshlrev_b16 v3, 8, v3
	s_delay_alu instid0(VALU_DEP_1)
	v_or_b32_e32 v3, 1, v3
	ds_store_b16 v22, v3 offset:3072
	s_branch .LBB10_281
.LBB10_286:                             ;   in Loop: Header=BB10_6 Depth=1
	s_set_inst_prefetch_distance 0x2
	s_or_b32 exec_lo, exec_lo, s25
	v_lshrrev_b16 v25, 8, v3
	s_and_b32 s10, s26, exec_lo
.LBB10_287:                             ;   in Loop: Header=BB10_6 Depth=1
	s_or_b32 exec_lo, exec_lo, s22
	s_mov_b32 s25, 0
	s_mov_b32 s22, -1
	s_mov_b32 s26, 0
.LBB10_288:                             ;   in Loop: Header=BB10_6 Depth=1
	s_or_not1_b32 s10, s10, exec_lo
.LBB10_289:                             ;   in Loop: Header=BB10_6 Depth=1
	s_or_b32 exec_lo, exec_lo, s27
	s_mov_b32 s29, 0
                                        ; implicit-def: $vgpr27
	s_and_saveexec_b32 s27, s10
	s_cbranch_execz .LBB10_378
; %bb.290:                              ;   in Loop: Header=BB10_6 Depth=1
	v_mov_b32_e32 v1, 1
	v_mov_b32_e32 v27, 1
	s_xor_b32 s28, s28, -1
	s_mov_b32 s87, 0
	s_and_saveexec_b32 s10, s28
	s_cbranch_execz .LBB10_300
; %bb.291:                              ;   in Loop: Header=BB10_6 Depth=1
	s_mov_b32 s29, exec_lo
                                        ; implicit-def: $sgpr87
                                        ; implicit-def: $sgpr28
	v_cmpx_ge_u32_e64 s18, v4
	s_xor_b32 s29, exec_lo, s29
	s_cbranch_execz .LBB10_297
; %bb.292:                              ;   in Loop: Header=BB10_6 Depth=1
	ds_load_b32 v1, v22 offset:4096
	s_waitcnt lgkmcnt(0)
	v_cmp_ne_u32_e32 vcc_lo, 0, v1
	s_cbranch_vccnz .LBB10_296
; %bb.293:                              ;   in Loop: Header=BB10_6 Depth=1
	s_and_saveexec_b32 s28, s5
	s_cbranch_execz .LBB10_295
; %bb.294:                              ;   in Loop: Header=BB10_6 Depth=1
	v_mov_b32_e32 v1, s18
	ds_store_b32 v22, v1 offset:4100
.LBB10_295:                             ;   in Loop: Header=BB10_6 Depth=1
	s_or_b32 exec_lo, exec_lo, s28
	s_waitcnt lgkmcnt(0)
	s_barrier
	buffer_gl0_inv
.LBB10_296:                             ;   in Loop: Header=BB10_6 Depth=1
	s_lshl_b32 s28, 2, s17
	v_or_b32_e32 v23, s13, v23
	v_and_or_b32 v24, v24, s14, s28
	s_mov_b32 s28, 0
	s_mov_b32 s87, 5
.LBB10_297:                             ;   in Loop: Header=BB10_6 Depth=1
	s_or_saveexec_b32 s29, s29
	v_mov_b32_e32 v27, s87
	s_xor_b32 exec_lo, exec_lo, s29
; %bb.298:                              ;   in Loop: Header=BB10_6 Depth=1
	v_subrev_nc_u32_e32 v4, s18, v4
	v_mov_b32_e32 v27, 0
	s_or_b32 s28, s28, exec_lo
; %bb.299:                              ;   in Loop: Header=BB10_6 Depth=1
	s_or_b32 exec_lo, exec_lo, s29
	s_delay_alu instid0(VALU_DEP_2)
	v_mov_b32_e32 v1, v4
	s_and_b32 s87, s28, exec_lo
.LBB10_300:                             ;   in Loop: Header=BB10_6 Depth=1
	s_or_b32 exec_lo, exec_lo, s10
	s_mov_b32 s10, -1
                                        ; implicit-def: $sgpr28
                                        ; implicit-def: $sgpr29
                                        ; implicit-def: $sgpr88
	s_and_saveexec_b32 s18, s87
	s_cbranch_execz .LBB10_377
; %bb.301:                              ;   in Loop: Header=BB10_6 Depth=1
	v_cmp_eq_u32_e32 vcc_lo, 1, v1
	s_cmp_eq_u32 s16, 1
                                        ; implicit-def: $sgpr28
                                        ; implicit-def: $sgpr29
                                        ; implicit-def: $sgpr87
	s_cselect_b32 s10, -1, 0
	s_delay_alu instid0(SALU_CYCLE_1)
	s_and_b32 s89, s10, vcc_lo
	s_mov_b32 s10, -1
	s_and_saveexec_b32 s88, s89
	s_cbranch_execz .LBB10_325
; %bb.302:                              ;   in Loop: Header=BB10_6 Depth=1
	ds_load_b32 v2, v22 offset:4096
	s_waitcnt lgkmcnt(0)
	s_barrier
	buffer_gl0_inv
	v_readfirstlane_b32 s28, v2
	s_and_saveexec_b32 s10, s6
	s_cbranch_execz .LBB10_304
; %bb.303:                              ;   in Loop: Header=BB10_6 Depth=1
	ds_store_b8 v0, v15 offset:3072
.LBB10_304:                             ;   in Loop: Header=BB10_6 Depth=1
	s_or_b32 exec_lo, exec_lo, s10
	s_lshl_b32 s10, 1, s17
	v_or_b32_e32 v23, s13, v23
	v_and_or_b32 v24, v24, s14, s10
	s_cmp_eq_u32 s28, 0
	s_waitcnt lgkmcnt(0)
	s_barrier
	buffer_gl0_inv
	s_cbranch_scc1 .LBB10_312
; %bb.305:                              ;   in Loop: Header=BB10_6 Depth=1
	s_add_i32 s10, s28, s65
                                        ; implicit-def: $vgpr25
	s_delay_alu instid0(SALU_CYCLE_1) | instskip(NEXT) | instid1(SALU_CYCLE_1)
	s_mul_hi_u32 s29, s10, s71
	s_mul_i32 s29, s29, s33
	s_delay_alu instid0(SALU_CYCLE_1) | instskip(NEXT) | instid1(SALU_CYCLE_1)
	s_sub_i32 s29, s10, s29
	s_sub_i32 s87, s29, s33
	s_cmp_ge_u32 s29, s33
	s_cselect_b32 s29, s87, s29
	s_delay_alu instid0(SALU_CYCLE_1) | instskip(SKIP_2) | instid1(SALU_CYCLE_1)
	s_sub_i32 s87, s29, s33
	s_cmp_ge_u32 s29, s33
	s_cselect_b32 s29, s87, s29
	s_sub_i32 s87, s10, s29
	s_mov_b32 s10, 0
	s_mov_b32 s29, exec_lo
	v_cmpx_gt_u32_e64 s87, v0
	s_cbranch_execz .LBB10_314
; %bb.306:                              ;   in Loop: Header=BB10_6 Depth=1
	v_mov_b32_e32 v2, v0
	s_mov_b32 s90, 0
                                        ; implicit-def: $sgpr91
	s_set_inst_prefetch_distance 0x1
	s_branch .LBB10_308
	.p2align	6
.LBB10_307:                             ;   in Loop: Header=BB10_308 Depth=2
	s_or_b32 exec_lo, exec_lo, s10
	s_waitcnt lgkmcnt(0)
	s_barrier
	buffer_gl0_inv
	ds_load_u16 v3, v22 offset:3072
	v_add_nc_u32_e32 v2, s33, v2
	s_waitcnt lgkmcnt(0)
	s_barrier
	buffer_gl0_inv
	v_cmp_le_u32_e32 vcc_lo, s87, v2
	v_and_b32_e32 v4, 0xff, v3
	s_delay_alu instid0(VALU_DEP_1) | instskip(NEXT) | instid1(VALU_DEP_1)
	v_cmp_ne_u16_e64 s10, 0, v4
	s_or_b32 s92, vcc_lo, s10
	s_delay_alu instid0(SALU_CYCLE_1) | instskip(NEXT) | instid1(SALU_CYCLE_1)
	s_and_b32 s92, exec_lo, s92
	s_or_b32 s90, s92, s90
	s_and_not1_b32 s91, s91, exec_lo
	s_and_b32 s10, s10, exec_lo
	s_delay_alu instid0(SALU_CYCLE_1)
	s_or_b32 s91, s91, s10
	s_and_not1_b32 exec_lo, exec_lo, s90
	s_cbranch_execz .LBB10_313
.LBB10_308:                             ;   Parent Loop BB10_6 Depth=1
                                        ; =>  This Inner Loop Header: Depth=2
	s_delay_alu instid0(VALU_DEP_1)
	v_cmp_gt_u32_e32 vcc_lo, s28, v2
	v_mov_b32_e32 v3, 0
	s_and_saveexec_b32 s10, vcc_lo
	s_cbranch_execz .LBB10_310
; %bb.309:                              ;   in Loop: Header=BB10_308 Depth=2
	ds_load_u8 v3, v2
.LBB10_310:                             ;   in Loop: Header=BB10_308 Depth=2
	s_or_b32 exec_lo, exec_lo, s10
	s_waitcnt lgkmcnt(0)
	v_and_b32_e32 v4, v3, v23
	s_delay_alu instid0(VALU_DEP_1) | instskip(NEXT) | instid1(VALU_DEP_1)
	v_and_b32_e32 v4, 0xff, v4
	v_cmp_eq_u32_e64 s10, v4, v24
	s_delay_alu instid0(VALU_DEP_1) | instskip(NEXT) | instid1(SALU_CYCLE_1)
	s_and_b32 s92, vcc_lo, s10
	s_and_saveexec_b32 s10, s92
	s_cbranch_execz .LBB10_307
; %bb.311:                              ;   in Loop: Header=BB10_308 Depth=2
	v_lshlrev_b16 v3, 8, v3
	s_delay_alu instid0(VALU_DEP_1)
	v_or_b32_e32 v3, 1, v3
	ds_store_b16 v22, v3 offset:3072
	s_branch .LBB10_307
.LBB10_312:                             ;   in Loop: Header=BB10_6 Depth=1
	s_mov_b32 s28, -1
	s_mov_b32 s10, 0
                                        ; implicit-def: $sgpr29
                                        ; implicit-def: $vgpr25
	s_mov_b32 s87, s28
	s_cbranch_execnz .LBB10_315
	s_branch .LBB10_324
.LBB10_313:                             ;   in Loop: Header=BB10_6 Depth=1
	s_set_inst_prefetch_distance 0x2
	s_or_b32 exec_lo, exec_lo, s90
	v_lshrrev_b16 v25, 8, v3
	s_and_b32 s10, s91, exec_lo
.LBB10_314:                             ;   in Loop: Header=BB10_6 Depth=1
	s_or_b32 exec_lo, exec_lo, s29
	s_mov_b32 s28, 0
	s_mov_b32 s29, -1
	s_mov_b32 s87, s28
	s_branch .LBB10_324
.LBB10_315:                             ;   in Loop: Header=BB10_6 Depth=1
	s_mov_b32 s10, 0
                                        ; implicit-def: $vgpr25
	s_and_saveexec_b32 s28, s9
	s_cbranch_execz .LBB10_323
; %bb.316:                              ;   in Loop: Header=BB10_6 Depth=1
	v_dual_mov_b32 v2, v14 :: v_dual_mov_b32 v3, v0
	s_mov_b32 s29, 0
                                        ; implicit-def: $sgpr87
	s_set_inst_prefetch_distance 0x1
	s_branch .LBB10_318
	.p2align	6
.LBB10_317:                             ;   in Loop: Header=BB10_318 Depth=2
	s_or_b32 exec_lo, exec_lo, s10
	s_waitcnt lgkmcnt(0)
	s_barrier
	buffer_gl0_inv
	ds_load_u16 v4, v22 offset:3072
	v_add_nc_u32_e32 v3, s33, v3
	v_add_nc_u32_e32 v2, s43, v2
	s_waitcnt lgkmcnt(0)
	s_barrier
	buffer_gl0_inv
	v_cmp_le_u32_e32 vcc_lo, s73, v3
	v_and_b32_e32 v25, 0xff, v4
	s_delay_alu instid0(VALU_DEP_1) | instskip(NEXT) | instid1(VALU_DEP_1)
	v_cmp_ne_u16_e64 s10, 0, v25
	s_or_b32 s90, vcc_lo, s10
	s_delay_alu instid0(SALU_CYCLE_1) | instskip(NEXT) | instid1(SALU_CYCLE_1)
	s_and_b32 s90, exec_lo, s90
	s_or_b32 s29, s90, s29
	s_and_not1_b32 s87, s87, exec_lo
	s_and_b32 s10, s10, exec_lo
	s_delay_alu instid0(SALU_CYCLE_1)
	s_or_b32 s87, s87, s10
	s_and_not1_b32 exec_lo, exec_lo, s29
	s_cbranch_execz .LBB10_322
.LBB10_318:                             ;   Parent Loop BB10_6 Depth=1
                                        ; =>  This Inner Loop Header: Depth=2
	s_delay_alu instid0(VALU_DEP_1)
	v_cmp_gt_u32_e32 vcc_lo, s36, v3
	v_mov_b32_e32 v4, 0
	s_and_saveexec_b32 s10, vcc_lo
	s_cbranch_execz .LBB10_320
; %bb.319:                              ;   in Loop: Header=BB10_318 Depth=2
	global_load_u8 v4, v2, s[30:31]
.LBB10_320:                             ;   in Loop: Header=BB10_318 Depth=2
	s_or_b32 exec_lo, exec_lo, s10
	s_waitcnt vmcnt(0)
	v_and_b32_e32 v25, v4, v23
	s_delay_alu instid0(VALU_DEP_1) | instskip(NEXT) | instid1(VALU_DEP_1)
	v_and_b32_e32 v25, 0xff, v25
	v_cmp_eq_u32_e64 s10, v25, v24
	s_delay_alu instid0(VALU_DEP_1) | instskip(NEXT) | instid1(SALU_CYCLE_1)
	s_and_b32 s90, vcc_lo, s10
	s_and_saveexec_b32 s10, s90
	s_cbranch_execz .LBB10_317
; %bb.321:                              ;   in Loop: Header=BB10_318 Depth=2
	v_lshlrev_b16 v4, 8, v4
	s_delay_alu instid0(VALU_DEP_1)
	v_or_b32_e32 v4, 1, v4
	ds_store_b16 v22, v4 offset:3072
	s_branch .LBB10_317
.LBB10_322:                             ;   in Loop: Header=BB10_6 Depth=1
	s_set_inst_prefetch_distance 0x2
	s_or_b32 exec_lo, exec_lo, s29
	v_lshrrev_b16 v25, 8, v4
	s_and_b32 s10, s87, exec_lo
.LBB10_323:                             ;   in Loop: Header=BB10_6 Depth=1
	s_or_b32 exec_lo, exec_lo, s28
	s_mov_b32 s29, 0
	s_mov_b32 s28, -1
	s_mov_b32 s87, 0
.LBB10_324:                             ;   in Loop: Header=BB10_6 Depth=1
	s_or_not1_b32 s10, s10, exec_lo
.LBB10_325:                             ;   in Loop: Header=BB10_6 Depth=1
	s_or_b32 exec_lo, exec_lo, s88
	s_mov_b32 s90, 0
                                        ; implicit-def: $vgpr27
	s_and_saveexec_b32 s88, s10
	s_cbranch_execz .LBB10_376
; %bb.326:                              ;   in Loop: Header=BB10_6 Depth=1
	v_dual_mov_b32 v2, 1 :: v_dual_mov_b32 v27, 1
	s_xor_b32 s90, s89, -1
	s_mov_b32 s89, 0
	s_and_saveexec_b32 s10, s90
	s_cbranch_execz .LBB10_336
; %bb.327:                              ;   in Loop: Header=BB10_6 Depth=1
	s_mov_b32 s90, exec_lo
                                        ; implicit-def: $sgpr91
                                        ; implicit-def: $sgpr89
	v_cmpx_ge_u32_e64 s16, v1
	s_xor_b32 s90, exec_lo, s90
	s_cbranch_execz .LBB10_333
; %bb.328:                              ;   in Loop: Header=BB10_6 Depth=1
	ds_load_b32 v2, v22 offset:4096
	s_waitcnt lgkmcnt(0)
	v_cmp_ne_u32_e32 vcc_lo, 0, v2
	s_cbranch_vccnz .LBB10_332
; %bb.329:                              ;   in Loop: Header=BB10_6 Depth=1
	s_and_saveexec_b32 s89, s5
	s_cbranch_execz .LBB10_331
; %bb.330:                              ;   in Loop: Header=BB10_6 Depth=1
	v_mov_b32_e32 v2, s16
	ds_store_b32 v22, v2 offset:4100
.LBB10_331:                             ;   in Loop: Header=BB10_6 Depth=1
	s_or_b32 exec_lo, exec_lo, s89
	s_waitcnt lgkmcnt(0)
	s_barrier
	buffer_gl0_inv
.LBB10_332:                             ;   in Loop: Header=BB10_6 Depth=1
	s_lshl_b32 s17, 1, s17
	v_or_b32_e32 v23, s13, v23
	v_and_or_b32 v24, v24, s14, s17
	s_mov_b32 s89, 0
	s_mov_b32 s91, 5
.LBB10_333:                             ;   in Loop: Header=BB10_6 Depth=1
	s_or_saveexec_b32 s17, s90
	v_mov_b32_e32 v27, s91
	s_xor_b32 exec_lo, exec_lo, s17
; %bb.334:                              ;   in Loop: Header=BB10_6 Depth=1
	v_subrev_nc_u32_e32 v1, s16, v1
	v_mov_b32_e32 v27, 0
	s_or_b32 s89, s89, exec_lo
; %bb.335:                              ;   in Loop: Header=BB10_6 Depth=1
	s_or_b32 exec_lo, exec_lo, s17
	s_delay_alu instid0(VALU_DEP_2)
	v_mov_b32_e32 v2, v1
	s_and_b32 s89, s89, exec_lo
.LBB10_336:                             ;   in Loop: Header=BB10_6 Depth=1
	s_or_b32 exec_lo, exec_lo, s10
	s_mov_b32 s17, -1
                                        ; implicit-def: $sgpr10
                                        ; implicit-def: $sgpr90
                                        ; implicit-def: $sgpr91
	s_and_saveexec_b32 s16, s89
	s_cbranch_execz .LBB10_375
; %bb.337:                              ;   in Loop: Header=BB10_6 Depth=1
	v_cmp_eq_u32_e32 vcc_lo, 1, v2
	s_cmp_eq_u32 s12, 1
	s_mov_b32 s92, -1
	s_cselect_b32 s10, -1, 0
                                        ; implicit-def: $sgpr90
                                        ; implicit-def: $sgpr91
	s_delay_alu instid0(SALU_CYCLE_1) | instskip(NEXT) | instid1(SALU_CYCLE_1)
	s_and_b32 s17, s10, vcc_lo
                                        ; implicit-def: $sgpr10
	s_and_saveexec_b32 s89, s17
	s_cbranch_execz .LBB10_362
; %bb.338:                              ;   in Loop: Header=BB10_6 Depth=1
	ds_load_b32 v1, v22 offset:4096
	s_waitcnt lgkmcnt(0)
	s_barrier
	buffer_gl0_inv
	v_readfirstlane_b32 s90, v1
	s_and_saveexec_b32 s10, s6
	s_cbranch_execz .LBB10_340
; %bb.339:                              ;   in Loop: Header=BB10_6 Depth=1
	ds_store_b8 v0, v15 offset:3072
.LBB10_340:                             ;   in Loop: Header=BB10_6 Depth=1
	s_or_b32 exec_lo, exec_lo, s10
	v_and_b32_e32 v24, s14, v24
	v_or_b32_e32 v23, s13, v23
	s_cmp_eq_u32 s90, 0
	s_waitcnt lgkmcnt(0)
	s_barrier
	buffer_gl0_inv
	s_cbranch_scc1 .LBB10_348
; %bb.341:                              ;   in Loop: Header=BB10_6 Depth=1
	s_add_i32 s10, s90, s65
                                        ; implicit-def: $vgpr25
	s_delay_alu instid0(SALU_CYCLE_1) | instskip(NEXT) | instid1(SALU_CYCLE_1)
	s_mul_hi_u32 s91, s10, s71
	s_mul_i32 s91, s91, s33
	s_delay_alu instid0(SALU_CYCLE_1) | instskip(NEXT) | instid1(SALU_CYCLE_1)
	s_sub_i32 s91, s10, s91
	s_sub_i32 s92, s91, s33
	s_cmp_ge_u32 s91, s33
	s_cselect_b32 s91, s92, s91
	s_delay_alu instid0(SALU_CYCLE_1)
	s_sub_i32 s92, s91, s33
	s_cmp_ge_u32 s91, s33
	s_cselect_b32 s91, s92, s91
	s_mov_b32 s92, 0
	s_sub_i32 s93, s10, s91
	s_mov_b32 s91, exec_lo
	v_cmpx_gt_u32_e64 s93, v0
	s_cbranch_execz .LBB10_350
; %bb.342:                              ;   in Loop: Header=BB10_6 Depth=1
	v_mov_b32_e32 v1, v0
                                        ; implicit-def: $sgpr94
	s_set_inst_prefetch_distance 0x1
	s_branch .LBB10_344
	.p2align	6
.LBB10_343:                             ;   in Loop: Header=BB10_344 Depth=2
	s_or_b32 exec_lo, exec_lo, s10
	s_waitcnt lgkmcnt(0)
	s_barrier
	buffer_gl0_inv
	ds_load_u16 v3, v22 offset:3072
	v_add_nc_u32_e32 v1, s33, v1
	s_waitcnt lgkmcnt(0)
	s_barrier
	buffer_gl0_inv
	v_cmp_le_u32_e32 vcc_lo, s93, v1
	v_and_b32_e32 v4, 0xff, v3
	s_delay_alu instid0(VALU_DEP_1) | instskip(NEXT) | instid1(VALU_DEP_1)
	v_cmp_ne_u16_e64 s10, 0, v4
	s_or_b32 s95, vcc_lo, s10
	s_delay_alu instid0(SALU_CYCLE_1) | instskip(NEXT) | instid1(SALU_CYCLE_1)
	s_and_b32 s95, exec_lo, s95
	s_or_b32 s92, s95, s92
	s_and_not1_b32 s94, s94, exec_lo
	s_and_b32 s10, s10, exec_lo
	s_delay_alu instid0(SALU_CYCLE_1)
	s_or_b32 s94, s94, s10
	s_and_not1_b32 exec_lo, exec_lo, s92
	s_cbranch_execz .LBB10_349
.LBB10_344:                             ;   Parent Loop BB10_6 Depth=1
                                        ; =>  This Inner Loop Header: Depth=2
	s_delay_alu instid0(VALU_DEP_1)
	v_cmp_gt_u32_e32 vcc_lo, s90, v1
	v_mov_b32_e32 v3, 0
	s_and_saveexec_b32 s10, vcc_lo
	s_cbranch_execz .LBB10_346
; %bb.345:                              ;   in Loop: Header=BB10_344 Depth=2
	ds_load_u8 v3, v1
.LBB10_346:                             ;   in Loop: Header=BB10_344 Depth=2
	s_or_b32 exec_lo, exec_lo, s10
	s_waitcnt lgkmcnt(0)
	v_and_b32_e32 v4, v3, v23
	s_delay_alu instid0(VALU_DEP_1) | instskip(NEXT) | instid1(VALU_DEP_1)
	v_and_b32_e32 v4, 0xff, v4
	v_cmp_eq_u32_e64 s10, v4, v24
	s_delay_alu instid0(VALU_DEP_1) | instskip(NEXT) | instid1(SALU_CYCLE_1)
	s_and_b32 s95, vcc_lo, s10
	s_and_saveexec_b32 s10, s95
	s_cbranch_execz .LBB10_343
; %bb.347:                              ;   in Loop: Header=BB10_344 Depth=2
	v_lshlrev_b16 v3, 8, v3
	s_delay_alu instid0(VALU_DEP_1)
	v_or_b32_e32 v3, 1, v3
	ds_store_b16 v22, v3 offset:3072
	s_branch .LBB10_343
.LBB10_348:                             ;   in Loop: Header=BB10_6 Depth=1
	s_mov_b32 s10, -1
	s_mov_b32 s92, 0
                                        ; implicit-def: $sgpr90
                                        ; implicit-def: $vgpr25
	s_branch .LBB10_351
.LBB10_349:                             ;   in Loop: Header=BB10_6 Depth=1
	s_set_inst_prefetch_distance 0x2
	s_or_b32 exec_lo, exec_lo, s92
	v_lshrrev_b16 v25, 8, v3
	s_and_b32 s92, s94, exec_lo
.LBB10_350:                             ;   in Loop: Header=BB10_6 Depth=1
	s_or_b32 exec_lo, exec_lo, s91
	s_mov_b32 s10, 0
	s_mov_b32 s90, -1
.LBB10_351:                             ;   in Loop: Header=BB10_6 Depth=1
	s_and_b32 vcc_lo, exec_lo, s10
	s_mov_b32 s91, s10
	s_cbranch_vccz .LBB10_361
; %bb.352:                              ;   in Loop: Header=BB10_6 Depth=1
	s_mov_b32 s92, 0
                                        ; implicit-def: $vgpr25
	s_and_saveexec_b32 s90, s9
	s_cbranch_execz .LBB10_360
; %bb.353:                              ;   in Loop: Header=BB10_6 Depth=1
	v_mov_b32_e32 v1, v14
	v_mov_b32_e32 v3, v0
	s_mov_b32 s91, 0
                                        ; implicit-def: $sgpr92
	s_set_inst_prefetch_distance 0x1
	s_branch .LBB10_355
	.p2align	6
.LBB10_354:                             ;   in Loop: Header=BB10_355 Depth=2
	s_or_b32 exec_lo, exec_lo, s10
	s_waitcnt lgkmcnt(0)
	s_barrier
	buffer_gl0_inv
	ds_load_u16 v4, v22 offset:3072
	v_add_nc_u32_e32 v3, s33, v3
	v_add_nc_u32_e32 v1, s43, v1
	s_waitcnt lgkmcnt(0)
	s_barrier
	buffer_gl0_inv
	v_cmp_le_u32_e32 vcc_lo, s73, v3
	v_and_b32_e32 v25, 0xff, v4
	s_delay_alu instid0(VALU_DEP_1) | instskip(NEXT) | instid1(VALU_DEP_1)
	v_cmp_ne_u16_e64 s10, 0, v25
	s_or_b32 s93, vcc_lo, s10
	s_delay_alu instid0(SALU_CYCLE_1) | instskip(NEXT) | instid1(SALU_CYCLE_1)
	s_and_b32 s93, exec_lo, s93
	s_or_b32 s91, s93, s91
	s_and_not1_b32 s92, s92, exec_lo
	s_and_b32 s10, s10, exec_lo
	s_delay_alu instid0(SALU_CYCLE_1)
	s_or_b32 s92, s92, s10
	s_and_not1_b32 exec_lo, exec_lo, s91
	s_cbranch_execz .LBB10_359
.LBB10_355:                             ;   Parent Loop BB10_6 Depth=1
                                        ; =>  This Inner Loop Header: Depth=2
	s_delay_alu instid0(VALU_DEP_1)
	v_cmp_gt_u32_e32 vcc_lo, s36, v3
	v_mov_b32_e32 v4, 0
	s_and_saveexec_b32 s10, vcc_lo
	s_cbranch_execz .LBB10_357
; %bb.356:                              ;   in Loop: Header=BB10_355 Depth=2
	global_load_u8 v4, v1, s[30:31]
.LBB10_357:                             ;   in Loop: Header=BB10_355 Depth=2
	s_or_b32 exec_lo, exec_lo, s10
	s_waitcnt vmcnt(0)
	v_and_b32_e32 v25, v4, v23
	s_delay_alu instid0(VALU_DEP_1) | instskip(NEXT) | instid1(VALU_DEP_1)
	v_and_b32_e32 v25, 0xff, v25
	v_cmp_eq_u32_e64 s10, v25, v24
	s_delay_alu instid0(VALU_DEP_1) | instskip(NEXT) | instid1(SALU_CYCLE_1)
	s_and_b32 s93, vcc_lo, s10
	s_and_saveexec_b32 s10, s93
	s_cbranch_execz .LBB10_354
; %bb.358:                              ;   in Loop: Header=BB10_355 Depth=2
	v_lshlrev_b16 v4, 8, v4
	s_delay_alu instid0(VALU_DEP_1)
	v_or_b32_e32 v4, 1, v4
	ds_store_b16 v22, v4 offset:3072
	s_branch .LBB10_354
.LBB10_359:                             ;   in Loop: Header=BB10_6 Depth=1
	s_set_inst_prefetch_distance 0x2
	s_or_b32 exec_lo, exec_lo, s91
	v_lshrrev_b16 v25, 8, v4
	s_and_b32 s92, s92, exec_lo
.LBB10_360:                             ;   in Loop: Header=BB10_6 Depth=1
	s_or_b32 exec_lo, exec_lo, s90
	s_mov_b32 s90, 0
	s_mov_b32 s10, -1
	s_mov_b32 s91, 0
.LBB10_361:                             ;   in Loop: Header=BB10_6 Depth=1
	s_or_not1_b32 s92, s92, exec_lo
.LBB10_362:                             ;   in Loop: Header=BB10_6 Depth=1
	s_or_b32 exec_lo, exec_lo, s89
	s_mov_b32 s93, 0
                                        ; implicit-def: $vgpr27
                                        ; implicit-def: $vgpr1
	s_and_saveexec_b32 s89, s92
	s_cbranch_execz .LBB10_374
; %bb.363:                              ;   in Loop: Header=BB10_6 Depth=1
	v_mov_b32_e32 v27, 1
	v_mov_b32_e32 v1, 1
	s_xor_b32 s92, s17, -1
	s_delay_alu instid0(SALU_CYCLE_1)
	s_and_saveexec_b32 s17, s92
	s_cbranch_execz .LBB10_373
; %bb.364:                              ;   in Loop: Header=BB10_6 Depth=1
	s_mov_b32 s92, exec_lo
                                        ; implicit-def: $sgpr93
	v_cmpx_ge_u32_e64 s12, v2
	s_xor_b32 s92, exec_lo, s92
	s_cbranch_execz .LBB10_370
; %bb.365:                              ;   in Loop: Header=BB10_6 Depth=1
	ds_load_b32 v1, v22 offset:4096
	s_waitcnt lgkmcnt(0)
	v_cmp_ne_u32_e32 vcc_lo, 0, v1
	s_cbranch_vccnz .LBB10_369
; %bb.366:                              ;   in Loop: Header=BB10_6 Depth=1
	s_and_saveexec_b32 s93, s5
	s_cbranch_execz .LBB10_368
; %bb.367:                              ;   in Loop: Header=BB10_6 Depth=1
	v_mov_b32_e32 v1, s12
	ds_store_b32 v22, v1 offset:4100
.LBB10_368:                             ;   in Loop: Header=BB10_6 Depth=1
	s_or_b32 exec_lo, exec_lo, s93
	s_waitcnt lgkmcnt(0)
	s_barrier
	buffer_gl0_inv
.LBB10_369:                             ;   in Loop: Header=BB10_6 Depth=1
	v_and_b32_e32 v24, s14, v24
	v_or_b32_e32 v23, s13, v23
	s_mov_b32 s93, 5
.LBB10_370:                             ;   in Loop: Header=BB10_6 Depth=1
	s_or_saveexec_b32 s13, s92
	v_mov_b32_e32 v27, s93
	s_xor_b32 exec_lo, exec_lo, s13
; %bb.371:                              ;   in Loop: Header=BB10_6 Depth=1
	v_subrev_nc_u32_e32 v2, s12, v2
	v_mov_b32_e32 v27, 5
; %bb.372:                              ;   in Loop: Header=BB10_6 Depth=1
	s_or_b32 exec_lo, exec_lo, s13
	s_delay_alu instid0(VALU_DEP_2)
	v_mov_b32_e32 v1, v2
.LBB10_373:                             ;   in Loop: Header=BB10_6 Depth=1
	s_or_b32 exec_lo, exec_lo, s17
	s_delay_alu instid0(SALU_CYCLE_1)
	s_mov_b32 s93, exec_lo
.LBB10_374:                             ;   in Loop: Header=BB10_6 Depth=1
	s_or_b32 exec_lo, exec_lo, s89
	s_delay_alu instid0(VALU_DEP_1)
	v_mov_b32_e32 v2, v1
	s_or_not1_b32 s17, s93, exec_lo
.LBB10_375:                             ;   in Loop: Header=BB10_6 Depth=1
	s_or_b32 exec_lo, exec_lo, s16
	s_delay_alu instid0(SALU_CYCLE_1)
	s_and_not1_b32 s12, s28, exec_lo
	s_and_b32 s10, s10, exec_lo
	s_and_not1_b32 s13, s87, exec_lo
	s_or_b32 s28, s12, s10
	s_and_not1_b32 s10, s29, exec_lo
	s_and_b32 s12, s90, exec_lo
	s_and_b32 s14, s91, exec_lo
	v_mov_b32_e32 v1, v2
	s_or_b32 s29, s10, s12
	s_or_b32 s87, s13, s14
	s_and_b32 s90, s17, exec_lo
.LBB10_376:                             ;   in Loop: Header=BB10_6 Depth=1
	s_or_b32 exec_lo, exec_lo, s88
	s_delay_alu instid0(SALU_CYCLE_1)
	s_and_b32 s88, s28, exec_lo
	s_and_b32 s29, s29, exec_lo
	;; [unrolled: 1-line block ×3, first 2 shown]
	s_or_not1_b32 s10, s90, exec_lo
.LBB10_377:                             ;   in Loop: Header=BB10_6 Depth=1
	s_or_b32 exec_lo, exec_lo, s18
	s_delay_alu instid0(SALU_CYCLE_1)
	s_and_not1_b32 s12, s22, exec_lo
	s_and_b32 s13, s88, exec_lo
	s_and_not1_b32 s14, s26, exec_lo
	s_or_b32 s22, s12, s13
	s_and_not1_b32 s12, s25, exec_lo
	s_and_b32 s13, s29, exec_lo
	s_and_b32 s16, s28, exec_lo
	v_mov_b32_e32 v4, v1
	s_or_b32 s25, s12, s13
	s_or_b32 s26, s14, s16
	s_and_b32 s29, s10, exec_lo
.LBB10_378:                             ;   in Loop: Header=BB10_6 Depth=1
	s_or_b32 exec_lo, exec_lo, s27
	s_delay_alu instid0(SALU_CYCLE_1)
	s_and_b32 s27, s22, exec_lo
	s_and_b32 s25, s25, exec_lo
	;; [unrolled: 1-line block ×3, first 2 shown]
	s_or_not1_b32 s26, s29, exec_lo
.LBB10_379:                             ;   in Loop: Header=BB10_6 Depth=1
	s_or_b32 exec_lo, exec_lo, s19
	s_mov_b32 s10, s20
	s_mov_b32 s12, s11
	s_and_saveexec_b32 s13, s26
; %bb.380:                              ;   in Loop: Header=BB10_6 Depth=1
	v_cmp_eq_u32_e32 vcc_lo, 5, v27
	v_cmp_ne_u32_e64 s10, 5, v27
	s_and_not1_b32 s12, s11, exec_lo
	s_and_not1_b32 s14, s20, exec_lo
	;; [unrolled: 1-line block ×3, first 2 shown]
	s_and_b32 s16, vcc_lo, exec_lo
	s_and_b32 s10, s10, exec_lo
	s_and_not1_b32 s25, s25, exec_lo
	s_and_not1_b32 s22, s22, exec_lo
	s_or_b32 s12, s12, s10
	s_or_b32 s10, s14, s16
; %bb.381:                              ;   in Loop: Header=BB10_6 Depth=1
	s_or_b32 exec_lo, exec_lo, s13
	s_delay_alu instid0(SALU_CYCLE_1)
	s_and_not1_b32 s13, s23, exec_lo
	s_and_b32 s14, s27, exec_lo
	v_dual_mov_b32 v1, v24 :: v_dual_mov_b32 v2, v23
	s_or_b32 s23, s13, s14
	s_and_not1_b32 s13, s24, exec_lo
	s_and_b32 s14, s25, exec_lo
	v_mov_b32_e32 v3, v25
	s_and_not1_b32 s15, s15, exec_lo
	s_and_b32 s16, s22, exec_lo
	s_or_b32 s24, s13, s14
	s_and_not1_b32 s11, s11, exec_lo
	s_and_b32 s12, s12, exec_lo
	s_and_not1_b32 s13, s20, exec_lo
	s_and_b32 s10, s10, exec_lo
	s_or_b32 s15, s15, s16
	s_or_b32 s11, s11, s12
	;; [unrolled: 1-line block ×3, first 2 shown]
.LBB10_382:                             ;   in Loop: Header=BB10_6 Depth=1
	s_or_b32 exec_lo, exec_lo, s21
	s_mov_b32 s22, s15
	s_mov_b32 s21, s15
	s_and_saveexec_b32 s10, s20
.LBB10_383:                             ;   in Loop: Header=BB10_6 Depth=1
	v_mov_b32_e32 v27, 0
	s_and_not1_b32 s15, s15, exec_lo
	s_and_not1_b32 s23, s23, exec_lo
	;; [unrolled: 1-line block ×5, first 2 shown]
	s_or_b32 s11, s11, exec_lo
.LBB10_384:                             ;   in Loop: Header=BB10_6 Depth=1
	s_or_b32 exec_lo, exec_lo, s10
	s_delay_alu instid0(SALU_CYCLE_1)
	s_and_not1_b32 s10, s86, exec_lo
	s_and_b32 s13, s15, exec_lo
	s_and_not1_b32 s14, s83, exec_lo
	s_or_b32 s86, s10, s13
	s_and_not1_b32 s10, s85, exec_lo
	s_and_b32 s13, s23, exec_lo
	s_and_b32 s15, s24, exec_lo
	s_or_b32 s85, s10, s13
	s_or_b32 s83, s14, s15
	s_and_not1_b32 s10, s84, exec_lo
	s_and_b32 s13, s22, exec_lo
	s_and_not1_b32 s14, s82, exec_lo
	s_and_b32 s15, s21, exec_lo
	s_mov_b32 s12, -1
	s_or_b32 s84, s10, s13
	s_or_b32 s82, s14, s15
                                        ; implicit-def: $vgpr23
                                        ; implicit-def: $vgpr24
                                        ; implicit-def: $vgpr26
                                        ; implicit-def: $vgpr25
	s_and_saveexec_b32 s10, s11
	s_delay_alu instid0(SALU_CYCLE_1)
	s_xor_b32 s10, exec_lo, s10
	s_cbranch_execz .LBB10_5
; %bb.385:                              ;   in Loop: Header=BB10_6 Depth=1
	s_mov_b32 s11, -1
	s_mov_b32 s13, exec_lo
	v_cmpx_eq_u32_e32 0, v27
	s_cbranch_execz .LBB10_4
; %bb.386:                              ;   in Loop: Header=BB10_6 Depth=1
	s_xor_b32 s76, s76, 1
	s_add_i32 s14, s80, -2
	s_cmp_eq_u32 s80, 0
	s_mov_b32 s80, s14
	s_cselect_b32 s11, -1, 0
	s_xor_b32 s12, exec_lo, -1
	s_or_not1_b32 s11, s11, exec_lo
	s_branch .LBB10_4
.LBB10_387:
	s_or_b32 exec_lo, exec_lo, s59
	s_xor_b32 s7, s81, -1
	s_xor_b32 s12, s78, -1
	;; [unrolled: 1-line block ×5, first 2 shown]
	s_mov_b32 s9, 0
	s_and_saveexec_b32 s10, s8
	s_delay_alu instid0(SALU_CYCLE_1)
	s_xor_b32 s8, exec_lo, s10
	s_cbranch_execz .LBB10_444
; %bb.388:
	s_mov_b32 s10, 0
	s_and_saveexec_b32 s9, s11
	s_delay_alu instid0(SALU_CYCLE_1)
	s_xor_b32 s9, exec_lo, s9
	s_cbranch_execz .LBB10_442
; %bb.389:
	;; [unrolled: 6-line block ×4, first 2 shown]
	s_and_saveexec_b32 s7, s6
	s_delay_alu instid0(SALU_CYCLE_1)
	s_xor_b32 s6, exec_lo, s7
; %bb.392:
	v_mov_b32_e32 v3, v1
; %bb.393:
	s_or_b32 exec_lo, exec_lo, s6
	s_and_saveexec_b32 s6, s5
	s_cbranch_execz .LBB10_395
; %bb.394:
	v_mov_b32_e32 v1, 0
	ds_store_b32 v1, v1 offset:4108
.LBB10_395:
	s_or_b32 exec_lo, exec_lo, s6
	v_mov_b32_e32 v8, 0
	s_waitcnt lgkmcnt(0)
	s_barrier
	buffer_gl0_inv
	s_and_saveexec_b32 s5, s4
	s_cbranch_execz .LBB10_397
; %bb.396:
	global_load_u8 v8, v[5:6], off
.LBB10_397:
	s_or_b32 exec_lo, exec_lo, s5
	s_mul_i32 s7, s58, s52
	s_add_i32 s5, s36, 31
	s_mul_i32 s6, s47, s53
	s_sub_i32 s7, s47, s7
	s_and_not1_b32 s5, s5, 31
	s_sub_i32 s6, s55, s6
	s_add_i32 s12, s58, 1
	s_sub_i32 s13, s7, s52
	s_cmp_ge_u32 s7, s52
	s_mul_i32 s6, s6, s46
	s_cselect_b32 s12, s12, s58
	s_cselect_b32 s7, s13, s7
	s_add_i32 s13, s12, 1
	s_cmp_ge_u32 s7, s52
	v_add_nc_u32_e32 v1, s33, v0
	s_cselect_b32 s7, s13, s12
	s_mul_i32 s13, s56, s51
	s_mul_i32 s12, s7, s52
	;; [unrolled: 1-line block ×3, first 2 shown]
	s_sub_i32 s12, s47, s12
	v_mul_lo_u32 v4, s54, v1
	s_mul_i32 s12, s12, s45
	v_and_b32_e32 v7, 0xff, v3
	s_add_i32 s6, s12, s6
	s_mul_i32 s12, s57, s50
	s_add_i32 s6, s6, s7
	s_sub_i32 s12, s56, s12
	s_sub_i32 s7, s55, s13
	s_add_i32 s13, s57, 1
	s_sub_i32 s14, s12, s50
	s_cmp_ge_u32 s12, s50
	s_mul_i32 s7, s7, s42
	s_cselect_b32 s13, s13, s57
	s_cselect_b32 s12, s14, s12
	s_add_i32 s14, s13, 1
	s_cmp_ge_u32 s12, s50
	s_mov_b32 s16, 0
	s_cselect_b32 s14, s14, s13
	s_mov_b32 s17, exec_lo
	s_mul_i32 s12, s14, s50
	s_mul_i32 s14, s14, s40
	s_sub_i32 s15, s56, s12
	s_clause 0x1
	s_load_b32 s12, s[0:1], 0x1c8
	s_load_b32 s13, s[0:1], 0x2a8
	s_mul_i32 s0, s15, s41
	s_mov_b32 s1, 0
	s_add_i32 s0, s0, s7
	s_delay_alu instid0(SALU_CYCLE_1)
	s_add_i32 s0, s0, s14
	s_add_u32 s6, s48, s6
	s_addc_u32 s7, s49, 0
	s_lshl_b64 s[14:15], s[0:1], 3
	s_mov_b32 s0, -1
	s_add_u32 s14, s34, s14
	s_addc_u32 s15, s35, s15
	v_cmpx_gt_u32_e64 s5, v0
	s_cbranch_execz .LBB10_413
; %bb.398:
	v_mul_lo_u32 v9, s54, v1
	v_dual_mov_b32 v2, 0 :: v_dual_mov_b32 v1, v0
                                        ; implicit-def: $sgpr18
                                        ; implicit-def: $vgpr13
	s_branch .LBB10_400
.LBB10_399:                             ;   in Loop: Header=BB10_400 Depth=1
	s_or_b32 exec_lo, exec_lo, s19
	s_xor_b32 s19, s20, -1
	s_and_b32 s0, exec_lo, s0
	v_dual_mov_b32 v8, v12 :: v_dual_mov_b32 v1, v10
	s_or_b32 s16, s0, s16
	s_and_not1_b32 s0, s18, exec_lo
	s_and_b32 s18, s19, exec_lo
	s_delay_alu instid0(SALU_CYCLE_1)
	s_or_b32 s18, s0, s18
	s_and_not1_b32 exec_lo, exec_lo, s16
	s_cbranch_execz .LBB10_412
.LBB10_400:                             ; =>This Inner Loop Header: Depth=1
	s_delay_alu instid0(VALU_DEP_1) | instskip(SKIP_2) | instid1(VALU_DEP_2)
	v_add_nc_u32_e32 v10, s33, v1
	v_mov_b32_e32 v12, 0
	s_mov_b32 s0, exec_lo
	v_cmpx_gt_u32_e64 s36, v10
	s_cbranch_execz .LBB10_402
; %bb.401:                              ;   in Loop: Header=BB10_400 Depth=1
	global_load_u8 v12, v9, s[30:31]
.LBB10_402:                             ;   in Loop: Header=BB10_400 Depth=1
	s_or_b32 exec_lo, exec_lo, s0
	s_waitcnt vmcnt(0)
	v_and_b32_e32 v14, 0xff, v8
	s_delay_alu instid0(VALU_DEP_1) | instskip(SKIP_4) | instid1(VALU_DEP_2)
	v_cmp_gt_u16_e32 vcc_lo, v14, v7
	v_cndmask_b32_e64 v15, 0, 1, vcc_lo
	v_cmp_lt_u16_e32 vcc_lo, v14, v7
	v_cndmask_b32_e64 v14, 0, 1, vcc_lo
	v_cmp_gt_u32_e32 vcc_lo, s36, v1
	v_cndmask_b32_e64 v14, v14, v15, s3
	s_delay_alu instid0(VALU_DEP_1) | instskip(NEXT) | instid1(VALU_DEP_1)
	v_and_b32_e32 v14, 1, v14
	v_cmp_eq_u32_e64 s0, 1, v14
	s_delay_alu instid0(VALU_DEP_1) | instskip(NEXT) | instid1(SALU_CYCLE_1)
	s_and_b32 s19, vcc_lo, s0
	v_cndmask_b32_e64 v14, 0, 1, s19
	s_delay_alu instid0(VALU_DEP_1) | instskip(SKIP_2) | instid1(SALU_CYCLE_1)
	v_cmp_ne_u32_e32 vcc_lo, 0, v14
	s_cmp_lg_u32 vcc_lo, 0
	s_cselect_b32 s0, -1, 0
	s_and_b32 s0, s2, s0
	s_delay_alu instid0(SALU_CYCLE_1)
	s_and_saveexec_b32 s20, s0
	s_cbranch_execz .LBB10_406
; %bb.403:                              ;   in Loop: Header=BB10_400 Depth=1
	s_mov_b32 s23, exec_lo
	s_bcnt1_i32_b32 s21, vcc_lo
	s_waitcnt lgkmcnt(0)
	v_mbcnt_lo_u32_b32 v13, s23, 0
	s_mov_b32 s22, exec_lo
                                        ; implicit-def: $vgpr14
	s_delay_alu instid0(VALU_DEP_1)
	v_cmpx_eq_u32_e32 0, v13
	s_cbranch_execz .LBB10_405
; %bb.404:                              ;   in Loop: Header=BB10_400 Depth=1
	s_bcnt1_i32_b32 s0, s23
	s_delay_alu instid0(SALU_CYCLE_1) | instskip(NEXT) | instid1(SALU_CYCLE_1)
	s_mul_i32 s0, s21, s0
	v_mov_b32_e32 v14, s0
	ds_add_rtn_u32 v14, v2, v14 offset:4108
.LBB10_405:                             ;   in Loop: Header=BB10_400 Depth=1
	s_or_b32 exec_lo, exec_lo, s22
	s_waitcnt lgkmcnt(0)
	v_readfirstlane_b32 s0, v14
	s_delay_alu instid0(VALU_DEP_1)
	v_mad_u32_u24 v13, s21, v13, s0
.LBB10_406:                             ;   in Loop: Header=BB10_400 Depth=1
	s_or_b32 exec_lo, exec_lo, s20
	s_waitcnt lgkmcnt(0)
	ds_bpermute_b32 v13, v2, v13
	s_mov_b32 s0, -1
	s_mov_b32 s22, -1
                                        ; implicit-def: $sgpr20
	s_and_saveexec_b32 s21, s19
	s_cbranch_execz .LBB10_410
; %bb.407:                              ;   in Loop: Header=BB10_400 Depth=1
	v_and_b32_e32 v14, vcc_lo, v11
	s_mov_b32 s19, 0
	s_mov_b32 s20, exec_lo
	s_waitcnt lgkmcnt(0)
	s_delay_alu instid0(VALU_DEP_1) | instskip(NEXT) | instid1(VALU_DEP_1)
	v_bcnt_u32_b32 v14, v14, v13
	v_cmpx_gt_u32_e64 s37, v14
	s_cbranch_execz .LBB10_409
; %bb.408:                              ;   in Loop: Header=BB10_400 Depth=1
	v_mul_lo_u32 v15, v14, s13
	v_mov_b32_e32 v16, v2
	v_mul_lo_u32 v17, v14, s12
	s_mov_b32 s19, exec_lo
	s_delay_alu instid0(VALU_DEP_2) | instskip(NEXT) | instid1(VALU_DEP_1)
	v_lshlrev_b64 v[15:16], 3, v[15:16]
	v_add_co_u32 v14, vcc_lo, s14, v15
	s_delay_alu instid0(VALU_DEP_2)
	v_add_co_ci_u32_e32 v15, vcc_lo, s15, v16, vcc_lo
	global_store_b8 v17, v8, s[6:7]
	global_store_b64 v[14:15], v[1:2], off
.LBB10_409:                             ;   in Loop: Header=BB10_400 Depth=1
	s_or_b32 exec_lo, exec_lo, s20
	s_mov_b32 s20, -1
	s_or_not1_b32 s22, s19, exec_lo
.LBB10_410:                             ;   in Loop: Header=BB10_400 Depth=1
	s_or_b32 exec_lo, exec_lo, s21
	s_and_saveexec_b32 s19, s22
	s_cbranch_execz .LBB10_399
; %bb.411:                              ;   in Loop: Header=BB10_400 Depth=1
	v_cmp_le_u32_e32 vcc_lo, s5, v10
	v_add_nc_u32_e32 v9, s43, v9
	s_and_not1_b32 s20, s20, exec_lo
	s_or_not1_b32 s0, vcc_lo, exec_lo
	s_branch .LBB10_399
.LBB10_412:
	s_or_b32 exec_lo, exec_lo, s16
	s_delay_alu instid0(SALU_CYCLE_1)
	s_mov_b32 s16, exec_lo
	s_or_not1_b32 s0, s18, exec_lo
.LBB10_413:
	s_or_b32 exec_lo, exec_lo, s17
	s_and_saveexec_b32 s3, s0
	s_cbranch_execz .LBB10_436
; %bb.414:
	s_waitcnt vmcnt(0)
	v_dual_mov_b32 v1, 0 :: v_dual_mov_b32 v8, 0
	s_waitcnt lgkmcnt(0)
	s_waitcnt_vscnt null, 0x0
	s_barrier
	buffer_gl0_inv
	s_and_saveexec_b32 s0, s4
	s_cbranch_execz .LBB10_416
; %bb.415:
	global_load_u8 v8, v[5:6], off
.LBB10_416:
	s_or_b32 exec_lo, exec_lo, s0
	s_mov_b32 s4, 0
                                        ; implicit-def: $sgpr1
                                        ; implicit-def: $sgpr17
                                        ; implicit-def: $sgpr18
                                        ; implicit-def: $vgpr2
	s_branch .LBB10_419
.LBB10_417:                             ;   in Loop: Header=BB10_419 Depth=1
	s_or_b32 exec_lo, exec_lo, s21
	v_mov_b32_e32 v0, v5
	s_and_not1_b32 s0, s18, exec_lo
	s_and_b32 s18, s23, exec_lo
	s_and_not1_b32 s17, s17, exec_lo
	s_and_b32 s20, s20, exec_lo
	s_or_b32 s18, s0, s18
	s_or_b32 s17, s17, s20
.LBB10_418:                             ;   in Loop: Header=BB10_419 Depth=1
	s_or_b32 exec_lo, exec_lo, s19
	s_xor_b32 s0, s18, -1
	s_and_b32 s19, exec_lo, s17
	s_delay_alu instid0(SALU_CYCLE_1) | instskip(SKIP_2) | instid1(SALU_CYCLE_1)
	s_or_b32 s4, s19, s4
	s_and_not1_b32 s1, s1, exec_lo
	s_and_b32 s0, s0, exec_lo
	s_or_b32 s1, s1, s0
	s_and_not1_b32 exec_lo, exec_lo, s4
	s_cbranch_execz .LBB10_434
.LBB10_419:                             ; =>This Inner Loop Header: Depth=1
	s_or_b32 s18, s18, exec_lo
	s_or_b32 s17, s17, exec_lo
	s_mov_b32 s19, exec_lo
	v_cmpx_gt_u32_e64 s5, v0
	s_cbranch_execz .LBB10_418
; %bb.420:                              ;   in Loop: Header=BB10_419 Depth=1
	v_dual_mov_b32 v6, 0 :: v_dual_add_nc_u32 v5, s33, v0
	s_mov_b32 s0, exec_lo
	s_delay_alu instid0(VALU_DEP_1)
	v_cmpx_gt_u32_e64 s36, v5
	s_cbranch_execz .LBB10_422
; %bb.421:                              ;   in Loop: Header=BB10_419 Depth=1
	global_load_u8 v6, v4, s[30:31]
.LBB10_422:                             ;   in Loop: Header=BB10_419 Depth=1
	s_or_b32 exec_lo, exec_lo, s0
	s_waitcnt vmcnt(0)
	v_and_b32_e32 v9, 0xff, v8
	v_cmp_gt_u32_e32 vcc_lo, s36, v0
	s_delay_alu instid0(VALU_DEP_2) | instskip(NEXT) | instid1(VALU_DEP_1)
	v_cmp_eq_u16_e64 s0, v9, v7
	s_and_b32 s21, vcc_lo, s0
	s_delay_alu instid0(SALU_CYCLE_1) | instskip(NEXT) | instid1(VALU_DEP_1)
	v_cndmask_b32_e64 v9, 0, 1, s21
	v_cmp_ne_u32_e32 vcc_lo, 0, v9
	s_cmp_lg_u32 vcc_lo, 0
	s_cselect_b32 s0, -1, 0
	s_delay_alu instid0(SALU_CYCLE_1) | instskip(NEXT) | instid1(SALU_CYCLE_1)
	s_and_b32 s0, s2, s0
	s_and_saveexec_b32 s20, s0
	s_cbranch_execz .LBB10_426
; %bb.423:                              ;   in Loop: Header=BB10_419 Depth=1
	s_mov_b32 s24, exec_lo
	s_bcnt1_i32_b32 s22, vcc_lo
	v_mbcnt_lo_u32_b32 v2, s24, 0
	s_mov_b32 s23, exec_lo
                                        ; implicit-def: $vgpr9
	s_delay_alu instid0(VALU_DEP_1)
	v_cmpx_eq_u32_e32 0, v2
	s_cbranch_execz .LBB10_425
; %bb.424:                              ;   in Loop: Header=BB10_419 Depth=1
	s_bcnt1_i32_b32 s0, s24
	s_delay_alu instid0(SALU_CYCLE_1) | instskip(NEXT) | instid1(SALU_CYCLE_1)
	s_mul_i32 s0, s22, s0
	v_mov_b32_e32 v9, s0
	ds_add_rtn_u32 v9, v1, v9 offset:4108
.LBB10_425:                             ;   in Loop: Header=BB10_419 Depth=1
	s_or_b32 exec_lo, exec_lo, s23
	s_waitcnt lgkmcnt(0)
	v_readfirstlane_b32 s0, v9
	s_delay_alu instid0(VALU_DEP_1)
	v_mad_u32_u24 v2, s22, v2, s0
.LBB10_426:                             ;   in Loop: Header=BB10_419 Depth=1
	s_or_b32 exec_lo, exec_lo, s20
	ds_bpermute_b32 v2, v1, v2
	s_cmp_eq_u32 vcc_lo, 0
	s_mov_b32 s20, -1
	s_cselect_b32 s22, -1, 0
	s_mov_b32 s23, -1
	s_waitcnt lgkmcnt(0)
	v_cmp_gt_u32_e64 s0, s37, v2
	s_delay_alu instid0(VALU_DEP_1) | instskip(SKIP_3) | instid1(SALU_CYCLE_1)
	s_or_b32 s0, s22, s0
	s_mov_b32 s22, -1
	v_cndmask_b32_e64 v8, v8, v6, s0
	s_and_b32 s24, s21, s0
	s_and_saveexec_b32 s21, s24
	s_cbranch_execz .LBB10_432
; %bb.427:                              ;   in Loop: Header=BB10_419 Depth=1
	v_and_b32_e32 v8, vcc_lo, v11
	v_sub_nc_u32_e32 v9, s37, v2
	s_mov_b32 s24, -1
	s_mov_b32 s23, exec_lo
	s_delay_alu instid0(VALU_DEP_2) | instskip(NEXT) | instid1(VALU_DEP_1)
	v_bcnt_u32_b32 v8, v8, 0
	v_cmp_le_u32_e64 s22, v9, v8
	v_cmpx_gt_u32_e64 v9, v8
	s_cbranch_execz .LBB10_431
; %bb.428:                              ;   in Loop: Header=BB10_419 Depth=1
	v_add_nc_u32_e32 v8, v2, v8
	s_delay_alu instid0(VALU_DEP_3) | instskip(SKIP_1) | instid1(VALU_DEP_1)
	s_mov_b32 s25, s22
	s_mov_b32 s24, exec_lo
	v_cmpx_gt_u32_e64 s37, v8
	s_cbranch_execz .LBB10_430
; %bb.429:                              ;   in Loop: Header=BB10_419 Depth=1
	v_mul_lo_u32 v9, v8, s13
	v_mov_b32_e32 v10, v1
	v_mul_lo_u32 v12, v8, s12
	s_or_b32 s25, s22, exec_lo
	s_delay_alu instid0(VALU_DEP_2)
	v_lshlrev_b64 v[9:10], 3, v[9:10]
	global_store_b8 v12, v3, s[6:7]
	v_add_co_u32 v8, vcc_lo, s14, v9
	v_add_co_ci_u32_e32 v9, vcc_lo, s15, v10, vcc_lo
	global_store_b64 v[8:9], v[0:1], off
.LBB10_430:                             ;   in Loop: Header=BB10_419 Depth=1
	s_or_b32 exec_lo, exec_lo, s24
	s_delay_alu instid0(SALU_CYCLE_1)
	s_and_not1_b32 s22, s22, exec_lo
	s_and_b32 s25, s25, exec_lo
	s_xor_b32 s24, exec_lo, -1
	s_or_b32 s22, s22, s25
.LBB10_431:                             ;   in Loop: Header=BB10_419 Depth=1
	s_or_b32 exec_lo, exec_lo, s23
	v_mov_b32_e32 v8, v6
	s_or_not1_b32 s23, s24, exec_lo
	s_or_b32 s0, s0, exec_lo
	s_or_not1_b32 s22, s22, exec_lo
.LBB10_432:                             ;   in Loop: Header=BB10_419 Depth=1
	s_or_b32 exec_lo, exec_lo, s21
	s_and_saveexec_b32 s21, s22
	s_cbranch_execz .LBB10_417
; %bb.433:                              ;   in Loop: Header=BB10_419 Depth=1
	v_add_nc_u32_e32 v4, s43, v4
	s_xor_b32 s0, s0, -1
	s_or_b32 s23, s23, exec_lo
	s_or_not1_b32 s20, s0, exec_lo
	s_branch .LBB10_417
.LBB10_434:
	s_or_b32 exec_lo, exec_lo, s4
	s_mov_b32 s0, 0
	s_and_saveexec_b32 s2, s1
	s_delay_alu instid0(SALU_CYCLE_1)
	s_xor_b32 s1, exec_lo, s2
	s_cbranch_execnz .LBB10_466
.LBB10_435:
	s_or_b32 exec_lo, exec_lo, s1
	s_delay_alu instid0(SALU_CYCLE_1)
	s_and_b32 s1, s0, exec_lo
	s_and_not1_b32 s16, s16, exec_lo
.LBB10_436:
	s_or_b32 exec_lo, exec_lo, s3
	s_and_saveexec_b32 s0, s16
	s_delay_alu instid0(SALU_CYCLE_1)
	s_xor_b32 s0, exec_lo, s0
	s_cbranch_execnz .LBB10_462
.LBB10_437:
	s_or_b32 exec_lo, exec_lo, s0
	s_waitcnt lgkmcnt(0)
	s_and_b32 s12, s1, exec_lo
.LBB10_438:
	s_and_not1_saveexec_b32 s0, s11
	s_cbranch_execnz .LBB10_458
.LBB10_439:
	s_or_b32 exec_lo, exec_lo, s0
	s_delay_alu instid0(SALU_CYCLE_1)
	s_and_b32 s11, s12, exec_lo
.LBB10_440:
	s_and_not1_saveexec_b32 s0, s10
	s_cbranch_execnz .LBB10_454
.LBB10_441:
	s_or_b32 exec_lo, exec_lo, s0
	s_delay_alu instid0(SALU_CYCLE_1)
	s_and_b32 s10, s11, exec_lo
.LBB10_442:
	s_and_not1_saveexec_b32 s0, s9
	s_cbranch_execnz .LBB10_450
.LBB10_443:
	s_or_b32 exec_lo, exec_lo, s0
	s_delay_alu instid0(SALU_CYCLE_1)
	s_and_b32 s9, s10, exec_lo
.LBB10_444:
	s_and_not1_saveexec_b32 s0, s8
	s_cbranch_execnz .LBB10_448
; %bb.445:
	s_or_b32 exec_lo, exec_lo, s0
	s_and_saveexec_b32 s0, s9
.LBB10_446:
	; divergent unreachable
.LBB10_447:
	s_nop 0
	s_sendmsg sendmsg(MSG_DEALLOC_VGPRS)
	s_endpgm
.LBB10_448:
	s_cbranch_execnz .LBB10_452
; %bb.449:
	s_or_b32 s9, s9, exec_lo
	s_or_b32 exec_lo, exec_lo, s0
	s_and_saveexec_b32 s0, s9
	s_cbranch_execnz .LBB10_446
	s_branch .LBB10_447
.LBB10_450:
	s_cbranch_execnz .LBB10_456
; %bb.451:
	s_or_b32 s10, s10, exec_lo
	s_branch .LBB10_443
.LBB10_452:
	s_trap 2
	s_sendmsg_rtn_b32 s0, sendmsg(MSG_RTN_GET_DOORBELL)
	s_mov_b32 ttmp2, m0
	s_waitcnt lgkmcnt(0)
	s_and_b32 s0, s0, 0x3ff
	s_delay_alu instid0(SALU_CYCLE_1) | instskip(NEXT) | instid1(SALU_CYCLE_1)
	s_bitset1_b32 s0, 10
	s_mov_b32 m0, s0
	s_sendmsg sendmsg(MSG_INTERRUPT)
	s_mov_b32 m0, ttmp2
.LBB10_453:                             ; =>This Inner Loop Header: Depth=1
	s_sethalt 5
	s_branch .LBB10_453
.LBB10_454:
	s_cbranch_execnz .LBB10_460
; %bb.455:
	s_or_b32 s11, s11, exec_lo
	s_branch .LBB10_441
.LBB10_456:
	s_trap 2
	s_sendmsg_rtn_b32 s0, sendmsg(MSG_RTN_GET_DOORBELL)
	s_mov_b32 ttmp2, m0
	s_waitcnt lgkmcnt(0)
	s_and_b32 s0, s0, 0x3ff
	s_delay_alu instid0(SALU_CYCLE_1) | instskip(NEXT) | instid1(SALU_CYCLE_1)
	s_bitset1_b32 s0, 10
	s_mov_b32 m0, s0
	s_sendmsg sendmsg(MSG_INTERRUPT)
	s_mov_b32 m0, ttmp2
.LBB10_457:                             ; =>This Inner Loop Header: Depth=1
	s_sethalt 5
	s_branch .LBB10_457
.LBB10_458:
	s_cbranch_execnz .LBB10_464
; %bb.459:
	s_or_b32 s12, s12, exec_lo
	s_branch .LBB10_439
.LBB10_460:
	s_trap 2
	s_sendmsg_rtn_b32 s0, sendmsg(MSG_RTN_GET_DOORBELL)
	s_mov_b32 ttmp2, m0
	s_waitcnt lgkmcnt(0)
	s_and_b32 s0, s0, 0x3ff
	s_delay_alu instid0(SALU_CYCLE_1) | instskip(NEXT) | instid1(SALU_CYCLE_1)
	s_bitset1_b32 s0, 10
	s_mov_b32 m0, s0
	s_sendmsg sendmsg(MSG_INTERRUPT)
	s_mov_b32 m0, ttmp2
.LBB10_461:                             ; =>This Inner Loop Header: Depth=1
	s_sethalt 5
	s_branch .LBB10_461
.LBB10_462:
	s_cbranch_execnz .LBB10_468
; %bb.463:
	s_or_b32 s1, s1, exec_lo
	s_branch .LBB10_437
.LBB10_464:
	s_trap 2
	s_sendmsg_rtn_b32 s0, sendmsg(MSG_RTN_GET_DOORBELL)
	s_mov_b32 ttmp2, m0
	s_waitcnt lgkmcnt(0)
	s_and_b32 s0, s0, 0x3ff
	s_delay_alu instid0(SALU_CYCLE_1) | instskip(NEXT) | instid1(SALU_CYCLE_1)
	s_bitset1_b32 s0, 10
	s_mov_b32 m0, s0
	s_sendmsg sendmsg(MSG_INTERRUPT)
	s_mov_b32 m0, ttmp2
.LBB10_465:                             ; =>This Inner Loop Header: Depth=1
	s_sethalt 5
	s_branch .LBB10_465
.LBB10_466:
	s_cbranch_execnz .LBB10_470
; %bb.467:
	s_mov_b32 s0, exec_lo
	s_branch .LBB10_435
.LBB10_468:
	s_trap 2
	s_sendmsg_rtn_b32 s0, sendmsg(MSG_RTN_GET_DOORBELL)
	s_mov_b32 ttmp2, m0
	s_waitcnt lgkmcnt(0)
	s_and_b32 s0, s0, 0x3ff
	s_delay_alu instid0(SALU_CYCLE_1) | instskip(NEXT) | instid1(SALU_CYCLE_1)
	s_bitset1_b32 s0, 10
	s_mov_b32 m0, s0
	s_sendmsg sendmsg(MSG_INTERRUPT)
	s_mov_b32 m0, ttmp2
.LBB10_469:                             ; =>This Inner Loop Header: Depth=1
	s_sethalt 5
	s_branch .LBB10_469
.LBB10_470:
	s_trap 2
	s_sendmsg_rtn_b32 s0, sendmsg(MSG_RTN_GET_DOORBELL)
	s_mov_b32 ttmp2, m0
	s_waitcnt lgkmcnt(0)
	s_and_b32 s0, s0, 0x3ff
	s_delay_alu instid0(SALU_CYCLE_1) | instskip(NEXT) | instid1(SALU_CYCLE_1)
	s_bitset1_b32 s0, 10
	s_mov_b32 m0, s0
	s_sendmsg sendmsg(MSG_INTERRUPT)
	s_mov_b32 m0, ttmp2
.LBB10_471:                             ; =>This Inner Loop Header: Depth=1
	s_sethalt 5
	s_branch .LBB10_471
	.section	.rodata,"a",@progbits
	.p2align	6, 0x0
	.amdhsa_kernel _ZN2at6native6sbtopk10gatherTopKIhjLi3ELb0EEEvNS_4cuda6detail10TensorInfoIKT_T0_EES8_S8_bS8_S8_NS5_IS6_S8_EES8_NS5_IlS8_EES8_PS6_
		.amdhsa_group_segment_fixed_size 4112
		.amdhsa_private_segment_fixed_size 0
		.amdhsa_kernarg_size 952
		.amdhsa_user_sgpr_count 13
		.amdhsa_user_sgpr_dispatch_ptr 0
		.amdhsa_user_sgpr_queue_ptr 0
		.amdhsa_user_sgpr_kernarg_segment_ptr 1
		.amdhsa_user_sgpr_dispatch_id 0
		.amdhsa_user_sgpr_private_segment_size 0
		.amdhsa_wavefront_size32 1
		.amdhsa_uses_dynamic_stack 0
		.amdhsa_enable_private_segment 0
		.amdhsa_system_sgpr_workgroup_id_x 1
		.amdhsa_system_sgpr_workgroup_id_y 1
		.amdhsa_system_sgpr_workgroup_id_z 1
		.amdhsa_system_sgpr_workgroup_info 0
		.amdhsa_system_vgpr_workitem_id 0
		.amdhsa_next_free_vgpr 40
		.amdhsa_next_free_sgpr 100
		.amdhsa_reserve_vcc 1
		.amdhsa_float_round_mode_32 0
		.amdhsa_float_round_mode_16_64 0
		.amdhsa_float_denorm_mode_32 3
		.amdhsa_float_denorm_mode_16_64 3
		.amdhsa_dx10_clamp 1
		.amdhsa_ieee_mode 1
		.amdhsa_fp16_overflow 0
		.amdhsa_workgroup_processor_mode 1
		.amdhsa_memory_ordered 1
		.amdhsa_forward_progress 0
		.amdhsa_shared_vgpr_count 0
		.amdhsa_exception_fp_ieee_invalid_op 0
		.amdhsa_exception_fp_denorm_src 0
		.amdhsa_exception_fp_ieee_div_zero 0
		.amdhsa_exception_fp_ieee_overflow 0
		.amdhsa_exception_fp_ieee_underflow 0
		.amdhsa_exception_fp_ieee_inexact 0
		.amdhsa_exception_int_div_zero 0
	.end_amdhsa_kernel
	.section	.text._ZN2at6native6sbtopk10gatherTopKIhjLi3ELb0EEEvNS_4cuda6detail10TensorInfoIKT_T0_EES8_S8_bS8_S8_NS5_IS6_S8_EES8_NS5_IlS8_EES8_PS6_,"axG",@progbits,_ZN2at6native6sbtopk10gatherTopKIhjLi3ELb0EEEvNS_4cuda6detail10TensorInfoIKT_T0_EES8_S8_bS8_S8_NS5_IS6_S8_EES8_NS5_IlS8_EES8_PS6_,comdat
.Lfunc_end10:
	.size	_ZN2at6native6sbtopk10gatherTopKIhjLi3ELb0EEEvNS_4cuda6detail10TensorInfoIKT_T0_EES8_S8_bS8_S8_NS5_IS6_S8_EES8_NS5_IlS8_EES8_PS6_, .Lfunc_end10-_ZN2at6native6sbtopk10gatherTopKIhjLi3ELb0EEEvNS_4cuda6detail10TensorInfoIKT_T0_EES8_S8_bS8_S8_NS5_IS6_S8_EES8_NS5_IlS8_EES8_PS6_
                                        ; -- End function
	.section	.AMDGPU.csdata,"",@progbits
; Kernel info:
; codeLenInByte = 15664
; NumSgprs: 102
; NumVgprs: 40
; ScratchSize: 0
; MemoryBound: 0
; FloatMode: 240
; IeeeMode: 1
; LDSByteSize: 4112 bytes/workgroup (compile time only)
; SGPRBlocks: 12
; VGPRBlocks: 4
; NumSGPRsForWavesPerEU: 102
; NumVGPRsForWavesPerEU: 40
; Occupancy: 16
; WaveLimiterHint : 1
; COMPUTE_PGM_RSRC2:SCRATCH_EN: 0
; COMPUTE_PGM_RSRC2:USER_SGPR: 13
; COMPUTE_PGM_RSRC2:TRAP_HANDLER: 0
; COMPUTE_PGM_RSRC2:TGID_X_EN: 1
; COMPUTE_PGM_RSRC2:TGID_Y_EN: 1
; COMPUTE_PGM_RSRC2:TGID_Z_EN: 1
; COMPUTE_PGM_RSRC2:TIDIG_COMP_CNT: 0
	.section	.text._ZN2at6native6mbtopk23computeBlockDigitCountsIhjjLin1EEEvNS_4cuda6detail10TensorInfoIKT_T0_EEjPjjS8_iijT1_PSB_Ps,"axG",@progbits,_ZN2at6native6mbtopk23computeBlockDigitCountsIhjjLin1EEEvNS_4cuda6detail10TensorInfoIKT_T0_EEjPjjS8_iijT1_PSB_Ps,comdat
	.protected	_ZN2at6native6mbtopk23computeBlockDigitCountsIhjjLin1EEEvNS_4cuda6detail10TensorInfoIKT_T0_EEjPjjS8_iijT1_PSB_Ps ; -- Begin function _ZN2at6native6mbtopk23computeBlockDigitCountsIhjjLin1EEEvNS_4cuda6detail10TensorInfoIKT_T0_EEjPjjS8_iijT1_PSB_Ps
	.globl	_ZN2at6native6mbtopk23computeBlockDigitCountsIhjjLin1EEEvNS_4cuda6detail10TensorInfoIKT_T0_EEjPjjS8_iijT1_PSB_Ps
	.p2align	8
	.type	_ZN2at6native6mbtopk23computeBlockDigitCountsIhjjLin1EEEvNS_4cuda6detail10TensorInfoIKT_T0_EEjPjjS8_iijT1_PSB_Ps,@function
_ZN2at6native6mbtopk23computeBlockDigitCountsIhjjLin1EEEvNS_4cuda6detail10TensorInfoIKT_T0_EEjPjjS8_iijT1_PSB_Ps: ; @_ZN2at6native6mbtopk23computeBlockDigitCountsIhjjLin1EEEvNS_4cuda6detail10TensorInfoIKT_T0_EEjPjjS8_iijT1_PSB_Ps
; %bb.0:
	s_clause 0x2
	s_load_b64 s[2:3], s[0:1], 0xf8
	s_load_b128 s[8:11], s[0:1], 0xe8
	s_load_b64 s[4:5], s[0:1], 0x110
	s_waitcnt lgkmcnt(0)
	v_cvt_f32_u32_e32 v1, s2
	s_sub_i32 s7, 0, s2
	s_mul_i32 s5, s5, s15
	s_delay_alu instid0(SALU_CYCLE_1) | instskip(NEXT) | instid1(VALU_DEP_1)
	s_add_i32 s5, s5, s14
	v_rcp_iflag_f32_e32 v1, v1
	s_mul_i32 s16, s5, s4
	s_delay_alu instid0(SALU_CYCLE_1) | instskip(SKIP_3) | instid1(VALU_DEP_1)
	s_add_i32 s16, s16, s13
	s_mov_b32 s13, 0
	s_waitcnt_depctr 0xfff
	v_mul_f32_e32 v1, 0x4f7ffffe, v1
	v_cvt_u32_f32_e32 v1, v1
	s_delay_alu instid0(VALU_DEP_1) | instskip(NEXT) | instid1(VALU_DEP_1)
	v_readfirstlane_b32 s6, v1
	s_mul_i32 s7, s7, s6
	s_delay_alu instid0(SALU_CYCLE_1) | instskip(NEXT) | instid1(SALU_CYCLE_1)
	s_mul_hi_u32 s4, s6, s7
	s_add_i32 s6, s6, s4
	s_delay_alu instid0(SALU_CYCLE_1) | instskip(NEXT) | instid1(SALU_CYCLE_1)
	s_mul_hi_u32 s4, s16, s6
	s_mul_i32 s5, s4, s2
	s_add_i32 s6, s4, 1
	s_sub_i32 s5, s16, s5
	s_delay_alu instid0(SALU_CYCLE_1)
	s_sub_i32 s7, s5, s2
	s_cmp_ge_u32 s5, s2
	s_cselect_b32 s4, s6, s4
	s_cselect_b32 s5, s7, s5
	s_add_i32 s6, s4, 1
	s_cmp_ge_u32 s5, s2
	s_cselect_b32 s12, s6, s4
	s_delay_alu instid0(SALU_CYCLE_1)
	s_cmp_ge_u32 s12, s8
	s_cbranch_scc1 .LBB11_32
; %bb.1:
	s_clause 0x1
	s_load_b128 s[4:7], s[0:1], 0x100
	s_load_b32 s8, s[0:1], 0xd0
	s_lshl_b64 s[14:15], s[12:13], 2
	s_mov_b32 s17, s12
	s_waitcnt lgkmcnt(0)
	s_add_u32 s4, s4, s14
	s_addc_u32 s5, s5, s15
	s_cmp_lt_i32 s8, 2
	s_cbranch_scc1 .LBB11_4
; %bb.2:
	s_add_i32 s18, s8, -1
	s_mov_b32 s19, 0
	s_add_i32 s8, s8, 1
	s_lshl_b64 s[14:15], s[18:19], 2
	s_mov_b32 s17, s12
	s_add_u32 s13, s14, s0
	s_addc_u32 s15, s15, s1
	s_add_u32 s14, s13, 8
	s_addc_u32 s15, s15, 0
	s_mov_b32 s13, s19
	s_set_inst_prefetch_distance 0x1
	.p2align	6
.LBB11_3:                               ; =>This Inner Loop Header: Depth=1
	s_clause 0x1
	s_load_b32 s18, s[14:15], 0x0
	s_load_b32 s19, s[14:15], 0x64
	s_mov_b32 s22, s17
	s_waitcnt lgkmcnt(0)
	v_cvt_f32_u32_e32 v1, s18
	s_sub_i32 s21, 0, s18
	s_waitcnt_depctr 0xfff
	v_rcp_iflag_f32_e32 v1, v1
	s_waitcnt_depctr 0xfff
	v_mul_f32_e32 v1, 0x4f7ffffe, v1
	s_delay_alu instid0(VALU_DEP_1) | instskip(NEXT) | instid1(VALU_DEP_1)
	v_cvt_u32_f32_e32 v1, v1
	v_readfirstlane_b32 s20, v1
	s_delay_alu instid0(VALU_DEP_1) | instskip(NEXT) | instid1(SALU_CYCLE_1)
	s_mul_i32 s21, s21, s20
	s_mul_hi_u32 s21, s20, s21
	s_delay_alu instid0(SALU_CYCLE_1) | instskip(NEXT) | instid1(SALU_CYCLE_1)
	s_add_i32 s20, s20, s21
	s_mul_hi_u32 s17, s17, s20
	s_delay_alu instid0(SALU_CYCLE_1) | instskip(SKIP_2) | instid1(SALU_CYCLE_1)
	s_mul_i32 s20, s17, s18
	s_add_i32 s21, s17, 1
	s_sub_i32 s20, s22, s20
	s_sub_i32 s23, s20, s18
	s_cmp_ge_u32 s20, s18
	s_cselect_b32 s17, s21, s17
	s_cselect_b32 s20, s23, s20
	s_add_i32 s21, s17, 1
	s_cmp_ge_u32 s20, s18
	s_cselect_b32 s17, s21, s17
	s_add_i32 s8, s8, -1
	s_mul_i32 s18, s17, s18
	s_delay_alu instid0(SALU_CYCLE_1) | instskip(NEXT) | instid1(SALU_CYCLE_1)
	s_sub_i32 s18, s22, s18
	s_mul_i32 s18, s19, s18
	s_delay_alu instid0(SALU_CYCLE_1)
	s_add_i32 s13, s18, s13
	s_add_u32 s14, s14, -4
	s_addc_u32 s15, s15, -1
	s_cmp_gt_u32 s8, 2
	s_cbranch_scc1 .LBB11_3
.LBB11_4:
	s_set_inst_prefetch_distance 0x2
	s_load_b32 s8, s[4:5], 0x0
	v_cmp_gt_u32_e32 vcc_lo, 0x100, v0
	v_lshlrev_b32_e32 v1, 2, v0
	s_and_saveexec_b32 s4, vcc_lo
	s_cbranch_execz .LBB11_6
; %bb.5:
	v_mov_b32_e32 v2, 0
	ds_store_b32 v1, v2
.LBB11_6:
	s_or_b32 exec_lo, exec_lo, s4
	s_load_b32 s14, s[0:1], 0xd8
	s_mul_i32 s4, s12, s2
	s_waitcnt lgkmcnt(0)
	s_sub_i32 s4, s16, s4
	s_barrier
	s_mul_i32 s5, s11, s4
	s_add_i32 s4, s4, 1
	s_lshl_b32 s12, s5, 8
	buffer_gl0_inv
	s_sub_i32 s5, s14, s12
	s_delay_alu instid0(SALU_CYCLE_1) | instskip(SKIP_3) | instid1(VALU_DEP_1)
	s_add_u32 s5, s5, 0xff
	s_addc_u32 s15, 0, 0
	s_cmp_lt_u32 s4, s2
	v_alignbit_b32 v2, s15, s5, 8
	v_readfirstlane_b32 s5, v2
	s_delay_alu instid0(VALU_DEP_1)
	s_cselect_b32 s2, s11, s5
	s_mov_b32 s11, 0
	s_cmp_lt_i32 s2, 1
	s_cbranch_scc1 .LBB11_28
; %bb.7:
	s_clause 0x1
	s_load_b32 s4, s[0:1], 0x6c
	s_load_b64 s[0:1], s[0:1], 0x0
	s_waitcnt lgkmcnt(0)
	s_mul_i32 s4, s4, s17
	s_delay_alu instid0(SALU_CYCLE_1) | instskip(NEXT) | instid1(SALU_CYCLE_1)
	s_add_i32 s4, s4, s13
	s_add_u32 s4, s0, s4
	s_addc_u32 s5, s1, 0
	s_and_b32 s1, s10, 0xff
	s_cmp_lt_u32 s2, 4
	s_cbranch_scc1 .LBB11_22
; %bb.8:
	v_dual_mov_b32 v7, 1 :: v_dual_add_nc_u32 v6, s12, v0
	s_and_b32 s11, s2, 0x7ffffffc
	s_lshl_b32 s10, s9, 10
	s_mov_b32 s13, 0
	s_delay_alu instid0(VALU_DEP_1)
	v_add_nc_u32_e32 v2, 0x300, v6
	v_add_nc_u32_e32 v4, 0x200, v6
	;; [unrolled: 1-line block ×3, first 2 shown]
	v_mul_lo_u32 v6, s9, v6
	s_mov_b32 s15, 0
	v_mul_lo_u32 v3, s9, v2
	v_mul_lo_u32 v4, s9, v4
	;; [unrolled: 1-line block ×3, first 2 shown]
	s_branch .LBB11_10
.LBB11_9:                               ;   in Loop: Header=BB11_10 Depth=1
	s_or_b32 exec_lo, exec_lo, s17
	v_add_nc_u32_e32 v2, 0x400, v2
	s_add_i32 s15, s15, 4
	s_add_i32 s13, s13, s10
	s_cmp_eq_u32 s11, s15
	s_cbranch_scc1 .LBB11_22
.LBB11_10:                              ; =>This Inner Loop Header: Depth=1
	v_add_nc_u32_e32 v8, 0xfffffd00, v2
	s_mov_b32 s17, exec_lo
	s_delay_alu instid0(VALU_DEP_1)
	v_cmpx_gt_u32_e64 s14, v8
	s_cbranch_execz .LBB11_13
; %bb.11:                               ;   in Loop: Header=BB11_10 Depth=1
	v_add_nc_u32_e32 v8, s13, v6
	global_load_u8 v8, v8, s[4:5]
	s_waitcnt vmcnt(0)
	v_xor_b32_e32 v9, s8, v8
	s_delay_alu instid0(VALU_DEP_1) | instskip(NEXT) | instid1(VALU_DEP_1)
	v_and_b32_e32 v9, s3, v9
	v_cmp_eq_u32_e64 s0, 0, v9
	s_delay_alu instid0(VALU_DEP_1)
	s_and_b32 exec_lo, exec_lo, s0
	s_cbranch_execz .LBB11_13
; %bb.12:                               ;   in Loop: Header=BB11_10 Depth=1
	v_lshrrev_b32_e32 v8, s1, v8
	s_delay_alu instid0(VALU_DEP_1)
	v_lshlrev_b32_e32 v8, 2, v8
	ds_add_u32 v8, v7
.LBB11_13:                              ;   in Loop: Header=BB11_10 Depth=1
	s_or_b32 exec_lo, exec_lo, s17
	v_add_nc_u32_e32 v8, 0xfffffe00, v2
	s_mov_b32 s17, exec_lo
	s_delay_alu instid0(VALU_DEP_1)
	v_cmpx_gt_u32_e64 s14, v8
	s_cbranch_execz .LBB11_16
; %bb.14:                               ;   in Loop: Header=BB11_10 Depth=1
	v_add_nc_u32_e32 v8, s13, v5
	global_load_u8 v8, v8, s[4:5]
	s_waitcnt vmcnt(0)
	v_xor_b32_e32 v9, s8, v8
	s_delay_alu instid0(VALU_DEP_1) | instskip(NEXT) | instid1(VALU_DEP_1)
	v_and_b32_e32 v9, s3, v9
	v_cmp_eq_u32_e64 s0, 0, v9
	s_delay_alu instid0(VALU_DEP_1)
	s_and_b32 exec_lo, exec_lo, s0
	s_cbranch_execz .LBB11_16
; %bb.15:                               ;   in Loop: Header=BB11_10 Depth=1
	v_lshrrev_b32_e32 v8, s1, v8
	s_delay_alu instid0(VALU_DEP_1)
	v_lshlrev_b32_e32 v8, 2, v8
	ds_add_u32 v8, v7
.LBB11_16:                              ;   in Loop: Header=BB11_10 Depth=1
	s_or_b32 exec_lo, exec_lo, s17
	;; [unrolled: 23-line block ×3, first 2 shown]
	s_delay_alu instid0(SALU_CYCLE_1)
	s_mov_b32 s17, exec_lo
	v_cmpx_gt_u32_e64 s14, v2
	s_cbranch_execz .LBB11_9
; %bb.20:                               ;   in Loop: Header=BB11_10 Depth=1
	v_add_nc_u32_e32 v8, s13, v3
	global_load_u8 v8, v8, s[4:5]
	s_waitcnt vmcnt(0)
	v_xor_b32_e32 v9, s8, v8
	s_delay_alu instid0(VALU_DEP_1) | instskip(NEXT) | instid1(VALU_DEP_1)
	v_and_b32_e32 v9, s3, v9
	v_cmp_eq_u32_e64 s0, 0, v9
	s_delay_alu instid0(VALU_DEP_1)
	s_and_b32 exec_lo, exec_lo, s0
	s_cbranch_execz .LBB11_9
; %bb.21:                               ;   in Loop: Header=BB11_10 Depth=1
	v_lshrrev_b32_e32 v8, s1, v8
	s_delay_alu instid0(VALU_DEP_1)
	v_lshlrev_b32_e32 v8, 2, v8
	ds_add_u32 v8, v7
	s_branch .LBB11_9
.LBB11_22:
	s_and_b32 s2, s2, 3
	s_delay_alu instid0(SALU_CYCLE_1)
	s_cmp_eq_u32 s2, 0
	s_cbranch_scc1 .LBB11_28
; %bb.23:
	s_lshl_b32 s0, s11, 8
	v_mov_b32_e32 v4, 1
	v_add3_u32 v2, s0, s12, v0
	s_delay_alu instid0(VALU_DEP_1)
	v_mul_lo_u32 v3, s9, v2
	s_lshl_b32 s9, s9, 8
	s_branch .LBB11_25
	.p2align	6
.LBB11_24:                              ;   in Loop: Header=BB11_25 Depth=1
	s_or_b32 exec_lo, exec_lo, s10
	s_delay_alu instid0(VALU_DEP_2) | instskip(SKIP_2) | instid1(SALU_CYCLE_1)
	v_add_nc_u32_e32 v3, s9, v3
	v_add_nc_u32_e32 v2, 0x100, v2
	s_add_i32 s2, s2, -1
	s_cmp_lg_u32 s2, 0
	s_cbranch_scc0 .LBB11_28
.LBB11_25:                              ; =>This Inner Loop Header: Depth=1
	s_mov_b32 s10, exec_lo
	v_cmpx_gt_u32_e64 s14, v2
	s_cbranch_execz .LBB11_24
; %bb.26:                               ;   in Loop: Header=BB11_25 Depth=1
	global_load_u8 v5, v3, s[4:5]
	s_waitcnt vmcnt(0)
	v_xor_b32_e32 v6, s8, v5
	s_delay_alu instid0(VALU_DEP_1) | instskip(NEXT) | instid1(VALU_DEP_1)
	v_and_b32_e32 v6, s3, v6
	v_cmp_eq_u32_e64 s0, 0, v6
	s_delay_alu instid0(VALU_DEP_1)
	s_and_b32 exec_lo, exec_lo, s0
	s_cbranch_execz .LBB11_24
; %bb.27:                               ;   in Loop: Header=BB11_25 Depth=1
	v_lshrrev_b32_e32 v5, s1, v5
	s_delay_alu instid0(VALU_DEP_1)
	v_lshlrev_b32_e32 v5, 2, v5
	ds_add_u32 v5, v4
	s_branch .LBB11_24
.LBB11_28:
	v_mov_b32_e32 v2, 0
	s_waitcnt lgkmcnt(0)
	s_barrier
	buffer_gl0_inv
	s_and_saveexec_b32 s0, vcc_lo
	s_cbranch_execz .LBB11_30
; %bb.29:
	ds_load_b32 v2, v1
.LBB11_30:
	s_or_b32 exec_lo, exec_lo, s0
	s_and_saveexec_b32 s0, vcc_lo
	s_cbranch_execz .LBB11_32
; %bb.31:
	v_lshl_or_b32 v0, s16, 8, v0
	v_mov_b32_e32 v1, 0
	s_delay_alu instid0(VALU_DEP_1) | instskip(NEXT) | instid1(VALU_DEP_1)
	v_lshlrev_b64 v[0:1], 1, v[0:1]
	v_add_co_u32 v0, vcc_lo, s6, v0
	s_delay_alu instid0(VALU_DEP_2)
	v_add_co_ci_u32_e32 v1, vcc_lo, s7, v1, vcc_lo
	s_waitcnt lgkmcnt(0)
	global_store_b16 v[0:1], v2, off
.LBB11_32:
	s_nop 0
	s_sendmsg sendmsg(MSG_DEALLOC_VGPRS)
	s_endpgm
	.section	.rodata,"a",@progbits
	.p2align	6, 0x0
	.amdhsa_kernel _ZN2at6native6mbtopk23computeBlockDigitCountsIhjjLin1EEEvNS_4cuda6detail10TensorInfoIKT_T0_EEjPjjS8_iijT1_PSB_Ps
		.amdhsa_group_segment_fixed_size 1024
		.amdhsa_private_segment_fixed_size 0
		.amdhsa_kernarg_size 528
		.amdhsa_user_sgpr_count 13
		.amdhsa_user_sgpr_dispatch_ptr 0
		.amdhsa_user_sgpr_queue_ptr 0
		.amdhsa_user_sgpr_kernarg_segment_ptr 1
		.amdhsa_user_sgpr_dispatch_id 0
		.amdhsa_user_sgpr_private_segment_size 0
		.amdhsa_wavefront_size32 1
		.amdhsa_uses_dynamic_stack 0
		.amdhsa_enable_private_segment 0
		.amdhsa_system_sgpr_workgroup_id_x 1
		.amdhsa_system_sgpr_workgroup_id_y 1
		.amdhsa_system_sgpr_workgroup_id_z 1
		.amdhsa_system_sgpr_workgroup_info 0
		.amdhsa_system_vgpr_workitem_id 0
		.amdhsa_next_free_vgpr 10
		.amdhsa_next_free_sgpr 24
		.amdhsa_reserve_vcc 1
		.amdhsa_float_round_mode_32 0
		.amdhsa_float_round_mode_16_64 0
		.amdhsa_float_denorm_mode_32 3
		.amdhsa_float_denorm_mode_16_64 3
		.amdhsa_dx10_clamp 1
		.amdhsa_ieee_mode 1
		.amdhsa_fp16_overflow 0
		.amdhsa_workgroup_processor_mode 1
		.amdhsa_memory_ordered 1
		.amdhsa_forward_progress 0
		.amdhsa_shared_vgpr_count 0
		.amdhsa_exception_fp_ieee_invalid_op 0
		.amdhsa_exception_fp_denorm_src 0
		.amdhsa_exception_fp_ieee_div_zero 0
		.amdhsa_exception_fp_ieee_overflow 0
		.amdhsa_exception_fp_ieee_underflow 0
		.amdhsa_exception_fp_ieee_inexact 0
		.amdhsa_exception_int_div_zero 0
	.end_amdhsa_kernel
	.section	.text._ZN2at6native6mbtopk23computeBlockDigitCountsIhjjLin1EEEvNS_4cuda6detail10TensorInfoIKT_T0_EEjPjjS8_iijT1_PSB_Ps,"axG",@progbits,_ZN2at6native6mbtopk23computeBlockDigitCountsIhjjLin1EEEvNS_4cuda6detail10TensorInfoIKT_T0_EEjPjjS8_iijT1_PSB_Ps,comdat
.Lfunc_end11:
	.size	_ZN2at6native6mbtopk23computeBlockDigitCountsIhjjLin1EEEvNS_4cuda6detail10TensorInfoIKT_T0_EEjPjjS8_iijT1_PSB_Ps, .Lfunc_end11-_ZN2at6native6mbtopk23computeBlockDigitCountsIhjjLin1EEEvNS_4cuda6detail10TensorInfoIKT_T0_EEjPjjS8_iijT1_PSB_Ps
                                        ; -- End function
	.section	.AMDGPU.csdata,"",@progbits
; Kernel info:
; codeLenInByte = 1448
; NumSgprs: 26
; NumVgprs: 10
; ScratchSize: 0
; MemoryBound: 0
; FloatMode: 240
; IeeeMode: 1
; LDSByteSize: 1024 bytes/workgroup (compile time only)
; SGPRBlocks: 3
; VGPRBlocks: 1
; NumSGPRsForWavesPerEU: 26
; NumVGPRsForWavesPerEU: 10
; Occupancy: 16
; WaveLimiterHint : 1
; COMPUTE_PGM_RSRC2:SCRATCH_EN: 0
; COMPUTE_PGM_RSRC2:USER_SGPR: 13
; COMPUTE_PGM_RSRC2:TRAP_HANDLER: 0
; COMPUTE_PGM_RSRC2:TGID_X_EN: 1
; COMPUTE_PGM_RSRC2:TGID_Y_EN: 1
; COMPUTE_PGM_RSRC2:TGID_Z_EN: 1
; COMPUTE_PGM_RSRC2:TIDIG_COMP_CNT: 0
	.section	.text._ZN2at6native6mbtopk10gatherTopKIhjLin1EEEvNS_4cuda6detail10TensorInfoIKT_T0_EES8_S8_bjS8_NS5_IS6_S8_EES8_NS5_IlS8_EES8_jjPS6_PjSD_j,"axG",@progbits,_ZN2at6native6mbtopk10gatherTopKIhjLin1EEEvNS_4cuda6detail10TensorInfoIKT_T0_EES8_S8_bjS8_NS5_IS6_S8_EES8_NS5_IlS8_EES8_jjPS6_PjSD_j,comdat
	.protected	_ZN2at6native6mbtopk10gatherTopKIhjLin1EEEvNS_4cuda6detail10TensorInfoIKT_T0_EES8_S8_bjS8_NS5_IS6_S8_EES8_NS5_IlS8_EES8_jjPS6_PjSD_j ; -- Begin function _ZN2at6native6mbtopk10gatherTopKIhjLin1EEEvNS_4cuda6detail10TensorInfoIKT_T0_EES8_S8_bjS8_NS5_IS6_S8_EES8_NS5_IlS8_EES8_jjPS6_PjSD_j
	.globl	_ZN2at6native6mbtopk10gatherTopKIhjLin1EEEvNS_4cuda6detail10TensorInfoIKT_T0_EES8_S8_bjS8_NS5_IS6_S8_EES8_NS5_IlS8_EES8_jjPS6_PjSD_j
	.p2align	8
	.type	_ZN2at6native6mbtopk10gatherTopKIhjLin1EEEvNS_4cuda6detail10TensorInfoIKT_T0_EES8_S8_bjS8_NS5_IS6_S8_EES8_NS5_IlS8_EES8_jjPS6_PjSD_j,@function
_ZN2at6native6mbtopk10gatherTopKIhjLin1EEEvNS_4cuda6detail10TensorInfoIKT_T0_EES8_S8_bjS8_NS5_IS6_S8_EES8_NS5_IlS8_EES8_jjPS6_PjSD_j: ; @_ZN2at6native6mbtopk10gatherTopKIhjLin1EEEvNS_4cuda6detail10TensorInfoIKT_T0_EES8_S8_bjS8_NS5_IS6_S8_EES8_NS5_IlS8_EES8_jjPS6_PjSD_j
; %bb.0:
	s_clause 0x1
	s_load_b64 s[2:3], s[0:1], 0x2d8
	s_load_b32 s4, s[0:1], 0x2d0
	s_waitcnt lgkmcnt(0)
	s_mul_i32 s3, s3, s15
	s_delay_alu instid0(SALU_CYCLE_1) | instskip(NEXT) | instid1(SALU_CYCLE_1)
	s_add_i32 s3, s3, s14
	s_mul_i32 s12, s3, s2
	s_delay_alu instid0(SALU_CYCLE_1) | instskip(NEXT) | instid1(SALU_CYCLE_1)
	s_add_i32 s12, s12, s13
	s_cmp_ge_u32 s12, s4
	s_cbranch_scc1 .LBB12_49
; %bb.1:
	s_clause 0x1
	s_load_b128 s[4:7], s[0:1], 0x2a8
	s_load_b32 s2, s[0:1], 0xd0
	s_mov_b32 s17, 0
	s_waitcnt lgkmcnt(0)
	v_cvt_f32_u32_e32 v1, s6
	s_sub_i32 s7, 0, s6
	s_delay_alu instid0(VALU_DEP_1) | instskip(SKIP_2) | instid1(VALU_DEP_1)
	v_rcp_iflag_f32_e32 v1, v1
	s_waitcnt_depctr 0xfff
	v_mul_f32_e32 v1, 0x4f7ffffe, v1
	v_cvt_u32_f32_e32 v1, v1
	s_delay_alu instid0(VALU_DEP_1) | instskip(NEXT) | instid1(VALU_DEP_1)
	v_readfirstlane_b32 s3, v1
	s_mul_i32 s7, s7, s3
	s_delay_alu instid0(SALU_CYCLE_1) | instskip(NEXT) | instid1(SALU_CYCLE_1)
	s_mul_hi_u32 s7, s3, s7
	s_add_i32 s3, s3, s7
	s_delay_alu instid0(SALU_CYCLE_1) | instskip(NEXT) | instid1(SALU_CYCLE_1)
	s_mul_hi_u32 s3, s12, s3
	s_mul_i32 s7, s3, s6
	s_add_i32 s8, s3, 1
	s_sub_i32 s7, s12, s7
	s_delay_alu instid0(SALU_CYCLE_1)
	s_sub_i32 s9, s7, s6
	s_cmp_ge_u32 s7, s6
	s_cselect_b32 s3, s8, s3
	s_cselect_b32 s7, s9, s7
	s_add_i32 s8, s3, 1
	s_cmp_ge_u32 s7, s6
	s_cselect_b32 s13, s8, s3
	s_cmp_lt_i32 s2, 2
	s_mov_b32 s7, s13
	s_cbranch_scc1 .LBB12_4
; %bb.2:
	s_add_i32 s16, s2, -1
	s_add_i32 s8, s2, 1
	s_lshl_b64 s[10:11], s[16:17], 2
	s_mov_b32 s7, s13
	s_add_u32 s2, s10, s0
	s_addc_u32 s3, s11, s1
	s_add_u32 s2, s2, 8
	s_addc_u32 s3, s3, 0
	s_set_inst_prefetch_distance 0x1
	.p2align	6
.LBB12_3:                               ; =>This Inner Loop Header: Depth=1
	s_clause 0x1
	s_load_b32 s9, s[2:3], 0x0
	s_load_b32 s10, s[2:3], 0x64
	s_mov_b32 s15, s7
	s_waitcnt lgkmcnt(0)
	v_cvt_f32_u32_e32 v1, s9
	s_sub_i32 s14, 0, s9
	s_waitcnt_depctr 0xfff
	v_rcp_iflag_f32_e32 v1, v1
	s_waitcnt_depctr 0xfff
	v_mul_f32_e32 v1, 0x4f7ffffe, v1
	s_delay_alu instid0(VALU_DEP_1) | instskip(NEXT) | instid1(VALU_DEP_1)
	v_cvt_u32_f32_e32 v1, v1
	v_readfirstlane_b32 s11, v1
	s_delay_alu instid0(VALU_DEP_1) | instskip(NEXT) | instid1(SALU_CYCLE_1)
	s_mul_i32 s14, s14, s11
	s_mul_hi_u32 s14, s11, s14
	s_delay_alu instid0(SALU_CYCLE_1) | instskip(NEXT) | instid1(SALU_CYCLE_1)
	s_add_i32 s11, s11, s14
	s_mul_hi_u32 s7, s7, s11
	s_delay_alu instid0(SALU_CYCLE_1) | instskip(SKIP_2) | instid1(SALU_CYCLE_1)
	s_mul_i32 s11, s7, s9
	s_add_i32 s14, s7, 1
	s_sub_i32 s11, s15, s11
	s_sub_i32 s16, s11, s9
	s_cmp_ge_u32 s11, s9
	s_cselect_b32 s7, s14, s7
	s_cselect_b32 s11, s16, s11
	s_add_i32 s14, s7, 1
	s_cmp_ge_u32 s11, s9
	s_cselect_b32 s7, s14, s7
	s_add_i32 s8, s8, -1
	s_mul_i32 s9, s7, s9
	s_delay_alu instid0(SALU_CYCLE_1) | instskip(NEXT) | instid1(SALU_CYCLE_1)
	s_sub_i32 s9, s15, s9
	s_mul_i32 s9, s10, s9
	s_delay_alu instid0(SALU_CYCLE_1)
	s_add_i32 s17, s9, s17
	s_add_u32 s2, s2, -4
	s_addc_u32 s3, s3, -1
	s_cmp_gt_u32 s8, 2
	s_cbranch_scc1 .LBB12_3
.LBB12_4:
	s_set_inst_prefetch_distance 0x2
	s_load_b32 s8, s[0:1], 0x1c0
	s_add_u32 s2, s0, 0xf0
	s_addc_u32 s3, s1, 0
	s_mov_b32 s19, 0
	s_mov_b32 s16, s13
	s_waitcnt lgkmcnt(0)
	s_cmp_lt_i32 s8, 2
	s_cbranch_scc1 .LBB12_7
; %bb.5:
	s_add_i32 s18, s8, -1
	s_add_i32 s10, s8, 1
	s_lshl_b64 s[14:15], s[18:19], 2
	s_mov_b32 s16, s13
	s_add_u32 s8, s14, s2
	s_addc_u32 s9, s15, s3
	s_add_u32 s8, s8, 8
	s_addc_u32 s9, s9, 0
	s_set_inst_prefetch_distance 0x1
	.p2align	6
.LBB12_6:                               ; =>This Inner Loop Header: Depth=1
	s_clause 0x1
	s_load_b32 s11, s[8:9], 0x0
	s_load_b32 s14, s[8:9], 0x64
	s_mov_b32 s20, s16
	s_waitcnt lgkmcnt(0)
	v_cvt_f32_u32_e32 v1, s11
	s_sub_i32 s18, 0, s11
	s_waitcnt_depctr 0xfff
	v_rcp_iflag_f32_e32 v1, v1
	s_waitcnt_depctr 0xfff
	v_mul_f32_e32 v1, 0x4f7ffffe, v1
	s_delay_alu instid0(VALU_DEP_1) | instskip(NEXT) | instid1(VALU_DEP_1)
	v_cvt_u32_f32_e32 v1, v1
	v_readfirstlane_b32 s15, v1
	s_delay_alu instid0(VALU_DEP_1) | instskip(NEXT) | instid1(SALU_CYCLE_1)
	s_mul_i32 s18, s18, s15
	s_mul_hi_u32 s18, s15, s18
	s_delay_alu instid0(SALU_CYCLE_1) | instskip(NEXT) | instid1(SALU_CYCLE_1)
	s_add_i32 s15, s15, s18
	s_mul_hi_u32 s15, s16, s15
	s_delay_alu instid0(SALU_CYCLE_1) | instskip(SKIP_2) | instid1(SALU_CYCLE_1)
	s_mul_i32 s16, s15, s11
	s_add_i32 s18, s15, 1
	s_sub_i32 s16, s20, s16
	s_sub_i32 s21, s16, s11
	s_cmp_ge_u32 s16, s11
	s_cselect_b32 s15, s18, s15
	s_cselect_b32 s16, s21, s16
	s_add_i32 s18, s15, 1
	s_cmp_ge_u32 s16, s11
	s_cselect_b32 s16, s18, s15
	s_add_i32 s10, s10, -1
	s_mul_i32 s11, s16, s11
	s_delay_alu instid0(SALU_CYCLE_1) | instskip(NEXT) | instid1(SALU_CYCLE_1)
	s_sub_i32 s11, s20, s11
	s_mul_i32 s11, s14, s11
	s_delay_alu instid0(SALU_CYCLE_1)
	s_add_i32 s19, s11, s19
	s_add_u32 s8, s8, -4
	s_addc_u32 s9, s9, -1
	s_cmp_gt_u32 s10, 2
	s_cbranch_scc1 .LBB12_6
.LBB12_7:
	s_set_inst_prefetch_distance 0x2
	s_clause 0x1
	s_load_b32 s18, s[0:1], 0x6c
	s_load_b32 s8, s[0:1], 0x2a0
	s_add_u32 s9, s0, 0x1d0
	s_addc_u32 s11, s1, 0
	s_mov_b32 s21, 0
	s_mov_b32 s20, s13
	s_waitcnt lgkmcnt(0)
	s_cmp_lt_i32 s8, 2
	s_cbranch_scc1 .LBB12_10
; %bb.8:
	s_add_i32 s20, s8, -1
	s_add_i32 s10, s8, 1
	s_lshl_b64 s[14:15], s[20:21], 2
	s_mov_b32 s20, s13
	s_add_u32 s8, s14, s9
	s_addc_u32 s9, s15, s11
	s_add_u32 s8, s8, 8
	s_addc_u32 s9, s9, 0
	s_set_inst_prefetch_distance 0x1
	.p2align	6
.LBB12_9:                               ; =>This Inner Loop Header: Depth=1
	s_clause 0x1
	s_load_b32 s11, s[8:9], 0x0
	s_load_b32 s14, s[8:9], 0x64
	s_mov_b32 s23, s20
	s_waitcnt lgkmcnt(0)
	v_cvt_f32_u32_e32 v1, s11
	s_sub_i32 s22, 0, s11
	s_waitcnt_depctr 0xfff
	v_rcp_iflag_f32_e32 v1, v1
	s_waitcnt_depctr 0xfff
	v_mul_f32_e32 v1, 0x4f7ffffe, v1
	s_delay_alu instid0(VALU_DEP_1) | instskip(NEXT) | instid1(VALU_DEP_1)
	v_cvt_u32_f32_e32 v1, v1
	v_readfirstlane_b32 s15, v1
	s_delay_alu instid0(VALU_DEP_1) | instskip(NEXT) | instid1(SALU_CYCLE_1)
	s_mul_i32 s22, s22, s15
	s_mul_hi_u32 s22, s15, s22
	s_delay_alu instid0(SALU_CYCLE_1) | instskip(NEXT) | instid1(SALU_CYCLE_1)
	s_add_i32 s15, s15, s22
	s_mul_hi_u32 s15, s20, s15
	s_delay_alu instid0(SALU_CYCLE_1) | instskip(SKIP_2) | instid1(SALU_CYCLE_1)
	s_mul_i32 s20, s15, s11
	s_add_i32 s22, s15, 1
	s_sub_i32 s20, s23, s20
	s_sub_i32 s24, s20, s11
	s_cmp_ge_u32 s20, s11
	s_cselect_b32 s15, s22, s15
	s_cselect_b32 s20, s24, s20
	s_add_i32 s22, s15, 1
	s_cmp_ge_u32 s20, s11
	s_cselect_b32 s20, s22, s15
	s_add_i32 s10, s10, -1
	s_mul_i32 s11, s20, s11
	s_delay_alu instid0(SALU_CYCLE_1) | instskip(NEXT) | instid1(SALU_CYCLE_1)
	s_sub_i32 s11, s23, s11
	s_mul_i32 s11, s14, s11
	s_delay_alu instid0(SALU_CYCLE_1)
	s_add_i32 s21, s11, s21
	s_add_u32 s8, s8, -4
	s_addc_u32 s9, s9, -1
	s_cmp_gt_u32 s10, 2
	s_cbranch_scc1 .LBB12_9
.LBB12_10:
	s_set_inst_prefetch_distance 0x2
	s_clause 0x1
	s_load_b32 s33, s[2:3], 0x6c
	s_load_b128 s[8:11], s[0:1], 0x2b8
	v_mov_b32_e32 v1, s13
	v_cmp_ne_u32_e64 s2, 0, v0
	v_cmp_eq_u32_e64 s3, 0, v0
	s_waitcnt lgkmcnt(0)
	global_load_u8 v7, v1, s[8:9]
	s_clause 0x2
	s_load_b64 s[26:27], s[0:1], 0x0
	s_load_b64 s[24:25], s[0:1], 0xf0
	s_load_b64 s[22:23], s[0:1], 0x1d0
	s_mul_i32 s8, s13, s6
	s_mov_b32 s9, 0
	s_sub_i32 s36, s12, s8
	s_and_saveexec_b32 s37, s3
	s_cbranch_execz .LBB12_26
; %bb.11:
	s_load_b64 s[28:29], s[0:1], 0x2c8
	s_lshl_b64 s[30:31], s[8:9], 2
	s_mov_b32 s8, 0
	s_add_u32 s12, s10, s30
	s_addc_u32 s13, s11, s31
	s_mov_b32 s38, 0
	s_waitcnt lgkmcnt(0)
	s_add_u32 s14, s28, s30
	s_addc_u32 s15, s29, s31
	s_cmp_lt_u32 s6, 4
	s_cbranch_scc1 .LBB12_23
; %bb.12:
	s_mov_b32 s39, 0
.LBB12_13:                              ; =>This Inner Loop Header: Depth=1
	s_add_u32 s12, s10, s30
	s_addc_u32 s13, s11, s31
	s_add_u32 s34, s28, s30
	s_load_b128 s[12:15], s[12:13], 0x0
	s_addc_u32 s35, s29, s31
	s_cmp_ge_u32 s39, s36
	s_cbranch_scc0 .LBB12_20
; %bb.14:                               ;   in Loop: Header=BB12_13 Depth=1
	s_add_i32 s40, s39, 1
	s_delay_alu instid0(SALU_CYCLE_1)
	s_cmp_ge_u32 s40, s36
	s_cbranch_scc0 .LBB12_21
.LBB12_15:                              ;   in Loop: Header=BB12_13 Depth=1
	s_add_i32 s40, s40, 1
	s_delay_alu instid0(SALU_CYCLE_1)
	s_cmp_ge_u32 s40, s36
	s_cbranch_scc0 .LBB12_22
.LBB12_16:                              ;   in Loop: Header=BB12_13 Depth=1
	s_add_i32 s40, s40, 1
	s_delay_alu instid0(SALU_CYCLE_1)
	s_cmp_ge_u32 s40, s36
	s_cbranch_scc1 .LBB12_18
.LBB12_17:                              ;   in Loop: Header=BB12_13 Depth=1
	s_load_b32 s34, s[34:35], 0xc
	s_waitcnt lgkmcnt(0)
	s_add_i32 s9, s9, s15
	s_add_i32 s8, s34, s8
.LBB12_18:                              ;   in Loop: Header=BB12_13 Depth=1
	s_waitcnt lgkmcnt(0)
	s_add_i32 s12, s12, s38
	s_delay_alu instid0(SALU_CYCLE_1) | instskip(NEXT) | instid1(SALU_CYCLE_1)
	s_add_i32 s12, s12, s13
	s_add_i32 s12, s12, s14
	s_delay_alu instid0(SALU_CYCLE_1)
	s_add_i32 s38, s12, s15
	s_add_u32 s10, s10, 16
	s_addc_u32 s11, s11, 0
	s_add_u32 s28, s28, 16
	s_addc_u32 s29, s29, 0
	s_add_i32 s35, s40, 4
	s_add_u32 s14, s28, s30
	s_addc_u32 s15, s29, s31
	s_add_u32 s12, s10, s30
	s_addc_u32 s13, s11, s31
	s_add_i32 s34, s40, 1
	s_cmp_ge_u32 s35, s6
	s_cbranch_scc1 .LBB12_24
; %bb.19:                               ;   in Loop: Header=BB12_13 Depth=1
	s_mov_b32 s39, s34
	s_branch .LBB12_13
.LBB12_20:                              ;   in Loop: Header=BB12_13 Depth=1
	s_load_b32 s40, s[34:35], 0x0
	s_waitcnt lgkmcnt(0)
	s_add_i32 s9, s12, s9
	s_add_i32 s8, s40, s8
	;; [unrolled: 1-line block ×3, first 2 shown]
	s_delay_alu instid0(SALU_CYCLE_1)
	s_cmp_ge_u32 s40, s36
	s_cbranch_scc1 .LBB12_15
.LBB12_21:                              ;   in Loop: Header=BB12_13 Depth=1
	s_load_b32 s41, s[34:35], 0x4
	s_waitcnt lgkmcnt(0)
	s_add_i32 s9, s9, s13
	s_add_i32 s8, s41, s8
	;; [unrolled: 1-line block ×3, first 2 shown]
	s_delay_alu instid0(SALU_CYCLE_1)
	s_cmp_ge_u32 s40, s36
	s_cbranch_scc1 .LBB12_16
.LBB12_22:                              ;   in Loop: Header=BB12_13 Depth=1
	s_load_b32 s41, s[34:35], 0x8
	s_waitcnt lgkmcnt(0)
	s_add_i32 s9, s9, s14
	s_add_i32 s8, s41, s8
	;; [unrolled: 1-line block ×3, first 2 shown]
	s_delay_alu instid0(SALU_CYCLE_1)
	s_cmp_ge_u32 s40, s36
	s_cbranch_scc0 .LBB12_17
	s_branch .LBB12_18
.LBB12_23:
	s_mov_b32 s10, 0
	s_delay_alu instid0(SALU_CYCLE_1)
	s_cmp_ge_u32 s10, s6
	s_cbranch_scc0 .LBB12_47
	s_branch .LBB12_25
.LBB12_24:
	s_add_i32 s10, s39, 4
	s_delay_alu instid0(SALU_CYCLE_1)
	s_cmp_ge_u32 s10, s6
	s_cbranch_scc0 .LBB12_47
.LBB12_25:
	v_dual_mov_b32 v1, s8 :: v_dual_mov_b32 v2, s38
	v_dual_mov_b32 v3, s9 :: v_dual_mov_b32 v4, 0
	ds_store_b96 v4, v[1:3] offset:1056
.LBB12_26:
	s_or_b32 exec_lo, exec_lo, s37
	s_clause 0x1
	s_load_b32 s13, s[0:1], 0x23c
	s_load_b128 s[8:11], s[0:1], 0xd8
	s_waitcnt lgkmcnt(0)
	s_mul_i32 s11, s5, s36
	s_add_i32 s36, s36, 1
	s_lshl_b32 s12, s11, 8
	s_mov_b32 s15, 0
	s_waitcnt vmcnt(0)
	s_barrier
	buffer_gl0_inv
	s_sub_i32 s11, s8, s12
	s_delay_alu instid0(SALU_CYCLE_1) | instskip(SKIP_3) | instid1(VALU_DEP_1)
	s_add_u32 s11, s11, 0xff
	s_addc_u32 s14, 0, 0
	s_cmp_lt_u32 s36, s6
	v_alignbit_b32 v1, s14, s11, 8
	v_readfirstlane_b32 s11, v1
	s_delay_alu instid0(VALU_DEP_1) | instskip(NEXT) | instid1(SALU_CYCLE_1)
	s_cselect_b32 s5, s5, s11
	s_cmp_eq_u32 s5, 0
	s_cbranch_scc1 .LBB12_49
; %bb.27:
	v_dual_mov_b32 v5, 0 :: v_dual_lshlrev_b32 v8, 3, v0
	s_mul_i32 s6, s33, s16
	s_mul_i32 s7, s18, s7
	;; [unrolled: 1-line block ×3, first 2 shown]
	ds_load_b96 v[1:3], v5 offset:1056
	s_clause 0x1
	s_load_b32 s16, s[0:1], 0xe8
	s_load_b32 s11, s[0:1], 0x1c8
	s_add_i32 s7, s7, s17
	s_add_i32 s0, s6, s19
	;; [unrolled: 1-line block ×3, first 2 shown]
	v_lshrrev_b32_e32 v6, 5, v0
	v_add_nc_u32_e32 v10, -1, v0
	s_add_u32 s6, s26, s7
	s_addc_u32 s7, s27, 0
	v_lshrrev_b32_e32 v9, 2, v0
	v_add_nc_u32_e32 v4, s12, v0
	s_add_u32 s12, s24, s0
	s_addc_u32 s13, s25, 0
	s_lshl_b64 s[0:1], s[14:15], 3
	v_add_lshl_u32 v6, v6, v0, 2
	v_lshrrev_b32_e32 v11, 5, v10
	s_add_u32 s14, s22, s0
	v_cmp_gt_u32_e64 s0, 32, v0
	v_mbcnt_lo_u32_b32 v0, -1, 0
	s_addc_u32 s15, s23, s1
	s_waitcnt lgkmcnt(0)
	v_add_nc_u32_e32 v1, v1, v2
	v_add_lshl_u32 v2, v9, v8, 2
	v_mul_lo_u32 v9, s16, v4
	v_add_lshl_u32 v8, v11, v10, 2
	v_and_b32_e32 v7, 0xff, v7
	v_and_b32_e32 v10, 15, v0
	v_bfe_i32 v11, v0, 4, 1
	v_add_nc_u32_e32 v12, -1, v0
	s_bitcmp1_b32 s10, 0
                                        ; implicit-def: $vgpr13
	s_cselect_b32 s1, -1, 0
	s_lshl_b32 s10, s16, 8
	s_branch .LBB12_30
.LBB12_28:                              ;   in Loop: Header=BB12_30 Depth=1
	s_or_b32 exec_lo, exec_lo, s16
	v_add_nc_u32_e32 v1, v16, v1
.LBB12_29:                              ;   in Loop: Header=BB12_30 Depth=1
	v_add_nc_u32_e32 v3, v15, v3
	v_add_nc_u32_e32 v9, s10, v9
	;; [unrolled: 1-line block ×3, first 2 shown]
	s_add_i32 s5, s5, -1
	s_delay_alu instid0(SALU_CYCLE_1)
	s_cmp_lg_u32 s5, 0
	s_cbranch_scc0 .LBB12_49
.LBB12_30:                              ; =>This Inner Loop Header: Depth=1
	v_mov_b32_e32 v16, 0
	v_mov_b32_e32 v14, 0
	s_mov_b32 s16, exec_lo
	v_cmpx_gt_u32_e64 s8, v4
	s_cbranch_execz .LBB12_32
; %bb.31:                               ;   in Loop: Header=BB12_30 Depth=1
	global_load_u8 v13, v9, s[6:7]
	s_waitcnt vmcnt(0)
	v_cmp_gt_u16_e32 vcc_lo, v13, v7
	v_cndmask_b32_e64 v14, 0, 1, vcc_lo
	v_cmp_lt_u16_e32 vcc_lo, v13, v7
	v_cndmask_b32_e64 v15, 0, 1, vcc_lo
	v_cmp_eq_u16_e32 vcc_lo, v13, v7
	s_delay_alu instid0(VALU_DEP_2) | instskip(NEXT) | instid1(VALU_DEP_1)
	v_cndmask_b32_e64 v14, v15, v14, s1
	v_and_b32_e32 v16, 1, v14
	v_cndmask_b32_e64 v14, 0, 1, vcc_lo
.LBB12_32:                              ;   in Loop: Header=BB12_30 Depth=1
	s_or_b32 exec_lo, exec_lo, s16
	ds_store_b32 v6, v16
	s_waitcnt lgkmcnt(0)
	s_waitcnt_vscnt null, 0x0
	s_barrier
	buffer_gl0_inv
	s_and_saveexec_b32 s16, s0
	s_cbranch_execz .LBB12_34
; %bb.33:                               ;   in Loop: Header=BB12_30 Depth=1
	ds_load_2addr_b32 v[17:18], v2 offset1:1
	ds_load_2addr_b32 v[19:20], v2 offset0:2 offset1:3
	ds_load_2addr_b32 v[21:22], v2 offset0:4 offset1:5
	;; [unrolled: 1-line block ×3, first 2 shown]
	v_cmp_ne_u32_e32 vcc_lo, 0, v10
	; wave barrier
	s_waitcnt lgkmcnt(3)
	v_add_nc_u32_e32 v15, v18, v17
	s_waitcnt lgkmcnt(2)
	s_delay_alu instid0(VALU_DEP_1) | instskip(SKIP_1) | instid1(VALU_DEP_1)
	v_add3_u32 v15, v15, v19, v20
	s_waitcnt lgkmcnt(1)
	v_add3_u32 v15, v15, v21, v22
	s_waitcnt lgkmcnt(0)
	s_delay_alu instid0(VALU_DEP_1) | instskip(NEXT) | instid1(VALU_DEP_1)
	v_add3_u32 v15, v15, v23, v24
	v_mov_b32_dpp v18, v15 row_shr:1 row_mask:0xf bank_mask:0xf
	s_delay_alu instid0(VALU_DEP_1) | instskip(SKIP_1) | instid1(VALU_DEP_2)
	v_cndmask_b32_e32 v18, 0, v18, vcc_lo
	v_cmp_lt_u32_e32 vcc_lo, 1, v10
	v_add_nc_u32_e32 v15, v18, v15
	s_delay_alu instid0(VALU_DEP_1) | instskip(NEXT) | instid1(VALU_DEP_1)
	v_mov_b32_dpp v18, v15 row_shr:2 row_mask:0xf bank_mask:0xf
	v_cndmask_b32_e32 v18, 0, v18, vcc_lo
	v_cmp_lt_u32_e32 vcc_lo, 3, v10
	s_delay_alu instid0(VALU_DEP_2) | instskip(NEXT) | instid1(VALU_DEP_1)
	v_add_nc_u32_e32 v15, v15, v18
	v_mov_b32_dpp v18, v15 row_shr:4 row_mask:0xf bank_mask:0xf
	s_delay_alu instid0(VALU_DEP_1) | instskip(SKIP_1) | instid1(VALU_DEP_2)
	v_cndmask_b32_e32 v18, 0, v18, vcc_lo
	v_cmp_lt_u32_e32 vcc_lo, 7, v10
	v_add_nc_u32_e32 v15, v15, v18
	s_delay_alu instid0(VALU_DEP_1) | instskip(NEXT) | instid1(VALU_DEP_1)
	v_mov_b32_dpp v18, v15 row_shr:8 row_mask:0xf bank_mask:0xf
	v_cndmask_b32_e32 v18, 0, v18, vcc_lo
	v_cmp_gt_i32_e32 vcc_lo, 0, v12
	v_cndmask_b32_e32 v19, v12, v0, vcc_lo
	s_delay_alu instid0(VALU_DEP_1) | instskip(NEXT) | instid1(VALU_DEP_4)
	v_lshlrev_b32_e32 v19, 2, v19
	v_add_nc_u32_e32 v15, v15, v18
	ds_swizzle_b32 v18, v15 offset:swizzle(BROADCAST,32,15)
	s_waitcnt lgkmcnt(0)
	v_and_b32_e32 v18, v11, v18
	s_delay_alu instid0(VALU_DEP_1) | instskip(SKIP_3) | instid1(VALU_DEP_1)
	v_add_nc_u32_e32 v15, v15, v18
	ds_bpermute_b32 v15, v19, v15
	s_waitcnt lgkmcnt(0)
	v_add_nc_u32_e32 v15, v15, v17
	v_cndmask_b32_e64 v15, v15, v16, s3
	ds_store_b32 v2, v15
	; wave barrier
	ds_load_2addr_b32 v[17:18], v2 offset0:1 offset1:2
	ds_load_2addr_b32 v[19:20], v2 offset0:3 offset1:4
	;; [unrolled: 1-line block ×3, first 2 shown]
	ds_load_b32 v23, v2 offset:28
	s_waitcnt lgkmcnt(3)
	v_add_nc_u32_e32 v15, v17, v15
	s_delay_alu instid0(VALU_DEP_1) | instskip(SKIP_1) | instid1(VALU_DEP_1)
	v_add_nc_u32_e32 v17, v18, v15
	s_waitcnt lgkmcnt(2)
	v_add_nc_u32_e32 v18, v19, v17
	s_delay_alu instid0(VALU_DEP_1) | instskip(SKIP_1) | instid1(VALU_DEP_1)
	v_add_nc_u32_e32 v19, v20, v18
	;; [unrolled: 4-line block ×3, first 2 shown]
	s_waitcnt lgkmcnt(0)
	v_add_nc_u32_e32 v22, v23, v21
	ds_store_2addr_b32 v2, v15, v17 offset0:1 offset1:2
	ds_store_2addr_b32 v2, v18, v19 offset0:3 offset1:4
	;; [unrolled: 1-line block ×3, first 2 shown]
	ds_store_b32 v2, v22 offset:28
.LBB12_34:                              ;   in Loop: Header=BB12_30 Depth=1
	s_or_b32 exec_lo, exec_lo, s16
	v_mov_b32_e32 v17, 0
	s_waitcnt lgkmcnt(0)
	s_barrier
	buffer_gl0_inv
	s_and_saveexec_b32 s16, s2
	s_cbranch_execz .LBB12_36
; %bb.35:                               ;   in Loop: Header=BB12_30 Depth=1
	ds_load_b32 v17, v8
.LBB12_36:                              ;   in Loop: Header=BB12_30 Depth=1
	s_or_b32 exec_lo, exec_lo, s16
	ds_load_b32 v15, v5 offset:1048
	s_mov_b32 s16, exec_lo
	s_waitcnt lgkmcnt(0)
	s_barrier
	buffer_gl0_inv
	v_cmpx_ne_u32_e32 0, v16
	s_cbranch_execz .LBB12_38
; %bb.37:                               ;   in Loop: Header=BB12_30 Depth=1
	v_add_nc_u32_e32 v18, v17, v3
	v_mov_b32_e32 v17, v5
	s_delay_alu instid0(VALU_DEP_2) | instskip(SKIP_1) | instid1(VALU_DEP_2)
	v_mul_lo_u32 v16, v18, s4
	v_mul_lo_u32 v18, v18, s11
	v_lshlrev_b64 v[16:17], 3, v[16:17]
	s_delay_alu instid0(VALU_DEP_1) | instskip(NEXT) | instid1(VALU_DEP_2)
	v_add_co_u32 v16, vcc_lo, s14, v16
	v_add_co_ci_u32_e32 v17, vcc_lo, s15, v17, vcc_lo
	global_store_b8 v18, v13, s[12:13]
	global_store_b64 v[16:17], v[4:5], off
.LBB12_38:                              ;   in Loop: Header=BB12_30 Depth=1
	s_or_b32 exec_lo, exec_lo, s16
	v_cmp_le_u32_e32 vcc_lo, s9, v1
	s_cbranch_vccnz .LBB12_29
; %bb.39:                               ;   in Loop: Header=BB12_30 Depth=1
	ds_store_b32 v6, v14
	s_waitcnt lgkmcnt(0)
	s_waitcnt_vscnt null, 0x0
	s_barrier
	buffer_gl0_inv
	s_and_saveexec_b32 s16, s0
	s_cbranch_execz .LBB12_41
; %bb.40:                               ;   in Loop: Header=BB12_30 Depth=1
	ds_load_2addr_b32 v[16:17], v2 offset1:1
	ds_load_2addr_b32 v[18:19], v2 offset0:2 offset1:3
	ds_load_2addr_b32 v[20:21], v2 offset0:4 offset1:5
	;; [unrolled: 1-line block ×3, first 2 shown]
	v_cmp_ne_u32_e32 vcc_lo, 0, v10
	; wave barrier
	s_waitcnt lgkmcnt(3)
	v_add_nc_u32_e32 v17, v17, v16
	s_waitcnt lgkmcnt(2)
	s_delay_alu instid0(VALU_DEP_1) | instskip(SKIP_1) | instid1(VALU_DEP_1)
	v_add3_u32 v17, v17, v18, v19
	s_waitcnt lgkmcnt(1)
	v_add3_u32 v17, v17, v20, v21
	s_waitcnt lgkmcnt(0)
	s_delay_alu instid0(VALU_DEP_1) | instskip(NEXT) | instid1(VALU_DEP_1)
	v_add3_u32 v17, v17, v22, v23
	v_mov_b32_dpp v18, v17 row_shr:1 row_mask:0xf bank_mask:0xf
	s_delay_alu instid0(VALU_DEP_1) | instskip(SKIP_1) | instid1(VALU_DEP_2)
	v_cndmask_b32_e32 v18, 0, v18, vcc_lo
	v_cmp_lt_u32_e32 vcc_lo, 1, v10
	v_add_nc_u32_e32 v17, v18, v17
	s_delay_alu instid0(VALU_DEP_1) | instskip(NEXT) | instid1(VALU_DEP_1)
	v_mov_b32_dpp v18, v17 row_shr:2 row_mask:0xf bank_mask:0xf
	v_cndmask_b32_e32 v18, 0, v18, vcc_lo
	v_cmp_lt_u32_e32 vcc_lo, 3, v10
	s_delay_alu instid0(VALU_DEP_2) | instskip(NEXT) | instid1(VALU_DEP_1)
	v_add_nc_u32_e32 v17, v17, v18
	v_mov_b32_dpp v18, v17 row_shr:4 row_mask:0xf bank_mask:0xf
	s_delay_alu instid0(VALU_DEP_1) | instskip(SKIP_1) | instid1(VALU_DEP_2)
	v_cndmask_b32_e32 v18, 0, v18, vcc_lo
	v_cmp_lt_u32_e32 vcc_lo, 7, v10
	v_add_nc_u32_e32 v17, v17, v18
	s_delay_alu instid0(VALU_DEP_1) | instskip(NEXT) | instid1(VALU_DEP_1)
	v_mov_b32_dpp v18, v17 row_shr:8 row_mask:0xf bank_mask:0xf
	v_cndmask_b32_e32 v18, 0, v18, vcc_lo
	v_cmp_gt_i32_e32 vcc_lo, 0, v12
	v_cndmask_b32_e32 v19, v12, v0, vcc_lo
	s_delay_alu instid0(VALU_DEP_1) | instskip(NEXT) | instid1(VALU_DEP_4)
	v_lshlrev_b32_e32 v19, 2, v19
	v_add_nc_u32_e32 v17, v17, v18
	ds_swizzle_b32 v18, v17 offset:swizzle(BROADCAST,32,15)
	s_waitcnt lgkmcnt(0)
	v_and_b32_e32 v18, v11, v18
	s_delay_alu instid0(VALU_DEP_1) | instskip(SKIP_3) | instid1(VALU_DEP_1)
	v_add_nc_u32_e32 v17, v17, v18
	ds_bpermute_b32 v17, v19, v17
	s_waitcnt lgkmcnt(0)
	v_add_nc_u32_e32 v16, v17, v16
	v_cndmask_b32_e64 v22, v16, v14, s3
	ds_store_b32 v2, v22
	; wave barrier
	ds_load_2addr_b32 v[16:17], v2 offset0:1 offset1:2
	ds_load_2addr_b32 v[18:19], v2 offset0:3 offset1:4
	ds_load_2addr_b32 v[20:21], v2 offset0:5 offset1:6
	ds_load_b32 v23, v2 offset:28
	s_waitcnt lgkmcnt(3)
	v_add_nc_u32_e32 v16, v16, v22
	s_delay_alu instid0(VALU_DEP_1) | instskip(SKIP_1) | instid1(VALU_DEP_1)
	v_add_nc_u32_e32 v17, v17, v16
	s_waitcnt lgkmcnt(2)
	v_add_nc_u32_e32 v18, v18, v17
	s_delay_alu instid0(VALU_DEP_1) | instskip(SKIP_1) | instid1(VALU_DEP_1)
	v_add_nc_u32_e32 v19, v19, v18
	;; [unrolled: 4-line block ×3, first 2 shown]
	s_waitcnt lgkmcnt(0)
	v_add_nc_u32_e32 v22, v23, v21
	ds_store_2addr_b32 v2, v16, v17 offset0:1 offset1:2
	ds_store_2addr_b32 v2, v18, v19 offset0:3 offset1:4
	;; [unrolled: 1-line block ×3, first 2 shown]
	ds_store_b32 v2, v22 offset:28
.LBB12_41:                              ;   in Loop: Header=BB12_30 Depth=1
	s_or_b32 exec_lo, exec_lo, s16
	v_mov_b32_e32 v17, 0
	s_waitcnt lgkmcnt(0)
	s_barrier
	buffer_gl0_inv
	s_and_saveexec_b32 s16, s2
	s_cbranch_execz .LBB12_43
; %bb.42:                               ;   in Loop: Header=BB12_30 Depth=1
	ds_load_b32 v17, v8
.LBB12_43:                              ;   in Loop: Header=BB12_30 Depth=1
	s_or_b32 exec_lo, exec_lo, s16
	ds_load_b32 v16, v5 offset:1048
	s_mov_b32 s16, exec_lo
	s_waitcnt lgkmcnt(0)
	s_barrier
	buffer_gl0_inv
	v_cmpx_ne_u32_e32 0, v14
	s_cbranch_execz .LBB12_28
; %bb.44:                               ;   in Loop: Header=BB12_30 Depth=1
	v_add_nc_u32_e32 v14, v17, v1
	s_delay_alu instid0(VALU_DEP_1)
	v_cmp_gt_u32_e32 vcc_lo, s9, v14
	s_and_b32 exec_lo, exec_lo, vcc_lo
	s_cbranch_execz .LBB12_28
; %bb.45:                               ;   in Loop: Header=BB12_30 Depth=1
	v_mul_lo_u32 v17, v14, s4
	v_mov_b32_e32 v18, v5
	v_mul_lo_u32 v14, v14, s11
	s_delay_alu instid0(VALU_DEP_2) | instskip(NEXT) | instid1(VALU_DEP_1)
	v_lshlrev_b64 v[17:18], 3, v[17:18]
	v_add_co_u32 v17, vcc_lo, s14, v17
	s_delay_alu instid0(VALU_DEP_2)
	v_add_co_ci_u32_e32 v18, vcc_lo, s15, v18, vcc_lo
	global_store_b8 v14, v13, s[12:13]
	global_store_b64 v[17:18], v[4:5], off
	s_branch .LBB12_28
	.p2align	6
.LBB12_46:                              ;   in Loop: Header=BB12_47 Depth=1
	s_add_u32 s12, s12, 4
	s_addc_u32 s13, s13, 0
	s_waitcnt lgkmcnt(0)
	s_add_i32 s38, s11, s38
	s_add_u32 s14, s14, 4
	s_addc_u32 s15, s15, 0
	s_add_i32 s10, s10, 1
	s_delay_alu instid0(SALU_CYCLE_1)
	s_cmp_lt_u32 s10, s6
	s_cbranch_scc0 .LBB12_25
.LBB12_47:                              ; =>This Inner Loop Header: Depth=1
	s_load_b32 s11, s[12:13], 0x0
	s_cmp_ge_u32 s10, s36
	s_cbranch_scc1 .LBB12_46
; %bb.48:                               ;   in Loop: Header=BB12_47 Depth=1
	s_load_b32 s28, s[14:15], 0x0
	s_waitcnt lgkmcnt(0)
	s_add_i32 s9, s11, s9
	s_add_i32 s8, s28, s8
	s_branch .LBB12_46
.LBB12_49:
	s_nop 0
	s_sendmsg sendmsg(MSG_DEALLOC_VGPRS)
	s_endpgm
	.section	.rodata,"a",@progbits
	.p2align	6, 0x0
	.amdhsa_kernel _ZN2at6native6mbtopk10gatherTopKIhjLin1EEEvNS_4cuda6detail10TensorInfoIKT_T0_EES8_S8_bjS8_NS5_IS6_S8_EES8_NS5_IlS8_EES8_jjPS6_PjSD_j
		.amdhsa_group_segment_fixed_size 1068
		.amdhsa_private_segment_fixed_size 0
		.amdhsa_kernarg_size 984
		.amdhsa_user_sgpr_count 13
		.amdhsa_user_sgpr_dispatch_ptr 0
		.amdhsa_user_sgpr_queue_ptr 0
		.amdhsa_user_sgpr_kernarg_segment_ptr 1
		.amdhsa_user_sgpr_dispatch_id 0
		.amdhsa_user_sgpr_private_segment_size 0
		.amdhsa_wavefront_size32 1
		.amdhsa_uses_dynamic_stack 0
		.amdhsa_enable_private_segment 0
		.amdhsa_system_sgpr_workgroup_id_x 1
		.amdhsa_system_sgpr_workgroup_id_y 1
		.amdhsa_system_sgpr_workgroup_id_z 1
		.amdhsa_system_sgpr_workgroup_info 0
		.amdhsa_system_vgpr_workitem_id 0
		.amdhsa_next_free_vgpr 25
		.amdhsa_next_free_sgpr 42
		.amdhsa_reserve_vcc 1
		.amdhsa_float_round_mode_32 0
		.amdhsa_float_round_mode_16_64 0
		.amdhsa_float_denorm_mode_32 3
		.amdhsa_float_denorm_mode_16_64 3
		.amdhsa_dx10_clamp 1
		.amdhsa_ieee_mode 1
		.amdhsa_fp16_overflow 0
		.amdhsa_workgroup_processor_mode 1
		.amdhsa_memory_ordered 1
		.amdhsa_forward_progress 0
		.amdhsa_shared_vgpr_count 0
		.amdhsa_exception_fp_ieee_invalid_op 0
		.amdhsa_exception_fp_denorm_src 0
		.amdhsa_exception_fp_ieee_div_zero 0
		.amdhsa_exception_fp_ieee_overflow 0
		.amdhsa_exception_fp_ieee_underflow 0
		.amdhsa_exception_fp_ieee_inexact 0
		.amdhsa_exception_int_div_zero 0
	.end_amdhsa_kernel
	.section	.text._ZN2at6native6mbtopk10gatherTopKIhjLin1EEEvNS_4cuda6detail10TensorInfoIKT_T0_EES8_S8_bjS8_NS5_IS6_S8_EES8_NS5_IlS8_EES8_jjPS6_PjSD_j,"axG",@progbits,_ZN2at6native6mbtopk10gatherTopKIhjLin1EEEvNS_4cuda6detail10TensorInfoIKT_T0_EES8_S8_bjS8_NS5_IS6_S8_EES8_NS5_IlS8_EES8_jjPS6_PjSD_j,comdat
.Lfunc_end12:
	.size	_ZN2at6native6mbtopk10gatherTopKIhjLin1EEEvNS_4cuda6detail10TensorInfoIKT_T0_EES8_S8_bjS8_NS5_IS6_S8_EES8_NS5_IlS8_EES8_jjPS6_PjSD_j, .Lfunc_end12-_ZN2at6native6mbtopk10gatherTopKIhjLin1EEEvNS_4cuda6detail10TensorInfoIKT_T0_EES8_S8_bjS8_NS5_IS6_S8_EES8_NS5_IlS8_EES8_jjPS6_PjSD_j
                                        ; -- End function
	.section	.AMDGPU.csdata,"",@progbits
; Kernel info:
; codeLenInByte = 3156
; NumSgprs: 44
; NumVgprs: 25
; ScratchSize: 0
; MemoryBound: 0
; FloatMode: 240
; IeeeMode: 1
; LDSByteSize: 1068 bytes/workgroup (compile time only)
; SGPRBlocks: 5
; VGPRBlocks: 3
; NumSGPRsForWavesPerEU: 44
; NumVGPRsForWavesPerEU: 25
; Occupancy: 16
; WaveLimiterHint : 1
; COMPUTE_PGM_RSRC2:SCRATCH_EN: 0
; COMPUTE_PGM_RSRC2:USER_SGPR: 13
; COMPUTE_PGM_RSRC2:TRAP_HANDLER: 0
; COMPUTE_PGM_RSRC2:TGID_X_EN: 1
; COMPUTE_PGM_RSRC2:TGID_Y_EN: 1
; COMPUTE_PGM_RSRC2:TGID_Z_EN: 1
; COMPUTE_PGM_RSRC2:TIDIG_COMP_CNT: 0
	.section	.text._ZN2at6native6sbtopk10gatherTopKIhjLin1ELb0EEEvNS_4cuda6detail10TensorInfoIKT_T0_EES8_S8_bS8_S8_NS5_IS6_S8_EES8_NS5_IlS8_EES8_PS6_,"axG",@progbits,_ZN2at6native6sbtopk10gatherTopKIhjLin1ELb0EEEvNS_4cuda6detail10TensorInfoIKT_T0_EES8_S8_bS8_S8_NS5_IS6_S8_EES8_NS5_IlS8_EES8_PS6_,comdat
	.protected	_ZN2at6native6sbtopk10gatherTopKIhjLin1ELb0EEEvNS_4cuda6detail10TensorInfoIKT_T0_EES8_S8_bS8_S8_NS5_IS6_S8_EES8_NS5_IlS8_EES8_PS6_ ; -- Begin function _ZN2at6native6sbtopk10gatherTopKIhjLin1ELb0EEEvNS_4cuda6detail10TensorInfoIKT_T0_EES8_S8_bS8_S8_NS5_IS6_S8_EES8_NS5_IlS8_EES8_PS6_
	.globl	_ZN2at6native6sbtopk10gatherTopKIhjLin1ELb0EEEvNS_4cuda6detail10TensorInfoIKT_T0_EES8_S8_bS8_S8_NS5_IS6_S8_EES8_NS5_IlS8_EES8_PS6_
	.p2align	8
	.type	_ZN2at6native6sbtopk10gatherTopKIhjLin1ELb0EEEvNS_4cuda6detail10TensorInfoIKT_T0_EES8_S8_bS8_S8_NS5_IS6_S8_EES8_NS5_IlS8_EES8_PS6_,@function
_ZN2at6native6sbtopk10gatherTopKIhjLin1ELb0EEEvNS_4cuda6detail10TensorInfoIKT_T0_EES8_S8_bS8_S8_NS5_IS6_S8_EES8_NS5_IlS8_EES8_PS6_: ; @_ZN2at6native6sbtopk10gatherTopKIhjLin1ELb0EEEvNS_4cuda6detail10TensorInfoIKT_T0_EES8_S8_bS8_S8_NS5_IS6_S8_EES8_NS5_IlS8_EES8_PS6_
; %bb.0:
	s_clause 0x1
	s_load_b64 s[4:5], s[0:1], 0x2b8
	s_load_b128 s[36:39], s[0:1], 0xd8
	s_add_u32 s6, s0, 0x2b8
	s_addc_u32 s7, s1, 0
	s_waitcnt lgkmcnt(0)
	s_mul_i32 s2, s5, s15
	s_delay_alu instid0(SALU_CYCLE_1) | instskip(NEXT) | instid1(SALU_CYCLE_1)
	s_add_i32 s2, s2, s14
	s_mul_i32 s2, s2, s4
	s_delay_alu instid0(SALU_CYCLE_1) | instskip(NEXT) | instid1(SALU_CYCLE_1)
	s_add_i32 s35, s2, s13
	s_cmp_ge_u32 s35, s39
	s_cbranch_scc1 .LBB13_456
; %bb.1:
	s_clause 0x1
	s_load_b32 s5, s[0:1], 0xd0
	s_load_b32 s34, s[0:1], 0xe8
	s_mov_b32 s3, 0
	s_mov_b32 s2, s35
	s_waitcnt lgkmcnt(0)
	s_cmp_lt_i32 s5, 2
	s_cbranch_scc1 .LBB13_4
; %bb.2:
	s_add_i32 s2, s5, -1
	s_add_i32 s5, s5, 1
	s_lshl_b64 s[8:9], s[2:3], 2
	s_delay_alu instid0(SALU_CYCLE_1)
	s_add_u32 s2, s8, s0
	s_addc_u32 s9, s9, s1
	s_add_u32 s8, s2, 8
	s_addc_u32 s9, s9, 0
	s_mov_b32 s2, s35
	s_set_inst_prefetch_distance 0x1
	.p2align	6
.LBB13_3:                               ; =>This Inner Loop Header: Depth=1
	s_clause 0x1
	s_load_b32 s10, s[8:9], 0x0
	s_load_b32 s11, s[8:9], 0x64
	s_mov_b32 s15, s2
	s_waitcnt lgkmcnt(0)
	v_cvt_f32_u32_e32 v1, s10
	s_sub_i32 s14, 0, s10
	s_waitcnt_depctr 0xfff
	v_rcp_iflag_f32_e32 v1, v1
	s_waitcnt_depctr 0xfff
	v_mul_f32_e32 v1, 0x4f7ffffe, v1
	s_delay_alu instid0(VALU_DEP_1) | instskip(NEXT) | instid1(VALU_DEP_1)
	v_cvt_u32_f32_e32 v1, v1
	v_readfirstlane_b32 s12, v1
	s_delay_alu instid0(VALU_DEP_1) | instskip(NEXT) | instid1(SALU_CYCLE_1)
	s_mul_i32 s14, s14, s12
	s_mul_hi_u32 s14, s12, s14
	s_delay_alu instid0(SALU_CYCLE_1) | instskip(NEXT) | instid1(SALU_CYCLE_1)
	s_add_i32 s12, s12, s14
	s_mul_hi_u32 s2, s2, s12
	s_delay_alu instid0(SALU_CYCLE_1) | instskip(SKIP_2) | instid1(SALU_CYCLE_1)
	s_mul_i32 s12, s2, s10
	s_add_i32 s14, s2, 1
	s_sub_i32 s12, s15, s12
	s_sub_i32 s16, s12, s10
	s_cmp_ge_u32 s12, s10
	s_cselect_b32 s2, s14, s2
	s_cselect_b32 s12, s16, s12
	s_add_i32 s14, s2, 1
	s_cmp_ge_u32 s12, s10
	s_cselect_b32 s2, s14, s2
	s_add_i32 s5, s5, -1
	s_mul_i32 s10, s2, s10
	s_delay_alu instid0(SALU_CYCLE_1) | instskip(NEXT) | instid1(SALU_CYCLE_1)
	s_sub_i32 s10, s15, s10
	s_mul_i32 s10, s11, s10
	s_delay_alu instid0(SALU_CYCLE_1)
	s_add_i32 s3, s10, s3
	s_add_u32 s8, s8, -4
	s_addc_u32 s9, s9, -1
	s_cmp_gt_u32 s5, 2
	s_cbranch_scc1 .LBB13_3
.LBB13_4:
	s_set_inst_prefetch_distance 0x2
	s_load_b32 s5, s[0:1], 0x1c0
	s_add_u32 s8, s0, 0xf0
	s_addc_u32 s9, s1, 0
	s_mov_b32 s41, 0
	s_mov_b32 s48, s35
	s_waitcnt lgkmcnt(0)
	s_cmp_lt_i32 s5, 2
	s_cbranch_scc1 .LBB13_7
; %bb.5:
	s_add_i32 s40, s5, -1
	s_add_i32 s5, s5, 1
	s_lshl_b64 s[10:11], s[40:41], 2
	s_mov_b32 s48, s35
	s_add_u32 s10, s10, s8
	s_addc_u32 s11, s11, s9
	s_add_u32 s10, s10, 8
	s_addc_u32 s11, s11, 0
	s_set_inst_prefetch_distance 0x1
	.p2align	6
.LBB13_6:                               ; =>This Inner Loop Header: Depth=1
	s_clause 0x1
	s_load_b32 s12, s[10:11], 0x0
	s_load_b32 s14, s[10:11], 0x64
	s_mov_b32 s17, s48
	s_waitcnt lgkmcnt(0)
	v_cvt_f32_u32_e32 v1, s12
	s_sub_i32 s16, 0, s12
	s_waitcnt_depctr 0xfff
	v_rcp_iflag_f32_e32 v1, v1
	s_waitcnt_depctr 0xfff
	v_mul_f32_e32 v1, 0x4f7ffffe, v1
	s_delay_alu instid0(VALU_DEP_1) | instskip(NEXT) | instid1(VALU_DEP_1)
	v_cvt_u32_f32_e32 v1, v1
	v_readfirstlane_b32 s15, v1
	s_delay_alu instid0(VALU_DEP_1) | instskip(NEXT) | instid1(SALU_CYCLE_1)
	s_mul_i32 s16, s16, s15
	s_mul_hi_u32 s16, s15, s16
	s_delay_alu instid0(SALU_CYCLE_1) | instskip(NEXT) | instid1(SALU_CYCLE_1)
	s_add_i32 s15, s15, s16
	s_mul_hi_u32 s15, s48, s15
	s_delay_alu instid0(SALU_CYCLE_1) | instskip(SKIP_2) | instid1(SALU_CYCLE_1)
	s_mul_i32 s16, s15, s12
	s_add_i32 s18, s15, 1
	s_sub_i32 s16, s48, s16
	s_sub_i32 s19, s16, s12
	s_cmp_ge_u32 s16, s12
	s_cselect_b32 s15, s18, s15
	s_cselect_b32 s16, s19, s16
	s_add_i32 s18, s15, 1
	s_cmp_ge_u32 s16, s12
	s_cselect_b32 s48, s18, s15
	s_add_i32 s5, s5, -1
	s_mul_i32 s12, s48, s12
	s_delay_alu instid0(SALU_CYCLE_1) | instskip(NEXT) | instid1(SALU_CYCLE_1)
	s_sub_i32 s12, s17, s12
	s_mul_i32 s12, s14, s12
	s_delay_alu instid0(SALU_CYCLE_1)
	s_add_i32 s41, s12, s41
	s_add_u32 s10, s10, -4
	s_addc_u32 s11, s11, -1
	s_cmp_gt_u32 s5, 2
	s_cbranch_scc1 .LBB13_6
.LBB13_7:
	s_set_inst_prefetch_distance 0x2
	s_clause 0x1
	s_load_b32 s12, s[0:1], 0x6c
	s_load_b32 s5, s[0:1], 0x2a0
	s_add_u32 s10, s0, 0x1d0
	s_addc_u32 s11, s1, 0
	s_mov_b32 s43, 0
	s_waitcnt lgkmcnt(0)
	s_cmp_lt_i32 s5, 2
	s_cbranch_scc1 .LBB13_10
; %bb.8:
	s_add_i32 s42, s5, -1
	s_add_i32 s5, s5, 1
	s_lshl_b64 s[14:15], s[42:43], 2
	s_delay_alu instid0(SALU_CYCLE_1)
	s_add_u32 s10, s14, s10
	s_addc_u32 s11, s15, s11
	s_add_u32 s10, s10, 8
	s_addc_u32 s11, s11, 0
	s_set_inst_prefetch_distance 0x1
	.p2align	6
.LBB13_9:                               ; =>This Inner Loop Header: Depth=1
	s_clause 0x1
	s_load_b32 s14, s[10:11], 0x0
	s_load_b32 s15, s[10:11], 0x64
	s_mov_b32 s18, s35
	s_waitcnt lgkmcnt(0)
	v_cvt_f32_u32_e32 v1, s14
	s_sub_i32 s17, 0, s14
	s_waitcnt_depctr 0xfff
	v_rcp_iflag_f32_e32 v1, v1
	s_waitcnt_depctr 0xfff
	v_mul_f32_e32 v1, 0x4f7ffffe, v1
	s_delay_alu instid0(VALU_DEP_1) | instskip(NEXT) | instid1(VALU_DEP_1)
	v_cvt_u32_f32_e32 v1, v1
	v_readfirstlane_b32 s16, v1
	s_delay_alu instid0(VALU_DEP_1) | instskip(NEXT) | instid1(SALU_CYCLE_1)
	s_mul_i32 s17, s17, s16
	s_mul_hi_u32 s17, s16, s17
	s_delay_alu instid0(SALU_CYCLE_1) | instskip(NEXT) | instid1(SALU_CYCLE_1)
	s_add_i32 s16, s16, s17
	s_mul_hi_u32 s16, s35, s16
	s_delay_alu instid0(SALU_CYCLE_1) | instskip(SKIP_2) | instid1(SALU_CYCLE_1)
	s_mul_i32 s17, s16, s14
	s_add_i32 s19, s16, 1
	s_sub_i32 s17, s35, s17
	s_sub_i32 s20, s17, s14
	s_cmp_ge_u32 s17, s14
	s_cselect_b32 s16, s19, s16
	s_cselect_b32 s17, s20, s17
	s_add_i32 s19, s16, 1
	s_cmp_ge_u32 s17, s14
	s_cselect_b32 s35, s19, s16
	s_add_i32 s5, s5, -1
	s_mul_i32 s14, s35, s14
	s_delay_alu instid0(SALU_CYCLE_1) | instskip(NEXT) | instid1(SALU_CYCLE_1)
	s_sub_i32 s14, s18, s14
	s_mul_i32 s14, s15, s14
	s_delay_alu instid0(SALU_CYCLE_1)
	s_add_i32 s43, s14, s43
	s_add_u32 s10, s10, -4
	s_addc_u32 s11, s11, -1
	s_cmp_gt_u32 s5, 2
	s_cbranch_scc1 .LBB13_9
.LBB13_10:
	s_set_inst_prefetch_distance 0x2
	s_clause 0x3
	s_load_b32 s42, s[8:9], 0x6c
	s_load_b64 s[8:9], s[0:1], 0x0
	s_load_b64 s[46:47], s[0:1], 0xf0
	;; [unrolled: 1-line block ×3, first 2 shown]
	v_cmp_eq_u32_e64 s5, 0, v0
	s_mov_b32 s50, 0
	s_delay_alu instid0(VALU_DEP_1)
	s_and_saveexec_b32 s10, s5
	s_cbranch_execz .LBB13_12
; %bb.11:
	v_dual_mov_b32 v1, 0 :: v_dual_mov_b32 v2, s36
	s_delay_alu instid0(VALU_DEP_1)
	v_mov_b32_e32 v3, v1
	ds_store_b96 v1, v[1:3] offset:4096
.LBB13_12:
	s_or_b32 exec_lo, exec_lo, s10
	s_waitcnt lgkmcnt(0)
	s_barrier
	buffer_gl0_inv
	s_load_b32 s10, s[6:7], 0xc
	s_mul_i32 s2, s12, s2
	v_mbcnt_lo_u32_b32 v12, -1, 0
	s_add_i32 s2, s2, s3
	v_cmp_gt_u32_e32 vcc_lo, 32, v0
	s_add_u32 s30, s8, s2
	s_addc_u32 s31, s9, 0
	s_bitcmp1_b32 s38, 0
	v_cmp_gt_i32_e64 s2, 4, v12
	s_cselect_b32 s3, -1, 0
	v_mul_lo_u32 v14, v0, s34
	s_xor_b32 s51, s3, -1
	s_load_b32 s49, s[0:1], 0x23c
	s_and_b32 s52, vcc_lo, s2
	v_dual_mov_b32 v26, s37 :: v_dual_lshlrev_b32 v13, 2, v0
	v_lshl_or_b32 v21, v12, 2, 0xc00
	v_mov_b32_e32 v25, 0
	s_delay_alu instid0(VALU_DEP_4) | instskip(NEXT) | instid1(VALU_DEP_4)
	v_lshlrev_b32_e32 v19, 2, v14
	v_or_b32_e32 v3, 3, v13
	s_waitcnt lgkmcnt(0)
	s_and_b32 s33, s10, 0xffff
	s_bfe_u32 s2, s10, 0xb0005
	s_lshl_b32 s53, s33, 2
	s_cmpk_gt_u32 s36, 0xc00
	v_cvt_f32_u32_e32 v1, s53
	s_cselect_b32 s54, -1, 0
	s_cmp_gt_u32 s33, 31
	v_cvt_f32_u32_e32 v2, s33
	s_cselect_b32 s55, -1, 0
	v_rcp_iflag_f32_e32 v1, v1
	s_add_i32 s56, s33, -1
	v_mad_u64_u32 v[9:10], null, s34, v13, s[34:35]
	s_add_i32 s9, s56, s36
	s_cmp_lt_u32 s13, s4
	v_rcp_iflag_f32_e32 v2, v2
	s_cselect_b32 s4, 12, 18
	v_mov_b32_e32 v22, 0
	s_add_u32 s38, s6, s4
	s_waitcnt_depctr 0xfff
	v_mul_f32_e32 v1, 0x4f7ffffe, v1
	s_addc_u32 s39, s7, 0
	s_add_i32 s4, s2, -1
	s_bfe_u32 s57, s33, 0x30005
	s_cmp_gt_u32 s4, 6
	v_cvt_u32_f32_e32 v1, v1
	s_cselect_b32 s58, -1, 0
	s_and_b32 s59, s2, 0x7f8
	s_cmp_lg_u32 s57, 0
	v_mov_b32_e32 v24, 0
	v_readfirstlane_b32 s2, v1
	s_cselect_b32 s60, -1, 0
	s_sub_i32 s4, 0, s53
	v_mul_f32_e32 v1, 0x4f7ffffe, v2
	v_lshrrev_b32_e32 v2, 3, v0
	s_mul_i32 s4, s4, s2
	v_mov_b32_e32 v15, 0
	s_mul_hi_u32 s6, s2, s4
	v_cvt_u32_f32_e32 v1, v1
	v_and_b32_e32 v16, 0x7c, v2
	s_add_i32 s61, s2, s6
	v_mul_lo_u32 v18, s34, v3
	s_mul_hi_u32 s2, s36, s61
	v_cmp_gt_u32_e64 s4, s36, v0
	s_mul_i32 s2, s2, s53
	v_cmp_gt_u32_e64 s6, 2, v0
	s_sub_i32 s7, s36, s2
	v_cmp_eq_u32_e64 s2, 0, v12
	s_sub_i32 s8, s7, s53
	s_cmp_ge_u32 s7, s53
	v_mov_b32_e32 v23, 0
	s_cselect_b32 s7, s8, s7
	v_readfirstlane_b32 s8, v1
	s_sub_i32 s10, s7, s53
	s_cmp_ge_u32 s7, s53
	v_lshlrev_b64 v[1:2], v12, -1
	s_cselect_b32 s10, s10, s7
	s_sub_i32 s7, 0, s33
	s_sub_i32 s63, s36, s10
	s_mul_i32 s7, s7, s8
	v_add_nc_u32_e32 v17, s63, v0
	s_mul_hi_u32 s7, s8, s7
	v_not_b32_e32 v11, v1
	s_add_i32 s62, s8, s7
	v_add_co_u32 v5, s7, s30, v14
	s_delay_alu instid0(VALU_DEP_1)
	v_add_co_ci_u32_e64 v6, null, s31, 0, s7
	s_mul_hi_u32 s7, s9, s62
	v_add3_u32 v1, s33, s36, v0
	s_mul_i32 s7, s7, s33
	v_mul_lo_u32 v4, v17, s34
	s_sub_i32 s7, s9, s7
	v_or_b32_e32 v2, 2, v13
	s_sub_i32 s8, s7, s33
	s_cmp_ge_u32 s7, s33
	v_subrev_nc_u32_e32 v1, s10, v1
	s_cselect_b32 s8, s8, s7
	v_mul_lo_u32 v10, s34, v2
	s_sub_i32 s11, s8, s33
	s_cmp_ge_u32 s8, s33
	v_mul_lo_u32 v20, s34, v1
	s_cselect_b32 s11, s11, s8
	v_cmp_gt_u32_e64 s7, s63, v13
	s_sub_i32 s64, s9, s11
	v_add_co_u32 v7, s9, s30, v4
	v_cmp_gt_u32_e64 s8, s36, v17
	v_add_co_ci_u32_e64 v8, null, s31, 0, s9
	v_cmp_gt_u32_e64 s9, s64, v0
	s_mul_i32 s40, s34, s33
	s_mov_b32 s71, 6
	s_lshl_b32 s66, s40, 2
	s_mov_b32 s67, 0
                                        ; implicit-def: $sgpr65
                                        ; implicit-def: $sgpr70
                                        ; implicit-def: $sgpr69
                                        ; implicit-def: $sgpr72
                                        ; implicit-def: $sgpr68
                                        ; implicit-def: $sgpr73
                                        ; implicit-def: $sgpr75
                                        ; implicit-def: $sgpr74
                                        ; implicit-def: $sgpr76
                                        ; implicit-def: $sgpr77
	s_branch .LBB13_15
.LBB13_13:                              ;   in Loop: Header=BB13_15 Depth=1
	s_or_b32 exec_lo, exec_lo, s13
	v_dual_mov_b32 v23, v2 :: v_dual_mov_b32 v24, v1
	v_dual_mov_b32 v26, v4 :: v_dual_mov_b32 v25, v3
	s_and_not1_b32 s13, s77, exec_lo
	s_and_b32 s12, s12, exec_lo
	s_and_not1_b32 s76, s76, exec_lo
	s_or_b32 s77, s13, s12
	s_and_not1_b32 s74, s74, exec_lo
	s_and_not1_b32 s75, s75, exec_lo
	;; [unrolled: 1-line block ×3, first 2 shown]
	s_or_not1_b32 s12, s11, exec_lo
.LBB13_14:                              ;   in Loop: Header=BB13_15 Depth=1
	s_or_b32 exec_lo, exec_lo, s10
	s_delay_alu instid0(SALU_CYCLE_1) | instskip(NEXT) | instid1(SALU_CYCLE_1)
	s_and_b32 s10, exec_lo, s12
	s_or_b32 s50, s10, s50
	s_and_not1_b32 s10, s68, exec_lo
	s_and_b32 s11, s77, exec_lo
	s_and_not1_b32 s12, s72, exec_lo
	s_or_b32 s68, s10, s11
	s_and_b32 s10, s76, exec_lo
	s_and_not1_b32 s11, s69, exec_lo
	s_and_b32 s13, s74, exec_lo
	s_or_b32 s72, s12, s10
	s_or_b32 s69, s11, s13
	s_and_not1_b32 s10, s70, exec_lo
	s_and_b32 s11, s75, exec_lo
	s_and_not1_b32 s12, s65, exec_lo
	s_and_b32 s13, s73, exec_lo
	s_or_b32 s70, s10, s11
	s_or_b32 s65, s12, s13
	s_and_not1_b32 exec_lo, exec_lo, s50
	s_cbranch_execz .LBB13_396
.LBB13_15:                              ; =>This Loop Header: Depth=1
                                        ;     Child Loop BB13_20 Depth 2
                                        ;     Child Loop BB13_35 Depth 2
	;; [unrolled: 1-line block ×24, first 2 shown]
	ds_load_b64 v[1:2], v22 offset:4096
	s_waitcnt lgkmcnt(0)
	v_readfirstlane_b32 s78, v1
	s_delay_alu instid0(VALU_DEP_1)
	s_cmp_lg_u32 s78, 0
	s_cbranch_scc1 .LBB13_42
; %bb.16:                               ;   in Loop: Header=BB13_15 Depth=1
	s_and_b32 vcc_lo, exec_lo, s54
	s_cbranch_vccz .LBB13_28
; %bb.17:                               ;   in Loop: Header=BB13_15 Depth=1
	v_cmp_gt_u32_e32 vcc_lo, 0xc01, v2
	s_mov_b32 s78, 0
	s_mov_b32 s10, 0
	s_cbranch_vccz .LBB13_29
; %bb.18:                               ;   in Loop: Header=BB13_15 Depth=1
	global_load_u16 v1, v22, s[38:39]
	global_load_u8 v4, v[5:6], off
	v_mov_b32_e32 v27, v0
	s_mov_b32 s12, 0
	s_waitcnt vmcnt(1)
	v_add_nc_u32_e32 v2, v0, v1
	v_mul_lo_u32 v3, s34, v1
	s_delay_alu instid0(VALU_DEP_2)
	v_mul_lo_u32 v2, s34, v2
	s_branch .LBB13_20
.LBB13_19:                              ;   in Loop: Header=BB13_20 Depth=2
	s_or_b32 exec_lo, exec_lo, s11
	v_add_nc_u32_e32 v2, v2, v3
	v_mov_b32_e32 v4, v28
	s_and_not1_b32 exec_lo, exec_lo, s12
	s_cbranch_execz .LBB13_92
.LBB13_20:                              ;   Parent Loop BB13_15 Depth=1
                                        ; =>  This Inner Loop Header: Depth=2
	v_dual_mov_b32 v28, 0 :: v_dual_add_nc_u32 v27, v27, v1
	s_waitcnt lgkmcnt(0)
	v_mov_b32_e32 v29, 0
	s_mov_b32 s11, exec_lo
	s_delay_alu instid0(VALU_DEP_2)
	v_cmp_le_u32_e32 vcc_lo, s36, v27
	v_cmpx_gt_u32_e64 s36, v27
	s_cbranch_execz .LBB13_22
; %bb.21:                               ;   in Loop: Header=BB13_20 Depth=2
	global_load_u8 v28, v2, s[30:31]
.LBB13_22:                              ;   in Loop: Header=BB13_20 Depth=2
	s_or_b32 exec_lo, exec_lo, s11
	s_waitcnt vmcnt(0)
	v_and_b32_e32 v30, v4, v23
	s_delay_alu instid0(VALU_DEP_1) | instskip(NEXT) | instid1(VALU_DEP_1)
	v_and_b32_e32 v30, 0xff, v30
	v_cmp_eq_u32_e64 s10, v30, v24
	s_delay_alu instid0(VALU_DEP_1) | instskip(SKIP_1) | instid1(SALU_CYCLE_1)
	s_cmp_lg_u32 s10, 0
	s_cselect_b32 s11, -1, 0
	s_and_b32 s11, s2, s11
	s_delay_alu instid0(SALU_CYCLE_1)
	s_and_saveexec_b32 s13, s11
	s_cbranch_execz .LBB13_26
; %bb.23:                               ;   in Loop: Header=BB13_20 Depth=2
	s_mov_b32 s16, exec_lo
	s_bcnt1_i32_b32 s14, s10
	v_mbcnt_lo_u32_b32 v29, s16, 0
	s_mov_b32 s15, exec_lo
                                        ; implicit-def: $vgpr30
	s_delay_alu instid0(VALU_DEP_1)
	v_cmpx_eq_u32_e32 0, v29
	s_cbranch_execz .LBB13_25
; %bb.24:                               ;   in Loop: Header=BB13_20 Depth=2
	s_bcnt1_i32_b32 s11, s16
	s_delay_alu instid0(SALU_CYCLE_1) | instskip(NEXT) | instid1(SALU_CYCLE_1)
	s_mul_i32 s11, s14, s11
	v_mov_b32_e32 v30, s11
	ds_add_rtn_u32 v30, v22, v30 offset:4104
.LBB13_25:                              ;   in Loop: Header=BB13_20 Depth=2
	s_or_b32 exec_lo, exec_lo, s15
	s_waitcnt lgkmcnt(0)
	v_readfirstlane_b32 s11, v30
	s_delay_alu instid0(VALU_DEP_1)
	v_mad_u32_u24 v29, s14, v29, s11
.LBB13_26:                              ;   in Loop: Header=BB13_20 Depth=2
	s_or_b32 exec_lo, exec_lo, s13
	ds_bpermute_b32 v29, v22, v29
	s_and_b32 s11, exec_lo, vcc_lo
	s_delay_alu instid0(SALU_CYCLE_1)
	s_or_b32 s12, s11, s12
	s_and_saveexec_b32 s11, s10
	s_cbranch_execz .LBB13_19
; %bb.27:                               ;   in Loop: Header=BB13_20 Depth=2
	v_and_b32_e32 v30, s10, v11
	s_waitcnt lgkmcnt(0)
	s_delay_alu instid0(VALU_DEP_1)
	v_bcnt_u32_b32 v29, v30, v29
	ds_store_b8 v29, v4
	s_branch .LBB13_19
.LBB13_28:                              ;   in Loop: Header=BB13_15 Depth=1
	s_mov_b32 s78, -1
	s_mov_b32 s10, 0
.LBB13_29:                              ;   in Loop: Header=BB13_15 Depth=1
	s_and_b32 vcc_lo, exec_lo, s78
	s_cbranch_vccz .LBB13_40
.LBB13_30:                              ;   in Loop: Header=BB13_15 Depth=1
	v_mov_b32_e32 v1, 0
	s_and_saveexec_b32 s10, s4
	s_cbranch_execz .LBB13_32
; %bb.31:                               ;   in Loop: Header=BB13_15 Depth=1
	global_load_u8 v1, v[5:6], off
.LBB13_32:                              ;   in Loop: Header=BB13_15 Depth=1
	s_or_b32 exec_lo, exec_lo, s10
	s_and_saveexec_b32 s11, s4
	s_cbranch_execz .LBB13_37
; %bb.33:                               ;   in Loop: Header=BB13_15 Depth=1
	global_load_u16 v2, v22, s[38:39]
	v_mov_b32_e32 v27, v0
	s_mov_b32 s12, 0
	s_waitcnt vmcnt(0)
	v_add_nc_u32_e32 v3, v0, v2
	v_mul_lo_u32 v4, s34, v2
	s_delay_alu instid0(VALU_DEP_2)
	v_mul_lo_u32 v3, s34, v3
	s_branch .LBB13_35
	.p2align	6
.LBB13_34:                              ;   in Loop: Header=BB13_35 Depth=2
	s_or_b32 exec_lo, exec_lo, s13
	ds_store_b8 v27, v1
	v_add_nc_u32_e32 v3, v3, v4
	s_waitcnt vmcnt(0)
	v_mov_b32_e32 v1, v29
	v_mov_b32_e32 v27, v28
	s_and_b32 s10, exec_lo, vcc_lo
	s_delay_alu instid0(SALU_CYCLE_1) | instskip(NEXT) | instid1(SALU_CYCLE_1)
	s_or_b32 s12, s10, s12
	s_and_not1_b32 exec_lo, exec_lo, s12
	s_cbranch_execz .LBB13_37
.LBB13_35:                              ;   Parent Loop BB13_15 Depth=1
                                        ; =>  This Inner Loop Header: Depth=2
	v_dual_mov_b32 v29, 0 :: v_dual_add_nc_u32 v28, v27, v2
	s_mov_b32 s13, exec_lo
	s_delay_alu instid0(VALU_DEP_1)
	v_cmp_le_u32_e32 vcc_lo, s36, v28
	v_cmpx_gt_u32_e64 s36, v28
	s_cbranch_execz .LBB13_34
; %bb.36:                               ;   in Loop: Header=BB13_35 Depth=2
	global_load_u8 v29, v3, s[30:31]
	s_branch .LBB13_34
.LBB13_37:                              ;   in Loop: Header=BB13_15 Depth=1
	s_or_b32 exec_lo, exec_lo, s11
	s_waitcnt vmcnt(0) lgkmcnt(0)
	s_barrier
	buffer_gl0_inv
	s_and_saveexec_b32 s10, s5
	s_cbranch_execz .LBB13_39
; %bb.38:                               ;   in Loop: Header=BB13_15 Depth=1
	v_mov_b32_e32 v1, s36
	ds_store_b32 v22, v1 offset:4096
.LBB13_39:                              ;   in Loop: Header=BB13_15 Depth=1
	s_or_b32 exec_lo, exec_lo, s10
	s_mov_b32 s10, -1
	s_waitcnt lgkmcnt(0)
	s_barrier
                                        ; implicit-def: $sgpr78
.LBB13_40:                              ;   in Loop: Header=BB13_15 Depth=1
	s_and_b32 vcc_lo, exec_lo, s10
	s_cbranch_vccz .LBB13_42
; %bb.41:                               ;   in Loop: Header=BB13_15 Depth=1
	buffer_gl0_inv
	ds_load_b32 v1, v22 offset:4096
	s_waitcnt lgkmcnt(0)
	v_readfirstlane_b32 s78, v1
.LBB13_42:                              ;   in Loop: Header=BB13_15 Depth=1
	s_delay_alu instid0(VALU_DEP_1)
	s_cmp_lt_i32 s78, 1
	s_cbranch_scc0 .LBB13_46
; %bb.43:                               ;   in Loop: Header=BB13_15 Depth=1
	v_dual_mov_b32 v1, 0 :: v_dual_mov_b32 v2, 0
	v_dual_mov_b32 v3, 0 :: v_dual_mov_b32 v4, 0
	s_mov_b32 s80, 0
	s_and_saveexec_b32 s79, s7
	s_cbranch_execnz .LBB13_47
; %bb.44:                               ;   in Loop: Header=BB13_15 Depth=1
	s_or_b32 exec_lo, exec_lo, s79
	v_mov_b32_e32 v30, 0
	s_and_saveexec_b32 s10, s8
	s_cbranch_execnz .LBB13_50
.LBB13_45:                              ;   in Loop: Header=BB13_15 Depth=1
	s_or_b32 exec_lo, exec_lo, s10
	s_and_saveexec_b32 s14, s8
	s_cbranch_execnz .LBB13_51
	s_branch .LBB13_56
.LBB13_46:                              ;   in Loop: Header=BB13_15 Depth=1
                                        ; implicit-def: $vgpr4
	s_cbranch_execnz .LBB13_57
	s_branch .LBB13_66
.LBB13_47:                              ;   in Loop: Header=BB13_15 Depth=1
	v_mov_b32_e32 v27, v13
	s_and_b32 s81, s71, 0xfe
	s_mov_b32 s82, 0
	s_mov_b32 s83, 0
	;; [unrolled: 1-line block ×5, first 2 shown]
.LBB13_48:                              ;   Parent Loop BB13_15 Depth=1
                                        ; =>  This Inner Loop Header: Depth=2
	v_add_nc_u32_e32 v1, s82, v19
	v_add_nc_u32_e32 v2, s82, v9
	;; [unrolled: 1-line block ×5, first 2 shown]
	s_clause 0x3
	global_load_u8 v1, v1, s[30:31]
	global_load_u8 v2, v2, s[30:31]
	;; [unrolled: 1-line block ×4, first 2 shown]
	s_add_i32 s82, s82, s66
	v_cmp_le_u32_e32 vcc_lo, s63, v27
	s_waitcnt vmcnt(3)
	v_and_b32_e32 v28, v23, v1
	v_bfe_u32 v1, v1, s81, 2
	s_waitcnt vmcnt(2)
	v_and_b32_e32 v29, v23, v2
	v_bfe_u32 v2, v2, s81, 2
	;; [unrolled: 3-line block ×3, first 2 shown]
	v_cmp_eq_u32_e64 s10, v28, v24
	v_cmp_eq_u32_e64 s14, 0, v1
	s_waitcnt vmcnt(0)
	v_and_b32_e32 v31, v23, v4
	v_bfe_u32 v4, v4, s81, 2
	v_cmp_eq_u32_e64 s11, v29, v24
	v_cmp_eq_u32_e64 s15, 0, v2
	;; [unrolled: 1-line block ×4, first 2 shown]
	s_and_b32 s14, s10, s14
	v_cmp_eq_u32_e64 s13, v31, v24
	v_cmp_eq_u32_e64 s17, 0, v4
	;; [unrolled: 1-line block ×5, first 2 shown]
	v_cndmask_b32_e64 v1, 0, 1, s14
	s_and_b32 s14, s11, s15
	v_cmp_eq_u32_e64 s19, 1, v2
	v_cmp_eq_u32_e64 s23, 2, v2
	v_cmp_eq_u32_e64 s27, 3, v2
	v_cndmask_b32_e64 v2, 0, 1, s14
	s_and_b32 s14, s12, s16
	v_cmp_eq_u32_e64 s20, 1, v3
	v_cmp_eq_u32_e64 s24, 2, v3
	v_cmp_eq_u32_e64 s28, 3, v3
	;; [unrolled: 5-line block ×3, first 2 shown]
	v_cndmask_b32_e64 v4, 0, 1, s14
	s_and_b32 s14, s10, s18
	s_delay_alu instid0(SALU_CYCLE_1) | instskip(SKIP_1) | instid1(SALU_CYCLE_1)
	v_cndmask_b32_e64 v28, 0, 1, s14
	s_and_b32 s14, s11, s19
	v_cndmask_b32_e64 v29, 0, 1, s14
	s_and_b32 s14, s12, s20
	s_delay_alu instid0(SALU_CYCLE_1) | instskip(SKIP_1) | instid1(VALU_DEP_2)
	v_cndmask_b32_e64 v30, 0, 1, s14
	s_and_b32 s14, s13, s21
	v_cmp_ne_u32_e64 s15, 0, v29
	v_cndmask_b32_e64 v31, 0, 1, s14
	s_and_b32 s14, s10, s22
	s_and_b32 s10, s10, s26
	v_cndmask_b32_e64 v32, 0, 1, s14
	s_and_b32 s14, s11, s23
	v_cndmask_b32_e64 v36, 0, 1, s10
	;; [unrolled: 2-line block ×7, first 2 shown]
	v_cndmask_b32_e64 v39, 0, 1, s10
	v_cmp_ne_u32_e64 s10, 0, v1
	v_cmp_ne_u32_e64 s14, 0, v28
	;; [unrolled: 1-line block ×11, first 2 shown]
	s_bcnt1_i32_b32 s10, s10
	s_bcnt1_i32_b32 s14, s14
	;; [unrolled: 1-line block ×4, first 2 shown]
	v_cmp_ne_u32_e64 s13, 0, v4
	v_cmp_ne_u32_e64 s17, 0, v31
	;; [unrolled: 1-line block ×4, first 2 shown]
	s_bcnt1_i32_b32 s11, s11
	s_bcnt1_i32_b32 s15, s15
	s_bcnt1_i32_b32 s19, s19
	s_bcnt1_i32_b32 s23, s23
	s_add_i32 s10, s10, s86
	s_add_i32 s14, s14, s85
	s_add_i32 s18, s18, s84
	s_add_i32 s22, s22, s83
	s_bcnt1_i32_b32 s12, s12
	s_bcnt1_i32_b32 s16, s16
	s_bcnt1_i32_b32 s20, s20
	s_bcnt1_i32_b32 s24, s24
	s_add_i32 s10, s10, s11
	s_add_i32 s11, s14, s15
	s_add_i32 s14, s18, s19
	s_add_i32 s15, s22, s23
	;; [unrolled: 8-line block ×3, first 2 shown]
	s_add_i32 s86, s10, s13
	s_add_i32 s85, s11, s17
	;; [unrolled: 1-line block ×4, first 2 shown]
	v_mov_b32_e32 v3, s84
	v_dual_mov_b32 v1, s86 :: v_dual_mov_b32 v2, s85
	v_mov_b32_e32 v4, s83
	s_or_b32 s80, vcc_lo, s80
	s_delay_alu instid0(SALU_CYCLE_1)
	s_and_not1_b32 exec_lo, exec_lo, s80
	s_cbranch_execnz .LBB13_48
; %bb.49:                               ;   in Loop: Header=BB13_15 Depth=1
	s_or_b32 exec_lo, exec_lo, s80
	s_delay_alu instid0(SALU_CYCLE_1)
	s_or_b32 exec_lo, exec_lo, s79
	v_mov_b32_e32 v30, 0
	s_and_saveexec_b32 s10, s8
	s_cbranch_execz .LBB13_45
.LBB13_50:                              ;   in Loop: Header=BB13_15 Depth=1
	global_load_u8 v30, v[7:8], off
	s_or_b32 exec_lo, exec_lo, s10
	s_and_saveexec_b32 s14, s8
	s_cbranch_execz .LBB13_56
.LBB13_51:                              ;   in Loop: Header=BB13_15 Depth=1
	v_dual_mov_b32 v27, v20 :: v_dual_mov_b32 v28, v17
	s_and_b32 s16, s71, 0xfe
	s_mov_b32 s15, 0
	s_branch .LBB13_53
.LBB13_52:                              ;   in Loop: Header=BB13_53 Depth=2
	s_or_b32 exec_lo, exec_lo, s11
	s_waitcnt vmcnt(0)
	v_and_b32_e32 v30, 0xff, v30
	s_and_b32 s11, exec_lo, vcc_lo
	v_add_nc_u32_e32 v27, s40, v27
	s_or_b32 s15, s11, s15
	s_delay_alu instid0(VALU_DEP_2) | instskip(SKIP_1) | instid1(VALU_DEP_2)
	v_and_b32_e32 v31, v23, v30
	v_bfe_u32 v30, v30, s16, 2
	v_cmp_eq_u32_e32 vcc_lo, v31, v24
	s_delay_alu instid0(VALU_DEP_2) | instskip(SKIP_3) | instid1(VALU_DEP_4)
	v_cmp_eq_u32_e64 s10, 0, v30
	v_cmp_eq_u32_e64 s11, 1, v30
	;; [unrolled: 1-line block ×4, first 2 shown]
	s_and_b32 s10, vcc_lo, s10
	s_delay_alu instid0(SALU_CYCLE_1) | instskip(SKIP_1) | instid1(SALU_CYCLE_1)
	v_cndmask_b32_e64 v30, 0, 1, s10
	s_and_b32 s10, vcc_lo, s11
	v_cndmask_b32_e64 v31, 0, 1, s10
	s_and_b32 s10, vcc_lo, s12
	s_delay_alu instid0(SALU_CYCLE_1)
	v_cndmask_b32_e64 v32, 0, 1, s10
	s_and_b32 s10, vcc_lo, s13
	v_cmp_ne_u32_e32 vcc_lo, 0, v30
	v_mov_b32_e32 v30, v29
	v_cndmask_b32_e64 v33, 0, 1, s10
	v_cmp_ne_u32_e64 s10, 0, v31
	v_cmp_ne_u32_e64 s11, 0, v32
	s_bcnt1_i32_b32 s13, vcc_lo
	s_delay_alu instid0(VALU_DEP_3) | instskip(NEXT) | instid1(VALU_DEP_3)
	v_cmp_ne_u32_e64 s12, 0, v33
	s_bcnt1_i32_b32 s10, s10
	s_delay_alu instid0(VALU_DEP_2)
	s_bcnt1_i32_b32 s11, s11
	v_add_nc_u32_e32 v1, s13, v1
	v_add_nc_u32_e32 v2, s10, v2
	s_bcnt1_i32_b32 s12, s12
	v_add_nc_u32_e32 v3, s11, v3
	v_add_nc_u32_e32 v4, s12, v4
	s_and_not1_b32 exec_lo, exec_lo, s15
	s_cbranch_execz .LBB13_55
.LBB13_53:                              ;   Parent Loop BB13_15 Depth=1
                                        ; =>  This Inner Loop Header: Depth=2
	s_delay_alu instid0(VALU_DEP_1) | instskip(SKIP_1) | instid1(VALU_DEP_1)
	v_dual_mov_b32 v29, 0 :: v_dual_add_nc_u32 v28, s33, v28
	s_mov_b32 s11, exec_lo
	v_cmp_le_u32_e32 vcc_lo, s36, v28
	v_cmpx_gt_u32_e64 s36, v28
	s_cbranch_execz .LBB13_52
; %bb.54:                               ;   in Loop: Header=BB13_53 Depth=2
	global_load_u8 v29, v27, s[30:31]
	s_branch .LBB13_52
.LBB13_55:                              ;   in Loop: Header=BB13_15 Depth=1
	s_or_b32 exec_lo, exec_lo, s15
.LBB13_56:                              ;   in Loop: Header=BB13_15 Depth=1
	s_delay_alu instid0(SALU_CYCLE_1)
	s_or_b32 exec_lo, exec_lo, s14
	s_branch .LBB13_66
.LBB13_57:                              ;   in Loop: Header=BB13_15 Depth=1
	s_mul_hi_u32 s10, s78, s61
	v_dual_mov_b32 v1, 0 :: v_dual_mov_b32 v2, 0
	s_mul_i32 s10, s10, s53
	v_dual_mov_b32 v3, 0 :: v_dual_mov_b32 v4, 0
	s_sub_i32 s10, s78, s10
	s_mov_b32 s81, 0
	s_sub_i32 s11, s10, s53
	s_cmp_ge_u32 s10, s53
	s_mov_b32 s80, exec_lo
	s_cselect_b32 s10, s11, s10
	s_delay_alu instid0(SALU_CYCLE_1) | instskip(SKIP_2) | instid1(SALU_CYCLE_1)
	s_sub_i32 s11, s10, s53
	s_cmp_ge_u32 s10, s53
	s_cselect_b32 s10, s11, s10
	s_sub_i32 s79, s78, s10
	s_delay_alu instid0(SALU_CYCLE_1)
	v_cmpx_gt_u32_e64 s79, v13
	s_cbranch_execz .LBB13_61
; %bb.58:                               ;   in Loop: Header=BB13_15 Depth=1
	v_mov_b32_e32 v27, v13
	s_and_b32 s82, s71, 0xfe
	s_mov_b32 s83, 0
	s_mov_b32 s84, 0
	;; [unrolled: 1-line block ×4, first 2 shown]
.LBB13_59:                              ;   Parent Loop BB13_15 Depth=1
                                        ; =>  This Inner Loop Header: Depth=2
	ds_load_b32 v1, v27
	s_waitcnt lgkmcnt(0)
	v_and_b32_e32 v2, 0xff, v1
	v_bfe_u32 v3, v1, 8, 8
	v_bfe_u32 v4, v1, 16, 8
	v_lshrrev_b32_e32 v1, 24, v1
	s_delay_alu instid0(VALU_DEP_4)
	v_and_b32_e32 v28, v23, v2
	v_bfe_u32 v2, v2, s82, 2
	v_and_b32_e32 v29, v23, v3
	v_bfe_u32 v3, v3, s82, 2
	s_waitcnt vmcnt(0)
	v_and_b32_e32 v30, v23, v4
	v_bfe_u32 v4, v4, s82, 2
	v_cmp_eq_u32_e64 s10, v28, v24
	v_cmp_eq_u32_e64 s14, 0, v2
	v_and_b32_e32 v31, v23, v1
	v_bfe_u32 v1, v1, s82, 2
	v_cmp_eq_u32_e64 s11, v29, v24
	v_cmp_eq_u32_e64 s15, 0, v3
	;; [unrolled: 1-line block ×4, first 2 shown]
	s_and_b32 s14, s10, s14
	v_cmp_eq_u32_e64 s13, v31, v24
	v_cmp_eq_u32_e64 s17, 0, v1
	;; [unrolled: 1-line block ×5, first 2 shown]
	v_cndmask_b32_e64 v1, 0, 1, s14
	s_and_b32 s14, s11, s15
	v_cmp_eq_u32_e64 s18, 1, v2
	v_cmp_eq_u32_e64 s22, 2, v2
	v_cmp_eq_u32_e64 s26, 3, v2
	v_cndmask_b32_e64 v2, 0, 1, s14
	s_and_b32 s14, s12, s16
	v_cmp_eq_u32_e64 s19, 1, v3
	v_cmp_eq_u32_e64 s23, 2, v3
	v_cmp_eq_u32_e64 s27, 3, v3
	;; [unrolled: 5-line block ×3, first 2 shown]
	v_cndmask_b32_e64 v4, 0, 1, s14
	s_and_b32 s14, s10, s18
	s_delay_alu instid0(SALU_CYCLE_1) | instskip(SKIP_1) | instid1(SALU_CYCLE_1)
	v_cndmask_b32_e64 v28, 0, 1, s14
	s_and_b32 s14, s11, s19
	v_cndmask_b32_e64 v29, 0, 1, s14
	s_and_b32 s14, s12, s20
	s_delay_alu instid0(SALU_CYCLE_1) | instskip(SKIP_1) | instid1(VALU_DEP_2)
	v_cndmask_b32_e64 v30, 0, 1, s14
	s_and_b32 s14, s13, s21
	v_cmp_ne_u32_e64 s15, 0, v29
	v_cndmask_b32_e64 v31, 0, 1, s14
	s_and_b32 s14, s10, s22
	s_and_b32 s10, s10, s26
	v_cndmask_b32_e64 v32, 0, 1, s14
	s_and_b32 s14, s11, s23
	v_cndmask_b32_e64 v36, 0, 1, s10
	;; [unrolled: 2-line block ×7, first 2 shown]
	v_cndmask_b32_e64 v39, 0, 1, s10
	v_cmp_ne_u32_e64 s10, 0, v1
	v_cmp_ne_u32_e64 s14, 0, v28
	v_cmp_ne_u32_e64 s11, 0, v2
	v_cmp_ne_u32_e64 s16, 0, v30
	v_cmp_ne_u32_e64 s18, 0, v32
	v_cmp_ne_u32_e64 s22, 0, v36
	s_bcnt1_i32_b32 s10, s10
	s_bcnt1_i32_b32 s14, s14
	v_cmp_ne_u32_e64 s17, 0, v31
	v_cmp_ne_u32_e64 s19, 0, v33
	;; [unrolled: 1-line block ×3, first 2 shown]
	s_bcnt1_i32_b32 s11, s11
	s_bcnt1_i32_b32 s15, s15
	s_add_i32 s10, s10, s86
	s_add_i32 s14, s14, s85
	v_cmp_ne_u32_e64 s12, 0, v3
	v_cmp_ne_u32_e64 s20, 0, v34
	;; [unrolled: 1-line block ×3, first 2 shown]
	s_bcnt1_i32_b32 s16, s16
	s_add_i32 s10, s10, s11
	s_add_i32 s11, s14, s15
	s_bcnt1_i32_b32 s18, s18
	s_bcnt1_i32_b32 s22, s22
	v_cmp_ne_u32_e64 s13, 0, v4
	v_cmp_ne_u32_e64 s21, 0, v35
	;; [unrolled: 1-line block ×3, first 2 shown]
	s_bcnt1_i32_b32 s17, s17
	s_add_i32 s11, s11, s16
	s_bcnt1_i32_b32 s19, s19
	s_bcnt1_i32_b32 s23, s23
	s_add_i32 s18, s18, s84
	s_add_i32 s22, s22, s83
	;; [unrolled: 1-line block ×3, first 2 shown]
	s_delay_alu instid0(SALU_CYCLE_1)
	v_dual_mov_b32 v2, s85 :: v_dual_add_nc_u32 v27, s53, v27
	s_bcnt1_i32_b32 s12, s12
	s_bcnt1_i32_b32 s20, s20
	;; [unrolled: 1-line block ×3, first 2 shown]
	s_add_i32 s14, s18, s19
	s_add_i32 s15, s22, s23
	s_bcnt1_i32_b32 s13, s13
	s_bcnt1_i32_b32 s21, s21
	;; [unrolled: 1-line block ×3, first 2 shown]
	s_add_i32 s10, s10, s12
	s_add_i32 s12, s14, s20
	;; [unrolled: 1-line block ×3, first 2 shown]
	v_cmp_le_u32_e32 vcc_lo, s79, v27
	s_add_i32 s86, s10, s13
	s_add_i32 s84, s12, s21
	;; [unrolled: 1-line block ×3, first 2 shown]
	v_mov_b32_e32 v1, s86
	v_dual_mov_b32 v3, s84 :: v_dual_mov_b32 v4, s83
	s_or_b32 s81, vcc_lo, s81
	s_delay_alu instid0(SALU_CYCLE_1)
	s_and_not1_b32 exec_lo, exec_lo, s81
	s_cbranch_execnz .LBB13_59
; %bb.60:                               ;   in Loop: Header=BB13_15 Depth=1
	s_or_b32 exec_lo, exec_lo, s81
.LBB13_61:                              ;   in Loop: Header=BB13_15 Depth=1
	s_delay_alu instid0(SALU_CYCLE_1) | instskip(SKIP_2) | instid1(VALU_DEP_1)
	s_or_b32 exec_lo, exec_lo, s80
	v_add_nc_u32_e32 v27, s79, v0
	s_mov_b32 s15, exec_lo
	v_cmpx_gt_u32_e64 s78, v27
	s_cbranch_execz .LBB13_65
; %bb.62:                               ;   in Loop: Header=BB13_15 Depth=1
	s_and_b32 s17, s71, 0xfe
	s_mov_b32 s16, 0
	s_set_inst_prefetch_distance 0x1
	.p2align	6
.LBB13_63:                              ;   Parent Loop BB13_15 Depth=1
                                        ; =>  This Inner Loop Header: Depth=2
	ds_load_u8 v28, v27
	v_add_nc_u32_e32 v27, s33, v27
	s_delay_alu instid0(VALU_DEP_1) | instskip(SKIP_3) | instid1(VALU_DEP_2)
	v_cmp_le_u32_e32 vcc_lo, s78, v27
	s_waitcnt lgkmcnt(0)
	v_and_b32_e32 v29, v23, v28
	v_bfe_u32 v28, v28, s17, 2
	v_cmp_eq_u32_e64 s10, v29, v24
	s_delay_alu instid0(VALU_DEP_2) | instskip(SKIP_3) | instid1(VALU_DEP_4)
	v_cmp_eq_u32_e64 s11, 0, v28
	v_cmp_eq_u32_e64 s12, 1, v28
	v_cmp_eq_u32_e64 s13, 2, v28
	v_cmp_eq_u32_e64 s14, 3, v28
	s_and_b32 s11, s10, s11
	s_delay_alu instid0(SALU_CYCLE_1) | instskip(SKIP_1) | instid1(SALU_CYCLE_1)
	v_cndmask_b32_e64 v28, 0, 1, s11
	s_and_b32 s11, s10, s12
	v_cndmask_b32_e64 v29, 0, 1, s11
	s_and_b32 s11, s10, s13
	s_and_b32 s10, s10, s14
	s_waitcnt vmcnt(0)
	v_cndmask_b32_e64 v30, 0, 1, s11
	v_cndmask_b32_e64 v31, 0, 1, s10
	v_cmp_ne_u32_e64 s10, 0, v28
	v_cmp_ne_u32_e64 s11, 0, v29
	s_delay_alu instid0(VALU_DEP_4) | instskip(NEXT) | instid1(VALU_DEP_4)
	v_cmp_ne_u32_e64 s12, 0, v30
	v_cmp_ne_u32_e64 s13, 0, v31
	s_delay_alu instid0(VALU_DEP_4) | instskip(NEXT) | instid1(VALU_DEP_3)
	s_bcnt1_i32_b32 s10, s10
	s_bcnt1_i32_b32 s11, s11
	v_add_nc_u32_e32 v1, s10, v1
	s_bcnt1_i32_b32 s12, s12
	s_bcnt1_i32_b32 s13, s13
	v_add_nc_u32_e32 v2, s11, v2
	v_add_nc_u32_e32 v3, s12, v3
	;; [unrolled: 1-line block ×3, first 2 shown]
	s_or_b32 s16, vcc_lo, s16
	s_delay_alu instid0(SALU_CYCLE_1)
	s_and_not1_b32 exec_lo, exec_lo, s16
	s_cbranch_execnz .LBB13_63
; %bb.64:                               ;   in Loop: Header=BB13_15 Depth=1
	s_set_inst_prefetch_distance 0x2
	s_or_b32 exec_lo, exec_lo, s16
.LBB13_65:                              ;   in Loop: Header=BB13_15 Depth=1
	s_delay_alu instid0(SALU_CYCLE_1)
	s_or_b32 exec_lo, exec_lo, s15
.LBB13_66:                              ;   in Loop: Header=BB13_15 Depth=1
	s_lshl_b32 s10, s67, 7
	s_and_saveexec_b32 s11, s2
	s_cbranch_execz .LBB13_68
; %bb.67:                               ;   in Loop: Header=BB13_15 Depth=1
	v_or_b32_e32 v27, s10, v16
	s_delay_alu instid0(VALU_DEP_1)
	v_lshlrev_b32_e32 v27, 2, v27
	ds_store_b128 v27, v[1:4] offset:3072
.LBB13_68:                              ;   in Loop: Header=BB13_15 Depth=1
	s_or_b32 exec_lo, exec_lo, s11
	s_waitcnt vmcnt(0) lgkmcnt(0)
	s_barrier
	buffer_gl0_inv
	s_and_saveexec_b32 s11, s52
	s_cbranch_execz .LBB13_78
; %bb.69:                               ;   in Loop: Header=BB13_15 Depth=1
	v_mov_b32_e32 v1, 0
	s_and_not1_b32 vcc_lo, exec_lo, s55
	s_cbranch_vccnz .LBB13_77
; %bb.70:                               ;   in Loop: Header=BB13_15 Depth=1
	v_mov_b32_e32 v1, 0
	s_and_not1_b32 vcc_lo, exec_lo, s58
	s_mov_b32 s12, 0
	s_cbranch_vccnz .LBB13_74
; %bb.71:                               ;   in Loop: Header=BB13_15 Depth=1
	v_lshl_add_u32 v2, s67, 9, v21
	v_mov_b32_e32 v1, 0
	.p2align	6
.LBB13_72:                              ;   Parent Loop BB13_15 Depth=1
                                        ; =>  This Inner Loop Header: Depth=2
	ds_load_2addr_b32 v[3:4], v2 offset1:4
	ds_load_2addr_b32 v[27:28], v2 offset0:8 offset1:12
	ds_load_2addr_b32 v[29:30], v2 offset0:16 offset1:20
	;; [unrolled: 1-line block ×3, first 2 shown]
	v_add_nc_u32_e32 v2, 0x80, v2
	s_add_i32 s12, s12, 8
	s_delay_alu instid0(SALU_CYCLE_1) | instskip(SKIP_3) | instid1(VALU_DEP_1)
	s_cmp_eq_u32 s59, s12
	s_waitcnt lgkmcnt(3)
	v_add3_u32 v1, v3, v1, v4
	s_waitcnt lgkmcnt(2)
	v_add3_u32 v1, v27, v1, v28
	s_waitcnt lgkmcnt(1)
	s_delay_alu instid0(VALU_DEP_1) | instskip(SKIP_1) | instid1(VALU_DEP_1)
	v_add3_u32 v1, v29, v1, v30
	s_waitcnt lgkmcnt(0)
	v_add3_u32 v1, v31, v1, v32
	s_cbranch_scc0 .LBB13_72
; %bb.73:                               ;   in Loop: Header=BB13_15 Depth=1
	s_mov_b32 s12, s59
.LBB13_74:                              ;   in Loop: Header=BB13_15 Depth=1
	s_and_not1_b32 vcc_lo, exec_lo, s60
	s_cbranch_vccnz .LBB13_77
; %bb.75:                               ;   in Loop: Header=BB13_15 Depth=1
	s_lshl_b32 s13, s67, 9
	s_lshl_b32 s12, s12, 4
	s_delay_alu instid0(SALU_CYCLE_1)
	v_add3_u32 v2, s13, s12, v21
	s_mov_b32 s12, s57
.LBB13_76:                              ;   Parent Loop BB13_15 Depth=1
                                        ; =>  This Inner Loop Header: Depth=2
	ds_load_b32 v3, v2
	v_add_nc_u32_e32 v2, 16, v2
	s_add_i32 s12, s12, -1
	s_delay_alu instid0(SALU_CYCLE_1)
	s_cmp_lg_u32 s12, 0
	s_waitcnt lgkmcnt(0)
	v_add_nc_u32_e32 v1, v3, v1
	s_cbranch_scc1 .LBB13_76
.LBB13_77:                              ;   in Loop: Header=BB13_15 Depth=1
	v_add_lshl_u32 v2, s10, v12, 2
	ds_store_b32 v2, v1 offset:3072
.LBB13_78:                              ;   in Loop: Header=BB13_15 Depth=1
	s_or_b32 exec_lo, exec_lo, s11
	s_lshl_b32 s10, s10, 2
	s_waitcnt lgkmcnt(0)
	v_mov_b32_e32 v1, s10
	s_barrier
	buffer_gl0_inv
	s_and_b32 s17, s71, 0xfe
	v_cmp_eq_u32_e64 s10, 1, v26
	ds_load_b128 v[1:4], v1 offset:3072
	s_lshl_b32 s13, 3, s17
	s_and_not1_b32 vcc_lo, exec_lo, s51
	s_not_b32 s14, s13
	s_waitcnt lgkmcnt(0)
	v_readfirstlane_b32 s12, v1
	v_readfirstlane_b32 s16, v2
	;; [unrolled: 1-line block ×4, first 2 shown]
	s_cbranch_vccnz .LBB13_90
; %bb.79:                               ;   in Loop: Header=BB13_15 Depth=1
	s_cmp_eq_u32 s12, 1
	v_dual_mov_b32 v1, v24 :: v_dual_mov_b32 v2, v23
	v_mov_b32_e32 v3, v25
	s_cselect_b32 s11, -1, 0
	s_mov_b32 s26, -1
	s_and_b32 s25, s11, s10
                                        ; implicit-def: $sgpr15
                                        ; implicit-def: $sgpr22
                                        ; implicit-def: $sgpr21
	s_delay_alu instid0(SALU_CYCLE_1)
	s_and_saveexec_b32 s20, s25
	s_cbranch_execz .LBB13_108
; %bb.80:                               ;   in Loop: Header=BB13_15 Depth=1
	ds_load_b32 v1, v22 offset:4096
	s_waitcnt lgkmcnt(0)
	s_barrier
	buffer_gl0_inv
	v_readfirstlane_b32 s15, v1
	s_and_saveexec_b32 s11, s6
	s_cbranch_execz .LBB13_82
; %bb.81:                               ;   in Loop: Header=BB13_15 Depth=1
	ds_store_b8 v0, v15 offset:3072
.LBB13_82:                              ;   in Loop: Header=BB13_15 Depth=1
	s_or_b32 exec_lo, exec_lo, s11
	v_and_b32_e32 v1, s14, v24
	v_or_b32_e32 v2, s13, v23
	s_cmp_eq_u32 s15, 0
	s_waitcnt lgkmcnt(0)
	s_barrier
	buffer_gl0_inv
	s_cbranch_scc1 .LBB13_95
; %bb.83:                               ;   in Loop: Header=BB13_15 Depth=1
	s_add_i32 s11, s15, s56
                                        ; implicit-def: $vgpr3
	s_delay_alu instid0(SALU_CYCLE_1) | instskip(NEXT) | instid1(SALU_CYCLE_1)
	s_mul_hi_u32 s21, s11, s62
	s_mul_i32 s21, s21, s33
	s_delay_alu instid0(SALU_CYCLE_1) | instskip(NEXT) | instid1(SALU_CYCLE_1)
	s_sub_i32 s21, s11, s21
	s_sub_i32 s22, s21, s33
	s_cmp_ge_u32 s21, s33
	s_cselect_b32 s21, s22, s21
	s_delay_alu instid0(SALU_CYCLE_1) | instskip(SKIP_2) | instid1(SALU_CYCLE_1)
	s_sub_i32 s22, s21, s33
	s_cmp_ge_u32 s21, s33
	s_cselect_b32 s21, s22, s21
	s_sub_i32 s22, s11, s21
	s_mov_b32 s11, 0
	s_mov_b32 s21, exec_lo
	v_cmpx_gt_u32_e64 s22, v0
	s_cbranch_execz .LBB13_97
; %bb.84:                               ;   in Loop: Header=BB13_15 Depth=1
	v_mov_b32_e32 v3, v0
	s_mov_b32 s23, 0
                                        ; implicit-def: $sgpr24
	s_set_inst_prefetch_distance 0x1
	s_branch .LBB13_86
	.p2align	6
.LBB13_85:                              ;   in Loop: Header=BB13_86 Depth=2
	s_or_b32 exec_lo, exec_lo, s11
	s_waitcnt lgkmcnt(0)
	s_barrier
	buffer_gl0_inv
	ds_load_u16 v4, v22 offset:3072
	v_add_nc_u32_e32 v3, s33, v3
	s_waitcnt lgkmcnt(0)
	s_barrier
	buffer_gl0_inv
	v_cmp_le_u32_e32 vcc_lo, s22, v3
	v_and_b32_e32 v27, 0xff, v4
	s_delay_alu instid0(VALU_DEP_1) | instskip(NEXT) | instid1(VALU_DEP_1)
	v_cmp_ne_u16_e64 s11, 0, v27
	s_or_b32 s26, vcc_lo, s11
	s_delay_alu instid0(SALU_CYCLE_1) | instskip(NEXT) | instid1(SALU_CYCLE_1)
	s_and_b32 s26, exec_lo, s26
	s_or_b32 s23, s26, s23
	s_and_not1_b32 s24, s24, exec_lo
	s_and_b32 s11, s11, exec_lo
	s_delay_alu instid0(SALU_CYCLE_1)
	s_or_b32 s24, s24, s11
	s_and_not1_b32 exec_lo, exec_lo, s23
	s_cbranch_execz .LBB13_96
.LBB13_86:                              ;   Parent Loop BB13_15 Depth=1
                                        ; =>  This Inner Loop Header: Depth=2
	s_delay_alu instid0(VALU_DEP_1)
	v_cmp_gt_u32_e32 vcc_lo, s15, v3
	v_mov_b32_e32 v4, 0
	s_and_saveexec_b32 s11, vcc_lo
	s_cbranch_execz .LBB13_88
; %bb.87:                               ;   in Loop: Header=BB13_86 Depth=2
	ds_load_u8 v4, v3
.LBB13_88:                              ;   in Loop: Header=BB13_86 Depth=2
	s_or_b32 exec_lo, exec_lo, s11
	s_waitcnt lgkmcnt(0)
	v_and_b32_e32 v27, v4, v2
	s_delay_alu instid0(VALU_DEP_1) | instskip(NEXT) | instid1(VALU_DEP_1)
	v_and_b32_e32 v27, 0xff, v27
	v_cmp_eq_u32_e64 s11, v27, v1
	s_delay_alu instid0(VALU_DEP_1) | instskip(NEXT) | instid1(SALU_CYCLE_1)
	s_and_b32 s26, vcc_lo, s11
	s_and_saveexec_b32 s11, s26
	s_cbranch_execz .LBB13_85
; %bb.89:                               ;   in Loop: Header=BB13_86 Depth=2
	v_lshlrev_b16 v4, 8, v4
	s_delay_alu instid0(VALU_DEP_1)
	v_or_b32_e32 v4, 1, v4
	ds_store_b16 v22, v4 offset:3072
	s_branch .LBB13_85
.LBB13_90:                              ;   in Loop: Header=BB13_15 Depth=1
	s_mov_b32 s20, 0
	s_mov_b32 s11, 0
                                        ; implicit-def: $sgpr21
                                        ; implicit-def: $sgpr22
                                        ; implicit-def: $sgpr15
                                        ; implicit-def: $vgpr27
                                        ; implicit-def: $vgpr4
                                        ; implicit-def: $vgpr1
                                        ; implicit-def: $vgpr2
                                        ; implicit-def: $vgpr3
	s_cbranch_execnz .LBB13_238
.LBB13_91:                              ;   in Loop: Header=BB13_15 Depth=1
	s_mov_b32 s23, s15
	s_mov_b32 s24, s15
	s_and_saveexec_b32 s10, s20
	s_cbranch_execnz .LBB13_392
	s_branch .LBB13_393
.LBB13_92:                              ;   in Loop: Header=BB13_15 Depth=1
	s_or_b32 exec_lo, exec_lo, s12
	s_waitcnt lgkmcnt(0)
	s_barrier
	buffer_gl0_inv
	s_and_saveexec_b32 s10, s5
	s_cbranch_execz .LBB13_94
; %bb.93:                               ;   in Loop: Header=BB13_15 Depth=1
	ds_load_b32 v1, v22 offset:4104
	s_waitcnt lgkmcnt(0)
	ds_store_b32 v22, v1 offset:4096
.LBB13_94:                              ;   in Loop: Header=BB13_15 Depth=1
	s_or_b32 exec_lo, exec_lo, s10
	s_waitcnt lgkmcnt(0)
	s_mov_b32 s10, -1
	s_barrier
	s_and_b32 vcc_lo, exec_lo, s78
	s_cbranch_vccnz .LBB13_30
	s_branch .LBB13_40
.LBB13_95:                              ;   in Loop: Header=BB13_15 Depth=1
	s_mov_b32 s15, -1
	s_mov_b32 s11, 0
                                        ; implicit-def: $sgpr21
                                        ; implicit-def: $vgpr3
	s_mov_b32 s22, s15
	s_cbranch_execnz .LBB13_98
	s_branch .LBB13_107
.LBB13_96:                              ;   in Loop: Header=BB13_15 Depth=1
	s_set_inst_prefetch_distance 0x2
	s_or_b32 exec_lo, exec_lo, s23
	v_lshrrev_b16 v3, 8, v4
	s_and_b32 s11, s24, exec_lo
.LBB13_97:                              ;   in Loop: Header=BB13_15 Depth=1
	s_or_b32 exec_lo, exec_lo, s21
	s_mov_b32 s21, -1
	s_mov_b32 s15, 0
	s_delay_alu instid0(SALU_CYCLE_1)
	s_mov_b32 s22, s15
	s_branch .LBB13_107
.LBB13_98:                              ;   in Loop: Header=BB13_15 Depth=1
	s_mov_b32 s11, 0
                                        ; implicit-def: $vgpr3
	s_and_saveexec_b32 s15, s9
	s_cbranch_execz .LBB13_106
; %bb.99:                               ;   in Loop: Header=BB13_15 Depth=1
	v_dual_mov_b32 v3, v14 :: v_dual_mov_b32 v4, v0
	s_mov_b32 s21, 0
                                        ; implicit-def: $sgpr22
	s_set_inst_prefetch_distance 0x1
	s_branch .LBB13_101
	.p2align	6
.LBB13_100:                             ;   in Loop: Header=BB13_101 Depth=2
	s_or_b32 exec_lo, exec_lo, s11
	s_waitcnt lgkmcnt(0)
	s_barrier
	buffer_gl0_inv
	ds_load_u16 v27, v22 offset:3072
	v_add_nc_u32_e32 v4, s33, v4
	v_add_nc_u32_e32 v3, s40, v3
	s_waitcnt lgkmcnt(0)
	s_barrier
	buffer_gl0_inv
	v_cmp_le_u32_e32 vcc_lo, s64, v4
	v_and_b32_e32 v28, 0xff, v27
	s_delay_alu instid0(VALU_DEP_1) | instskip(NEXT) | instid1(VALU_DEP_1)
	v_cmp_ne_u16_e64 s11, 0, v28
	s_or_b32 s23, vcc_lo, s11
	s_delay_alu instid0(SALU_CYCLE_1) | instskip(NEXT) | instid1(SALU_CYCLE_1)
	s_and_b32 s23, exec_lo, s23
	s_or_b32 s21, s23, s21
	s_and_not1_b32 s22, s22, exec_lo
	s_and_b32 s11, s11, exec_lo
	s_delay_alu instid0(SALU_CYCLE_1)
	s_or_b32 s22, s22, s11
	s_and_not1_b32 exec_lo, exec_lo, s21
	s_cbranch_execz .LBB13_105
.LBB13_101:                             ;   Parent Loop BB13_15 Depth=1
                                        ; =>  This Inner Loop Header: Depth=2
	s_delay_alu instid0(VALU_DEP_1)
	v_cmp_gt_u32_e32 vcc_lo, s36, v4
	v_mov_b32_e32 v27, 0
	s_and_saveexec_b32 s11, vcc_lo
	s_cbranch_execz .LBB13_103
; %bb.102:                              ;   in Loop: Header=BB13_101 Depth=2
	global_load_u8 v27, v3, s[30:31]
.LBB13_103:                             ;   in Loop: Header=BB13_101 Depth=2
	s_or_b32 exec_lo, exec_lo, s11
	s_waitcnt vmcnt(0)
	v_and_b32_e32 v28, v27, v2
	s_delay_alu instid0(VALU_DEP_1) | instskip(NEXT) | instid1(VALU_DEP_1)
	v_and_b32_e32 v28, 0xff, v28
	v_cmp_eq_u32_e64 s11, v28, v1
	s_delay_alu instid0(VALU_DEP_1) | instskip(NEXT) | instid1(SALU_CYCLE_1)
	s_and_b32 s23, vcc_lo, s11
	s_and_saveexec_b32 s11, s23
	s_cbranch_execz .LBB13_100
; %bb.104:                              ;   in Loop: Header=BB13_101 Depth=2
	v_lshlrev_b16 v27, 8, v27
	s_delay_alu instid0(VALU_DEP_1)
	v_or_b32_e32 v27, 1, v27
	ds_store_b16 v22, v27 offset:3072
	s_branch .LBB13_100
.LBB13_105:                             ;   in Loop: Header=BB13_15 Depth=1
	s_set_inst_prefetch_distance 0x2
	s_or_b32 exec_lo, exec_lo, s21
	v_lshrrev_b16 v3, 8, v27
	s_and_b32 s11, s22, exec_lo
.LBB13_106:                             ;   in Loop: Header=BB13_15 Depth=1
	s_or_b32 exec_lo, exec_lo, s15
	s_mov_b32 s22, -1
	s_mov_b32 s15, 0
	s_mov_b32 s21, 0
.LBB13_107:                             ;   in Loop: Header=BB13_15 Depth=1
	s_or_not1_b32 s26, s11, exec_lo
.LBB13_108:                             ;   in Loop: Header=BB13_15 Depth=1
	s_or_b32 exec_lo, exec_lo, s20
	s_mov_b32 s23, 0
	s_mov_b32 s20, 0
	;; [unrolled: 1-line block ×3, first 2 shown]
                                        ; implicit-def: $vgpr27
                                        ; implicit-def: $vgpr4
	s_and_saveexec_b32 s24, s26
	s_cbranch_execz .LBB13_237
; %bb.109:                              ;   in Loop: Header=BB13_15 Depth=1
	v_dual_mov_b32 v4, 1 :: v_dual_mov_b32 v27, 1
	s_xor_b32 s25, s25, -1
	s_delay_alu instid0(SALU_CYCLE_1)
	s_and_saveexec_b32 s11, s25
	s_cbranch_execz .LBB13_119
; %bb.110:                              ;   in Loop: Header=BB13_15 Depth=1
	s_mov_b32 s25, exec_lo
                                        ; implicit-def: $sgpr26
                                        ; implicit-def: $sgpr20
	v_cmpx_ge_u32_e64 s12, v26
	s_xor_b32 s25, exec_lo, s25
	s_cbranch_execz .LBB13_116
; %bb.111:                              ;   in Loop: Header=BB13_15 Depth=1
	ds_load_b32 v4, v22 offset:4096
	s_waitcnt lgkmcnt(0)
	v_cmp_ne_u32_e32 vcc_lo, 0, v4
	s_cbranch_vccnz .LBB13_115
; %bb.112:                              ;   in Loop: Header=BB13_15 Depth=1
	s_and_saveexec_b32 s20, s5
	s_cbranch_execz .LBB13_114
; %bb.113:                              ;   in Loop: Header=BB13_15 Depth=1
	v_mov_b32_e32 v4, s12
	ds_store_b32 v22, v4 offset:4100
.LBB13_114:                             ;   in Loop: Header=BB13_15 Depth=1
	s_or_b32 exec_lo, exec_lo, s20
	s_waitcnt lgkmcnt(0)
	s_barrier
	buffer_gl0_inv
.LBB13_115:                             ;   in Loop: Header=BB13_15 Depth=1
	v_and_b32_e32 v1, s14, v1
	v_or_b32_e32 v2, s13, v2
	s_mov_b32 s20, 0
	s_mov_b32 s26, 8
.LBB13_116:                             ;   in Loop: Header=BB13_15 Depth=1
	s_or_saveexec_b32 s25, s25
	v_dual_mov_b32 v27, s26 :: v_dual_mov_b32 v4, v26
	s_xor_b32 exec_lo, exec_lo, s25
; %bb.117:                              ;   in Loop: Header=BB13_15 Depth=1
	v_subrev_nc_u32_e32 v4, s12, v26
	v_mov_b32_e32 v27, 0
	s_or_b32 s20, s20, exec_lo
; %bb.118:                              ;   in Loop: Header=BB13_15 Depth=1
	s_or_b32 exec_lo, exec_lo, s25
	s_delay_alu instid0(SALU_CYCLE_1)
	s_and_b32 s20, s20, exec_lo
.LBB13_119:                             ;   in Loop: Header=BB13_15 Depth=1
	s_or_b32 exec_lo, exec_lo, s11
	s_mov_b32 s11, -1
                                        ; implicit-def: $sgpr25
                                        ; implicit-def: $sgpr27
                                        ; implicit-def: $sgpr28
	s_and_saveexec_b32 s26, s20
	s_delay_alu instid0(SALU_CYCLE_1)
	s_xor_b32 s20, exec_lo, s26
	s_cbranch_execz .LBB13_234
; %bb.120:                              ;   in Loop: Header=BB13_15 Depth=1
	v_cmp_eq_u32_e32 vcc_lo, 1, v4
	s_cmp_eq_u32 s16, 1
                                        ; implicit-def: $sgpr25
                                        ; implicit-def: $sgpr27
                                        ; implicit-def: $sgpr26
	s_cselect_b32 s11, -1, 0
	s_delay_alu instid0(SALU_CYCLE_1)
	s_and_b32 s29, s11, vcc_lo
	s_mov_b32 s11, -1
	s_and_saveexec_b32 s28, s29
	s_cbranch_execz .LBB13_144
; %bb.121:                              ;   in Loop: Header=BB13_15 Depth=1
	ds_load_b32 v3, v22 offset:4096
	s_waitcnt lgkmcnt(0)
	s_barrier
	buffer_gl0_inv
	v_readfirstlane_b32 s25, v3
	s_and_saveexec_b32 s11, s6
	s_cbranch_execz .LBB13_123
; %bb.122:                              ;   in Loop: Header=BB13_15 Depth=1
	ds_store_b8 v0, v15 offset:3072
.LBB13_123:                             ;   in Loop: Header=BB13_15 Depth=1
	s_or_b32 exec_lo, exec_lo, s11
	s_lshl_b32 s11, 1, s17
	v_or_b32_e32 v2, s13, v2
	v_and_or_b32 v1, v1, s14, s11
	s_cmp_eq_u32 s25, 0
	s_waitcnt lgkmcnt(0)
	s_barrier
	buffer_gl0_inv
	s_cbranch_scc1 .LBB13_131
; %bb.124:                              ;   in Loop: Header=BB13_15 Depth=1
	s_add_i32 s11, s25, s56
                                        ; implicit-def: $vgpr3
	s_delay_alu instid0(SALU_CYCLE_1) | instskip(NEXT) | instid1(SALU_CYCLE_1)
	s_mul_hi_u32 s26, s11, s62
	s_mul_i32 s26, s26, s33
	s_delay_alu instid0(SALU_CYCLE_1) | instskip(NEXT) | instid1(SALU_CYCLE_1)
	s_sub_i32 s26, s11, s26
	s_sub_i32 s27, s26, s33
	s_cmp_ge_u32 s26, s33
	s_cselect_b32 s26, s27, s26
	s_delay_alu instid0(SALU_CYCLE_1) | instskip(SKIP_2) | instid1(SALU_CYCLE_1)
	s_sub_i32 s27, s26, s33
	s_cmp_ge_u32 s26, s33
	s_cselect_b32 s26, s27, s26
	s_sub_i32 s27, s11, s26
	s_mov_b32 s11, 0
	s_mov_b32 s26, exec_lo
	v_cmpx_gt_u32_e64 s27, v0
	s_cbranch_execz .LBB13_133
; %bb.125:                              ;   in Loop: Header=BB13_15 Depth=1
	v_mov_b32_e32 v3, v0
	s_mov_b32 s78, 0
                                        ; implicit-def: $sgpr79
	s_set_inst_prefetch_distance 0x1
	s_branch .LBB13_127
	.p2align	6
.LBB13_126:                             ;   in Loop: Header=BB13_127 Depth=2
	s_or_b32 exec_lo, exec_lo, s11
	s_waitcnt lgkmcnt(0)
	s_barrier
	buffer_gl0_inv
	ds_load_u16 v27, v22 offset:3072
	v_add_nc_u32_e32 v3, s33, v3
	s_waitcnt lgkmcnt(0)
	s_barrier
	buffer_gl0_inv
	v_cmp_le_u32_e32 vcc_lo, s27, v3
	v_and_b32_e32 v28, 0xff, v27
	s_delay_alu instid0(VALU_DEP_1) | instskip(NEXT) | instid1(VALU_DEP_1)
	v_cmp_ne_u16_e64 s11, 0, v28
	s_or_b32 s80, vcc_lo, s11
	s_delay_alu instid0(SALU_CYCLE_1) | instskip(NEXT) | instid1(SALU_CYCLE_1)
	s_and_b32 s80, exec_lo, s80
	s_or_b32 s78, s80, s78
	s_and_not1_b32 s79, s79, exec_lo
	s_and_b32 s11, s11, exec_lo
	s_delay_alu instid0(SALU_CYCLE_1)
	s_or_b32 s79, s79, s11
	s_and_not1_b32 exec_lo, exec_lo, s78
	s_cbranch_execz .LBB13_132
.LBB13_127:                             ;   Parent Loop BB13_15 Depth=1
                                        ; =>  This Inner Loop Header: Depth=2
	s_delay_alu instid0(VALU_DEP_1)
	v_cmp_gt_u32_e32 vcc_lo, s25, v3
	v_mov_b32_e32 v27, 0
	s_and_saveexec_b32 s11, vcc_lo
	s_cbranch_execz .LBB13_129
; %bb.128:                              ;   in Loop: Header=BB13_127 Depth=2
	ds_load_u8 v27, v3
.LBB13_129:                             ;   in Loop: Header=BB13_127 Depth=2
	s_or_b32 exec_lo, exec_lo, s11
	s_waitcnt lgkmcnt(0)
	v_and_b32_e32 v28, v27, v2
	s_delay_alu instid0(VALU_DEP_1) | instskip(NEXT) | instid1(VALU_DEP_1)
	v_and_b32_e32 v28, 0xff, v28
	v_cmp_eq_u32_e64 s11, v28, v1
	s_delay_alu instid0(VALU_DEP_1) | instskip(NEXT) | instid1(SALU_CYCLE_1)
	s_and_b32 s80, vcc_lo, s11
	s_and_saveexec_b32 s11, s80
	s_cbranch_execz .LBB13_126
; %bb.130:                              ;   in Loop: Header=BB13_127 Depth=2
	v_lshlrev_b16 v27, 8, v27
	s_delay_alu instid0(VALU_DEP_1)
	v_or_b32_e32 v27, 1, v27
	ds_store_b16 v22, v27 offset:3072
	s_branch .LBB13_126
.LBB13_131:                             ;   in Loop: Header=BB13_15 Depth=1
	s_mov_b32 s25, -1
	s_mov_b32 s11, 0
                                        ; implicit-def: $sgpr26
                                        ; implicit-def: $vgpr3
	s_mov_b32 s27, s25
	s_cbranch_execnz .LBB13_134
	s_branch .LBB13_143
.LBB13_132:                             ;   in Loop: Header=BB13_15 Depth=1
	s_set_inst_prefetch_distance 0x2
	s_or_b32 exec_lo, exec_lo, s78
	v_lshrrev_b16 v3, 8, v27
	s_and_b32 s11, s79, exec_lo
.LBB13_133:                             ;   in Loop: Header=BB13_15 Depth=1
	s_or_b32 exec_lo, exec_lo, s26
	s_mov_b32 s26, -1
	s_mov_b32 s25, 0
	s_delay_alu instid0(SALU_CYCLE_1)
	s_mov_b32 s27, s25
	s_branch .LBB13_143
.LBB13_134:                             ;   in Loop: Header=BB13_15 Depth=1
	s_mov_b32 s11, 0
                                        ; implicit-def: $vgpr3
	s_and_saveexec_b32 s25, s9
	s_cbranch_execz .LBB13_142
; %bb.135:                              ;   in Loop: Header=BB13_15 Depth=1
	v_mov_b32_e32 v3, v14
	v_mov_b32_e32 v27, v0
	s_mov_b32 s26, 0
                                        ; implicit-def: $sgpr27
	s_set_inst_prefetch_distance 0x1
	s_branch .LBB13_137
	.p2align	6
.LBB13_136:                             ;   in Loop: Header=BB13_137 Depth=2
	s_or_b32 exec_lo, exec_lo, s11
	s_waitcnt lgkmcnt(0)
	s_barrier
	buffer_gl0_inv
	ds_load_u16 v28, v22 offset:3072
	v_add_nc_u32_e32 v27, s33, v27
	v_add_nc_u32_e32 v3, s40, v3
	s_waitcnt lgkmcnt(0)
	s_barrier
	buffer_gl0_inv
	v_cmp_le_u32_e32 vcc_lo, s64, v27
	v_and_b32_e32 v29, 0xff, v28
	s_delay_alu instid0(VALU_DEP_1) | instskip(NEXT) | instid1(VALU_DEP_1)
	v_cmp_ne_u16_e64 s11, 0, v29
	s_or_b32 s78, vcc_lo, s11
	s_delay_alu instid0(SALU_CYCLE_1) | instskip(NEXT) | instid1(SALU_CYCLE_1)
	s_and_b32 s78, exec_lo, s78
	s_or_b32 s26, s78, s26
	s_and_not1_b32 s27, s27, exec_lo
	s_and_b32 s11, s11, exec_lo
	s_delay_alu instid0(SALU_CYCLE_1)
	s_or_b32 s27, s27, s11
	s_and_not1_b32 exec_lo, exec_lo, s26
	s_cbranch_execz .LBB13_141
.LBB13_137:                             ;   Parent Loop BB13_15 Depth=1
                                        ; =>  This Inner Loop Header: Depth=2
	s_delay_alu instid0(VALU_DEP_1)
	v_cmp_gt_u32_e32 vcc_lo, s36, v27
	v_mov_b32_e32 v28, 0
	s_and_saveexec_b32 s11, vcc_lo
	s_cbranch_execz .LBB13_139
; %bb.138:                              ;   in Loop: Header=BB13_137 Depth=2
	global_load_u8 v28, v3, s[30:31]
.LBB13_139:                             ;   in Loop: Header=BB13_137 Depth=2
	s_or_b32 exec_lo, exec_lo, s11
	s_waitcnt vmcnt(0)
	v_and_b32_e32 v29, v28, v2
	s_delay_alu instid0(VALU_DEP_1) | instskip(NEXT) | instid1(VALU_DEP_1)
	v_and_b32_e32 v29, 0xff, v29
	v_cmp_eq_u32_e64 s11, v29, v1
	s_delay_alu instid0(VALU_DEP_1) | instskip(NEXT) | instid1(SALU_CYCLE_1)
	s_and_b32 s78, vcc_lo, s11
	s_and_saveexec_b32 s11, s78
	s_cbranch_execz .LBB13_136
; %bb.140:                              ;   in Loop: Header=BB13_137 Depth=2
	v_lshlrev_b16 v28, 8, v28
	s_delay_alu instid0(VALU_DEP_1)
	v_or_b32_e32 v28, 1, v28
	ds_store_b16 v22, v28 offset:3072
	s_branch .LBB13_136
.LBB13_141:                             ;   in Loop: Header=BB13_15 Depth=1
	s_set_inst_prefetch_distance 0x2
	s_or_b32 exec_lo, exec_lo, s26
	v_lshrrev_b16 v3, 8, v28
	s_and_b32 s11, s27, exec_lo
.LBB13_142:                             ;   in Loop: Header=BB13_15 Depth=1
	s_or_b32 exec_lo, exec_lo, s25
	s_mov_b32 s27, -1
	s_mov_b32 s25, 0
	s_mov_b32 s26, 0
.LBB13_143:                             ;   in Loop: Header=BB13_15 Depth=1
	s_or_not1_b32 s11, s11, exec_lo
.LBB13_144:                             ;   in Loop: Header=BB13_15 Depth=1
	s_or_b32 exec_lo, exec_lo, s28
	s_mov_b32 s78, 0
                                        ; implicit-def: $vgpr27
	s_and_saveexec_b32 s28, s11
	s_cbranch_execz .LBB13_233
; %bb.145:                              ;   in Loop: Header=BB13_15 Depth=1
	v_dual_mov_b32 v28, 1 :: v_dual_mov_b32 v27, 1
	s_xor_b32 s29, s29, -1
	s_mov_b32 s79, 0
	s_and_saveexec_b32 s11, s29
	s_cbranch_execz .LBB13_155
; %bb.146:                              ;   in Loop: Header=BB13_15 Depth=1
	s_mov_b32 s78, exec_lo
                                        ; implicit-def: $sgpr79
                                        ; implicit-def: $sgpr29
	v_cmpx_ge_u32_e64 s16, v4
	s_xor_b32 s78, exec_lo, s78
	s_cbranch_execz .LBB13_152
; %bb.147:                              ;   in Loop: Header=BB13_15 Depth=1
	ds_load_b32 v27, v22 offset:4096
	s_waitcnt lgkmcnt(0)
	v_cmp_ne_u32_e32 vcc_lo, 0, v27
	s_cbranch_vccnz .LBB13_151
; %bb.148:                              ;   in Loop: Header=BB13_15 Depth=1
	s_and_saveexec_b32 s29, s5
	s_cbranch_execz .LBB13_150
; %bb.149:                              ;   in Loop: Header=BB13_15 Depth=1
	v_mov_b32_e32 v27, s16
	ds_store_b32 v22, v27 offset:4100
.LBB13_150:                             ;   in Loop: Header=BB13_15 Depth=1
	s_or_b32 exec_lo, exec_lo, s29
	s_waitcnt lgkmcnt(0)
	s_barrier
	buffer_gl0_inv
.LBB13_151:                             ;   in Loop: Header=BB13_15 Depth=1
	s_lshl_b32 s29, 1, s17
	v_or_b32_e32 v2, s13, v2
	v_and_or_b32 v1, v1, s14, s29
	s_mov_b32 s29, 0
	s_mov_b32 s79, 8
.LBB13_152:                             ;   in Loop: Header=BB13_15 Depth=1
	s_or_saveexec_b32 s78, s78
	v_mov_b32_e32 v27, s79
	s_xor_b32 exec_lo, exec_lo, s78
; %bb.153:                              ;   in Loop: Header=BB13_15 Depth=1
	v_subrev_nc_u32_e32 v4, s16, v4
	v_mov_b32_e32 v27, 0
	s_or_b32 s29, s29, exec_lo
; %bb.154:                              ;   in Loop: Header=BB13_15 Depth=1
	s_or_b32 exec_lo, exec_lo, s78
	s_delay_alu instid0(VALU_DEP_2)
	v_mov_b32_e32 v28, v4
	s_and_b32 s79, s29, exec_lo
.LBB13_155:                             ;   in Loop: Header=BB13_15 Depth=1
	s_or_b32 exec_lo, exec_lo, s11
	s_mov_b32 s11, -1
                                        ; implicit-def: $sgpr78
                                        ; implicit-def: $sgpr80
                                        ; implicit-def: $sgpr81
	s_and_saveexec_b32 s29, s79
	s_cbranch_execz .LBB13_232
; %bb.156:                              ;   in Loop: Header=BB13_15 Depth=1
	v_cmp_eq_u32_e32 vcc_lo, 1, v28
	s_cmp_eq_u32 s18, 1
                                        ; implicit-def: $sgpr78
                                        ; implicit-def: $sgpr80
                                        ; implicit-def: $sgpr79
	s_cselect_b32 s11, -1, 0
	s_delay_alu instid0(SALU_CYCLE_1)
	s_and_b32 s82, s11, vcc_lo
	s_mov_b32 s11, -1
	s_and_saveexec_b32 s81, s82
	s_cbranch_execz .LBB13_180
; %bb.157:                              ;   in Loop: Header=BB13_15 Depth=1
	ds_load_b32 v3, v22 offset:4096
	s_waitcnt lgkmcnt(0)
	s_barrier
	buffer_gl0_inv
	v_readfirstlane_b32 s78, v3
	s_and_saveexec_b32 s11, s6
	s_cbranch_execz .LBB13_159
; %bb.158:                              ;   in Loop: Header=BB13_15 Depth=1
	ds_store_b8 v0, v15 offset:3072
.LBB13_159:                             ;   in Loop: Header=BB13_15 Depth=1
	s_or_b32 exec_lo, exec_lo, s11
	s_lshl_b32 s11, 2, s17
	v_or_b32_e32 v2, s13, v2
	v_and_or_b32 v1, v1, s14, s11
	s_cmp_eq_u32 s78, 0
	s_waitcnt lgkmcnt(0)
	s_barrier
	buffer_gl0_inv
	s_cbranch_scc1 .LBB13_167
; %bb.160:                              ;   in Loop: Header=BB13_15 Depth=1
	s_add_i32 s11, s78, s56
                                        ; implicit-def: $vgpr3
	s_delay_alu instid0(SALU_CYCLE_1) | instskip(NEXT) | instid1(SALU_CYCLE_1)
	s_mul_hi_u32 s79, s11, s62
	s_mul_i32 s79, s79, s33
	s_delay_alu instid0(SALU_CYCLE_1) | instskip(NEXT) | instid1(SALU_CYCLE_1)
	s_sub_i32 s79, s11, s79
	s_sub_i32 s80, s79, s33
	s_cmp_ge_u32 s79, s33
	s_cselect_b32 s79, s80, s79
	s_delay_alu instid0(SALU_CYCLE_1) | instskip(SKIP_2) | instid1(SALU_CYCLE_1)
	s_sub_i32 s80, s79, s33
	s_cmp_ge_u32 s79, s33
	s_cselect_b32 s79, s80, s79
	s_sub_i32 s80, s11, s79
	s_mov_b32 s11, 0
	s_mov_b32 s79, exec_lo
	v_cmpx_gt_u32_e64 s80, v0
	s_cbranch_execz .LBB13_169
; %bb.161:                              ;   in Loop: Header=BB13_15 Depth=1
	v_mov_b32_e32 v3, v0
	s_mov_b32 s83, 0
                                        ; implicit-def: $sgpr84
	s_set_inst_prefetch_distance 0x1
	s_branch .LBB13_163
	.p2align	6
.LBB13_162:                             ;   in Loop: Header=BB13_163 Depth=2
	s_or_b32 exec_lo, exec_lo, s11
	s_waitcnt lgkmcnt(0)
	s_barrier
	buffer_gl0_inv
	ds_load_u16 v4, v22 offset:3072
	v_add_nc_u32_e32 v3, s33, v3
	s_waitcnt lgkmcnt(0)
	s_barrier
	buffer_gl0_inv
	v_cmp_le_u32_e32 vcc_lo, s80, v3
	v_and_b32_e32 v27, 0xff, v4
	s_delay_alu instid0(VALU_DEP_1) | instskip(NEXT) | instid1(VALU_DEP_1)
	v_cmp_ne_u16_e64 s11, 0, v27
	s_or_b32 s85, vcc_lo, s11
	s_delay_alu instid0(SALU_CYCLE_1) | instskip(NEXT) | instid1(SALU_CYCLE_1)
	s_and_b32 s85, exec_lo, s85
	s_or_b32 s83, s85, s83
	s_and_not1_b32 s84, s84, exec_lo
	s_and_b32 s11, s11, exec_lo
	s_delay_alu instid0(SALU_CYCLE_1)
	s_or_b32 s84, s84, s11
	s_and_not1_b32 exec_lo, exec_lo, s83
	s_cbranch_execz .LBB13_168
.LBB13_163:                             ;   Parent Loop BB13_15 Depth=1
                                        ; =>  This Inner Loop Header: Depth=2
	s_delay_alu instid0(VALU_DEP_1)
	v_cmp_gt_u32_e32 vcc_lo, s78, v3
	v_mov_b32_e32 v4, 0
	s_and_saveexec_b32 s11, vcc_lo
	s_cbranch_execz .LBB13_165
; %bb.164:                              ;   in Loop: Header=BB13_163 Depth=2
	ds_load_u8 v4, v3
.LBB13_165:                             ;   in Loop: Header=BB13_163 Depth=2
	s_or_b32 exec_lo, exec_lo, s11
	s_waitcnt lgkmcnt(0)
	v_and_b32_e32 v27, v4, v2
	s_delay_alu instid0(VALU_DEP_1) | instskip(NEXT) | instid1(VALU_DEP_1)
	v_and_b32_e32 v27, 0xff, v27
	v_cmp_eq_u32_e64 s11, v27, v1
	s_delay_alu instid0(VALU_DEP_1) | instskip(NEXT) | instid1(SALU_CYCLE_1)
	s_and_b32 s85, vcc_lo, s11
	s_and_saveexec_b32 s11, s85
	s_cbranch_execz .LBB13_162
; %bb.166:                              ;   in Loop: Header=BB13_163 Depth=2
	v_lshlrev_b16 v4, 8, v4
	s_delay_alu instid0(VALU_DEP_1)
	v_or_b32_e32 v4, 1, v4
	ds_store_b16 v22, v4 offset:3072
	s_branch .LBB13_162
.LBB13_167:                             ;   in Loop: Header=BB13_15 Depth=1
	s_mov_b32 s78, -1
	s_mov_b32 s11, 0
                                        ; implicit-def: $sgpr79
                                        ; implicit-def: $vgpr3
	s_mov_b32 s80, s78
	s_cbranch_execnz .LBB13_170
	s_branch .LBB13_179
.LBB13_168:                             ;   in Loop: Header=BB13_15 Depth=1
	s_set_inst_prefetch_distance 0x2
	s_or_b32 exec_lo, exec_lo, s83
	v_lshrrev_b16 v3, 8, v4
	s_and_b32 s11, s84, exec_lo
.LBB13_169:                             ;   in Loop: Header=BB13_15 Depth=1
	s_or_b32 exec_lo, exec_lo, s79
	s_mov_b32 s79, -1
	s_mov_b32 s78, 0
	s_delay_alu instid0(SALU_CYCLE_1)
	s_mov_b32 s80, s78
	s_branch .LBB13_179
.LBB13_170:                             ;   in Loop: Header=BB13_15 Depth=1
	s_mov_b32 s11, 0
                                        ; implicit-def: $vgpr3
	s_and_saveexec_b32 s78, s9
	s_cbranch_execz .LBB13_178
; %bb.171:                              ;   in Loop: Header=BB13_15 Depth=1
	v_dual_mov_b32 v3, v14 :: v_dual_mov_b32 v4, v0
	s_mov_b32 s79, 0
                                        ; implicit-def: $sgpr80
	s_set_inst_prefetch_distance 0x1
	s_branch .LBB13_173
	.p2align	6
.LBB13_172:                             ;   in Loop: Header=BB13_173 Depth=2
	s_or_b32 exec_lo, exec_lo, s11
	s_waitcnt lgkmcnt(0)
	s_barrier
	buffer_gl0_inv
	ds_load_u16 v27, v22 offset:3072
	v_add_nc_u32_e32 v4, s33, v4
	v_add_nc_u32_e32 v3, s40, v3
	s_waitcnt lgkmcnt(0)
	s_barrier
	buffer_gl0_inv
	v_cmp_le_u32_e32 vcc_lo, s64, v4
	v_and_b32_e32 v29, 0xff, v27
	s_delay_alu instid0(VALU_DEP_1) | instskip(NEXT) | instid1(VALU_DEP_1)
	v_cmp_ne_u16_e64 s11, 0, v29
	s_or_b32 s83, vcc_lo, s11
	s_delay_alu instid0(SALU_CYCLE_1) | instskip(NEXT) | instid1(SALU_CYCLE_1)
	s_and_b32 s83, exec_lo, s83
	s_or_b32 s79, s83, s79
	s_and_not1_b32 s80, s80, exec_lo
	s_and_b32 s11, s11, exec_lo
	s_delay_alu instid0(SALU_CYCLE_1)
	s_or_b32 s80, s80, s11
	s_and_not1_b32 exec_lo, exec_lo, s79
	s_cbranch_execz .LBB13_177
.LBB13_173:                             ;   Parent Loop BB13_15 Depth=1
                                        ; =>  This Inner Loop Header: Depth=2
	s_delay_alu instid0(VALU_DEP_1)
	v_cmp_gt_u32_e32 vcc_lo, s36, v4
	v_mov_b32_e32 v27, 0
	s_and_saveexec_b32 s11, vcc_lo
	s_cbranch_execz .LBB13_175
; %bb.174:                              ;   in Loop: Header=BB13_173 Depth=2
	global_load_u8 v27, v3, s[30:31]
.LBB13_175:                             ;   in Loop: Header=BB13_173 Depth=2
	s_or_b32 exec_lo, exec_lo, s11
	s_waitcnt vmcnt(0)
	v_and_b32_e32 v29, v27, v2
	s_delay_alu instid0(VALU_DEP_1) | instskip(NEXT) | instid1(VALU_DEP_1)
	v_and_b32_e32 v29, 0xff, v29
	v_cmp_eq_u32_e64 s11, v29, v1
	s_delay_alu instid0(VALU_DEP_1) | instskip(NEXT) | instid1(SALU_CYCLE_1)
	s_and_b32 s83, vcc_lo, s11
	s_and_saveexec_b32 s11, s83
	s_cbranch_execz .LBB13_172
; %bb.176:                              ;   in Loop: Header=BB13_173 Depth=2
	v_lshlrev_b16 v27, 8, v27
	s_delay_alu instid0(VALU_DEP_1)
	v_or_b32_e32 v27, 1, v27
	ds_store_b16 v22, v27 offset:3072
	s_branch .LBB13_172
.LBB13_177:                             ;   in Loop: Header=BB13_15 Depth=1
	s_set_inst_prefetch_distance 0x2
	s_or_b32 exec_lo, exec_lo, s79
	v_lshrrev_b16 v3, 8, v27
	s_and_b32 s11, s80, exec_lo
.LBB13_178:                             ;   in Loop: Header=BB13_15 Depth=1
	s_or_b32 exec_lo, exec_lo, s78
	s_mov_b32 s80, -1
	s_mov_b32 s78, 0
	s_mov_b32 s79, 0
.LBB13_179:                             ;   in Loop: Header=BB13_15 Depth=1
	s_or_not1_b32 s11, s11, exec_lo
.LBB13_180:                             ;   in Loop: Header=BB13_15 Depth=1
	s_or_b32 exec_lo, exec_lo, s81
	s_mov_b32 s83, 0
                                        ; implicit-def: $vgpr27
	s_and_saveexec_b32 s81, s11
	s_cbranch_execz .LBB13_231
; %bb.181:                              ;   in Loop: Header=BB13_15 Depth=1
	v_dual_mov_b32 v4, 1 :: v_dual_mov_b32 v27, 1
	s_xor_b32 s82, s82, -1
	s_mov_b32 s84, 0
	s_and_saveexec_b32 s11, s82
	s_cbranch_execz .LBB13_191
; %bb.182:                              ;   in Loop: Header=BB13_15 Depth=1
	s_mov_b32 s83, exec_lo
                                        ; implicit-def: $sgpr84
                                        ; implicit-def: $sgpr82
	v_cmpx_ge_u32_e64 s18, v28
	s_xor_b32 s83, exec_lo, s83
	s_cbranch_execz .LBB13_188
; %bb.183:                              ;   in Loop: Header=BB13_15 Depth=1
	ds_load_b32 v4, v22 offset:4096
	s_waitcnt lgkmcnt(0)
	v_cmp_ne_u32_e32 vcc_lo, 0, v4
	s_cbranch_vccnz .LBB13_187
; %bb.184:                              ;   in Loop: Header=BB13_15 Depth=1
	s_and_saveexec_b32 s82, s5
	s_cbranch_execz .LBB13_186
; %bb.185:                              ;   in Loop: Header=BB13_15 Depth=1
	v_mov_b32_e32 v4, s18
	ds_store_b32 v22, v4 offset:4100
.LBB13_186:                             ;   in Loop: Header=BB13_15 Depth=1
	s_or_b32 exec_lo, exec_lo, s82
	s_waitcnt lgkmcnt(0)
	s_barrier
	buffer_gl0_inv
.LBB13_187:                             ;   in Loop: Header=BB13_15 Depth=1
	s_lshl_b32 s82, 2, s17
	v_or_b32_e32 v2, s13, v2
	v_and_or_b32 v1, v1, s14, s82
	s_mov_b32 s82, 0
	s_mov_b32 s84, 8
.LBB13_188:                             ;   in Loop: Header=BB13_15 Depth=1
	s_or_saveexec_b32 s83, s83
	v_mov_b32_e32 v27, s84
	s_xor_b32 exec_lo, exec_lo, s83
; %bb.189:                              ;   in Loop: Header=BB13_15 Depth=1
	v_subrev_nc_u32_e32 v28, s18, v28
	v_mov_b32_e32 v27, 0
	s_or_b32 s82, s82, exec_lo
; %bb.190:                              ;   in Loop: Header=BB13_15 Depth=1
	s_or_b32 exec_lo, exec_lo, s83
	s_delay_alu instid0(VALU_DEP_2)
	v_mov_b32_e32 v4, v28
	s_and_b32 s84, s82, exec_lo
.LBB13_191:                             ;   in Loop: Header=BB13_15 Depth=1
	s_or_b32 exec_lo, exec_lo, s11
	s_mov_b32 s83, -1
                                        ; implicit-def: $sgpr11
                                        ; implicit-def: $sgpr86
                                        ; implicit-def: $sgpr85
	s_and_saveexec_b32 s82, s84
	s_cbranch_execz .LBB13_230
; %bb.192:                              ;   in Loop: Header=BB13_15 Depth=1
	v_cmp_eq_u32_e32 vcc_lo, 1, v4
	s_cmp_eq_u32 s19, 1
	s_mov_b32 s87, -1
	s_cselect_b32 s11, -1, 0
                                        ; implicit-def: $sgpr86
                                        ; implicit-def: $sgpr85
	s_delay_alu instid0(SALU_CYCLE_1) | instskip(NEXT) | instid1(SALU_CYCLE_1)
	s_and_b32 s83, s11, vcc_lo
                                        ; implicit-def: $sgpr11
	s_and_saveexec_b32 s84, s83
	s_cbranch_execz .LBB13_217
; %bb.193:                              ;   in Loop: Header=BB13_15 Depth=1
	ds_load_b32 v3, v22 offset:4096
	s_waitcnt lgkmcnt(0)
	s_barrier
	buffer_gl0_inv
	v_readfirstlane_b32 s85, v3
	s_and_saveexec_b32 s11, s6
	s_cbranch_execz .LBB13_195
; %bb.194:                              ;   in Loop: Header=BB13_15 Depth=1
	ds_store_b8 v0, v15 offset:3072
.LBB13_195:                             ;   in Loop: Header=BB13_15 Depth=1
	s_or_b32 exec_lo, exec_lo, s11
	v_or_b32_e32 v1, s13, v1
	v_or_b32_e32 v2, s13, v2
	s_cmp_eq_u32 s85, 0
	s_waitcnt lgkmcnt(0)
	s_barrier
	buffer_gl0_inv
	s_cbranch_scc1 .LBB13_203
; %bb.196:                              ;   in Loop: Header=BB13_15 Depth=1
	s_add_i32 s11, s85, s56
                                        ; implicit-def: $vgpr3
	s_delay_alu instid0(SALU_CYCLE_1) | instskip(NEXT) | instid1(SALU_CYCLE_1)
	s_mul_hi_u32 s86, s11, s62
	s_mul_i32 s86, s86, s33
	s_delay_alu instid0(SALU_CYCLE_1) | instskip(NEXT) | instid1(SALU_CYCLE_1)
	s_sub_i32 s86, s11, s86
	s_sub_i32 s87, s86, s33
	s_cmp_ge_u32 s86, s33
	s_cselect_b32 s86, s87, s86
	s_delay_alu instid0(SALU_CYCLE_1)
	s_sub_i32 s87, s86, s33
	s_cmp_ge_u32 s86, s33
	s_cselect_b32 s86, s87, s86
	s_mov_b32 s87, 0
	s_sub_i32 s88, s11, s86
	s_mov_b32 s86, exec_lo
	v_cmpx_gt_u32_e64 s88, v0
	s_cbranch_execz .LBB13_205
; %bb.197:                              ;   in Loop: Header=BB13_15 Depth=1
	v_mov_b32_e32 v3, v0
                                        ; implicit-def: $sgpr89
	s_set_inst_prefetch_distance 0x1
	s_branch .LBB13_199
	.p2align	6
.LBB13_198:                             ;   in Loop: Header=BB13_199 Depth=2
	s_or_b32 exec_lo, exec_lo, s11
	s_waitcnt lgkmcnt(0)
	s_barrier
	buffer_gl0_inv
	ds_load_u16 v27, v22 offset:3072
	v_add_nc_u32_e32 v3, s33, v3
	s_waitcnt lgkmcnt(0)
	s_barrier
	buffer_gl0_inv
	v_cmp_le_u32_e32 vcc_lo, s88, v3
	v_and_b32_e32 v28, 0xff, v27
	s_delay_alu instid0(VALU_DEP_1) | instskip(NEXT) | instid1(VALU_DEP_1)
	v_cmp_ne_u16_e64 s11, 0, v28
	s_or_b32 s90, vcc_lo, s11
	s_delay_alu instid0(SALU_CYCLE_1) | instskip(NEXT) | instid1(SALU_CYCLE_1)
	s_and_b32 s90, exec_lo, s90
	s_or_b32 s87, s90, s87
	s_and_not1_b32 s89, s89, exec_lo
	s_and_b32 s11, s11, exec_lo
	s_delay_alu instid0(SALU_CYCLE_1)
	s_or_b32 s89, s89, s11
	s_and_not1_b32 exec_lo, exec_lo, s87
	s_cbranch_execz .LBB13_204
.LBB13_199:                             ;   Parent Loop BB13_15 Depth=1
                                        ; =>  This Inner Loop Header: Depth=2
	s_delay_alu instid0(VALU_DEP_1)
	v_cmp_gt_u32_e32 vcc_lo, s85, v3
	v_mov_b32_e32 v27, 0
	s_and_saveexec_b32 s11, vcc_lo
	s_cbranch_execz .LBB13_201
; %bb.200:                              ;   in Loop: Header=BB13_199 Depth=2
	ds_load_u8 v27, v3
.LBB13_201:                             ;   in Loop: Header=BB13_199 Depth=2
	s_or_b32 exec_lo, exec_lo, s11
	s_waitcnt lgkmcnt(0)
	v_and_b32_e32 v28, v27, v2
	s_delay_alu instid0(VALU_DEP_1) | instskip(NEXT) | instid1(VALU_DEP_1)
	v_and_b32_e32 v28, 0xff, v28
	v_cmp_eq_u32_e64 s11, v28, v1
	s_delay_alu instid0(VALU_DEP_1) | instskip(NEXT) | instid1(SALU_CYCLE_1)
	s_and_b32 s90, vcc_lo, s11
	s_and_saveexec_b32 s11, s90
	s_cbranch_execz .LBB13_198
; %bb.202:                              ;   in Loop: Header=BB13_199 Depth=2
	v_lshlrev_b16 v27, 8, v27
	s_delay_alu instid0(VALU_DEP_1)
	v_or_b32_e32 v27, 1, v27
	ds_store_b16 v22, v27 offset:3072
	s_branch .LBB13_198
.LBB13_203:                             ;   in Loop: Header=BB13_15 Depth=1
	s_mov_b32 s11, -1
	s_mov_b32 s87, 0
                                        ; implicit-def: $sgpr85
                                        ; implicit-def: $vgpr3
	s_branch .LBB13_206
.LBB13_204:                             ;   in Loop: Header=BB13_15 Depth=1
	s_set_inst_prefetch_distance 0x2
	s_or_b32 exec_lo, exec_lo, s87
	v_lshrrev_b16 v3, 8, v27
	s_and_b32 s87, s89, exec_lo
.LBB13_205:                             ;   in Loop: Header=BB13_15 Depth=1
	s_or_b32 exec_lo, exec_lo, s86
	s_mov_b32 s85, -1
	s_mov_b32 s11, 0
.LBB13_206:                             ;   in Loop: Header=BB13_15 Depth=1
	s_delay_alu instid0(SALU_CYCLE_1)
	s_and_b32 vcc_lo, exec_lo, s11
	s_mov_b32 s86, s11
	s_cbranch_vccz .LBB13_216
; %bb.207:                              ;   in Loop: Header=BB13_15 Depth=1
	s_mov_b32 s87, 0
                                        ; implicit-def: $vgpr3
	s_and_saveexec_b32 s85, s9
	s_cbranch_execz .LBB13_215
; %bb.208:                              ;   in Loop: Header=BB13_15 Depth=1
	v_mov_b32_e32 v3, v14
	v_mov_b32_e32 v27, v0
	s_mov_b32 s86, 0
                                        ; implicit-def: $sgpr87
	s_set_inst_prefetch_distance 0x1
	s_branch .LBB13_210
	.p2align	6
.LBB13_209:                             ;   in Loop: Header=BB13_210 Depth=2
	s_or_b32 exec_lo, exec_lo, s11
	s_waitcnt lgkmcnt(0)
	s_barrier
	buffer_gl0_inv
	ds_load_u16 v28, v22 offset:3072
	v_add_nc_u32_e32 v27, s33, v27
	v_add_nc_u32_e32 v3, s40, v3
	s_waitcnt lgkmcnt(0)
	s_barrier
	buffer_gl0_inv
	v_cmp_le_u32_e32 vcc_lo, s64, v27
	v_and_b32_e32 v29, 0xff, v28
	s_delay_alu instid0(VALU_DEP_1) | instskip(NEXT) | instid1(VALU_DEP_1)
	v_cmp_ne_u16_e64 s11, 0, v29
	s_or_b32 s88, vcc_lo, s11
	s_delay_alu instid0(SALU_CYCLE_1) | instskip(NEXT) | instid1(SALU_CYCLE_1)
	s_and_b32 s88, exec_lo, s88
	s_or_b32 s86, s88, s86
	s_and_not1_b32 s87, s87, exec_lo
	s_and_b32 s11, s11, exec_lo
	s_delay_alu instid0(SALU_CYCLE_1)
	s_or_b32 s87, s87, s11
	s_and_not1_b32 exec_lo, exec_lo, s86
	s_cbranch_execz .LBB13_214
.LBB13_210:                             ;   Parent Loop BB13_15 Depth=1
                                        ; =>  This Inner Loop Header: Depth=2
	s_delay_alu instid0(VALU_DEP_1)
	v_cmp_gt_u32_e32 vcc_lo, s36, v27
	v_mov_b32_e32 v28, 0
	s_and_saveexec_b32 s11, vcc_lo
	s_cbranch_execz .LBB13_212
; %bb.211:                              ;   in Loop: Header=BB13_210 Depth=2
	global_load_u8 v28, v3, s[30:31]
.LBB13_212:                             ;   in Loop: Header=BB13_210 Depth=2
	s_or_b32 exec_lo, exec_lo, s11
	s_waitcnt vmcnt(0)
	v_and_b32_e32 v29, v28, v2
	s_delay_alu instid0(VALU_DEP_1) | instskip(NEXT) | instid1(VALU_DEP_1)
	v_and_b32_e32 v29, 0xff, v29
	v_cmp_eq_u32_e64 s11, v29, v1
	s_delay_alu instid0(VALU_DEP_1) | instskip(NEXT) | instid1(SALU_CYCLE_1)
	s_and_b32 s88, vcc_lo, s11
	s_and_saveexec_b32 s11, s88
	s_cbranch_execz .LBB13_209
; %bb.213:                              ;   in Loop: Header=BB13_210 Depth=2
	v_lshlrev_b16 v28, 8, v28
	s_delay_alu instid0(VALU_DEP_1)
	v_or_b32_e32 v28, 1, v28
	ds_store_b16 v22, v28 offset:3072
	s_branch .LBB13_209
.LBB13_214:                             ;   in Loop: Header=BB13_15 Depth=1
	s_set_inst_prefetch_distance 0x2
	s_or_b32 exec_lo, exec_lo, s86
	v_lshrrev_b16 v3, 8, v28
	s_and_b32 s87, s87, exec_lo
.LBB13_215:                             ;   in Loop: Header=BB13_15 Depth=1
	s_or_b32 exec_lo, exec_lo, s85
	s_mov_b32 s86, -1
	s_mov_b32 s11, 0
	s_mov_b32 s85, 0
.LBB13_216:                             ;   in Loop: Header=BB13_15 Depth=1
	s_or_not1_b32 s87, s87, exec_lo
.LBB13_217:                             ;   in Loop: Header=BB13_15 Depth=1
	s_or_b32 exec_lo, exec_lo, s84
	s_mov_b32 s88, 0
                                        ; implicit-def: $vgpr27
                                        ; implicit-def: $vgpr28
	s_and_saveexec_b32 s84, s87
	s_cbranch_execz .LBB13_229
; %bb.218:                              ;   in Loop: Header=BB13_15 Depth=1
	v_dual_mov_b32 v27, 1 :: v_dual_mov_b32 v28, 1
	s_xor_b32 s87, s83, -1
	s_delay_alu instid0(SALU_CYCLE_1)
	s_and_saveexec_b32 s83, s87
	s_cbranch_execz .LBB13_228
; %bb.219:                              ;   in Loop: Header=BB13_15 Depth=1
	s_mov_b32 s87, exec_lo
                                        ; implicit-def: $sgpr88
	v_cmpx_ge_u32_e64 s19, v4
	s_xor_b32 s87, exec_lo, s87
	s_cbranch_execz .LBB13_225
; %bb.220:                              ;   in Loop: Header=BB13_15 Depth=1
	ds_load_b32 v27, v22 offset:4096
	s_waitcnt lgkmcnt(0)
	v_cmp_ne_u32_e32 vcc_lo, 0, v27
	s_cbranch_vccnz .LBB13_224
; %bb.221:                              ;   in Loop: Header=BB13_15 Depth=1
	s_and_saveexec_b32 s88, s5
	s_cbranch_execz .LBB13_223
; %bb.222:                              ;   in Loop: Header=BB13_15 Depth=1
	v_mov_b32_e32 v27, s19
	ds_store_b32 v22, v27 offset:4100
.LBB13_223:                             ;   in Loop: Header=BB13_15 Depth=1
	s_or_b32 exec_lo, exec_lo, s88
	s_waitcnt lgkmcnt(0)
	s_barrier
	buffer_gl0_inv
.LBB13_224:                             ;   in Loop: Header=BB13_15 Depth=1
	v_or_b32_e32 v1, s13, v1
	v_or_b32_e32 v2, s13, v2
	s_mov_b32 s88, 8
.LBB13_225:                             ;   in Loop: Header=BB13_15 Depth=1
	s_or_saveexec_b32 s87, s87
	v_mov_b32_e32 v27, s88
	s_xor_b32 exec_lo, exec_lo, s87
; %bb.226:                              ;   in Loop: Header=BB13_15 Depth=1
	v_subrev_nc_u32_e32 v4, s19, v4
	v_mov_b32_e32 v27, 8
; %bb.227:                              ;   in Loop: Header=BB13_15 Depth=1
	s_or_b32 exec_lo, exec_lo, s87
	s_delay_alu instid0(VALU_DEP_2)
	v_mov_b32_e32 v28, v4
.LBB13_228:                             ;   in Loop: Header=BB13_15 Depth=1
	s_or_b32 exec_lo, exec_lo, s83
	s_delay_alu instid0(SALU_CYCLE_1)
	s_mov_b32 s88, exec_lo
.LBB13_229:                             ;   in Loop: Header=BB13_15 Depth=1
	s_or_b32 exec_lo, exec_lo, s84
	s_delay_alu instid0(VALU_DEP_1)
	v_mov_b32_e32 v4, v28
	s_or_not1_b32 s83, s88, exec_lo
.LBB13_230:                             ;   in Loop: Header=BB13_15 Depth=1
	s_or_b32 exec_lo, exec_lo, s82
	s_delay_alu instid0(SALU_CYCLE_1)
	s_and_not1_b32 s78, s78, exec_lo
	s_and_b32 s11, s11, exec_lo
	v_mov_b32_e32 v28, v4
	s_or_b32 s78, s78, s11
	s_and_not1_b32 s11, s80, exec_lo
	s_and_b32 s80, s86, exec_lo
	s_and_not1_b32 s79, s79, exec_lo
	s_and_b32 s82, s85, exec_lo
	s_or_b32 s80, s11, s80
	s_or_b32 s79, s79, s82
	s_and_b32 s83, s83, exec_lo
.LBB13_231:                             ;   in Loop: Header=BB13_15 Depth=1
	s_or_b32 exec_lo, exec_lo, s81
	s_delay_alu instid0(SALU_CYCLE_1)
	s_and_b32 s81, s78, exec_lo
	s_and_b32 s80, s80, exec_lo
	;; [unrolled: 1-line block ×3, first 2 shown]
	s_or_not1_b32 s11, s83, exec_lo
.LBB13_232:                             ;   in Loop: Header=BB13_15 Depth=1
	s_or_b32 exec_lo, exec_lo, s29
	s_delay_alu instid0(SALU_CYCLE_1)
	s_and_not1_b32 s25, s25, exec_lo
	s_and_b32 s29, s81, exec_lo
	v_mov_b32_e32 v4, v28
	s_or_b32 s25, s25, s29
	s_and_not1_b32 s27, s27, exec_lo
	s_and_b32 s29, s80, exec_lo
	s_and_not1_b32 s26, s26, exec_lo
	s_and_b32 s78, s78, exec_lo
	s_or_b32 s27, s27, s29
	s_or_b32 s26, s26, s78
	s_and_b32 s78, s11, exec_lo
.LBB13_233:                             ;   in Loop: Header=BB13_15 Depth=1
	s_or_b32 exec_lo, exec_lo, s28
	s_delay_alu instid0(SALU_CYCLE_1)
	s_and_b32 s28, s25, exec_lo
	s_and_b32 s27, s27, exec_lo
	;; [unrolled: 1-line block ×3, first 2 shown]
	s_or_not1_b32 s11, s78, exec_lo
.LBB13_234:                             ;   in Loop: Header=BB13_15 Depth=1
	s_or_b32 exec_lo, exec_lo, s20
	s_mov_b32 s20, 0
	s_mov_b32 s26, 0
	s_and_saveexec_b32 s29, s11
	s_delay_alu instid0(SALU_CYCLE_1)
	s_xor_b32 s29, exec_lo, s29
; %bb.235:                              ;   in Loop: Header=BB13_15 Depth=1
	v_cmp_ne_u32_e32 vcc_lo, 8, v27
	v_cmp_eq_u32_e64 s11, 8, v27
	s_and_not1_b32 s28, s28, exec_lo
	s_and_not1_b32 s27, s27, exec_lo
	;; [unrolled: 1-line block ×3, first 2 shown]
	s_and_b32 s26, vcc_lo, exec_lo
	s_and_b32 s20, s11, exec_lo
; %bb.236:                              ;   in Loop: Header=BB13_15 Depth=1
	s_or_b32 exec_lo, exec_lo, s29
	s_delay_alu instid0(SALU_CYCLE_1)
	s_and_not1_b32 s11, s15, exec_lo
	s_and_b32 s15, s28, exec_lo
	s_and_not1_b32 s21, s21, exec_lo
	s_or_b32 s15, s11, s15
	s_and_not1_b32 s11, s22, exec_lo
	s_and_b32 s22, s27, exec_lo
	s_and_b32 s25, s25, exec_lo
	s_or_b32 s22, s11, s22
	s_or_b32 s21, s21, s25
	s_and_b32 s11, s26, exec_lo
	s_and_b32 s20, s20, exec_lo
.LBB13_237:                             ;   in Loop: Header=BB13_15 Depth=1
	s_or_b32 exec_lo, exec_lo, s24
	s_delay_alu instid0(SALU_CYCLE_1)
	s_and_b32 vcc_lo, exec_lo, s23
	s_cbranch_vccz .LBB13_91
.LBB13_238:                             ;   in Loop: Header=BB13_15 Depth=1
	s_cmp_eq_u32 s19, 1
                                        ; implicit-def: $sgpr23
                                        ; implicit-def: $sgpr24
	s_cselect_b32 s15, -1, 0
	s_delay_alu instid0(SALU_CYCLE_1)
	s_and_b32 s22, s15, s10
	s_mov_b32 s10, -1
                                        ; implicit-def: $sgpr15
	s_and_saveexec_b32 s21, s22
	s_cbranch_execz .LBB13_262
; %bb.239:                              ;   in Loop: Header=BB13_15 Depth=1
	ds_load_b32 v1, v22 offset:4096
	s_waitcnt lgkmcnt(0)
	s_barrier
	buffer_gl0_inv
	v_readfirstlane_b32 s15, v1
	s_and_saveexec_b32 s10, s6
	s_cbranch_execz .LBB13_241
; %bb.240:                              ;   in Loop: Header=BB13_15 Depth=1
	ds_store_b8 v0, v15 offset:3072
.LBB13_241:                             ;   in Loop: Header=BB13_15 Depth=1
	s_or_b32 exec_lo, exec_lo, s10
	v_or_b32_e32 v24, s13, v24
	v_or_b32_e32 v23, s13, v23
	s_cmp_eq_u32 s15, 0
	s_waitcnt lgkmcnt(0)
	s_barrier
	buffer_gl0_inv
	s_cbranch_scc1 .LBB13_249
; %bb.242:                              ;   in Loop: Header=BB13_15 Depth=1
	s_add_i32 s10, s15, s56
                                        ; implicit-def: $vgpr25
	s_delay_alu instid0(SALU_CYCLE_1) | instskip(NEXT) | instid1(SALU_CYCLE_1)
	s_mul_hi_u32 s23, s10, s62
	s_mul_i32 s23, s23, s33
	s_delay_alu instid0(SALU_CYCLE_1) | instskip(NEXT) | instid1(SALU_CYCLE_1)
	s_sub_i32 s23, s10, s23
	s_sub_i32 s24, s23, s33
	s_cmp_ge_u32 s23, s33
	s_cselect_b32 s23, s24, s23
	s_delay_alu instid0(SALU_CYCLE_1) | instskip(SKIP_2) | instid1(SALU_CYCLE_1)
	s_sub_i32 s24, s23, s33
	s_cmp_ge_u32 s23, s33
	s_cselect_b32 s23, s24, s23
	s_sub_i32 s24, s10, s23
	s_mov_b32 s10, 0
	s_mov_b32 s23, exec_lo
	v_cmpx_gt_u32_e64 s24, v0
	s_cbranch_execz .LBB13_251
; %bb.243:                              ;   in Loop: Header=BB13_15 Depth=1
	v_mov_b32_e32 v1, v0
	s_mov_b32 s25, 0
                                        ; implicit-def: $sgpr26
	s_set_inst_prefetch_distance 0x1
	s_branch .LBB13_245
	.p2align	6
.LBB13_244:                             ;   in Loop: Header=BB13_245 Depth=2
	s_or_b32 exec_lo, exec_lo, s10
	s_waitcnt lgkmcnt(0)
	s_barrier
	buffer_gl0_inv
	ds_load_u16 v2, v22 offset:3072
	v_add_nc_u32_e32 v1, s33, v1
	s_waitcnt lgkmcnt(0)
	s_barrier
	buffer_gl0_inv
	v_cmp_le_u32_e32 vcc_lo, s24, v1
	v_and_b32_e32 v3, 0xff, v2
	s_delay_alu instid0(VALU_DEP_1) | instskip(NEXT) | instid1(VALU_DEP_1)
	v_cmp_ne_u16_e64 s10, 0, v3
	s_or_b32 s27, vcc_lo, s10
	s_delay_alu instid0(SALU_CYCLE_1) | instskip(NEXT) | instid1(SALU_CYCLE_1)
	s_and_b32 s27, exec_lo, s27
	s_or_b32 s25, s27, s25
	s_and_not1_b32 s26, s26, exec_lo
	s_and_b32 s10, s10, exec_lo
	s_delay_alu instid0(SALU_CYCLE_1)
	s_or_b32 s26, s26, s10
	s_and_not1_b32 exec_lo, exec_lo, s25
	s_cbranch_execz .LBB13_250
.LBB13_245:                             ;   Parent Loop BB13_15 Depth=1
                                        ; =>  This Inner Loop Header: Depth=2
	s_delay_alu instid0(VALU_DEP_1)
	v_cmp_gt_u32_e32 vcc_lo, s15, v1
	v_mov_b32_e32 v2, 0
	s_and_saveexec_b32 s10, vcc_lo
	s_cbranch_execz .LBB13_247
; %bb.246:                              ;   in Loop: Header=BB13_245 Depth=2
	ds_load_u8 v2, v1
.LBB13_247:                             ;   in Loop: Header=BB13_245 Depth=2
	s_or_b32 exec_lo, exec_lo, s10
	s_waitcnt lgkmcnt(0)
	v_and_b32_e32 v3, v2, v23
	s_delay_alu instid0(VALU_DEP_1) | instskip(NEXT) | instid1(VALU_DEP_1)
	v_and_b32_e32 v3, 0xff, v3
	v_cmp_eq_u32_e64 s10, v3, v24
	s_delay_alu instid0(VALU_DEP_1) | instskip(NEXT) | instid1(SALU_CYCLE_1)
	s_and_b32 s27, vcc_lo, s10
	s_and_saveexec_b32 s10, s27
	s_cbranch_execz .LBB13_244
; %bb.248:                              ;   in Loop: Header=BB13_245 Depth=2
	v_lshlrev_b16 v2, 8, v2
	s_delay_alu instid0(VALU_DEP_1)
	v_or_b32_e32 v2, 1, v2
	ds_store_b16 v22, v2 offset:3072
	s_branch .LBB13_244
.LBB13_249:                             ;   in Loop: Header=BB13_15 Depth=1
	s_mov_b32 s23, -1
	s_mov_b32 s10, 0
                                        ; implicit-def: $sgpr24
                                        ; implicit-def: $vgpr25
	s_mov_b32 s15, s23
	s_cbranch_execnz .LBB13_252
	s_branch .LBB13_261
.LBB13_250:                             ;   in Loop: Header=BB13_15 Depth=1
	s_set_inst_prefetch_distance 0x2
	s_or_b32 exec_lo, exec_lo, s25
	v_lshrrev_b16 v25, 8, v2
	s_and_b32 s10, s26, exec_lo
.LBB13_251:                             ;   in Loop: Header=BB13_15 Depth=1
	s_or_b32 exec_lo, exec_lo, s23
	s_mov_b32 s23, 0
	s_mov_b32 s24, -1
	s_mov_b32 s15, s23
	s_branch .LBB13_261
.LBB13_252:                             ;   in Loop: Header=BB13_15 Depth=1
	s_mov_b32 s10, 0
                                        ; implicit-def: $vgpr25
	s_and_saveexec_b32 s15, s9
	s_cbranch_execz .LBB13_260
; %bb.253:                              ;   in Loop: Header=BB13_15 Depth=1
	v_dual_mov_b32 v1, v14 :: v_dual_mov_b32 v2, v0
	s_mov_b32 s23, 0
                                        ; implicit-def: $sgpr24
	s_set_inst_prefetch_distance 0x1
	s_branch .LBB13_255
	.p2align	6
.LBB13_254:                             ;   in Loop: Header=BB13_255 Depth=2
	s_or_b32 exec_lo, exec_lo, s10
	s_waitcnt lgkmcnt(0)
	s_barrier
	buffer_gl0_inv
	ds_load_u16 v3, v22 offset:3072
	v_add_nc_u32_e32 v2, s33, v2
	v_add_nc_u32_e32 v1, s40, v1
	s_waitcnt lgkmcnt(0)
	s_barrier
	buffer_gl0_inv
	v_cmp_le_u32_e32 vcc_lo, s64, v2
	v_and_b32_e32 v4, 0xff, v3
	s_delay_alu instid0(VALU_DEP_1) | instskip(NEXT) | instid1(VALU_DEP_1)
	v_cmp_ne_u16_e64 s10, 0, v4
	s_or_b32 s25, vcc_lo, s10
	s_delay_alu instid0(SALU_CYCLE_1) | instskip(NEXT) | instid1(SALU_CYCLE_1)
	s_and_b32 s25, exec_lo, s25
	s_or_b32 s23, s25, s23
	s_and_not1_b32 s24, s24, exec_lo
	s_and_b32 s10, s10, exec_lo
	s_delay_alu instid0(SALU_CYCLE_1)
	s_or_b32 s24, s24, s10
	s_and_not1_b32 exec_lo, exec_lo, s23
	s_cbranch_execz .LBB13_259
.LBB13_255:                             ;   Parent Loop BB13_15 Depth=1
                                        ; =>  This Inner Loop Header: Depth=2
	s_delay_alu instid0(VALU_DEP_1)
	v_cmp_gt_u32_e32 vcc_lo, s36, v2
	v_mov_b32_e32 v3, 0
	s_and_saveexec_b32 s10, vcc_lo
	s_cbranch_execz .LBB13_257
; %bb.256:                              ;   in Loop: Header=BB13_255 Depth=2
	global_load_u8 v3, v1, s[30:31]
.LBB13_257:                             ;   in Loop: Header=BB13_255 Depth=2
	s_or_b32 exec_lo, exec_lo, s10
	s_waitcnt vmcnt(0)
	v_and_b32_e32 v4, v3, v23
	s_delay_alu instid0(VALU_DEP_1) | instskip(NEXT) | instid1(VALU_DEP_1)
	v_and_b32_e32 v4, 0xff, v4
	v_cmp_eq_u32_e64 s10, v4, v24
	s_delay_alu instid0(VALU_DEP_1) | instskip(NEXT) | instid1(SALU_CYCLE_1)
	s_and_b32 s25, vcc_lo, s10
	s_and_saveexec_b32 s10, s25
	s_cbranch_execz .LBB13_254
; %bb.258:                              ;   in Loop: Header=BB13_255 Depth=2
	v_lshlrev_b16 v3, 8, v3
	s_delay_alu instid0(VALU_DEP_1)
	v_or_b32_e32 v3, 1, v3
	ds_store_b16 v22, v3 offset:3072
	s_branch .LBB13_254
.LBB13_259:                             ;   in Loop: Header=BB13_15 Depth=1
	s_set_inst_prefetch_distance 0x2
	s_or_b32 exec_lo, exec_lo, s23
	v_lshrrev_b16 v25, 8, v3
	s_and_b32 s10, s24, exec_lo
.LBB13_260:                             ;   in Loop: Header=BB13_15 Depth=1
	s_or_b32 exec_lo, exec_lo, s15
	s_mov_b32 s24, 0
	s_mov_b32 s23, -1
	s_mov_b32 s15, 0
.LBB13_261:                             ;   in Loop: Header=BB13_15 Depth=1
	s_or_not1_b32 s10, s10, exec_lo
.LBB13_262:                             ;   in Loop: Header=BB13_15 Depth=1
	s_or_b32 exec_lo, exec_lo, s21
                                        ; implicit-def: $vgpr27
                                        ; implicit-def: $vgpr4
                                        ; implicit-def: $vgpr1
                                        ; implicit-def: $vgpr2
                                        ; implicit-def: $vgpr3
	s_and_saveexec_b32 s21, s10
	s_cbranch_execz .LBB13_391
; %bb.263:                              ;   in Loop: Header=BB13_15 Depth=1
	v_dual_mov_b32 v4, 1 :: v_dual_mov_b32 v27, 1
	s_xor_b32 s22, s22, -1
	s_mov_b32 s28, 0
	s_and_saveexec_b32 s10, s22
	s_cbranch_execz .LBB13_273
; %bb.264:                              ;   in Loop: Header=BB13_15 Depth=1
	s_mov_b32 s25, exec_lo
                                        ; implicit-def: $sgpr26
                                        ; implicit-def: $sgpr22
	v_cmpx_ge_u32_e64 s19, v26
	s_xor_b32 s25, exec_lo, s25
	s_cbranch_execz .LBB13_270
; %bb.265:                              ;   in Loop: Header=BB13_15 Depth=1
	ds_load_b32 v1, v22 offset:4096
	s_waitcnt lgkmcnt(0)
	v_cmp_ne_u32_e32 vcc_lo, 0, v1
	s_cbranch_vccnz .LBB13_269
; %bb.266:                              ;   in Loop: Header=BB13_15 Depth=1
	s_and_saveexec_b32 s22, s5
	s_cbranch_execz .LBB13_268
; %bb.267:                              ;   in Loop: Header=BB13_15 Depth=1
	v_mov_b32_e32 v1, s19
	ds_store_b32 v22, v1 offset:4100
.LBB13_268:                             ;   in Loop: Header=BB13_15 Depth=1
	s_or_b32 exec_lo, exec_lo, s22
	s_waitcnt lgkmcnt(0)
	s_barrier
	buffer_gl0_inv
.LBB13_269:                             ;   in Loop: Header=BB13_15 Depth=1
	v_or_b32_e32 v24, s13, v24
	v_or_b32_e32 v23, s13, v23
	s_mov_b32 s22, 0
	s_mov_b32 s26, 5
.LBB13_270:                             ;   in Loop: Header=BB13_15 Depth=1
	s_or_saveexec_b32 s25, s25
	v_mov_b32_e32 v27, s26
	s_xor_b32 exec_lo, exec_lo, s25
; %bb.271:                              ;   in Loop: Header=BB13_15 Depth=1
	v_subrev_nc_u32_e32 v26, s19, v26
	v_mov_b32_e32 v27, 0
	s_or_b32 s22, s22, exec_lo
; %bb.272:                              ;   in Loop: Header=BB13_15 Depth=1
	s_or_b32 exec_lo, exec_lo, s25
	s_delay_alu instid0(VALU_DEP_2)
	v_mov_b32_e32 v4, v26
	s_and_b32 s28, s22, exec_lo
.LBB13_273:                             ;   in Loop: Header=BB13_15 Depth=1
	s_or_b32 exec_lo, exec_lo, s10
	s_mov_b32 s26, -1
                                        ; implicit-def: $sgpr22
                                        ; implicit-def: $sgpr25
                                        ; implicit-def: $sgpr27
	s_and_saveexec_b32 s10, s28
	s_delay_alu instid0(SALU_CYCLE_1)
	s_xor_b32 s19, exec_lo, s10
	s_cbranch_execz .LBB13_388
; %bb.274:                              ;   in Loop: Header=BB13_15 Depth=1
	v_cmp_eq_u32_e32 vcc_lo, 1, v4
	s_cmp_eq_u32 s18, 1
                                        ; implicit-def: $sgpr22
                                        ; implicit-def: $sgpr25
                                        ; implicit-def: $sgpr26
	s_cselect_b32 s10, -1, 0
	s_delay_alu instid0(SALU_CYCLE_1)
	s_and_b32 s28, s10, vcc_lo
	s_mov_b32 s10, -1
	s_and_saveexec_b32 s27, s28
	s_cbranch_execz .LBB13_298
; %bb.275:                              ;   in Loop: Header=BB13_15 Depth=1
	ds_load_b32 v1, v22 offset:4096
	s_waitcnt lgkmcnt(0)
	s_barrier
	buffer_gl0_inv
	v_readfirstlane_b32 s22, v1
	s_and_saveexec_b32 s10, s6
	s_cbranch_execz .LBB13_277
; %bb.276:                              ;   in Loop: Header=BB13_15 Depth=1
	ds_store_b8 v0, v15 offset:3072
.LBB13_277:                             ;   in Loop: Header=BB13_15 Depth=1
	s_or_b32 exec_lo, exec_lo, s10
	s_lshl_b32 s10, 2, s17
	v_or_b32_e32 v23, s13, v23
	v_and_or_b32 v24, v24, s14, s10
	s_cmp_eq_u32 s22, 0
	s_waitcnt lgkmcnt(0)
	s_barrier
	buffer_gl0_inv
	s_cbranch_scc1 .LBB13_285
; %bb.278:                              ;   in Loop: Header=BB13_15 Depth=1
	s_add_i32 s10, s22, s56
                                        ; implicit-def: $vgpr25
	s_delay_alu instid0(SALU_CYCLE_1) | instskip(NEXT) | instid1(SALU_CYCLE_1)
	s_mul_hi_u32 s25, s10, s62
	s_mul_i32 s25, s25, s33
	s_delay_alu instid0(SALU_CYCLE_1) | instskip(NEXT) | instid1(SALU_CYCLE_1)
	s_sub_i32 s25, s10, s25
	s_sub_i32 s26, s25, s33
	s_cmp_ge_u32 s25, s33
	s_cselect_b32 s25, s26, s25
	s_delay_alu instid0(SALU_CYCLE_1) | instskip(SKIP_2) | instid1(SALU_CYCLE_1)
	s_sub_i32 s26, s25, s33
	s_cmp_ge_u32 s25, s33
	s_cselect_b32 s25, s26, s25
	s_sub_i32 s26, s10, s25
	s_mov_b32 s10, 0
	s_mov_b32 s25, exec_lo
	v_cmpx_gt_u32_e64 s26, v0
	s_cbranch_execz .LBB13_287
; %bb.279:                              ;   in Loop: Header=BB13_15 Depth=1
	v_mov_b32_e32 v1, v0
	s_mov_b32 s29, 0
                                        ; implicit-def: $sgpr78
	s_set_inst_prefetch_distance 0x1
	s_branch .LBB13_281
	.p2align	6
.LBB13_280:                             ;   in Loop: Header=BB13_281 Depth=2
	s_or_b32 exec_lo, exec_lo, s10
	s_waitcnt lgkmcnt(0)
	s_barrier
	buffer_gl0_inv
	ds_load_u16 v2, v22 offset:3072
	v_add_nc_u32_e32 v1, s33, v1
	s_waitcnt lgkmcnt(0)
	s_barrier
	buffer_gl0_inv
	v_cmp_le_u32_e32 vcc_lo, s26, v1
	v_and_b32_e32 v3, 0xff, v2
	s_delay_alu instid0(VALU_DEP_1) | instskip(NEXT) | instid1(VALU_DEP_1)
	v_cmp_ne_u16_e64 s10, 0, v3
	s_or_b32 s79, vcc_lo, s10
	s_delay_alu instid0(SALU_CYCLE_1) | instskip(NEXT) | instid1(SALU_CYCLE_1)
	s_and_b32 s79, exec_lo, s79
	s_or_b32 s29, s79, s29
	s_and_not1_b32 s78, s78, exec_lo
	s_and_b32 s10, s10, exec_lo
	s_delay_alu instid0(SALU_CYCLE_1)
	s_or_b32 s78, s78, s10
	s_and_not1_b32 exec_lo, exec_lo, s29
	s_cbranch_execz .LBB13_286
.LBB13_281:                             ;   Parent Loop BB13_15 Depth=1
                                        ; =>  This Inner Loop Header: Depth=2
	s_delay_alu instid0(VALU_DEP_1)
	v_cmp_gt_u32_e32 vcc_lo, s22, v1
	v_mov_b32_e32 v2, 0
	s_and_saveexec_b32 s10, vcc_lo
	s_cbranch_execz .LBB13_283
; %bb.282:                              ;   in Loop: Header=BB13_281 Depth=2
	ds_load_u8 v2, v1
.LBB13_283:                             ;   in Loop: Header=BB13_281 Depth=2
	s_or_b32 exec_lo, exec_lo, s10
	s_waitcnt lgkmcnt(0)
	v_and_b32_e32 v3, v2, v23
	s_delay_alu instid0(VALU_DEP_1) | instskip(NEXT) | instid1(VALU_DEP_1)
	v_and_b32_e32 v3, 0xff, v3
	v_cmp_eq_u32_e64 s10, v3, v24
	s_delay_alu instid0(VALU_DEP_1) | instskip(NEXT) | instid1(SALU_CYCLE_1)
	s_and_b32 s79, vcc_lo, s10
	s_and_saveexec_b32 s10, s79
	s_cbranch_execz .LBB13_280
; %bb.284:                              ;   in Loop: Header=BB13_281 Depth=2
	v_lshlrev_b16 v2, 8, v2
	s_delay_alu instid0(VALU_DEP_1)
	v_or_b32_e32 v2, 1, v2
	ds_store_b16 v22, v2 offset:3072
	s_branch .LBB13_280
.LBB13_285:                             ;   in Loop: Header=BB13_15 Depth=1
	s_mov_b32 s22, -1
	s_mov_b32 s10, 0
                                        ; implicit-def: $sgpr25
                                        ; implicit-def: $vgpr25
	s_mov_b32 s26, s22
	s_cbranch_execnz .LBB13_288
	s_branch .LBB13_297
.LBB13_286:                             ;   in Loop: Header=BB13_15 Depth=1
	s_set_inst_prefetch_distance 0x2
	s_or_b32 exec_lo, exec_lo, s29
	v_lshrrev_b16 v25, 8, v2
	s_and_b32 s10, s78, exec_lo
.LBB13_287:                             ;   in Loop: Header=BB13_15 Depth=1
	s_or_b32 exec_lo, exec_lo, s25
	s_mov_b32 s22, 0
	s_mov_b32 s25, -1
	s_mov_b32 s26, s22
	s_branch .LBB13_297
.LBB13_288:                             ;   in Loop: Header=BB13_15 Depth=1
	s_mov_b32 s10, 0
                                        ; implicit-def: $vgpr25
	s_and_saveexec_b32 s22, s9
	s_cbranch_execz .LBB13_296
; %bb.289:                              ;   in Loop: Header=BB13_15 Depth=1
	v_dual_mov_b32 v1, v14 :: v_dual_mov_b32 v2, v0
	s_mov_b32 s25, 0
                                        ; implicit-def: $sgpr26
	s_set_inst_prefetch_distance 0x1
	s_branch .LBB13_291
	.p2align	6
.LBB13_290:                             ;   in Loop: Header=BB13_291 Depth=2
	s_or_b32 exec_lo, exec_lo, s10
	s_waitcnt lgkmcnt(0)
	s_barrier
	buffer_gl0_inv
	ds_load_u16 v3, v22 offset:3072
	v_add_nc_u32_e32 v2, s33, v2
	v_add_nc_u32_e32 v1, s40, v1
	s_waitcnt lgkmcnt(0)
	s_barrier
	buffer_gl0_inv
	v_cmp_le_u32_e32 vcc_lo, s64, v2
	v_and_b32_e32 v25, 0xff, v3
	s_delay_alu instid0(VALU_DEP_1) | instskip(NEXT) | instid1(VALU_DEP_1)
	v_cmp_ne_u16_e64 s10, 0, v25
	s_or_b32 s29, vcc_lo, s10
	s_delay_alu instid0(SALU_CYCLE_1) | instskip(NEXT) | instid1(SALU_CYCLE_1)
	s_and_b32 s29, exec_lo, s29
	s_or_b32 s25, s29, s25
	s_and_not1_b32 s26, s26, exec_lo
	s_and_b32 s10, s10, exec_lo
	s_delay_alu instid0(SALU_CYCLE_1)
	s_or_b32 s26, s26, s10
	s_and_not1_b32 exec_lo, exec_lo, s25
	s_cbranch_execz .LBB13_295
.LBB13_291:                             ;   Parent Loop BB13_15 Depth=1
                                        ; =>  This Inner Loop Header: Depth=2
	s_delay_alu instid0(VALU_DEP_1)
	v_cmp_gt_u32_e32 vcc_lo, s36, v2
	v_mov_b32_e32 v3, 0
	s_and_saveexec_b32 s10, vcc_lo
	s_cbranch_execz .LBB13_293
; %bb.292:                              ;   in Loop: Header=BB13_291 Depth=2
	global_load_u8 v3, v1, s[30:31]
.LBB13_293:                             ;   in Loop: Header=BB13_291 Depth=2
	s_or_b32 exec_lo, exec_lo, s10
	s_waitcnt vmcnt(0)
	v_and_b32_e32 v25, v3, v23
	s_delay_alu instid0(VALU_DEP_1) | instskip(NEXT) | instid1(VALU_DEP_1)
	v_and_b32_e32 v25, 0xff, v25
	v_cmp_eq_u32_e64 s10, v25, v24
	s_delay_alu instid0(VALU_DEP_1) | instskip(NEXT) | instid1(SALU_CYCLE_1)
	s_and_b32 s29, vcc_lo, s10
	s_and_saveexec_b32 s10, s29
	s_cbranch_execz .LBB13_290
; %bb.294:                              ;   in Loop: Header=BB13_291 Depth=2
	v_lshlrev_b16 v3, 8, v3
	s_delay_alu instid0(VALU_DEP_1)
	v_or_b32_e32 v3, 1, v3
	ds_store_b16 v22, v3 offset:3072
	s_branch .LBB13_290
.LBB13_295:                             ;   in Loop: Header=BB13_15 Depth=1
	s_set_inst_prefetch_distance 0x2
	s_or_b32 exec_lo, exec_lo, s25
	v_lshrrev_b16 v25, 8, v3
	s_and_b32 s10, s26, exec_lo
.LBB13_296:                             ;   in Loop: Header=BB13_15 Depth=1
	s_or_b32 exec_lo, exec_lo, s22
	s_mov_b32 s25, 0
	s_mov_b32 s22, -1
	s_mov_b32 s26, 0
.LBB13_297:                             ;   in Loop: Header=BB13_15 Depth=1
	s_or_not1_b32 s10, s10, exec_lo
.LBB13_298:                             ;   in Loop: Header=BB13_15 Depth=1
	s_or_b32 exec_lo, exec_lo, s27
	s_mov_b32 s29, 0
                                        ; implicit-def: $vgpr27
	s_and_saveexec_b32 s27, s10
	s_cbranch_execz .LBB13_387
; %bb.299:                              ;   in Loop: Header=BB13_15 Depth=1
	v_mov_b32_e32 v1, 1
	v_mov_b32_e32 v27, 1
	s_xor_b32 s28, s28, -1
	s_mov_b32 s78, 0
	s_and_saveexec_b32 s10, s28
	s_cbranch_execz .LBB13_309
; %bb.300:                              ;   in Loop: Header=BB13_15 Depth=1
	s_mov_b32 s29, exec_lo
                                        ; implicit-def: $sgpr78
                                        ; implicit-def: $sgpr28
	v_cmpx_ge_u32_e64 s18, v4
	s_xor_b32 s29, exec_lo, s29
	s_cbranch_execz .LBB13_306
; %bb.301:                              ;   in Loop: Header=BB13_15 Depth=1
	ds_load_b32 v1, v22 offset:4096
	s_waitcnt lgkmcnt(0)
	v_cmp_ne_u32_e32 vcc_lo, 0, v1
	s_cbranch_vccnz .LBB13_305
; %bb.302:                              ;   in Loop: Header=BB13_15 Depth=1
	s_and_saveexec_b32 s28, s5
	s_cbranch_execz .LBB13_304
; %bb.303:                              ;   in Loop: Header=BB13_15 Depth=1
	v_mov_b32_e32 v1, s18
	ds_store_b32 v22, v1 offset:4100
.LBB13_304:                             ;   in Loop: Header=BB13_15 Depth=1
	s_or_b32 exec_lo, exec_lo, s28
	s_waitcnt lgkmcnt(0)
	s_barrier
	buffer_gl0_inv
.LBB13_305:                             ;   in Loop: Header=BB13_15 Depth=1
	s_lshl_b32 s28, 2, s17
	v_or_b32_e32 v23, s13, v23
	v_and_or_b32 v24, v24, s14, s28
	s_mov_b32 s28, 0
	s_mov_b32 s78, 5
.LBB13_306:                             ;   in Loop: Header=BB13_15 Depth=1
	s_or_saveexec_b32 s29, s29
	v_mov_b32_e32 v27, s78
	s_xor_b32 exec_lo, exec_lo, s29
; %bb.307:                              ;   in Loop: Header=BB13_15 Depth=1
	v_subrev_nc_u32_e32 v4, s18, v4
	v_mov_b32_e32 v27, 0
	s_or_b32 s28, s28, exec_lo
; %bb.308:                              ;   in Loop: Header=BB13_15 Depth=1
	s_or_b32 exec_lo, exec_lo, s29
	s_delay_alu instid0(VALU_DEP_2)
	v_mov_b32_e32 v1, v4
	s_and_b32 s78, s28, exec_lo
.LBB13_309:                             ;   in Loop: Header=BB13_15 Depth=1
	s_or_b32 exec_lo, exec_lo, s10
	s_mov_b32 s10, -1
                                        ; implicit-def: $sgpr28
                                        ; implicit-def: $sgpr29
                                        ; implicit-def: $sgpr79
	s_and_saveexec_b32 s18, s78
	s_cbranch_execz .LBB13_386
; %bb.310:                              ;   in Loop: Header=BB13_15 Depth=1
	v_cmp_eq_u32_e32 vcc_lo, 1, v1
	s_cmp_eq_u32 s16, 1
                                        ; implicit-def: $sgpr28
                                        ; implicit-def: $sgpr29
                                        ; implicit-def: $sgpr78
	s_cselect_b32 s10, -1, 0
	s_delay_alu instid0(SALU_CYCLE_1)
	s_and_b32 s80, s10, vcc_lo
	s_mov_b32 s10, -1
	s_and_saveexec_b32 s79, s80
	s_cbranch_execz .LBB13_334
; %bb.311:                              ;   in Loop: Header=BB13_15 Depth=1
	ds_load_b32 v2, v22 offset:4096
	s_waitcnt lgkmcnt(0)
	s_barrier
	buffer_gl0_inv
	v_readfirstlane_b32 s28, v2
	s_and_saveexec_b32 s10, s6
	s_cbranch_execz .LBB13_313
; %bb.312:                              ;   in Loop: Header=BB13_15 Depth=1
	ds_store_b8 v0, v15 offset:3072
.LBB13_313:                             ;   in Loop: Header=BB13_15 Depth=1
	s_or_b32 exec_lo, exec_lo, s10
	s_lshl_b32 s10, 1, s17
	v_or_b32_e32 v23, s13, v23
	v_and_or_b32 v24, v24, s14, s10
	s_cmp_eq_u32 s28, 0
	s_waitcnt lgkmcnt(0)
	s_barrier
	buffer_gl0_inv
	s_cbranch_scc1 .LBB13_321
; %bb.314:                              ;   in Loop: Header=BB13_15 Depth=1
	s_add_i32 s10, s28, s56
                                        ; implicit-def: $vgpr25
	s_delay_alu instid0(SALU_CYCLE_1) | instskip(NEXT) | instid1(SALU_CYCLE_1)
	s_mul_hi_u32 s29, s10, s62
	s_mul_i32 s29, s29, s33
	s_delay_alu instid0(SALU_CYCLE_1) | instskip(NEXT) | instid1(SALU_CYCLE_1)
	s_sub_i32 s29, s10, s29
	s_sub_i32 s78, s29, s33
	s_cmp_ge_u32 s29, s33
	s_cselect_b32 s29, s78, s29
	s_delay_alu instid0(SALU_CYCLE_1) | instskip(SKIP_2) | instid1(SALU_CYCLE_1)
	s_sub_i32 s78, s29, s33
	s_cmp_ge_u32 s29, s33
	s_cselect_b32 s29, s78, s29
	s_sub_i32 s78, s10, s29
	s_mov_b32 s10, 0
	s_mov_b32 s29, exec_lo
	v_cmpx_gt_u32_e64 s78, v0
	s_cbranch_execz .LBB13_323
; %bb.315:                              ;   in Loop: Header=BB13_15 Depth=1
	v_mov_b32_e32 v2, v0
	s_mov_b32 s81, 0
                                        ; implicit-def: $sgpr82
	s_set_inst_prefetch_distance 0x1
	s_branch .LBB13_317
	.p2align	6
.LBB13_316:                             ;   in Loop: Header=BB13_317 Depth=2
	s_or_b32 exec_lo, exec_lo, s10
	s_waitcnt lgkmcnt(0)
	s_barrier
	buffer_gl0_inv
	ds_load_u16 v3, v22 offset:3072
	v_add_nc_u32_e32 v2, s33, v2
	s_waitcnt lgkmcnt(0)
	s_barrier
	buffer_gl0_inv
	v_cmp_le_u32_e32 vcc_lo, s78, v2
	v_and_b32_e32 v4, 0xff, v3
	s_delay_alu instid0(VALU_DEP_1) | instskip(NEXT) | instid1(VALU_DEP_1)
	v_cmp_ne_u16_e64 s10, 0, v4
	s_or_b32 s83, vcc_lo, s10
	s_delay_alu instid0(SALU_CYCLE_1) | instskip(NEXT) | instid1(SALU_CYCLE_1)
	s_and_b32 s83, exec_lo, s83
	s_or_b32 s81, s83, s81
	s_and_not1_b32 s82, s82, exec_lo
	s_and_b32 s10, s10, exec_lo
	s_delay_alu instid0(SALU_CYCLE_1)
	s_or_b32 s82, s82, s10
	s_and_not1_b32 exec_lo, exec_lo, s81
	s_cbranch_execz .LBB13_322
.LBB13_317:                             ;   Parent Loop BB13_15 Depth=1
                                        ; =>  This Inner Loop Header: Depth=2
	s_delay_alu instid0(VALU_DEP_1)
	v_cmp_gt_u32_e32 vcc_lo, s28, v2
	v_mov_b32_e32 v3, 0
	s_and_saveexec_b32 s10, vcc_lo
	s_cbranch_execz .LBB13_319
; %bb.318:                              ;   in Loop: Header=BB13_317 Depth=2
	ds_load_u8 v3, v2
.LBB13_319:                             ;   in Loop: Header=BB13_317 Depth=2
	s_or_b32 exec_lo, exec_lo, s10
	s_waitcnt lgkmcnt(0)
	v_and_b32_e32 v4, v3, v23
	s_delay_alu instid0(VALU_DEP_1) | instskip(NEXT) | instid1(VALU_DEP_1)
	v_and_b32_e32 v4, 0xff, v4
	v_cmp_eq_u32_e64 s10, v4, v24
	s_delay_alu instid0(VALU_DEP_1) | instskip(NEXT) | instid1(SALU_CYCLE_1)
	s_and_b32 s83, vcc_lo, s10
	s_and_saveexec_b32 s10, s83
	s_cbranch_execz .LBB13_316
; %bb.320:                              ;   in Loop: Header=BB13_317 Depth=2
	v_lshlrev_b16 v3, 8, v3
	s_delay_alu instid0(VALU_DEP_1)
	v_or_b32_e32 v3, 1, v3
	ds_store_b16 v22, v3 offset:3072
	s_branch .LBB13_316
.LBB13_321:                             ;   in Loop: Header=BB13_15 Depth=1
	s_mov_b32 s28, -1
	s_mov_b32 s10, 0
                                        ; implicit-def: $sgpr29
                                        ; implicit-def: $vgpr25
	s_mov_b32 s78, s28
	s_cbranch_execnz .LBB13_324
	s_branch .LBB13_333
.LBB13_322:                             ;   in Loop: Header=BB13_15 Depth=1
	s_set_inst_prefetch_distance 0x2
	s_or_b32 exec_lo, exec_lo, s81
	v_lshrrev_b16 v25, 8, v3
	s_and_b32 s10, s82, exec_lo
.LBB13_323:                             ;   in Loop: Header=BB13_15 Depth=1
	s_or_b32 exec_lo, exec_lo, s29
	s_mov_b32 s28, 0
	s_mov_b32 s29, -1
	s_mov_b32 s78, s28
	s_branch .LBB13_333
.LBB13_324:                             ;   in Loop: Header=BB13_15 Depth=1
	s_mov_b32 s10, 0
                                        ; implicit-def: $vgpr25
	s_and_saveexec_b32 s28, s9
	s_cbranch_execz .LBB13_332
; %bb.325:                              ;   in Loop: Header=BB13_15 Depth=1
	v_dual_mov_b32 v2, v14 :: v_dual_mov_b32 v3, v0
	s_mov_b32 s29, 0
                                        ; implicit-def: $sgpr78
	s_set_inst_prefetch_distance 0x1
	s_branch .LBB13_327
	.p2align	6
.LBB13_326:                             ;   in Loop: Header=BB13_327 Depth=2
	s_or_b32 exec_lo, exec_lo, s10
	s_waitcnt lgkmcnt(0)
	s_barrier
	buffer_gl0_inv
	ds_load_u16 v4, v22 offset:3072
	v_add_nc_u32_e32 v3, s33, v3
	v_add_nc_u32_e32 v2, s40, v2
	s_waitcnt lgkmcnt(0)
	s_barrier
	buffer_gl0_inv
	v_cmp_le_u32_e32 vcc_lo, s64, v3
	v_and_b32_e32 v25, 0xff, v4
	s_delay_alu instid0(VALU_DEP_1) | instskip(NEXT) | instid1(VALU_DEP_1)
	v_cmp_ne_u16_e64 s10, 0, v25
	s_or_b32 s81, vcc_lo, s10
	s_delay_alu instid0(SALU_CYCLE_1) | instskip(NEXT) | instid1(SALU_CYCLE_1)
	s_and_b32 s81, exec_lo, s81
	s_or_b32 s29, s81, s29
	s_and_not1_b32 s78, s78, exec_lo
	s_and_b32 s10, s10, exec_lo
	s_delay_alu instid0(SALU_CYCLE_1)
	s_or_b32 s78, s78, s10
	s_and_not1_b32 exec_lo, exec_lo, s29
	s_cbranch_execz .LBB13_331
.LBB13_327:                             ;   Parent Loop BB13_15 Depth=1
                                        ; =>  This Inner Loop Header: Depth=2
	s_delay_alu instid0(VALU_DEP_1)
	v_cmp_gt_u32_e32 vcc_lo, s36, v3
	v_mov_b32_e32 v4, 0
	s_and_saveexec_b32 s10, vcc_lo
	s_cbranch_execz .LBB13_329
; %bb.328:                              ;   in Loop: Header=BB13_327 Depth=2
	global_load_u8 v4, v2, s[30:31]
.LBB13_329:                             ;   in Loop: Header=BB13_327 Depth=2
	s_or_b32 exec_lo, exec_lo, s10
	s_waitcnt vmcnt(0)
	v_and_b32_e32 v25, v4, v23
	s_delay_alu instid0(VALU_DEP_1) | instskip(NEXT) | instid1(VALU_DEP_1)
	v_and_b32_e32 v25, 0xff, v25
	v_cmp_eq_u32_e64 s10, v25, v24
	s_delay_alu instid0(VALU_DEP_1) | instskip(NEXT) | instid1(SALU_CYCLE_1)
	s_and_b32 s81, vcc_lo, s10
	s_and_saveexec_b32 s10, s81
	s_cbranch_execz .LBB13_326
; %bb.330:                              ;   in Loop: Header=BB13_327 Depth=2
	v_lshlrev_b16 v4, 8, v4
	s_delay_alu instid0(VALU_DEP_1)
	v_or_b32_e32 v4, 1, v4
	ds_store_b16 v22, v4 offset:3072
	s_branch .LBB13_326
.LBB13_331:                             ;   in Loop: Header=BB13_15 Depth=1
	s_set_inst_prefetch_distance 0x2
	s_or_b32 exec_lo, exec_lo, s29
	v_lshrrev_b16 v25, 8, v4
	s_and_b32 s10, s78, exec_lo
.LBB13_332:                             ;   in Loop: Header=BB13_15 Depth=1
	s_or_b32 exec_lo, exec_lo, s28
	s_mov_b32 s29, 0
	s_mov_b32 s28, -1
	s_mov_b32 s78, 0
.LBB13_333:                             ;   in Loop: Header=BB13_15 Depth=1
	s_or_not1_b32 s10, s10, exec_lo
.LBB13_334:                             ;   in Loop: Header=BB13_15 Depth=1
	s_or_b32 exec_lo, exec_lo, s79
	s_mov_b32 s81, 0
                                        ; implicit-def: $vgpr27
	s_and_saveexec_b32 s79, s10
	s_cbranch_execz .LBB13_385
; %bb.335:                              ;   in Loop: Header=BB13_15 Depth=1
	v_dual_mov_b32 v2, 1 :: v_dual_mov_b32 v27, 1
	s_xor_b32 s81, s80, -1
	s_mov_b32 s80, 0
	s_and_saveexec_b32 s10, s81
	s_cbranch_execz .LBB13_345
; %bb.336:                              ;   in Loop: Header=BB13_15 Depth=1
	s_mov_b32 s81, exec_lo
                                        ; implicit-def: $sgpr82
                                        ; implicit-def: $sgpr80
	v_cmpx_ge_u32_e64 s16, v1
	s_xor_b32 s81, exec_lo, s81
	s_cbranch_execz .LBB13_342
; %bb.337:                              ;   in Loop: Header=BB13_15 Depth=1
	ds_load_b32 v2, v22 offset:4096
	s_waitcnt lgkmcnt(0)
	v_cmp_ne_u32_e32 vcc_lo, 0, v2
	s_cbranch_vccnz .LBB13_341
; %bb.338:                              ;   in Loop: Header=BB13_15 Depth=1
	s_and_saveexec_b32 s80, s5
	s_cbranch_execz .LBB13_340
; %bb.339:                              ;   in Loop: Header=BB13_15 Depth=1
	v_mov_b32_e32 v2, s16
	ds_store_b32 v22, v2 offset:4100
.LBB13_340:                             ;   in Loop: Header=BB13_15 Depth=1
	s_or_b32 exec_lo, exec_lo, s80
	s_waitcnt lgkmcnt(0)
	s_barrier
	buffer_gl0_inv
.LBB13_341:                             ;   in Loop: Header=BB13_15 Depth=1
	s_lshl_b32 s17, 1, s17
	v_or_b32_e32 v23, s13, v23
	v_and_or_b32 v24, v24, s14, s17
	s_mov_b32 s80, 0
	s_mov_b32 s82, 5
.LBB13_342:                             ;   in Loop: Header=BB13_15 Depth=1
	s_or_saveexec_b32 s17, s81
	v_mov_b32_e32 v27, s82
	s_xor_b32 exec_lo, exec_lo, s17
; %bb.343:                              ;   in Loop: Header=BB13_15 Depth=1
	v_subrev_nc_u32_e32 v1, s16, v1
	v_mov_b32_e32 v27, 0
	s_or_b32 s80, s80, exec_lo
; %bb.344:                              ;   in Loop: Header=BB13_15 Depth=1
	s_or_b32 exec_lo, exec_lo, s17
	s_delay_alu instid0(VALU_DEP_2)
	v_mov_b32_e32 v2, v1
	s_and_b32 s80, s80, exec_lo
.LBB13_345:                             ;   in Loop: Header=BB13_15 Depth=1
	s_or_b32 exec_lo, exec_lo, s10
	s_mov_b32 s17, -1
                                        ; implicit-def: $sgpr10
                                        ; implicit-def: $sgpr81
                                        ; implicit-def: $sgpr82
	s_and_saveexec_b32 s16, s80
	s_cbranch_execz .LBB13_384
; %bb.346:                              ;   in Loop: Header=BB13_15 Depth=1
	v_cmp_eq_u32_e32 vcc_lo, 1, v2
	s_cmp_eq_u32 s12, 1
	s_mov_b32 s83, -1
	s_cselect_b32 s10, -1, 0
                                        ; implicit-def: $sgpr81
                                        ; implicit-def: $sgpr82
	s_delay_alu instid0(SALU_CYCLE_1) | instskip(NEXT) | instid1(SALU_CYCLE_1)
	s_and_b32 s17, s10, vcc_lo
                                        ; implicit-def: $sgpr10
	s_and_saveexec_b32 s80, s17
	s_cbranch_execz .LBB13_371
; %bb.347:                              ;   in Loop: Header=BB13_15 Depth=1
	ds_load_b32 v1, v22 offset:4096
	s_waitcnt lgkmcnt(0)
	s_barrier
	buffer_gl0_inv
	v_readfirstlane_b32 s81, v1
	s_and_saveexec_b32 s10, s6
	s_cbranch_execz .LBB13_349
; %bb.348:                              ;   in Loop: Header=BB13_15 Depth=1
	ds_store_b8 v0, v15 offset:3072
.LBB13_349:                             ;   in Loop: Header=BB13_15 Depth=1
	s_or_b32 exec_lo, exec_lo, s10
	v_and_b32_e32 v24, s14, v24
	v_or_b32_e32 v23, s13, v23
	s_cmp_eq_u32 s81, 0
	s_waitcnt lgkmcnt(0)
	s_barrier
	buffer_gl0_inv
	s_cbranch_scc1 .LBB13_357
; %bb.350:                              ;   in Loop: Header=BB13_15 Depth=1
	s_add_i32 s10, s81, s56
                                        ; implicit-def: $vgpr25
	s_delay_alu instid0(SALU_CYCLE_1) | instskip(NEXT) | instid1(SALU_CYCLE_1)
	s_mul_hi_u32 s82, s10, s62
	s_mul_i32 s82, s82, s33
	s_delay_alu instid0(SALU_CYCLE_1) | instskip(NEXT) | instid1(SALU_CYCLE_1)
	s_sub_i32 s82, s10, s82
	s_sub_i32 s83, s82, s33
	s_cmp_ge_u32 s82, s33
	s_cselect_b32 s82, s83, s82
	s_delay_alu instid0(SALU_CYCLE_1)
	s_sub_i32 s83, s82, s33
	s_cmp_ge_u32 s82, s33
	s_cselect_b32 s82, s83, s82
	s_mov_b32 s83, 0
	s_sub_i32 s84, s10, s82
	s_mov_b32 s82, exec_lo
	v_cmpx_gt_u32_e64 s84, v0
	s_cbranch_execz .LBB13_359
; %bb.351:                              ;   in Loop: Header=BB13_15 Depth=1
	v_mov_b32_e32 v1, v0
                                        ; implicit-def: $sgpr85
	s_set_inst_prefetch_distance 0x1
	s_branch .LBB13_353
	.p2align	6
.LBB13_352:                             ;   in Loop: Header=BB13_353 Depth=2
	s_or_b32 exec_lo, exec_lo, s10
	s_waitcnt lgkmcnt(0)
	s_barrier
	buffer_gl0_inv
	ds_load_u16 v3, v22 offset:3072
	v_add_nc_u32_e32 v1, s33, v1
	s_waitcnt lgkmcnt(0)
	s_barrier
	buffer_gl0_inv
	v_cmp_le_u32_e32 vcc_lo, s84, v1
	v_and_b32_e32 v4, 0xff, v3
	s_delay_alu instid0(VALU_DEP_1) | instskip(NEXT) | instid1(VALU_DEP_1)
	v_cmp_ne_u16_e64 s10, 0, v4
	s_or_b32 s86, vcc_lo, s10
	s_delay_alu instid0(SALU_CYCLE_1) | instskip(NEXT) | instid1(SALU_CYCLE_1)
	s_and_b32 s86, exec_lo, s86
	s_or_b32 s83, s86, s83
	s_and_not1_b32 s85, s85, exec_lo
	s_and_b32 s10, s10, exec_lo
	s_delay_alu instid0(SALU_CYCLE_1)
	s_or_b32 s85, s85, s10
	s_and_not1_b32 exec_lo, exec_lo, s83
	s_cbranch_execz .LBB13_358
.LBB13_353:                             ;   Parent Loop BB13_15 Depth=1
                                        ; =>  This Inner Loop Header: Depth=2
	s_delay_alu instid0(VALU_DEP_1)
	v_cmp_gt_u32_e32 vcc_lo, s81, v1
	v_mov_b32_e32 v3, 0
	s_and_saveexec_b32 s10, vcc_lo
	s_cbranch_execz .LBB13_355
; %bb.354:                              ;   in Loop: Header=BB13_353 Depth=2
	ds_load_u8 v3, v1
.LBB13_355:                             ;   in Loop: Header=BB13_353 Depth=2
	s_or_b32 exec_lo, exec_lo, s10
	s_waitcnt lgkmcnt(0)
	v_and_b32_e32 v4, v3, v23
	s_delay_alu instid0(VALU_DEP_1) | instskip(NEXT) | instid1(VALU_DEP_1)
	v_and_b32_e32 v4, 0xff, v4
	v_cmp_eq_u32_e64 s10, v4, v24
	s_delay_alu instid0(VALU_DEP_1) | instskip(NEXT) | instid1(SALU_CYCLE_1)
	s_and_b32 s86, vcc_lo, s10
	s_and_saveexec_b32 s10, s86
	s_cbranch_execz .LBB13_352
; %bb.356:                              ;   in Loop: Header=BB13_353 Depth=2
	v_lshlrev_b16 v3, 8, v3
	s_delay_alu instid0(VALU_DEP_1)
	v_or_b32_e32 v3, 1, v3
	ds_store_b16 v22, v3 offset:3072
	s_branch .LBB13_352
.LBB13_357:                             ;   in Loop: Header=BB13_15 Depth=1
	s_mov_b32 s10, -1
	s_mov_b32 s83, 0
                                        ; implicit-def: $sgpr81
                                        ; implicit-def: $vgpr25
	s_branch .LBB13_360
.LBB13_358:                             ;   in Loop: Header=BB13_15 Depth=1
	s_set_inst_prefetch_distance 0x2
	s_or_b32 exec_lo, exec_lo, s83
	v_lshrrev_b16 v25, 8, v3
	s_and_b32 s83, s85, exec_lo
.LBB13_359:                             ;   in Loop: Header=BB13_15 Depth=1
	s_or_b32 exec_lo, exec_lo, s82
	s_mov_b32 s10, 0
	s_mov_b32 s81, -1
.LBB13_360:                             ;   in Loop: Header=BB13_15 Depth=1
	s_and_b32 vcc_lo, exec_lo, s10
	s_mov_b32 s82, s10
	s_cbranch_vccz .LBB13_370
; %bb.361:                              ;   in Loop: Header=BB13_15 Depth=1
	s_mov_b32 s83, 0
                                        ; implicit-def: $vgpr25
	s_and_saveexec_b32 s81, s9
	s_cbranch_execz .LBB13_369
; %bb.362:                              ;   in Loop: Header=BB13_15 Depth=1
	v_mov_b32_e32 v1, v14
	v_mov_b32_e32 v3, v0
	s_mov_b32 s82, 0
                                        ; implicit-def: $sgpr83
	s_set_inst_prefetch_distance 0x1
	s_branch .LBB13_364
	.p2align	6
.LBB13_363:                             ;   in Loop: Header=BB13_364 Depth=2
	s_or_b32 exec_lo, exec_lo, s10
	s_waitcnt lgkmcnt(0)
	s_barrier
	buffer_gl0_inv
	ds_load_u16 v4, v22 offset:3072
	v_add_nc_u32_e32 v3, s33, v3
	v_add_nc_u32_e32 v1, s40, v1
	s_waitcnt lgkmcnt(0)
	s_barrier
	buffer_gl0_inv
	v_cmp_le_u32_e32 vcc_lo, s64, v3
	v_and_b32_e32 v25, 0xff, v4
	s_delay_alu instid0(VALU_DEP_1) | instskip(NEXT) | instid1(VALU_DEP_1)
	v_cmp_ne_u16_e64 s10, 0, v25
	s_or_b32 s84, vcc_lo, s10
	s_delay_alu instid0(SALU_CYCLE_1) | instskip(NEXT) | instid1(SALU_CYCLE_1)
	s_and_b32 s84, exec_lo, s84
	s_or_b32 s82, s84, s82
	s_and_not1_b32 s83, s83, exec_lo
	s_and_b32 s10, s10, exec_lo
	s_delay_alu instid0(SALU_CYCLE_1)
	s_or_b32 s83, s83, s10
	s_and_not1_b32 exec_lo, exec_lo, s82
	s_cbranch_execz .LBB13_368
.LBB13_364:                             ;   Parent Loop BB13_15 Depth=1
                                        ; =>  This Inner Loop Header: Depth=2
	s_delay_alu instid0(VALU_DEP_1)
	v_cmp_gt_u32_e32 vcc_lo, s36, v3
	v_mov_b32_e32 v4, 0
	s_and_saveexec_b32 s10, vcc_lo
	s_cbranch_execz .LBB13_366
; %bb.365:                              ;   in Loop: Header=BB13_364 Depth=2
	global_load_u8 v4, v1, s[30:31]
.LBB13_366:                             ;   in Loop: Header=BB13_364 Depth=2
	s_or_b32 exec_lo, exec_lo, s10
	s_waitcnt vmcnt(0)
	v_and_b32_e32 v25, v4, v23
	s_delay_alu instid0(VALU_DEP_1) | instskip(NEXT) | instid1(VALU_DEP_1)
	v_and_b32_e32 v25, 0xff, v25
	v_cmp_eq_u32_e64 s10, v25, v24
	s_delay_alu instid0(VALU_DEP_1) | instskip(NEXT) | instid1(SALU_CYCLE_1)
	s_and_b32 s84, vcc_lo, s10
	s_and_saveexec_b32 s10, s84
	s_cbranch_execz .LBB13_363
; %bb.367:                              ;   in Loop: Header=BB13_364 Depth=2
	v_lshlrev_b16 v4, 8, v4
	s_delay_alu instid0(VALU_DEP_1)
	v_or_b32_e32 v4, 1, v4
	ds_store_b16 v22, v4 offset:3072
	s_branch .LBB13_363
.LBB13_368:                             ;   in Loop: Header=BB13_15 Depth=1
	s_set_inst_prefetch_distance 0x2
	s_or_b32 exec_lo, exec_lo, s82
	v_lshrrev_b16 v25, 8, v4
	s_and_b32 s83, s83, exec_lo
.LBB13_369:                             ;   in Loop: Header=BB13_15 Depth=1
	s_or_b32 exec_lo, exec_lo, s81
	s_mov_b32 s81, 0
	s_mov_b32 s10, -1
	s_mov_b32 s82, 0
.LBB13_370:                             ;   in Loop: Header=BB13_15 Depth=1
	s_or_not1_b32 s83, s83, exec_lo
.LBB13_371:                             ;   in Loop: Header=BB13_15 Depth=1
	s_or_b32 exec_lo, exec_lo, s80
	s_mov_b32 s84, 0
                                        ; implicit-def: $vgpr27
                                        ; implicit-def: $vgpr1
	s_and_saveexec_b32 s80, s83
	s_cbranch_execz .LBB13_383
; %bb.372:                              ;   in Loop: Header=BB13_15 Depth=1
	v_mov_b32_e32 v27, 1
	v_mov_b32_e32 v1, 1
	s_xor_b32 s83, s17, -1
	s_delay_alu instid0(SALU_CYCLE_1)
	s_and_saveexec_b32 s17, s83
	s_cbranch_execz .LBB13_382
; %bb.373:                              ;   in Loop: Header=BB13_15 Depth=1
	s_mov_b32 s83, exec_lo
                                        ; implicit-def: $sgpr84
	v_cmpx_ge_u32_e64 s12, v2
	s_xor_b32 s83, exec_lo, s83
	s_cbranch_execz .LBB13_379
; %bb.374:                              ;   in Loop: Header=BB13_15 Depth=1
	ds_load_b32 v1, v22 offset:4096
	s_waitcnt lgkmcnt(0)
	v_cmp_ne_u32_e32 vcc_lo, 0, v1
	s_cbranch_vccnz .LBB13_378
; %bb.375:                              ;   in Loop: Header=BB13_15 Depth=1
	s_and_saveexec_b32 s84, s5
	s_cbranch_execz .LBB13_377
; %bb.376:                              ;   in Loop: Header=BB13_15 Depth=1
	v_mov_b32_e32 v1, s12
	ds_store_b32 v22, v1 offset:4100
.LBB13_377:                             ;   in Loop: Header=BB13_15 Depth=1
	s_or_b32 exec_lo, exec_lo, s84
	s_waitcnt lgkmcnt(0)
	s_barrier
	buffer_gl0_inv
.LBB13_378:                             ;   in Loop: Header=BB13_15 Depth=1
	v_and_b32_e32 v24, s14, v24
	v_or_b32_e32 v23, s13, v23
	s_mov_b32 s84, 5
.LBB13_379:                             ;   in Loop: Header=BB13_15 Depth=1
	s_or_saveexec_b32 s13, s83
	v_mov_b32_e32 v27, s84
	s_xor_b32 exec_lo, exec_lo, s13
; %bb.380:                              ;   in Loop: Header=BB13_15 Depth=1
	v_subrev_nc_u32_e32 v2, s12, v2
	v_mov_b32_e32 v27, 5
; %bb.381:                              ;   in Loop: Header=BB13_15 Depth=1
	s_or_b32 exec_lo, exec_lo, s13
	s_delay_alu instid0(VALU_DEP_2)
	v_mov_b32_e32 v1, v2
.LBB13_382:                             ;   in Loop: Header=BB13_15 Depth=1
	s_or_b32 exec_lo, exec_lo, s17
	s_delay_alu instid0(SALU_CYCLE_1)
	s_mov_b32 s84, exec_lo
.LBB13_383:                             ;   in Loop: Header=BB13_15 Depth=1
	s_or_b32 exec_lo, exec_lo, s80
	s_delay_alu instid0(VALU_DEP_1)
	v_mov_b32_e32 v2, v1
	s_or_not1_b32 s17, s84, exec_lo
.LBB13_384:                             ;   in Loop: Header=BB13_15 Depth=1
	s_or_b32 exec_lo, exec_lo, s16
	s_delay_alu instid0(SALU_CYCLE_1)
	s_and_not1_b32 s12, s28, exec_lo
	s_and_b32 s10, s10, exec_lo
	s_and_not1_b32 s13, s78, exec_lo
	s_or_b32 s28, s12, s10
	s_and_not1_b32 s10, s29, exec_lo
	s_and_b32 s12, s81, exec_lo
	s_and_b32 s14, s82, exec_lo
	v_mov_b32_e32 v1, v2
	s_or_b32 s29, s10, s12
	s_or_b32 s78, s13, s14
	s_and_b32 s81, s17, exec_lo
.LBB13_385:                             ;   in Loop: Header=BB13_15 Depth=1
	s_or_b32 exec_lo, exec_lo, s79
	s_delay_alu instid0(SALU_CYCLE_1)
	s_and_b32 s79, s28, exec_lo
	s_and_b32 s29, s29, exec_lo
	;; [unrolled: 1-line block ×3, first 2 shown]
	s_or_not1_b32 s10, s81, exec_lo
.LBB13_386:                             ;   in Loop: Header=BB13_15 Depth=1
	s_or_b32 exec_lo, exec_lo, s18
	s_delay_alu instid0(SALU_CYCLE_1)
	s_and_not1_b32 s12, s22, exec_lo
	s_and_b32 s13, s79, exec_lo
	s_and_not1_b32 s14, s26, exec_lo
	s_or_b32 s22, s12, s13
	s_and_not1_b32 s12, s25, exec_lo
	s_and_b32 s13, s29, exec_lo
	s_and_b32 s16, s28, exec_lo
	v_mov_b32_e32 v4, v1
	s_or_b32 s25, s12, s13
	s_or_b32 s26, s14, s16
	s_and_b32 s29, s10, exec_lo
.LBB13_387:                             ;   in Loop: Header=BB13_15 Depth=1
	s_or_b32 exec_lo, exec_lo, s27
	s_delay_alu instid0(SALU_CYCLE_1)
	s_and_b32 s27, s22, exec_lo
	s_and_b32 s25, s25, exec_lo
	;; [unrolled: 1-line block ×3, first 2 shown]
	s_or_not1_b32 s26, s29, exec_lo
.LBB13_388:                             ;   in Loop: Header=BB13_15 Depth=1
	s_or_b32 exec_lo, exec_lo, s19
	s_mov_b32 s10, s20
	s_mov_b32 s12, s11
	s_and_saveexec_b32 s13, s26
; %bb.389:                              ;   in Loop: Header=BB13_15 Depth=1
	v_cmp_eq_u32_e32 vcc_lo, 5, v27
	v_cmp_ne_u32_e64 s10, 5, v27
	s_and_not1_b32 s12, s11, exec_lo
	s_and_not1_b32 s14, s20, exec_lo
	;; [unrolled: 1-line block ×3, first 2 shown]
	s_and_b32 s16, vcc_lo, exec_lo
	s_and_b32 s10, s10, exec_lo
	s_and_not1_b32 s25, s25, exec_lo
	s_and_not1_b32 s22, s22, exec_lo
	s_or_b32 s12, s12, s10
	s_or_b32 s10, s14, s16
; %bb.390:                              ;   in Loop: Header=BB13_15 Depth=1
	s_or_b32 exec_lo, exec_lo, s13
	s_delay_alu instid0(SALU_CYCLE_1)
	s_and_not1_b32 s13, s23, exec_lo
	s_and_b32 s14, s27, exec_lo
	v_dual_mov_b32 v1, v24 :: v_dual_mov_b32 v2, v23
	s_or_b32 s23, s13, s14
	s_and_not1_b32 s13, s24, exec_lo
	s_and_b32 s14, s25, exec_lo
	v_mov_b32_e32 v3, v25
	s_and_not1_b32 s15, s15, exec_lo
	s_and_b32 s16, s22, exec_lo
	s_or_b32 s24, s13, s14
	s_and_not1_b32 s11, s11, exec_lo
	s_and_b32 s12, s12, exec_lo
	s_and_not1_b32 s13, s20, exec_lo
	s_and_b32 s10, s10, exec_lo
	s_or_b32 s15, s15, s16
	s_or_b32 s11, s11, s12
	;; [unrolled: 1-line block ×3, first 2 shown]
.LBB13_391:                             ;   in Loop: Header=BB13_15 Depth=1
	s_or_b32 exec_lo, exec_lo, s21
	s_mov_b32 s22, s15
	s_mov_b32 s21, s15
	s_and_saveexec_b32 s10, s20
.LBB13_392:                             ;   in Loop: Header=BB13_15 Depth=1
	v_mov_b32_e32 v27, 0
	s_and_not1_b32 s15, s15, exec_lo
	s_and_not1_b32 s23, s23, exec_lo
	;; [unrolled: 1-line block ×5, first 2 shown]
	s_or_b32 s11, s11, exec_lo
.LBB13_393:                             ;   in Loop: Header=BB13_15 Depth=1
	s_or_b32 exec_lo, exec_lo, s10
	s_delay_alu instid0(SALU_CYCLE_1)
	s_and_not1_b32 s10, s77, exec_lo
	s_and_b32 s13, s15, exec_lo
	s_and_not1_b32 s14, s74, exec_lo
	s_or_b32 s77, s10, s13
	s_and_not1_b32 s10, s76, exec_lo
	s_and_b32 s13, s23, exec_lo
	s_and_b32 s15, s24, exec_lo
	s_or_b32 s76, s10, s13
	s_or_b32 s74, s14, s15
	s_and_not1_b32 s10, s75, exec_lo
	s_and_b32 s13, s22, exec_lo
	s_and_not1_b32 s14, s73, exec_lo
	s_and_b32 s15, s21, exec_lo
	s_mov_b32 s12, -1
	s_or_b32 s75, s10, s13
	s_or_b32 s73, s14, s15
                                        ; implicit-def: $vgpr23
                                        ; implicit-def: $vgpr24
                                        ; implicit-def: $vgpr26
                                        ; implicit-def: $vgpr25
	s_and_saveexec_b32 s10, s11
	s_delay_alu instid0(SALU_CYCLE_1)
	s_xor_b32 s10, exec_lo, s10
	s_cbranch_execz .LBB13_14
; %bb.394:                              ;   in Loop: Header=BB13_15 Depth=1
	s_mov_b32 s11, -1
	s_mov_b32 s13, exec_lo
	v_cmpx_eq_u32_e32 0, v27
	s_cbranch_execz .LBB13_13
; %bb.395:                              ;   in Loop: Header=BB13_15 Depth=1
	s_xor_b32 s67, s67, 1
	s_add_i32 s14, s71, -2
	s_cmp_eq_u32 s71, 0
	s_mov_b32 s71, s14
	s_cselect_b32 s11, -1, 0
	s_xor_b32 s12, exec_lo, -1
	s_or_not1_b32 s11, s11, exec_lo
	s_branch .LBB13_13
.LBB13_396:
	s_or_b32 exec_lo, exec_lo, s50
	s_xor_b32 s7, s72, -1
	s_xor_b32 s12, s69, -1
	;; [unrolled: 1-line block ×5, first 2 shown]
	s_mov_b32 s9, 0
	s_and_saveexec_b32 s10, s8
	s_delay_alu instid0(SALU_CYCLE_1)
	s_xor_b32 s8, exec_lo, s10
	s_cbranch_execz .LBB13_453
; %bb.397:
	s_mov_b32 s10, 0
	s_and_saveexec_b32 s9, s11
	s_delay_alu instid0(SALU_CYCLE_1)
	s_xor_b32 s9, exec_lo, s9
	s_cbranch_execz .LBB13_451
; %bb.398:
	;; [unrolled: 6-line block ×4, first 2 shown]
	s_and_saveexec_b32 s7, s6
	s_delay_alu instid0(SALU_CYCLE_1)
	s_xor_b32 s6, exec_lo, s7
; %bb.401:
	v_mov_b32_e32 v3, v1
; %bb.402:
	s_or_b32 exec_lo, exec_lo, s6
	s_and_saveexec_b32 s6, s5
	s_cbranch_execz .LBB13_404
; %bb.403:
	v_mov_b32_e32 v1, 0
	ds_store_b32 v1, v1 offset:4108
.LBB13_404:
	s_or_b32 exec_lo, exec_lo, s6
	v_mov_b32_e32 v9, 0
	s_waitcnt lgkmcnt(0)
	s_barrier
	buffer_gl0_inv
	s_and_saveexec_b32 s5, s4
	s_cbranch_execz .LBB13_406
; %bb.405:
	global_load_u8 v9, v[5:6], off
.LBB13_406:
	s_or_b32 exec_lo, exec_lo, s5
	s_clause 0x1
	s_load_b32 s5, s[0:1], 0x1c8
	s_load_b32 s12, s[0:1], 0x2a8
	v_add_nc_u32_e32 v1, s33, v0
	s_mul_i32 s0, s42, s48
	s_add_i32 s13, s36, 31
	s_mul_i32 s1, s49, s35
	s_add_i32 s6, s0, s41
	v_mul_lo_u32 v4, s34, v1
	s_and_not1_b32 s13, s13, 31
	s_add_i32 s0, s1, s43
	s_mov_b32 s1, 0
	s_add_u32 s6, s46, s6
	s_addc_u32 s7, s47, 0
	s_lshl_b64 s[14:15], s[0:1], 3
	v_and_b32_e32 v7, 0xff, v3
	s_add_u32 s14, s44, s14
	s_addc_u32 s15, s45, s15
	s_mov_b32 s0, -1
	s_mov_b32 s16, 0
	s_mov_b32 s17, exec_lo
	v_cmpx_gt_u32_e64 s13, v0
	s_cbranch_execz .LBB13_422
; %bb.407:
	v_mul_lo_u32 v8, s34, v1
	v_dual_mov_b32 v2, 0 :: v_dual_mov_b32 v1, v0
                                        ; implicit-def: $sgpr18
                                        ; implicit-def: $vgpr13
	s_branch .LBB13_409
.LBB13_408:                             ;   in Loop: Header=BB13_409 Depth=1
	s_or_b32 exec_lo, exec_lo, s19
	s_xor_b32 s19, s20, -1
	s_and_b32 s0, exec_lo, s0
	v_mov_b32_e32 v9, v12
	s_or_b32 s16, s0, s16
	v_mov_b32_e32 v1, v10
	s_and_not1_b32 s0, s18, exec_lo
	s_and_b32 s18, s19, exec_lo
	s_delay_alu instid0(SALU_CYCLE_1)
	s_or_b32 s18, s0, s18
	s_and_not1_b32 exec_lo, exec_lo, s16
	s_cbranch_execz .LBB13_421
.LBB13_409:                             ; =>This Inner Loop Header: Depth=1
	s_delay_alu instid0(VALU_DEP_1) | instskip(SKIP_2) | instid1(VALU_DEP_2)
	v_add_nc_u32_e32 v10, s33, v1
	v_mov_b32_e32 v12, 0
	s_mov_b32 s0, exec_lo
	v_cmpx_gt_u32_e64 s36, v10
	s_cbranch_execz .LBB13_411
; %bb.410:                              ;   in Loop: Header=BB13_409 Depth=1
	global_load_u8 v12, v8, s[30:31]
.LBB13_411:                             ;   in Loop: Header=BB13_409 Depth=1
	s_or_b32 exec_lo, exec_lo, s0
	s_waitcnt vmcnt(0)
	v_and_b32_e32 v14, 0xff, v9
	s_delay_alu instid0(VALU_DEP_1) | instskip(SKIP_4) | instid1(VALU_DEP_2)
	v_cmp_gt_u16_e32 vcc_lo, v14, v7
	v_cndmask_b32_e64 v15, 0, 1, vcc_lo
	v_cmp_lt_u16_e32 vcc_lo, v14, v7
	v_cndmask_b32_e64 v14, 0, 1, vcc_lo
	v_cmp_gt_u32_e32 vcc_lo, s36, v1
	v_cndmask_b32_e64 v14, v14, v15, s3
	s_delay_alu instid0(VALU_DEP_1) | instskip(NEXT) | instid1(VALU_DEP_1)
	v_and_b32_e32 v14, 1, v14
	v_cmp_eq_u32_e64 s0, 1, v14
	s_delay_alu instid0(VALU_DEP_1) | instskip(NEXT) | instid1(SALU_CYCLE_1)
	s_and_b32 s19, vcc_lo, s0
	v_cndmask_b32_e64 v14, 0, 1, s19
	s_delay_alu instid0(VALU_DEP_1) | instskip(SKIP_2) | instid1(SALU_CYCLE_1)
	v_cmp_ne_u32_e32 vcc_lo, 0, v14
	s_cmp_lg_u32 vcc_lo, 0
	s_cselect_b32 s0, -1, 0
	s_and_b32 s0, s2, s0
	s_delay_alu instid0(SALU_CYCLE_1)
	s_and_saveexec_b32 s20, s0
	s_cbranch_execz .LBB13_415
; %bb.412:                              ;   in Loop: Header=BB13_409 Depth=1
	s_mov_b32 s23, exec_lo
	s_bcnt1_i32_b32 s21, vcc_lo
	s_waitcnt lgkmcnt(0)
	v_mbcnt_lo_u32_b32 v13, s23, 0
	s_mov_b32 s22, exec_lo
                                        ; implicit-def: $vgpr14
	s_delay_alu instid0(VALU_DEP_1)
	v_cmpx_eq_u32_e32 0, v13
	s_cbranch_execz .LBB13_414
; %bb.413:                              ;   in Loop: Header=BB13_409 Depth=1
	s_bcnt1_i32_b32 s0, s23
	s_delay_alu instid0(SALU_CYCLE_1) | instskip(NEXT) | instid1(SALU_CYCLE_1)
	s_mul_i32 s0, s21, s0
	v_mov_b32_e32 v14, s0
	ds_add_rtn_u32 v14, v2, v14 offset:4108
.LBB13_414:                             ;   in Loop: Header=BB13_409 Depth=1
	s_or_b32 exec_lo, exec_lo, s22
	s_waitcnt lgkmcnt(0)
	v_readfirstlane_b32 s0, v14
	s_delay_alu instid0(VALU_DEP_1)
	v_mad_u32_u24 v13, s21, v13, s0
.LBB13_415:                             ;   in Loop: Header=BB13_409 Depth=1
	s_or_b32 exec_lo, exec_lo, s20
	s_waitcnt lgkmcnt(0)
	ds_bpermute_b32 v13, v2, v13
	s_mov_b32 s0, -1
	s_mov_b32 s22, -1
                                        ; implicit-def: $sgpr20
	s_and_saveexec_b32 s21, s19
	s_cbranch_execz .LBB13_419
; %bb.416:                              ;   in Loop: Header=BB13_409 Depth=1
	v_and_b32_e32 v14, vcc_lo, v11
	s_mov_b32 s19, 0
	s_mov_b32 s20, exec_lo
	s_waitcnt lgkmcnt(0)
	s_delay_alu instid0(VALU_DEP_1) | instskip(NEXT) | instid1(VALU_DEP_1)
	v_bcnt_u32_b32 v14, v14, v13
	v_cmpx_gt_u32_e64 s37, v14
	s_cbranch_execz .LBB13_418
; %bb.417:                              ;   in Loop: Header=BB13_409 Depth=1
	v_mul_lo_u32 v15, v14, s12
	v_mov_b32_e32 v16, v2
	v_mul_lo_u32 v17, v14, s5
	s_mov_b32 s19, exec_lo
	s_delay_alu instid0(VALU_DEP_2) | instskip(NEXT) | instid1(VALU_DEP_1)
	v_lshlrev_b64 v[15:16], 3, v[15:16]
	v_add_co_u32 v14, vcc_lo, s14, v15
	s_delay_alu instid0(VALU_DEP_2)
	v_add_co_ci_u32_e32 v15, vcc_lo, s15, v16, vcc_lo
	global_store_b8 v17, v9, s[6:7]
	global_store_b64 v[14:15], v[1:2], off
.LBB13_418:                             ;   in Loop: Header=BB13_409 Depth=1
	s_or_b32 exec_lo, exec_lo, s20
	s_mov_b32 s20, -1
	s_or_not1_b32 s22, s19, exec_lo
.LBB13_419:                             ;   in Loop: Header=BB13_409 Depth=1
	s_or_b32 exec_lo, exec_lo, s21
	s_and_saveexec_b32 s19, s22
	s_cbranch_execz .LBB13_408
; %bb.420:                              ;   in Loop: Header=BB13_409 Depth=1
	v_cmp_le_u32_e32 vcc_lo, s13, v10
	v_add_nc_u32_e32 v8, s40, v8
	s_and_not1_b32 s20, s20, exec_lo
	s_or_not1_b32 s0, vcc_lo, exec_lo
	s_branch .LBB13_408
.LBB13_421:
	s_or_b32 exec_lo, exec_lo, s16
	s_delay_alu instid0(SALU_CYCLE_1)
	s_mov_b32 s16, exec_lo
	s_or_not1_b32 s0, s18, exec_lo
.LBB13_422:
	s_or_b32 exec_lo, exec_lo, s17
	s_and_saveexec_b32 s3, s0
	s_cbranch_execz .LBB13_445
; %bb.423:
	v_dual_mov_b32 v1, 0 :: v_dual_mov_b32 v8, 0
	s_waitcnt vmcnt(0) lgkmcnt(0)
	s_waitcnt_vscnt null, 0x0
	s_barrier
	buffer_gl0_inv
	s_and_saveexec_b32 s0, s4
	s_cbranch_execz .LBB13_425
; %bb.424:
	global_load_u8 v8, v[5:6], off
.LBB13_425:
	s_or_b32 exec_lo, exec_lo, s0
	s_mov_b32 s4, 0
                                        ; implicit-def: $sgpr1
                                        ; implicit-def: $sgpr17
                                        ; implicit-def: $sgpr18
                                        ; implicit-def: $vgpr2
	s_branch .LBB13_428
.LBB13_426:                             ;   in Loop: Header=BB13_428 Depth=1
	s_or_b32 exec_lo, exec_lo, s21
	v_mov_b32_e32 v0, v5
	s_and_not1_b32 s0, s18, exec_lo
	s_and_b32 s18, s23, exec_lo
	s_and_not1_b32 s17, s17, exec_lo
	s_and_b32 s20, s20, exec_lo
	s_or_b32 s18, s0, s18
	s_or_b32 s17, s17, s20
.LBB13_427:                             ;   in Loop: Header=BB13_428 Depth=1
	s_or_b32 exec_lo, exec_lo, s19
	s_xor_b32 s0, s18, -1
	s_and_b32 s19, exec_lo, s17
	s_delay_alu instid0(SALU_CYCLE_1) | instskip(SKIP_2) | instid1(SALU_CYCLE_1)
	s_or_b32 s4, s19, s4
	s_and_not1_b32 s1, s1, exec_lo
	s_and_b32 s0, s0, exec_lo
	s_or_b32 s1, s1, s0
	s_and_not1_b32 exec_lo, exec_lo, s4
	s_cbranch_execz .LBB13_443
.LBB13_428:                             ; =>This Inner Loop Header: Depth=1
	s_or_b32 s18, s18, exec_lo
	s_or_b32 s17, s17, exec_lo
	s_mov_b32 s19, exec_lo
	v_cmpx_gt_u32_e64 s13, v0
	s_cbranch_execz .LBB13_427
; %bb.429:                              ;   in Loop: Header=BB13_428 Depth=1
	v_dual_mov_b32 v6, 0 :: v_dual_add_nc_u32 v5, s33, v0
	s_mov_b32 s0, exec_lo
	s_delay_alu instid0(VALU_DEP_1)
	v_cmpx_gt_u32_e64 s36, v5
	s_cbranch_execz .LBB13_431
; %bb.430:                              ;   in Loop: Header=BB13_428 Depth=1
	global_load_u8 v6, v4, s[30:31]
.LBB13_431:                             ;   in Loop: Header=BB13_428 Depth=1
	s_or_b32 exec_lo, exec_lo, s0
	s_waitcnt vmcnt(0)
	v_and_b32_e32 v9, 0xff, v8
	v_cmp_gt_u32_e32 vcc_lo, s36, v0
	s_delay_alu instid0(VALU_DEP_2) | instskip(NEXT) | instid1(VALU_DEP_1)
	v_cmp_eq_u16_e64 s0, v9, v7
	s_and_b32 s21, vcc_lo, s0
	s_delay_alu instid0(SALU_CYCLE_1) | instskip(NEXT) | instid1(VALU_DEP_1)
	v_cndmask_b32_e64 v9, 0, 1, s21
	v_cmp_ne_u32_e32 vcc_lo, 0, v9
	s_cmp_lg_u32 vcc_lo, 0
	s_cselect_b32 s0, -1, 0
	s_delay_alu instid0(SALU_CYCLE_1) | instskip(NEXT) | instid1(SALU_CYCLE_1)
	s_and_b32 s0, s2, s0
	s_and_saveexec_b32 s20, s0
	s_cbranch_execz .LBB13_435
; %bb.432:                              ;   in Loop: Header=BB13_428 Depth=1
	s_mov_b32 s24, exec_lo
	s_bcnt1_i32_b32 s22, vcc_lo
	v_mbcnt_lo_u32_b32 v2, s24, 0
	s_mov_b32 s23, exec_lo
                                        ; implicit-def: $vgpr9
	s_delay_alu instid0(VALU_DEP_1)
	v_cmpx_eq_u32_e32 0, v2
	s_cbranch_execz .LBB13_434
; %bb.433:                              ;   in Loop: Header=BB13_428 Depth=1
	s_bcnt1_i32_b32 s0, s24
	s_delay_alu instid0(SALU_CYCLE_1) | instskip(NEXT) | instid1(SALU_CYCLE_1)
	s_mul_i32 s0, s22, s0
	v_mov_b32_e32 v9, s0
	ds_add_rtn_u32 v9, v1, v9 offset:4108
.LBB13_434:                             ;   in Loop: Header=BB13_428 Depth=1
	s_or_b32 exec_lo, exec_lo, s23
	s_waitcnt lgkmcnt(0)
	v_readfirstlane_b32 s0, v9
	s_delay_alu instid0(VALU_DEP_1)
	v_mad_u32_u24 v2, s22, v2, s0
.LBB13_435:                             ;   in Loop: Header=BB13_428 Depth=1
	s_or_b32 exec_lo, exec_lo, s20
	ds_bpermute_b32 v2, v1, v2
	s_cmp_eq_u32 vcc_lo, 0
	s_mov_b32 s20, -1
	s_cselect_b32 s22, -1, 0
	s_mov_b32 s23, -1
	s_waitcnt lgkmcnt(0)
	v_cmp_gt_u32_e64 s0, s37, v2
	s_delay_alu instid0(VALU_DEP_1) | instskip(SKIP_3) | instid1(SALU_CYCLE_1)
	s_or_b32 s0, s22, s0
	s_mov_b32 s22, -1
	v_cndmask_b32_e64 v8, v8, v6, s0
	s_and_b32 s24, s21, s0
	s_and_saveexec_b32 s21, s24
	s_cbranch_execz .LBB13_441
; %bb.436:                              ;   in Loop: Header=BB13_428 Depth=1
	v_and_b32_e32 v8, vcc_lo, v11
	v_sub_nc_u32_e32 v9, s37, v2
	s_mov_b32 s24, -1
	s_mov_b32 s23, exec_lo
	s_delay_alu instid0(VALU_DEP_2) | instskip(NEXT) | instid1(VALU_DEP_1)
	v_bcnt_u32_b32 v8, v8, 0
	v_cmp_le_u32_e64 s22, v9, v8
	v_cmpx_gt_u32_e64 v9, v8
	s_cbranch_execz .LBB13_440
; %bb.437:                              ;   in Loop: Header=BB13_428 Depth=1
	v_add_nc_u32_e32 v8, v2, v8
	s_delay_alu instid0(VALU_DEP_3) | instskip(SKIP_1) | instid1(VALU_DEP_1)
	s_mov_b32 s25, s22
	s_mov_b32 s24, exec_lo
	v_cmpx_gt_u32_e64 s37, v8
	s_cbranch_execz .LBB13_439
; %bb.438:                              ;   in Loop: Header=BB13_428 Depth=1
	v_mul_lo_u32 v9, v8, s12
	v_mov_b32_e32 v10, v1
	v_mul_lo_u32 v12, v8, s5
	s_or_b32 s25, s22, exec_lo
	s_delay_alu instid0(VALU_DEP_2)
	v_lshlrev_b64 v[9:10], 3, v[9:10]
	global_store_b8 v12, v3, s[6:7]
	v_add_co_u32 v8, vcc_lo, s14, v9
	v_add_co_ci_u32_e32 v9, vcc_lo, s15, v10, vcc_lo
	global_store_b64 v[8:9], v[0:1], off
.LBB13_439:                             ;   in Loop: Header=BB13_428 Depth=1
	s_or_b32 exec_lo, exec_lo, s24
	s_delay_alu instid0(SALU_CYCLE_1)
	s_and_not1_b32 s22, s22, exec_lo
	s_and_b32 s25, s25, exec_lo
	s_xor_b32 s24, exec_lo, -1
	s_or_b32 s22, s22, s25
.LBB13_440:                             ;   in Loop: Header=BB13_428 Depth=1
	s_or_b32 exec_lo, exec_lo, s23
	v_mov_b32_e32 v8, v6
	s_or_not1_b32 s23, s24, exec_lo
	s_or_b32 s0, s0, exec_lo
	s_or_not1_b32 s22, s22, exec_lo
.LBB13_441:                             ;   in Loop: Header=BB13_428 Depth=1
	s_or_b32 exec_lo, exec_lo, s21
	s_and_saveexec_b32 s21, s22
	s_cbranch_execz .LBB13_426
; %bb.442:                              ;   in Loop: Header=BB13_428 Depth=1
	v_add_nc_u32_e32 v4, s40, v4
	s_xor_b32 s0, s0, -1
	s_or_b32 s23, s23, exec_lo
	s_or_not1_b32 s20, s0, exec_lo
	s_branch .LBB13_426
.LBB13_443:
	s_or_b32 exec_lo, exec_lo, s4
	s_mov_b32 s0, 0
	s_and_saveexec_b32 s2, s1
	s_delay_alu instid0(SALU_CYCLE_1)
	s_xor_b32 s1, exec_lo, s2
	s_cbranch_execnz .LBB13_475
.LBB13_444:
	s_or_b32 exec_lo, exec_lo, s1
	s_delay_alu instid0(SALU_CYCLE_1)
	s_and_b32 s1, s0, exec_lo
	s_and_not1_b32 s16, s16, exec_lo
.LBB13_445:
	s_or_b32 exec_lo, exec_lo, s3
	s_and_saveexec_b32 s0, s16
	s_delay_alu instid0(SALU_CYCLE_1)
	s_xor_b32 s0, exec_lo, s0
	s_cbranch_execnz .LBB13_471
.LBB13_446:
	s_or_b32 exec_lo, exec_lo, s0
	s_waitcnt lgkmcnt(0)
	s_and_b32 s12, s1, exec_lo
.LBB13_447:
	s_and_not1_saveexec_b32 s0, s11
	s_cbranch_execnz .LBB13_467
.LBB13_448:
	s_or_b32 exec_lo, exec_lo, s0
	s_delay_alu instid0(SALU_CYCLE_1)
	s_and_b32 s11, s12, exec_lo
.LBB13_449:
	s_and_not1_saveexec_b32 s0, s10
	s_cbranch_execnz .LBB13_463
.LBB13_450:
	s_or_b32 exec_lo, exec_lo, s0
	s_delay_alu instid0(SALU_CYCLE_1)
	s_and_b32 s10, s11, exec_lo
.LBB13_451:
	s_and_not1_saveexec_b32 s0, s9
	s_cbranch_execnz .LBB13_459
.LBB13_452:
	s_or_b32 exec_lo, exec_lo, s0
	s_delay_alu instid0(SALU_CYCLE_1)
	s_and_b32 s9, s10, exec_lo
.LBB13_453:
	s_and_not1_saveexec_b32 s0, s8
	s_cbranch_execnz .LBB13_457
; %bb.454:
	s_or_b32 exec_lo, exec_lo, s0
	s_and_saveexec_b32 s0, s9
.LBB13_455:
	; divergent unreachable
.LBB13_456:
	s_nop 0
	s_sendmsg sendmsg(MSG_DEALLOC_VGPRS)
	s_endpgm
.LBB13_457:
	s_cbranch_execnz .LBB13_461
; %bb.458:
	s_or_b32 s9, s9, exec_lo
	s_or_b32 exec_lo, exec_lo, s0
	s_and_saveexec_b32 s0, s9
	s_cbranch_execnz .LBB13_455
	s_branch .LBB13_456
.LBB13_459:
	s_cbranch_execnz .LBB13_465
; %bb.460:
	s_or_b32 s10, s10, exec_lo
	s_branch .LBB13_452
.LBB13_461:
	s_trap 2
	s_sendmsg_rtn_b32 s0, sendmsg(MSG_RTN_GET_DOORBELL)
	s_mov_b32 ttmp2, m0
	s_waitcnt lgkmcnt(0)
	s_and_b32 s0, s0, 0x3ff
	s_delay_alu instid0(SALU_CYCLE_1) | instskip(NEXT) | instid1(SALU_CYCLE_1)
	s_bitset1_b32 s0, 10
	s_mov_b32 m0, s0
	s_sendmsg sendmsg(MSG_INTERRUPT)
	s_mov_b32 m0, ttmp2
.LBB13_462:                             ; =>This Inner Loop Header: Depth=1
	s_sethalt 5
	s_branch .LBB13_462
.LBB13_463:
	s_cbranch_execnz .LBB13_469
; %bb.464:
	s_or_b32 s11, s11, exec_lo
	s_branch .LBB13_450
.LBB13_465:
	s_trap 2
	s_sendmsg_rtn_b32 s0, sendmsg(MSG_RTN_GET_DOORBELL)
	s_mov_b32 ttmp2, m0
	s_waitcnt lgkmcnt(0)
	s_and_b32 s0, s0, 0x3ff
	s_delay_alu instid0(SALU_CYCLE_1) | instskip(NEXT) | instid1(SALU_CYCLE_1)
	s_bitset1_b32 s0, 10
	s_mov_b32 m0, s0
	s_sendmsg sendmsg(MSG_INTERRUPT)
	s_mov_b32 m0, ttmp2
.LBB13_466:                             ; =>This Inner Loop Header: Depth=1
	s_sethalt 5
	s_branch .LBB13_466
.LBB13_467:
	s_cbranch_execnz .LBB13_473
; %bb.468:
	s_or_b32 s12, s12, exec_lo
	s_branch .LBB13_448
.LBB13_469:
	s_trap 2
	s_sendmsg_rtn_b32 s0, sendmsg(MSG_RTN_GET_DOORBELL)
	s_mov_b32 ttmp2, m0
	s_waitcnt lgkmcnt(0)
	s_and_b32 s0, s0, 0x3ff
	s_delay_alu instid0(SALU_CYCLE_1) | instskip(NEXT) | instid1(SALU_CYCLE_1)
	s_bitset1_b32 s0, 10
	s_mov_b32 m0, s0
	s_sendmsg sendmsg(MSG_INTERRUPT)
	s_mov_b32 m0, ttmp2
.LBB13_470:                             ; =>This Inner Loop Header: Depth=1
	s_sethalt 5
	s_branch .LBB13_470
.LBB13_471:
	s_cbranch_execnz .LBB13_477
; %bb.472:
	s_or_b32 s1, s1, exec_lo
	s_branch .LBB13_446
.LBB13_473:
	s_trap 2
	s_sendmsg_rtn_b32 s0, sendmsg(MSG_RTN_GET_DOORBELL)
	s_mov_b32 ttmp2, m0
	s_waitcnt lgkmcnt(0)
	s_and_b32 s0, s0, 0x3ff
	s_delay_alu instid0(SALU_CYCLE_1) | instskip(NEXT) | instid1(SALU_CYCLE_1)
	s_bitset1_b32 s0, 10
	s_mov_b32 m0, s0
	s_sendmsg sendmsg(MSG_INTERRUPT)
	s_mov_b32 m0, ttmp2
.LBB13_474:                             ; =>This Inner Loop Header: Depth=1
	s_sethalt 5
	s_branch .LBB13_474
.LBB13_475:
	s_cbranch_execnz .LBB13_479
; %bb.476:
	s_mov_b32 s0, exec_lo
	s_branch .LBB13_444
.LBB13_477:
	s_trap 2
	s_sendmsg_rtn_b32 s0, sendmsg(MSG_RTN_GET_DOORBELL)
	s_mov_b32 ttmp2, m0
	s_waitcnt lgkmcnt(0)
	s_and_b32 s0, s0, 0x3ff
	s_delay_alu instid0(SALU_CYCLE_1) | instskip(NEXT) | instid1(SALU_CYCLE_1)
	s_bitset1_b32 s0, 10
	s_mov_b32 m0, s0
	s_sendmsg sendmsg(MSG_INTERRUPT)
	s_mov_b32 m0, ttmp2
.LBB13_478:                             ; =>This Inner Loop Header: Depth=1
	s_sethalt 5
	s_branch .LBB13_478
.LBB13_479:
	s_trap 2
	s_sendmsg_rtn_b32 s0, sendmsg(MSG_RTN_GET_DOORBELL)
	s_mov_b32 ttmp2, m0
	s_waitcnt lgkmcnt(0)
	s_and_b32 s0, s0, 0x3ff
	s_delay_alu instid0(SALU_CYCLE_1) | instskip(NEXT) | instid1(SALU_CYCLE_1)
	s_bitset1_b32 s0, 10
	s_mov_b32 m0, s0
	s_sendmsg sendmsg(MSG_INTERRUPT)
	s_mov_b32 m0, ttmp2
.LBB13_480:                             ; =>This Inner Loop Header: Depth=1
	s_sethalt 5
	s_branch .LBB13_480
	.section	.rodata,"a",@progbits
	.p2align	6, 0x0
	.amdhsa_kernel _ZN2at6native6sbtopk10gatherTopKIhjLin1ELb0EEEvNS_4cuda6detail10TensorInfoIKT_T0_EES8_S8_bS8_S8_NS5_IS6_S8_EES8_NS5_IlS8_EES8_PS6_
		.amdhsa_group_segment_fixed_size 4112
		.amdhsa_private_segment_fixed_size 0
		.amdhsa_kernarg_size 952
		.amdhsa_user_sgpr_count 13
		.amdhsa_user_sgpr_dispatch_ptr 0
		.amdhsa_user_sgpr_queue_ptr 0
		.amdhsa_user_sgpr_kernarg_segment_ptr 1
		.amdhsa_user_sgpr_dispatch_id 0
		.amdhsa_user_sgpr_private_segment_size 0
		.amdhsa_wavefront_size32 1
		.amdhsa_uses_dynamic_stack 0
		.amdhsa_enable_private_segment 0
		.amdhsa_system_sgpr_workgroup_id_x 1
		.amdhsa_system_sgpr_workgroup_id_y 1
		.amdhsa_system_sgpr_workgroup_id_z 1
		.amdhsa_system_sgpr_workgroup_info 0
		.amdhsa_system_vgpr_workitem_id 0
		.amdhsa_next_free_vgpr 40
		.amdhsa_next_free_sgpr 91
		.amdhsa_reserve_vcc 1
		.amdhsa_float_round_mode_32 0
		.amdhsa_float_round_mode_16_64 0
		.amdhsa_float_denorm_mode_32 3
		.amdhsa_float_denorm_mode_16_64 3
		.amdhsa_dx10_clamp 1
		.amdhsa_ieee_mode 1
		.amdhsa_fp16_overflow 0
		.amdhsa_workgroup_processor_mode 1
		.amdhsa_memory_ordered 1
		.amdhsa_forward_progress 0
		.amdhsa_shared_vgpr_count 0
		.amdhsa_exception_fp_ieee_invalid_op 0
		.amdhsa_exception_fp_denorm_src 0
		.amdhsa_exception_fp_ieee_div_zero 0
		.amdhsa_exception_fp_ieee_overflow 0
		.amdhsa_exception_fp_ieee_underflow 0
		.amdhsa_exception_fp_ieee_inexact 0
		.amdhsa_exception_int_div_zero 0
	.end_amdhsa_kernel
	.section	.text._ZN2at6native6sbtopk10gatherTopKIhjLin1ELb0EEEvNS_4cuda6detail10TensorInfoIKT_T0_EES8_S8_bS8_S8_NS5_IS6_S8_EES8_NS5_IlS8_EES8_PS6_,"axG",@progbits,_ZN2at6native6sbtopk10gatherTopKIhjLin1ELb0EEEvNS_4cuda6detail10TensorInfoIKT_T0_EES8_S8_bS8_S8_NS5_IS6_S8_EES8_NS5_IlS8_EES8_PS6_,comdat
.Lfunc_end13:
	.size	_ZN2at6native6sbtopk10gatherTopKIhjLin1ELb0EEEvNS_4cuda6detail10TensorInfoIKT_T0_EES8_S8_bS8_S8_NS5_IS6_S8_EES8_NS5_IlS8_EES8_PS6_, .Lfunc_end13-_ZN2at6native6sbtopk10gatherTopKIhjLin1ELb0EEEvNS_4cuda6detail10TensorInfoIKT_T0_EES8_S8_bS8_S8_NS5_IS6_S8_EES8_NS5_IlS8_EES8_PS6_
                                        ; -- End function
	.section	.AMDGPU.csdata,"",@progbits
; Kernel info:
; codeLenInByte = 15784
; NumSgprs: 93
; NumVgprs: 40
; ScratchSize: 0
; MemoryBound: 0
; FloatMode: 240
; IeeeMode: 1
; LDSByteSize: 4112 bytes/workgroup (compile time only)
; SGPRBlocks: 11
; VGPRBlocks: 4
; NumSGPRsForWavesPerEU: 93
; NumVGPRsForWavesPerEU: 40
; Occupancy: 16
; WaveLimiterHint : 1
; COMPUTE_PGM_RSRC2:SCRATCH_EN: 0
; COMPUTE_PGM_RSRC2:USER_SGPR: 13
; COMPUTE_PGM_RSRC2:TRAP_HANDLER: 0
; COMPUTE_PGM_RSRC2:TGID_X_EN: 1
; COMPUTE_PGM_RSRC2:TGID_Y_EN: 1
; COMPUTE_PGM_RSRC2:TGID_Z_EN: 1
; COMPUTE_PGM_RSRC2:TIDIG_COMP_CNT: 0
	.section	.text._ZN2at6native6mbtopk23computeBlockDigitCountsIajjLi1EEEvNS_4cuda6detail10TensorInfoIKT_T0_EEjPjjS8_iijT1_PSB_Ps,"axG",@progbits,_ZN2at6native6mbtopk23computeBlockDigitCountsIajjLi1EEEvNS_4cuda6detail10TensorInfoIKT_T0_EEjPjjS8_iijT1_PSB_Ps,comdat
	.protected	_ZN2at6native6mbtopk23computeBlockDigitCountsIajjLi1EEEvNS_4cuda6detail10TensorInfoIKT_T0_EEjPjjS8_iijT1_PSB_Ps ; -- Begin function _ZN2at6native6mbtopk23computeBlockDigitCountsIajjLi1EEEvNS_4cuda6detail10TensorInfoIKT_T0_EEjPjjS8_iijT1_PSB_Ps
	.globl	_ZN2at6native6mbtopk23computeBlockDigitCountsIajjLi1EEEvNS_4cuda6detail10TensorInfoIKT_T0_EEjPjjS8_iijT1_PSB_Ps
	.p2align	8
	.type	_ZN2at6native6mbtopk23computeBlockDigitCountsIajjLi1EEEvNS_4cuda6detail10TensorInfoIKT_T0_EEjPjjS8_iijT1_PSB_Ps,@function
_ZN2at6native6mbtopk23computeBlockDigitCountsIajjLi1EEEvNS_4cuda6detail10TensorInfoIKT_T0_EEjPjjS8_iijT1_PSB_Ps: ; @_ZN2at6native6mbtopk23computeBlockDigitCountsIajjLi1EEEvNS_4cuda6detail10TensorInfoIKT_T0_EEjPjjS8_iijT1_PSB_Ps
; %bb.0:
	s_clause 0x2
	s_load_b64 s[2:3], s[0:1], 0xf8
	s_load_b128 s[8:11], s[0:1], 0xe8
	s_load_b64 s[4:5], s[0:1], 0x110
	s_waitcnt lgkmcnt(0)
	v_cvt_f32_u32_e32 v1, s2
	s_sub_i32 s7, 0, s2
	s_mul_i32 s5, s5, s15
	s_delay_alu instid0(SALU_CYCLE_1) | instskip(NEXT) | instid1(VALU_DEP_1)
	s_add_i32 s5, s5, s14
	v_rcp_iflag_f32_e32 v1, v1
	s_mul_i32 s14, s5, s4
	s_delay_alu instid0(SALU_CYCLE_1) | instskip(SKIP_3) | instid1(VALU_DEP_1)
	s_add_i32 s14, s14, s13
	s_mov_b32 s13, 0
	s_waitcnt_depctr 0xfff
	v_mul_f32_e32 v1, 0x4f7ffffe, v1
	v_cvt_u32_f32_e32 v1, v1
	s_delay_alu instid0(VALU_DEP_1) | instskip(NEXT) | instid1(VALU_DEP_1)
	v_readfirstlane_b32 s6, v1
	s_mul_i32 s7, s7, s6
	s_delay_alu instid0(SALU_CYCLE_1) | instskip(NEXT) | instid1(SALU_CYCLE_1)
	s_mul_hi_u32 s4, s6, s7
	s_add_i32 s6, s6, s4
	s_delay_alu instid0(SALU_CYCLE_1) | instskip(NEXT) | instid1(SALU_CYCLE_1)
	s_mul_hi_u32 s4, s14, s6
	s_mul_i32 s5, s4, s2
	s_add_i32 s6, s4, 1
	s_sub_i32 s5, s14, s5
	s_delay_alu instid0(SALU_CYCLE_1)
	s_sub_i32 s7, s5, s2
	s_cmp_ge_u32 s5, s2
	s_cselect_b32 s4, s6, s4
	s_cselect_b32 s5, s7, s5
	s_add_i32 s6, s4, 1
	s_cmp_ge_u32 s5, s2
	s_cselect_b32 s12, s6, s4
	s_delay_alu instid0(SALU_CYCLE_1)
	s_cmp_ge_u32 s12, s8
	s_cbranch_scc1 .LBB14_29
; %bb.1:
	s_load_b128 s[4:7], s[0:1], 0x100
	s_lshl_b64 s[16:17], s[12:13], 2
	v_cmp_gt_u32_e32 vcc_lo, 0x100, v0
	v_lshlrev_b32_e32 v1, 2, v0
	s_waitcnt lgkmcnt(0)
	s_add_u32 s4, s4, s16
	s_addc_u32 s5, s5, s17
	s_and_saveexec_b32 s8, vcc_lo
	s_cbranch_execz .LBB14_3
; %bb.2:
	v_mov_b32_e32 v2, 0
	ds_store_b32 v1, v2
.LBB14_3:
	s_or_b32 exec_lo, exec_lo, s8
	s_load_b32 s8, s[0:1], 0xd8
	s_mul_i32 s13, s12, s2
	s_waitcnt lgkmcnt(0)
	s_sub_i32 s15, s14, s13
	s_barrier
	s_mul_i32 s13, s11, s15
	s_add_i32 s15, s15, 1
	s_lshl_b32 s13, s13, 8
	buffer_gl0_inv
	s_sub_i32 s16, s8, s13
	s_delay_alu instid0(SALU_CYCLE_1) | instskip(SKIP_4) | instid1(VALU_DEP_1)
	s_add_u32 s16, s16, 0xff
	s_addc_u32 s17, 0, 0
	s_cmp_lt_u32 s15, s2
	v_alignbit_b32 v2, s17, s16, 8
	s_mov_b32 s15, 0
	v_readfirstlane_b32 s16, v2
	s_delay_alu instid0(VALU_DEP_1) | instskip(NEXT) | instid1(SALU_CYCLE_1)
	s_cselect_b32 s11, s11, s16
	s_cmp_lt_i32 s11, 1
	s_cbranch_scc1 .LBB14_25
; %bb.4:
	s_clause 0x1
	s_load_b32 s2, s[0:1], 0x6c
	s_load_b64 s[16:17], s[0:1], 0x0
	s_load_b32 s1, s[4:5], 0x0
	s_waitcnt lgkmcnt(0)
	s_mul_i32 s2, s2, s12
	s_delay_alu instid0(SALU_CYCLE_1)
	s_add_u32 s4, s16, s2
	s_addc_u32 s5, s17, 0
	s_and_b32 s2, s10, 0xff
	s_cmp_lt_u32 s11, 4
	s_cbranch_scc1 .LBB14_19
; %bb.5:
	v_dual_mov_b32 v7, 1 :: v_dual_add_nc_u32 v6, s13, v0
	s_and_b32 s15, s11, 0x7ffffffc
	s_lshl_b32 s10, s9, 10
	s_mov_b32 s12, 0
	s_delay_alu instid0(VALU_DEP_1)
	v_add_nc_u32_e32 v2, 0x300, v6
	v_add_nc_u32_e32 v4, 0x200, v6
	v_add_nc_u32_e32 v5, 0x100, v6
	v_mul_lo_u32 v6, s9, v6
	s_mov_b32 s16, 0
	v_mul_lo_u32 v3, s9, v2
	v_mul_lo_u32 v4, s9, v4
	;; [unrolled: 1-line block ×3, first 2 shown]
	s_branch .LBB14_7
.LBB14_6:                               ;   in Loop: Header=BB14_7 Depth=1
	s_or_b32 exec_lo, exec_lo, s17
	v_add_nc_u32_e32 v2, 0x400, v2
	s_add_i32 s16, s16, 4
	s_add_i32 s12, s12, s10
	s_cmp_eq_u32 s15, s16
	s_cbranch_scc1 .LBB14_19
.LBB14_7:                               ; =>This Inner Loop Header: Depth=1
	v_add_nc_u32_e32 v8, 0xfffffd00, v2
	s_mov_b32 s17, exec_lo
	s_delay_alu instid0(VALU_DEP_1)
	v_cmpx_gt_u32_e64 s8, v8
	s_cbranch_execz .LBB14_10
; %bb.8:                                ;   in Loop: Header=BB14_7 Depth=1
	v_add_nc_u32_e32 v8, s12, v6
	global_load_i8 v8, v8, s[4:5]
	s_waitcnt vmcnt(0)
	v_add_nc_u32_e32 v8, 0x80, v8
	s_delay_alu instid0(VALU_DEP_1) | instskip(NEXT) | instid1(VALU_DEP_1)
	v_xor_b32_e32 v9, s1, v8
	v_and_b32_e32 v9, s3, v9
	s_delay_alu instid0(VALU_DEP_1) | instskip(NEXT) | instid1(VALU_DEP_1)
	v_cmp_eq_u32_e64 s0, 0, v9
	s_and_b32 exec_lo, exec_lo, s0
	s_cbranch_execz .LBB14_10
; %bb.9:                                ;   in Loop: Header=BB14_7 Depth=1
	v_lshrrev_b32_e32 v8, s2, v8
	s_delay_alu instid0(VALU_DEP_1)
	v_lshlrev_b32_e32 v8, 2, v8
	ds_add_u32 v8, v7
.LBB14_10:                              ;   in Loop: Header=BB14_7 Depth=1
	s_or_b32 exec_lo, exec_lo, s17
	v_add_nc_u32_e32 v8, 0xfffffe00, v2
	s_mov_b32 s17, exec_lo
	s_delay_alu instid0(VALU_DEP_1)
	v_cmpx_gt_u32_e64 s8, v8
	s_cbranch_execz .LBB14_13
; %bb.11:                               ;   in Loop: Header=BB14_7 Depth=1
	v_add_nc_u32_e32 v8, s12, v5
	global_load_i8 v8, v8, s[4:5]
	s_waitcnt vmcnt(0)
	v_add_nc_u32_e32 v8, 0x80, v8
	s_delay_alu instid0(VALU_DEP_1) | instskip(NEXT) | instid1(VALU_DEP_1)
	v_xor_b32_e32 v9, s1, v8
	v_and_b32_e32 v9, s3, v9
	s_delay_alu instid0(VALU_DEP_1) | instskip(NEXT) | instid1(VALU_DEP_1)
	v_cmp_eq_u32_e64 s0, 0, v9
	s_and_b32 exec_lo, exec_lo, s0
	s_cbranch_execz .LBB14_13
; %bb.12:                               ;   in Loop: Header=BB14_7 Depth=1
	v_lshrrev_b32_e32 v8, s2, v8
	s_delay_alu instid0(VALU_DEP_1)
	v_lshlrev_b32_e32 v8, 2, v8
	ds_add_u32 v8, v7
.LBB14_13:                              ;   in Loop: Header=BB14_7 Depth=1
	s_or_b32 exec_lo, exec_lo, s17
	v_add_nc_u32_e32 v8, 0xffffff00, v2
	s_mov_b32 s17, exec_lo
	s_delay_alu instid0(VALU_DEP_1)
	v_cmpx_gt_u32_e64 s8, v8
	s_cbranch_execz .LBB14_16
; %bb.14:                               ;   in Loop: Header=BB14_7 Depth=1
	v_add_nc_u32_e32 v8, s12, v4
	global_load_i8 v8, v8, s[4:5]
	s_waitcnt vmcnt(0)
	v_add_nc_u32_e32 v8, 0x80, v8
	s_delay_alu instid0(VALU_DEP_1) | instskip(NEXT) | instid1(VALU_DEP_1)
	v_xor_b32_e32 v9, s1, v8
	v_and_b32_e32 v9, s3, v9
	s_delay_alu instid0(VALU_DEP_1) | instskip(NEXT) | instid1(VALU_DEP_1)
	v_cmp_eq_u32_e64 s0, 0, v9
	s_and_b32 exec_lo, exec_lo, s0
	s_cbranch_execz .LBB14_16
; %bb.15:                               ;   in Loop: Header=BB14_7 Depth=1
	v_lshrrev_b32_e32 v8, s2, v8
	s_delay_alu instid0(VALU_DEP_1)
	v_lshlrev_b32_e32 v8, 2, v8
	ds_add_u32 v8, v7
.LBB14_16:                              ;   in Loop: Header=BB14_7 Depth=1
	s_or_b32 exec_lo, exec_lo, s17
	s_delay_alu instid0(SALU_CYCLE_1)
	s_mov_b32 s17, exec_lo
	v_cmpx_gt_u32_e64 s8, v2
	s_cbranch_execz .LBB14_6
; %bb.17:                               ;   in Loop: Header=BB14_7 Depth=1
	v_add_nc_u32_e32 v8, s12, v3
	global_load_i8 v8, v8, s[4:5]
	s_waitcnt vmcnt(0)
	v_add_nc_u32_e32 v8, 0x80, v8
	s_delay_alu instid0(VALU_DEP_1) | instskip(NEXT) | instid1(VALU_DEP_1)
	v_xor_b32_e32 v9, s1, v8
	v_and_b32_e32 v9, s3, v9
	s_delay_alu instid0(VALU_DEP_1) | instskip(NEXT) | instid1(VALU_DEP_1)
	v_cmp_eq_u32_e64 s0, 0, v9
	s_and_b32 exec_lo, exec_lo, s0
	s_cbranch_execz .LBB14_6
; %bb.18:                               ;   in Loop: Header=BB14_7 Depth=1
	v_lshrrev_b32_e32 v8, s2, v8
	s_delay_alu instid0(VALU_DEP_1)
	v_lshlrev_b32_e32 v8, 2, v8
	ds_add_u32 v8, v7
	s_branch .LBB14_6
.LBB14_19:
	s_and_b32 s10, s11, 3
	s_delay_alu instid0(SALU_CYCLE_1)
	s_cmp_eq_u32 s10, 0
	s_cbranch_scc1 .LBB14_25
; %bb.20:
	s_lshl_b32 s0, s15, 8
	v_mov_b32_e32 v4, 1
	v_add3_u32 v2, s0, s13, v0
	s_delay_alu instid0(VALU_DEP_1)
	v_mul_lo_u32 v3, s9, v2
	s_lshl_b32 s9, s9, 8
	s_set_inst_prefetch_distance 0x1
	s_branch .LBB14_22
	.p2align	6
.LBB14_21:                              ;   in Loop: Header=BB14_22 Depth=1
	s_or_b32 exec_lo, exec_lo, s11
	v_add_nc_u32_e32 v3, s9, v3
	v_add_nc_u32_e32 v2, 0x100, v2
	s_add_i32 s10, s10, -1
	s_delay_alu instid0(SALU_CYCLE_1)
	s_cmp_lg_u32 s10, 0
	s_cbranch_scc0 .LBB14_25
.LBB14_22:                              ; =>This Inner Loop Header: Depth=1
	s_mov_b32 s11, exec_lo
	v_cmpx_gt_u32_e64 s8, v2
	s_cbranch_execz .LBB14_21
; %bb.23:                               ;   in Loop: Header=BB14_22 Depth=1
	global_load_i8 v5, v3, s[4:5]
	s_waitcnt vmcnt(0)
	v_add_nc_u32_e32 v5, 0x80, v5
	s_delay_alu instid0(VALU_DEP_1) | instskip(NEXT) | instid1(VALU_DEP_1)
	v_xor_b32_e32 v6, s1, v5
	v_and_b32_e32 v6, s3, v6
	s_delay_alu instid0(VALU_DEP_1) | instskip(NEXT) | instid1(VALU_DEP_1)
	v_cmp_eq_u32_e64 s0, 0, v6
	s_and_b32 exec_lo, exec_lo, s0
	s_cbranch_execz .LBB14_21
; %bb.24:                               ;   in Loop: Header=BB14_22 Depth=1
	v_lshrrev_b32_e32 v5, s2, v5
	s_delay_alu instid0(VALU_DEP_1)
	v_lshlrev_b32_e32 v5, 2, v5
	ds_add_u32 v5, v4
	s_branch .LBB14_21
.LBB14_25:
	s_set_inst_prefetch_distance 0x2
	v_mov_b32_e32 v2, 0
	s_waitcnt lgkmcnt(0)
	s_barrier
	buffer_gl0_inv
	s_and_saveexec_b32 s0, vcc_lo
	s_cbranch_execz .LBB14_27
; %bb.26:
	ds_load_b32 v2, v1
.LBB14_27:
	s_or_b32 exec_lo, exec_lo, s0
	s_and_saveexec_b32 s0, vcc_lo
	s_cbranch_execz .LBB14_29
; %bb.28:
	v_lshl_or_b32 v0, s14, 8, v0
	v_mov_b32_e32 v1, 0
	s_delay_alu instid0(VALU_DEP_1) | instskip(NEXT) | instid1(VALU_DEP_1)
	v_lshlrev_b64 v[0:1], 1, v[0:1]
	v_add_co_u32 v0, vcc_lo, s6, v0
	s_delay_alu instid0(VALU_DEP_2)
	v_add_co_ci_u32_e32 v1, vcc_lo, s7, v1, vcc_lo
	s_waitcnt lgkmcnt(0)
	global_store_b16 v[0:1], v2, off
.LBB14_29:
	s_nop 0
	s_sendmsg sendmsg(MSG_DEALLOC_VGPRS)
	s_endpgm
	.section	.rodata,"a",@progbits
	.p2align	6, 0x0
	.amdhsa_kernel _ZN2at6native6mbtopk23computeBlockDigitCountsIajjLi1EEEvNS_4cuda6detail10TensorInfoIKT_T0_EEjPjjS8_iijT1_PSB_Ps
		.amdhsa_group_segment_fixed_size 1024
		.amdhsa_private_segment_fixed_size 0
		.amdhsa_kernarg_size 528
		.amdhsa_user_sgpr_count 13
		.amdhsa_user_sgpr_dispatch_ptr 0
		.amdhsa_user_sgpr_queue_ptr 0
		.amdhsa_user_sgpr_kernarg_segment_ptr 1
		.amdhsa_user_sgpr_dispatch_id 0
		.amdhsa_user_sgpr_private_segment_size 0
		.amdhsa_wavefront_size32 1
		.amdhsa_uses_dynamic_stack 0
		.amdhsa_enable_private_segment 0
		.amdhsa_system_sgpr_workgroup_id_x 1
		.amdhsa_system_sgpr_workgroup_id_y 1
		.amdhsa_system_sgpr_workgroup_id_z 1
		.amdhsa_system_sgpr_workgroup_info 0
		.amdhsa_system_vgpr_workitem_id 0
		.amdhsa_next_free_vgpr 10
		.amdhsa_next_free_sgpr 18
		.amdhsa_reserve_vcc 1
		.amdhsa_float_round_mode_32 0
		.amdhsa_float_round_mode_16_64 0
		.amdhsa_float_denorm_mode_32 3
		.amdhsa_float_denorm_mode_16_64 3
		.amdhsa_dx10_clamp 1
		.amdhsa_ieee_mode 1
		.amdhsa_fp16_overflow 0
		.amdhsa_workgroup_processor_mode 1
		.amdhsa_memory_ordered 1
		.amdhsa_forward_progress 0
		.amdhsa_shared_vgpr_count 0
		.amdhsa_exception_fp_ieee_invalid_op 0
		.amdhsa_exception_fp_denorm_src 0
		.amdhsa_exception_fp_ieee_div_zero 0
		.amdhsa_exception_fp_ieee_overflow 0
		.amdhsa_exception_fp_ieee_underflow 0
		.amdhsa_exception_fp_ieee_inexact 0
		.amdhsa_exception_int_div_zero 0
	.end_amdhsa_kernel
	.section	.text._ZN2at6native6mbtopk23computeBlockDigitCountsIajjLi1EEEvNS_4cuda6detail10TensorInfoIKT_T0_EEjPjjS8_iijT1_PSB_Ps,"axG",@progbits,_ZN2at6native6mbtopk23computeBlockDigitCountsIajjLi1EEEvNS_4cuda6detail10TensorInfoIKT_T0_EEjPjjS8_iijT1_PSB_Ps,comdat
.Lfunc_end14:
	.size	_ZN2at6native6mbtopk23computeBlockDigitCountsIajjLi1EEEvNS_4cuda6detail10TensorInfoIKT_T0_EEjPjjS8_iijT1_PSB_Ps, .Lfunc_end14-_ZN2at6native6mbtopk23computeBlockDigitCountsIajjLi1EEEvNS_4cuda6detail10TensorInfoIKT_T0_EEjPjjS8_iijT1_PSB_Ps
                                        ; -- End function
	.section	.AMDGPU.csdata,"",@progbits
; Kernel info:
; codeLenInByte = 1240
; NumSgprs: 20
; NumVgprs: 10
; ScratchSize: 0
; MemoryBound: 0
; FloatMode: 240
; IeeeMode: 1
; LDSByteSize: 1024 bytes/workgroup (compile time only)
; SGPRBlocks: 2
; VGPRBlocks: 1
; NumSGPRsForWavesPerEU: 20
; NumVGPRsForWavesPerEU: 10
; Occupancy: 16
; WaveLimiterHint : 1
; COMPUTE_PGM_RSRC2:SCRATCH_EN: 0
; COMPUTE_PGM_RSRC2:USER_SGPR: 13
; COMPUTE_PGM_RSRC2:TRAP_HANDLER: 0
; COMPUTE_PGM_RSRC2:TGID_X_EN: 1
; COMPUTE_PGM_RSRC2:TGID_Y_EN: 1
; COMPUTE_PGM_RSRC2:TGID_Z_EN: 1
; COMPUTE_PGM_RSRC2:TIDIG_COMP_CNT: 0
	.section	.text._ZN2at6native6mbtopk29computeBlockwiseWithinKCountsIjaEEvPT_PsPjjibS6_PT0_S6_S4_S6_j,"axG",@progbits,_ZN2at6native6mbtopk29computeBlockwiseWithinKCountsIjaEEvPT_PsPjjibS6_PT0_S6_S4_S6_j,comdat
	.protected	_ZN2at6native6mbtopk29computeBlockwiseWithinKCountsIjaEEvPT_PsPjjibS6_PT0_S6_S4_S6_j ; -- Begin function _ZN2at6native6mbtopk29computeBlockwiseWithinKCountsIjaEEvPT_PsPjjibS6_PT0_S6_S4_S6_j
	.globl	_ZN2at6native6mbtopk29computeBlockwiseWithinKCountsIjaEEvPT_PsPjjibS6_PT0_S6_S4_S6_j
	.p2align	8
	.type	_ZN2at6native6mbtopk29computeBlockwiseWithinKCountsIjaEEvPT_PsPjjibS6_PT0_S6_S4_S6_j,@function
_ZN2at6native6mbtopk29computeBlockwiseWithinKCountsIjaEEvPT_PsPjjibS6_PT0_S6_S4_S6_j: ; @_ZN2at6native6mbtopk29computeBlockwiseWithinKCountsIjaEEvPT_PsPjjibS6_PT0_S6_S4_S6_j
; %bb.0:
	s_clause 0x2
	s_load_b128 s[16:19], s[0:1], 0x18
	s_load_b64 s[2:3], s[0:1], 0x58
	s_load_b32 s4, s[0:1], 0x50
	s_waitcnt lgkmcnt(0)
	v_cvt_f32_u32_e32 v1, s16
	s_mul_i32 s3, s3, s15
	s_delay_alu instid0(SALU_CYCLE_1) | instskip(NEXT) | instid1(VALU_DEP_1)
	s_add_i32 s3, s3, s14
	v_rcp_iflag_f32_e32 v1, v1
	s_mul_i32 s2, s3, s2
	s_delay_alu instid0(SALU_CYCLE_1) | instskip(NEXT) | instid1(SALU_CYCLE_1)
	s_add_i32 s20, s2, s13
	s_cmp_ge_u32 s20, s4
	s_waitcnt_depctr 0xfff
	v_mul_f32_e32 v1, 0x4f7ffffe, v1
	s_delay_alu instid0(VALU_DEP_1) | instskip(NEXT) | instid1(VALU_DEP_1)
	v_cvt_u32_f32_e32 v1, v1
	v_readfirstlane_b32 s2, v1
	s_cbranch_scc1 .LBB15_40
; %bb.1:
	s_sub_i32 s3, 0, s16
	s_mov_b32 s21, 0
	s_delay_alu instid0(VALU_DEP_1)
	s_mul_i32 s3, s3, s2
	s_mov_b32 s27, s21
	s_mul_hi_u32 s3, s2, s3
	v_cmp_gt_u32_e32 vcc_lo, 0x100, v0
	s_add_i32 s4, s2, s3
	s_clause 0x1
	s_load_b64 s[2:3], s[0:1], 0x10
	s_load_b128 s[12:15], s[0:1], 0x0
	s_mul_hi_u32 s4, s20, s4
	s_delay_alu instid0(SALU_CYCLE_1) | instskip(SKIP_2) | instid1(SALU_CYCLE_1)
	s_mul_i32 s5, s4, s16
	s_add_i32 s6, s4, 1
	s_sub_i32 s5, s20, s5
	s_sub_i32 s7, s5, s16
	s_cmp_ge_u32 s5, s16
	s_cselect_b32 s4, s6, s4
	s_cselect_b32 s5, s7, s5
	s_add_i32 s6, s4, 1
	s_cmp_ge_u32 s5, s16
	s_cselect_b32 s26, s6, s4
	s_delay_alu instid0(SALU_CYCLE_1)
	s_lshl_b64 s[22:23], s[26:27], 2
	s_waitcnt lgkmcnt(0)
	s_add_u32 s4, s2, s22
	s_addc_u32 s5, s3, s23
	s_and_saveexec_b32 s3, vcc_lo
	s_cbranch_execz .LBB15_8
; %bb.2:
	s_mul_i32 s2, s26, s16
	s_mov_b32 s7, s21
	s_lshl_b32 s6, s2, 8
	v_lshlrev_b32_e32 v1, 1, v0
	s_lshl_b64 s[6:7], s[6:7], 1
	v_mov_b32_e32 v3, 0
	s_add_u32 s2, s14, s6
	s_addc_u32 s6, s15, s7
	v_add_co_u32 v1, s2, s2, v1
	s_delay_alu instid0(VALU_DEP_1)
	v_add_co_ci_u32_e64 v2, null, s6, 0, s2
	s_cmp_lt_u32 s16, 4
	s_cbranch_scc1 .LBB15_41
; %bb.3:
	v_mov_b32_e32 v3, 0
	s_mov_b32 s6, 0
	.p2align	6
.LBB15_4:                               ; =>This Inner Loop Header: Depth=1
	s_clause 0x3
	global_load_i16 v4, v[1:2], off
	global_load_i16 v5, v[1:2], off offset:512
	global_load_i16 v6, v[1:2], off offset:1024
	;; [unrolled: 1-line block ×3, first 2 shown]
	v_add_co_u32 v1, s2, 0x800, v1
	s_delay_alu instid0(VALU_DEP_1)
	v_add_co_ci_u32_e64 v2, s2, 0, v2, s2
	s_add_i32 s2, s6, 7
	s_add_i32 s6, s6, 4
	s_cmp_ge_u32 s2, s16
	s_waitcnt vmcnt(2)
	v_add3_u32 v3, v3, v4, v5
	s_waitcnt vmcnt(0)
	s_delay_alu instid0(VALU_DEP_1)
	v_add3_u32 v3, v3, v6, v7
	s_cbranch_scc0 .LBB15_4
; %bb.5:
	s_cmp_ge_u32 s6, s16
	s_cbranch_scc1 .LBB15_7
.LBB15_6:                               ; =>This Inner Loop Header: Depth=1
	global_load_i16 v4, v[1:2], off
	v_add_co_u32 v1, s2, 0x200, v1
	s_delay_alu instid0(VALU_DEP_1) | instskip(SKIP_1) | instid1(SALU_CYCLE_1)
	v_add_co_ci_u32_e64 v2, s2, 0, v2, s2
	s_add_i32 s6, s6, 1
	s_cmp_lt_u32 s6, s16
	s_waitcnt vmcnt(0)
	v_add_nc_u32_e32 v3, v3, v4
	s_cbranch_scc1 .LBB15_6
.LBB15_7:
	v_lshlrev_b32_e32 v1, 2, v0
	ds_store_b32 v1, v3 offset:1056
.LBB15_8:
	s_or_b32 exec_lo, exec_lo, s3
	s_load_b32 s19, s[4:5], 0x0
	v_mov_b32_e32 v4, 0
	s_waitcnt lgkmcnt(0)
	s_barrier
	buffer_gl0_inv
	s_and_saveexec_b32 s2, vcc_lo
	s_cbranch_execz .LBB15_10
; %bb.9:
	v_lshlrev_b32_e32 v1, 2, v0
	ds_load_b32 v4, v1 offset:1056
.LBB15_10:
	s_or_b32 exec_lo, exec_lo, s2
	v_lshrrev_b32_e32 v2, 5, v0
	v_cmp_gt_u32_e64 s2, 32, v0
	v_mbcnt_lo_u32_b32 v1, -1, 0
	s_delay_alu instid0(VALU_DEP_3)
	v_add_lshl_u32 v3, v2, v0, 2
	s_waitcnt lgkmcnt(0)
	ds_store_b32 v3, v4
	s_waitcnt lgkmcnt(0)
	s_barrier
	buffer_gl0_inv
	s_and_saveexec_b32 s4, s2
	s_cbranch_execz .LBB15_12
; %bb.11:
	v_and_b32_e32 v5, 0xfc, v0
	s_delay_alu instid0(VALU_DEP_1)
	v_lshl_or_b32 v13, v0, 5, v5
	ds_load_2addr_b32 v[5:6], v13 offset1:1
	ds_load_2addr_b32 v[7:8], v13 offset0:2 offset1:3
	ds_load_2addr_b32 v[9:10], v13 offset0:4 offset1:5
	ds_load_2addr_b32 v[11:12], v13 offset0:6 offset1:7
	; wave barrier
	s_waitcnt lgkmcnt(3)
	v_add_nc_u32_e32 v6, v6, v5
	s_waitcnt lgkmcnt(2)
	s_delay_alu instid0(VALU_DEP_1) | instskip(SKIP_2) | instid1(VALU_DEP_2)
	v_add3_u32 v6, v6, v7, v8
	v_and_b32_e32 v7, 15, v1
	s_waitcnt lgkmcnt(1)
	v_add3_u32 v6, v6, v9, v10
	s_delay_alu instid0(VALU_DEP_2) | instskip(SKIP_2) | instid1(VALU_DEP_3)
	v_cmp_ne_u32_e64 s3, 0, v7
	v_bfe_i32 v9, v1, 4, 1
	s_waitcnt lgkmcnt(0)
	v_add3_u32 v6, v6, v11, v12
	s_delay_alu instid0(VALU_DEP_1) | instskip(NEXT) | instid1(VALU_DEP_1)
	v_mov_b32_dpp v8, v6 row_shr:1 row_mask:0xf bank_mask:0xf
	v_cndmask_b32_e64 v8, 0, v8, s3
	v_cmp_lt_u32_e64 s3, 1, v7
	s_delay_alu instid0(VALU_DEP_2) | instskip(NEXT) | instid1(VALU_DEP_1)
	v_add_nc_u32_e32 v6, v8, v6
	v_mov_b32_dpp v8, v6 row_shr:2 row_mask:0xf bank_mask:0xf
	s_delay_alu instid0(VALU_DEP_1) | instskip(SKIP_1) | instid1(VALU_DEP_2)
	v_cndmask_b32_e64 v8, 0, v8, s3
	v_cmp_lt_u32_e64 s3, 3, v7
	v_add_nc_u32_e32 v6, v6, v8
	s_delay_alu instid0(VALU_DEP_1) | instskip(NEXT) | instid1(VALU_DEP_1)
	v_mov_b32_dpp v8, v6 row_shr:4 row_mask:0xf bank_mask:0xf
	v_cndmask_b32_e64 v8, 0, v8, s3
	v_cmp_lt_u32_e64 s3, 7, v7
	s_delay_alu instid0(VALU_DEP_2) | instskip(NEXT) | instid1(VALU_DEP_1)
	v_add_nc_u32_e32 v6, v6, v8
	v_mov_b32_dpp v8, v6 row_shr:8 row_mask:0xf bank_mask:0xf
	s_delay_alu instid0(VALU_DEP_1) | instskip(SKIP_1) | instid1(VALU_DEP_2)
	v_cndmask_b32_e64 v7, 0, v8, s3
	v_add_nc_u32_e32 v8, -1, v1
	v_add_nc_u32_e32 v6, v6, v7
	s_delay_alu instid0(VALU_DEP_2) | instskip(SKIP_3) | instid1(VALU_DEP_2)
	v_cmp_gt_i32_e64 s3, 0, v8
	ds_swizzle_b32 v7, v6 offset:swizzle(BROADCAST,32,15)
	v_cndmask_b32_e64 v8, v8, v1, s3
	v_cmp_eq_u32_e64 s3, 0, v0
	v_lshlrev_b32_e32 v8, 2, v8
	s_waitcnt lgkmcnt(0)
	v_and_b32_e32 v7, v9, v7
	s_delay_alu instid0(VALU_DEP_1) | instskip(SKIP_3) | instid1(VALU_DEP_1)
	v_add_nc_u32_e32 v6, v6, v7
	ds_bpermute_b32 v6, v8, v6
	s_waitcnt lgkmcnt(0)
	v_add_nc_u32_e32 v5, v6, v5
	v_cndmask_b32_e64 v10, v5, v4, s3
	ds_store_b32 v13, v10
	; wave barrier
	ds_load_2addr_b32 v[4:5], v13 offset0:1 offset1:2
	ds_load_2addr_b32 v[6:7], v13 offset0:3 offset1:4
	;; [unrolled: 1-line block ×3, first 2 shown]
	ds_load_b32 v11, v13 offset:28
	s_waitcnt lgkmcnt(3)
	v_add_nc_u32_e32 v4, v4, v10
	s_delay_alu instid0(VALU_DEP_1) | instskip(SKIP_1) | instid1(VALU_DEP_1)
	v_add_nc_u32_e32 v5, v5, v4
	s_waitcnt lgkmcnt(2)
	v_add_nc_u32_e32 v6, v6, v5
	s_delay_alu instid0(VALU_DEP_1) | instskip(SKIP_1) | instid1(VALU_DEP_1)
	v_add_nc_u32_e32 v7, v7, v6
	;; [unrolled: 4-line block ×3, first 2 shown]
	s_waitcnt lgkmcnt(0)
	v_add_nc_u32_e32 v10, v11, v9
	ds_store_2addr_b32 v13, v4, v5 offset0:1 offset1:2
	ds_store_2addr_b32 v13, v6, v7 offset0:3 offset1:4
	;; [unrolled: 1-line block ×3, first 2 shown]
	ds_store_b32 v13, v10 offset:28
.LBB15_12:
	s_or_b32 exec_lo, exec_lo, s4
	s_waitcnt lgkmcnt(0)
	s_barrier
	buffer_gl0_inv
	ds_load_b32 v4, v3
	s_waitcnt lgkmcnt(0)
	s_barrier
	buffer_gl0_inv
	s_and_saveexec_b32 s3, vcc_lo
	s_cbranch_execz .LBB15_14
; %bb.13:
	v_lshlrev_b32_e32 v3, 2, v0
	ds_store_b32 v3, v4 offset:1056
.LBB15_14:
	s_or_b32 exec_lo, exec_lo, s3
	s_clause 0x1
	s_load_b256 s[4:11], s[0:1], 0x28
	s_load_b64 s[24:25], s[0:1], 0x48
	s_waitcnt lgkmcnt(0)
	s_barrier
	buffer_gl0_inv
	s_and_saveexec_b32 s1, vcc_lo
	s_cbranch_execz .LBB15_23
; %bb.15:
	v_mov_b32_e32 v3, 0
	s_mov_b32 s0, exec_lo
	v_cmpx_ne_u32_e32 0, v0
	s_cbranch_execz .LBB15_17
; %bb.16:
	v_lshlrev_b32_e32 v3, 2, v0
	ds_load_b32 v3, v3 offset:1052
.LBB15_17:
	s_or_b32 exec_lo, exec_lo, s0
	s_waitcnt lgkmcnt(0)
	v_cmp_gt_u32_e32 vcc_lo, s19, v3
	v_cmp_le_u32_e64 s0, s19, v4
	s_delay_alu instid0(VALU_DEP_1) | instskip(NEXT) | instid1(SALU_CYCLE_1)
	s_and_b32 s0, vcc_lo, s0
	s_and_b32 exec_lo, exec_lo, s0
	s_cbranch_execz .LBB15_23
; %bb.18:
	s_add_u32 s12, s12, s22
	s_addc_u32 s13, s13, s23
	s_lshl_b32 s0, 0xff, s17
	s_delay_alu instid0(SALU_CYCLE_1) | instskip(SKIP_2) | instid1(SALU_CYCLE_1)
	v_not_b32_e32 v6, s0
	v_mov_b32_e32 v4, 0
	s_mul_i32 s0, s26, s16
	s_cmp_lg_u32 s20, s0
	global_load_b32 v5, v4, s[12:13]
	s_waitcnt vmcnt(0)
	v_and_b32_e32 v5, v5, v6
	s_delay_alu instid0(VALU_DEP_1)
	v_lshl_or_b32 v5, v0, s17, v5
	ds_store_b32 v4, v5 offset:2112
	s_cbranch_scc1 .LBB15_23
; %bb.19:
	s_add_u32 s10, s10, s22
	s_addc_u32 s11, s11, s23
	s_cmp_lt_i32 s17, 1
	s_mov_b32 s0, -1
	global_store_b32 v4, v5, s[10:11]
	s_cbranch_scc0 .LBB15_21
; %bb.20:
	v_xor_b32_e32 v4, 0x80, v5
	v_mov_b32_e32 v5, 0
	s_add_u32 s6, s6, s26
	s_addc_u32 s7, s7, 0
	s_mov_b32 s0, 0
	global_store_b8 v5, v4, s[6:7]
.LBB15_21:
	s_and_not1_b32 vcc_lo, exec_lo, s0
	s_cbranch_vccnz .LBB15_23
; %bb.22:
	v_sub_nc_u32_e32 v3, s19, v3
	v_mov_b32_e32 v4, 0
	s_add_u32 s6, s8, s22
	s_addc_u32 s7, s9, s23
	global_store_b32 v4, v3, s[6:7]
.LBB15_23:
	s_or_b32 exec_lo, exec_lo, s1
	v_mov_b32_e32 v3, 0
	s_waitcnt lgkmcnt(0)
	s_waitcnt_vscnt null, 0x0
	s_barrier
	buffer_gl0_inv
	s_bitcmp0_b32 s18, 0
	ds_load_b32 v3, v3 offset:2112
	s_mov_b32 s6, 0
	s_waitcnt lgkmcnt(0)
	v_lshrrev_b32_e32 v3, s17, v3
	s_delay_alu instid0(VALU_DEP_1)
	v_and_b32_e32 v3, 0xff, v3
	s_cbranch_scc0 .LBB15_25
; %bb.24:
	v_and_b32_e32 v4, 0xe0, v0
	s_delay_alu instid0(VALU_DEP_2) | instskip(NEXT) | instid1(VALU_DEP_2)
	v_cmp_lt_u32_e64 s0, v0, v3
	v_cmp_lt_u32_e32 vcc_lo, v4, v3
	s_delay_alu instid0(VALU_DEP_2)
	s_and_b32 s1, s0, exec_lo
	s_and_b32 s3, vcc_lo, exec_lo
	s_and_not1_b32 vcc_lo, exec_lo, s6
	s_cbranch_vccz .LBB15_26
	s_branch .LBB15_27
.LBB15_25:
                                        ; implicit-def: $sgpr1
                                        ; implicit-def: $sgpr3
.LBB15_26:
	v_or_b32_e32 v4, 31, v0
	s_delay_alu instid0(VALU_DEP_2) | instskip(SKIP_2) | instid1(VALU_DEP_2)
	v_cmp_gt_u32_e32 vcc_lo, v0, v3
	s_and_not1_b32 s1, s1, exec_lo
	s_and_not1_b32 s3, s3, exec_lo
	v_cmp_gt_u32_e64 s0, v4, v3
	s_and_b32 s6, vcc_lo, exec_lo
	s_delay_alu instid0(SALU_CYCLE_1) | instskip(NEXT) | instid1(VALU_DEP_1)
	s_or_b32 s1, s1, s6
	s_and_b32 s0, s0, exec_lo
	s_delay_alu instid0(SALU_CYCLE_1)
	s_or_b32 s3, s3, s0
.LBB15_27:
	v_mov_b32_e32 v3, 0
	s_and_saveexec_b32 s0, s3
	s_cbranch_execz .LBB15_31
; %bb.28:
	v_mov_b32_e32 v3, 0
	s_and_saveexec_b32 s3, s1
	s_cbranch_execz .LBB15_30
; %bb.29:
	s_lshl_b32 s6, s20, 8
	s_mov_b32 s7, 0
	v_lshlrev_b32_e32 v3, 1, v0
	s_lshl_b64 s[6:7], s[6:7], 1
	s_delay_alu instid0(SALU_CYCLE_1)
	s_add_u32 s6, s14, s6
	s_addc_u32 s7, s15, s7
	global_load_i16 v3, v3, s[6:7]
.LBB15_30:
	s_or_b32 exec_lo, exec_lo, s3
	v_cmp_gt_u32_e32 vcc_lo, 16, v1
	v_cndmask_b32_e64 v4, 0, 1, vcc_lo
	v_cmp_gt_u32_e32 vcc_lo, 24, v1
	s_delay_alu instid0(VALU_DEP_2) | instskip(SKIP_2) | instid1(VALU_DEP_3)
	v_lshlrev_b32_e32 v4, 4, v4
	v_cndmask_b32_e64 v5, 0, 1, vcc_lo
	v_cmp_gt_u32_e32 vcc_lo, 28, v1
	v_add_lshl_u32 v4, v4, v1, 2
	s_delay_alu instid0(VALU_DEP_3)
	v_lshlrev_b32_e32 v5, 3, v5
	s_waitcnt vmcnt(0)
	ds_bpermute_b32 v4, v4, v3
	v_add_lshl_u32 v5, v5, v1, 2
	s_waitcnt lgkmcnt(0)
	v_add_nc_u32_e32 v3, v4, v3
	ds_bpermute_b32 v4, v5, v3
	v_cndmask_b32_e64 v5, 0, 1, vcc_lo
	v_cmp_gt_u32_e32 vcc_lo, 30, v1
	s_delay_alu instid0(VALU_DEP_2) | instskip(NEXT) | instid1(VALU_DEP_1)
	v_lshlrev_b32_e32 v5, 2, v5
	v_add_lshl_u32 v5, v5, v1, 2
	s_waitcnt lgkmcnt(0)
	v_add_nc_u32_e32 v3, v4, v3
	ds_bpermute_b32 v4, v5, v3
	v_cndmask_b32_e64 v5, 0, 1, vcc_lo
	v_cmp_ne_u32_e32 vcc_lo, 31, v1
	s_delay_alu instid0(VALU_DEP_2) | instskip(NEXT) | instid1(VALU_DEP_1)
	v_lshlrev_b32_e32 v5, 1, v5
	v_add_lshl_u32 v5, v5, v1, 2
	s_waitcnt lgkmcnt(0)
	v_add_nc_u32_e32 v3, v4, v3
	ds_bpermute_b32 v4, v5, v3
	v_add_co_ci_u32_e32 v5, vcc_lo, 0, v1, vcc_lo
	s_waitcnt lgkmcnt(0)
	v_add_nc_u32_e32 v3, v4, v3
	s_delay_alu instid0(VALU_DEP_2)
	v_lshlrev_b32_e32 v4, 2, v5
	ds_bpermute_b32 v4, v4, v3
	s_waitcnt lgkmcnt(0)
	v_add_nc_u32_e32 v3, v4, v3
.LBB15_31:
	s_or_b32 exec_lo, exec_lo, s0
	v_and_b32_e32 v4, 31, v0
	s_mov_b32 s0, exec_lo
	s_delay_alu instid0(VALU_DEP_1)
	v_cmpx_eq_u32_e32 0, v4
	s_cbranch_execz .LBB15_33
; %bb.32:
	v_lshlrev_b32_e32 v2, 2, v2
	ds_store_b32 v2, v3 offset:2080
.LBB15_33:
	s_or_b32 exec_lo, exec_lo, s0
	s_waitcnt lgkmcnt(0)
	s_barrier
	buffer_gl0_inv
	s_and_saveexec_b32 s0, s2
	s_cbranch_execz .LBB15_40
; %bb.34:
	v_mov_b32_e32 v2, 0
	s_mov_b32 s0, exec_lo
	v_cmpx_gt_u32_e32 8, v0
	s_cbranch_execz .LBB15_36
; %bb.35:
	v_lshlrev_b32_e32 v2, 2, v0
	ds_load_b32 v2, v2 offset:2080
.LBB15_36:
	s_or_b32 exec_lo, exec_lo, s0
	v_cmp_gt_u32_e32 vcc_lo, 28, v1
	s_mov_b32 s0, exec_lo
	v_cndmask_b32_e64 v3, 0, 1, vcc_lo
	v_cmp_gt_u32_e32 vcc_lo, 30, v1
	s_delay_alu instid0(VALU_DEP_2) | instskip(SKIP_2) | instid1(VALU_DEP_3)
	v_lshlrev_b32_e32 v3, 2, v3
	v_cndmask_b32_e64 v4, 0, 1, vcc_lo
	v_cmp_ne_u32_e32 vcc_lo, 31, v1
	v_add_lshl_u32 v3, v3, v1, 2
	s_delay_alu instid0(VALU_DEP_3)
	v_lshlrev_b32_e32 v4, 1, v4
	s_waitcnt lgkmcnt(0)
	ds_bpermute_b32 v3, v3, v2
	v_add_lshl_u32 v4, v4, v1, 2
	s_waitcnt lgkmcnt(0)
	v_add_nc_u32_e32 v2, v3, v2
	ds_bpermute_b32 v3, v4, v2
	v_add_co_ci_u32_e32 v4, vcc_lo, 0, v1, vcc_lo
	s_waitcnt lgkmcnt(0)
	v_add_nc_u32_e32 v1, v3, v2
	s_delay_alu instid0(VALU_DEP_2)
	v_lshlrev_b32_e32 v2, 2, v4
	ds_bpermute_b32 v2, v2, v1
	v_cmpx_eq_u32_e32 0, v0
	s_cbranch_execz .LBB15_38
; %bb.37:
	s_lshl_b64 s[2:3], s[20:21], 2
	v_mov_b32_e32 v3, 0
	s_add_u32 s2, s4, s2
	s_addc_u32 s3, s5, s3
	global_load_b32 v4, v3, s[2:3]
	s_waitcnt vmcnt(0) lgkmcnt(0)
	v_add3_u32 v1, v2, v1, v4
	global_store_b32 v3, v1, s[2:3]
.LBB15_38:
	s_or_b32 exec_lo, exec_lo, s0
	v_or_b32_e32 v0, s17, v0
	s_delay_alu instid0(VALU_DEP_1)
	v_cmp_eq_u32_e32 vcc_lo, 0, v0
	s_and_b32 exec_lo, exec_lo, vcc_lo
	s_cbranch_execz .LBB15_40
; %bb.39:
	v_mov_b32_e32 v0, 0
	s_lshl_b32 s0, s20, 8
	s_mov_b32 s1, 0
	s_delay_alu instid0(SALU_CYCLE_1)
	s_lshl_b64 s[0:1], s[0:1], 1
	ds_load_b32 v1, v0 offset:2112
	s_add_u32 s0, s14, s0
	s_addc_u32 s1, s15, s1
	s_waitcnt lgkmcnt(0)
	v_and_b32_e32 v1, 0xff, v1
	s_delay_alu instid0(VALU_DEP_1) | instskip(SKIP_2) | instid1(SALU_CYCLE_1)
	v_lshlrev_b32_e32 v1, 1, v1
	global_load_i16 v1, v1, s[0:1]
	s_lshl_b64 s[0:1], s[20:21], 2
	s_add_u32 s0, s24, s0
	s_addc_u32 s1, s25, s1
	s_waitcnt vmcnt(0)
	global_store_b32 v0, v1, s[0:1]
.LBB15_40:
	s_nop 0
	s_sendmsg sendmsg(MSG_DEALLOC_VGPRS)
	s_endpgm
.LBB15_41:
	s_mov_b32 s6, s21
	s_delay_alu instid0(SALU_CYCLE_1)
	s_cmp_ge_u32 s6, s16
	s_cbranch_scc0 .LBB15_6
	s_branch .LBB15_7
	.section	.rodata,"a",@progbits
	.p2align	6, 0x0
	.amdhsa_kernel _ZN2at6native6mbtopk29computeBlockwiseWithinKCountsIjaEEvPT_PsPjjibS6_PT0_S6_S4_S6_j
		.amdhsa_group_segment_fixed_size 2116
		.amdhsa_private_segment_fixed_size 0
		.amdhsa_kernarg_size 344
		.amdhsa_user_sgpr_count 13
		.amdhsa_user_sgpr_dispatch_ptr 0
		.amdhsa_user_sgpr_queue_ptr 0
		.amdhsa_user_sgpr_kernarg_segment_ptr 1
		.amdhsa_user_sgpr_dispatch_id 0
		.amdhsa_user_sgpr_private_segment_size 0
		.amdhsa_wavefront_size32 1
		.amdhsa_uses_dynamic_stack 0
		.amdhsa_enable_private_segment 0
		.amdhsa_system_sgpr_workgroup_id_x 1
		.amdhsa_system_sgpr_workgroup_id_y 1
		.amdhsa_system_sgpr_workgroup_id_z 1
		.amdhsa_system_sgpr_workgroup_info 0
		.amdhsa_system_vgpr_workitem_id 0
		.amdhsa_next_free_vgpr 14
		.amdhsa_next_free_sgpr 28
		.amdhsa_reserve_vcc 1
		.amdhsa_float_round_mode_32 0
		.amdhsa_float_round_mode_16_64 0
		.amdhsa_float_denorm_mode_32 3
		.amdhsa_float_denorm_mode_16_64 3
		.amdhsa_dx10_clamp 1
		.amdhsa_ieee_mode 1
		.amdhsa_fp16_overflow 0
		.amdhsa_workgroup_processor_mode 1
		.amdhsa_memory_ordered 1
		.amdhsa_forward_progress 0
		.amdhsa_shared_vgpr_count 0
		.amdhsa_exception_fp_ieee_invalid_op 0
		.amdhsa_exception_fp_denorm_src 0
		.amdhsa_exception_fp_ieee_div_zero 0
		.amdhsa_exception_fp_ieee_overflow 0
		.amdhsa_exception_fp_ieee_underflow 0
		.amdhsa_exception_fp_ieee_inexact 0
		.amdhsa_exception_int_div_zero 0
	.end_amdhsa_kernel
	.section	.text._ZN2at6native6mbtopk29computeBlockwiseWithinKCountsIjaEEvPT_PsPjjibS6_PT0_S6_S4_S6_j,"axG",@progbits,_ZN2at6native6mbtopk29computeBlockwiseWithinKCountsIjaEEvPT_PsPjjibS6_PT0_S6_S4_S6_j,comdat
.Lfunc_end15:
	.size	_ZN2at6native6mbtopk29computeBlockwiseWithinKCountsIjaEEvPT_PsPjjibS6_PT0_S6_S4_S6_j, .Lfunc_end15-_ZN2at6native6mbtopk29computeBlockwiseWithinKCountsIjaEEvPT_PsPjjibS6_PT0_S6_S4_S6_j
                                        ; -- End function
	.section	.AMDGPU.csdata,"",@progbits
; Kernel info:
; codeLenInByte = 2260
; NumSgprs: 30
; NumVgprs: 14
; ScratchSize: 0
; MemoryBound: 0
; FloatMode: 240
; IeeeMode: 1
; LDSByteSize: 2116 bytes/workgroup (compile time only)
; SGPRBlocks: 3
; VGPRBlocks: 1
; NumSGPRsForWavesPerEU: 30
; NumVGPRsForWavesPerEU: 14
; Occupancy: 16
; WaveLimiterHint : 1
; COMPUTE_PGM_RSRC2:SCRATCH_EN: 0
; COMPUTE_PGM_RSRC2:USER_SGPR: 13
; COMPUTE_PGM_RSRC2:TRAP_HANDLER: 0
; COMPUTE_PGM_RSRC2:TGID_X_EN: 1
; COMPUTE_PGM_RSRC2:TGID_Y_EN: 1
; COMPUTE_PGM_RSRC2:TGID_Z_EN: 1
; COMPUTE_PGM_RSRC2:TIDIG_COMP_CNT: 0
	.section	.text._ZN2at6native6mbtopk10gatherTopKIajLi1EEEvNS_4cuda6detail10TensorInfoIKT_T0_EES8_S8_bjS8_NS5_IS6_S8_EES8_NS5_IlS8_EES8_jjPS6_PjSD_j,"axG",@progbits,_ZN2at6native6mbtopk10gatherTopKIajLi1EEEvNS_4cuda6detail10TensorInfoIKT_T0_EES8_S8_bjS8_NS5_IS6_S8_EES8_NS5_IlS8_EES8_jjPS6_PjSD_j,comdat
	.protected	_ZN2at6native6mbtopk10gatherTopKIajLi1EEEvNS_4cuda6detail10TensorInfoIKT_T0_EES8_S8_bjS8_NS5_IS6_S8_EES8_NS5_IlS8_EES8_jjPS6_PjSD_j ; -- Begin function _ZN2at6native6mbtopk10gatherTopKIajLi1EEEvNS_4cuda6detail10TensorInfoIKT_T0_EES8_S8_bjS8_NS5_IS6_S8_EES8_NS5_IlS8_EES8_jjPS6_PjSD_j
	.globl	_ZN2at6native6mbtopk10gatherTopKIajLi1EEEvNS_4cuda6detail10TensorInfoIKT_T0_EES8_S8_bjS8_NS5_IS6_S8_EES8_NS5_IlS8_EES8_jjPS6_PjSD_j
	.p2align	8
	.type	_ZN2at6native6mbtopk10gatherTopKIajLi1EEEvNS_4cuda6detail10TensorInfoIKT_T0_EES8_S8_bjS8_NS5_IS6_S8_EES8_NS5_IlS8_EES8_jjPS6_PjSD_j,@function
_ZN2at6native6mbtopk10gatherTopKIajLi1EEEvNS_4cuda6detail10TensorInfoIKT_T0_EES8_S8_bjS8_NS5_IS6_S8_EES8_NS5_IlS8_EES8_jjPS6_PjSD_j: ; @_ZN2at6native6mbtopk10gatherTopKIajLi1EEEvNS_4cuda6detail10TensorInfoIKT_T0_EES8_S8_bjS8_NS5_IS6_S8_EES8_NS5_IlS8_EES8_jjPS6_PjSD_j
; %bb.0:
	s_clause 0x1
	s_load_b64 s[2:3], s[0:1], 0x2d8
	s_load_b32 s4, s[0:1], 0x2d0
	s_waitcnt lgkmcnt(0)
	s_mul_i32 s3, s3, s15
	s_delay_alu instid0(SALU_CYCLE_1) | instskip(NEXT) | instid1(SALU_CYCLE_1)
	s_add_i32 s3, s3, s14
	s_mul_i32 s12, s3, s2
	s_delay_alu instid0(SALU_CYCLE_1) | instskip(NEXT) | instid1(SALU_CYCLE_1)
	s_add_i32 s12, s12, s13
	s_cmp_ge_u32 s12, s4
	s_cbranch_scc1 .LBB16_40
; %bb.1:
	s_load_b256 s[4:11], s[0:1], 0x2a8
	s_waitcnt lgkmcnt(0)
	v_cvt_f32_u32_e32 v1, s6
	s_sub_i32 s3, 0, s6
	s_delay_alu instid0(VALU_DEP_1) | instskip(SKIP_2) | instid1(VALU_DEP_1)
	v_rcp_iflag_f32_e32 v1, v1
	s_waitcnt_depctr 0xfff
	v_mul_f32_e32 v1, 0x4f7ffffe, v1
	v_cvt_u32_f32_e32 v1, v1
	s_delay_alu instid0(VALU_DEP_1) | instskip(NEXT) | instid1(VALU_DEP_1)
	v_readfirstlane_b32 s2, v1
	s_mul_i32 s3, s3, s2
	s_delay_alu instid0(SALU_CYCLE_1) | instskip(NEXT) | instid1(SALU_CYCLE_1)
	s_mul_hi_u32 s3, s2, s3
	s_add_i32 s2, s2, s3
	s_delay_alu instid0(SALU_CYCLE_1) | instskip(NEXT) | instid1(SALU_CYCLE_1)
	s_mul_hi_u32 s2, s12, s2
	s_mul_i32 s3, s2, s6
	s_add_i32 s7, s2, 1
	s_sub_i32 s3, s12, s3
	s_delay_alu instid0(SALU_CYCLE_1)
	s_sub_i32 s13, s3, s6
	s_cmp_ge_u32 s3, s6
	s_cselect_b32 s2, s7, s2
	s_cselect_b32 s3, s13, s3
	s_add_i32 s7, s2, 1
	s_cmp_ge_u32 s3, s6
	v_cmp_eq_u32_e64 s3, 0, v0
	s_cselect_b32 s7, s7, s2
	v_cmp_ne_u32_e64 s2, 0, v0
	v_mov_b32_e32 v1, s7
	global_load_u8 v7, v1, s[8:9]
	s_clause 0x2
	s_load_b64 s[16:17], s[0:1], 0x1d0
	s_load_b64 s[18:19], s[0:1], 0xf0
	;; [unrolled: 1-line block ×3, first 2 shown]
	s_mul_i32 s8, s7, s6
	s_mov_b32 s9, 0
	s_sub_i32 s28, s12, s8
	s_and_saveexec_b32 s29, s3
	s_cbranch_execz .LBB16_17
; %bb.2:
	s_load_b64 s[22:23], s[0:1], 0x2c8
	s_lshl_b64 s[24:25], s[8:9], 2
	s_mov_b32 s8, 0
	s_add_u32 s12, s10, s24
	s_addc_u32 s13, s11, s25
	s_mov_b32 s30, 0
	s_waitcnt lgkmcnt(0)
	s_add_u32 s14, s22, s24
	s_addc_u32 s15, s23, s25
	s_cmp_lt_u32 s6, 4
	s_cbranch_scc1 .LBB16_14
; %bb.3:
	s_mov_b32 s31, 0
.LBB16_4:                               ; =>This Inner Loop Header: Depth=1
	s_add_u32 s12, s10, s24
	s_addc_u32 s13, s11, s25
	s_add_u32 s26, s22, s24
	s_load_b128 s[12:15], s[12:13], 0x0
	s_addc_u32 s27, s23, s25
	s_cmp_ge_u32 s31, s28
	s_cbranch_scc0 .LBB16_11
; %bb.5:                                ;   in Loop: Header=BB16_4 Depth=1
	s_add_i32 s33, s31, 1
	s_delay_alu instid0(SALU_CYCLE_1)
	s_cmp_ge_u32 s33, s28
	s_cbranch_scc0 .LBB16_12
.LBB16_6:                               ;   in Loop: Header=BB16_4 Depth=1
	s_add_i32 s33, s33, 1
	s_delay_alu instid0(SALU_CYCLE_1)
	s_cmp_ge_u32 s33, s28
	s_cbranch_scc0 .LBB16_13
.LBB16_7:                               ;   in Loop: Header=BB16_4 Depth=1
	s_add_i32 s33, s33, 1
	s_delay_alu instid0(SALU_CYCLE_1)
	s_cmp_ge_u32 s33, s28
	s_cbranch_scc1 .LBB16_9
.LBB16_8:                               ;   in Loop: Header=BB16_4 Depth=1
	s_load_b32 s26, s[26:27], 0xc
	s_waitcnt lgkmcnt(0)
	s_add_i32 s9, s9, s15
	s_add_i32 s8, s26, s8
.LBB16_9:                               ;   in Loop: Header=BB16_4 Depth=1
	s_waitcnt lgkmcnt(0)
	s_add_i32 s12, s12, s30
	s_delay_alu instid0(SALU_CYCLE_1) | instskip(NEXT) | instid1(SALU_CYCLE_1)
	s_add_i32 s12, s12, s13
	s_add_i32 s12, s12, s14
	s_delay_alu instid0(SALU_CYCLE_1)
	s_add_i32 s30, s12, s15
	s_add_u32 s10, s10, 16
	s_addc_u32 s11, s11, 0
	s_add_u32 s22, s22, 16
	s_addc_u32 s23, s23, 0
	s_add_i32 s27, s33, 4
	s_add_u32 s14, s22, s24
	s_addc_u32 s15, s23, s25
	s_add_u32 s12, s10, s24
	s_addc_u32 s13, s11, s25
	s_add_i32 s26, s33, 1
	s_cmp_ge_u32 s27, s6
	s_cbranch_scc1 .LBB16_15
; %bb.10:                               ;   in Loop: Header=BB16_4 Depth=1
	s_mov_b32 s31, s26
	s_branch .LBB16_4
.LBB16_11:                              ;   in Loop: Header=BB16_4 Depth=1
	s_load_b32 s33, s[26:27], 0x0
	s_waitcnt lgkmcnt(0)
	s_add_i32 s9, s12, s9
	s_add_i32 s8, s33, s8
	s_add_i32 s33, s31, 1
	s_delay_alu instid0(SALU_CYCLE_1)
	s_cmp_ge_u32 s33, s28
	s_cbranch_scc1 .LBB16_6
.LBB16_12:                              ;   in Loop: Header=BB16_4 Depth=1
	s_load_b32 s34, s[26:27], 0x4
	s_waitcnt lgkmcnt(0)
	s_add_i32 s9, s9, s13
	s_add_i32 s8, s34, s8
	;; [unrolled: 1-line block ×3, first 2 shown]
	s_delay_alu instid0(SALU_CYCLE_1)
	s_cmp_ge_u32 s33, s28
	s_cbranch_scc1 .LBB16_7
.LBB16_13:                              ;   in Loop: Header=BB16_4 Depth=1
	s_load_b32 s34, s[26:27], 0x8
	s_waitcnt lgkmcnt(0)
	s_add_i32 s9, s9, s14
	s_add_i32 s8, s34, s8
	;; [unrolled: 1-line block ×3, first 2 shown]
	s_delay_alu instid0(SALU_CYCLE_1)
	s_cmp_ge_u32 s33, s28
	s_cbranch_scc0 .LBB16_8
	s_branch .LBB16_9
.LBB16_14:
	s_mov_b32 s10, 0
	s_delay_alu instid0(SALU_CYCLE_1)
	s_cmp_ge_u32 s10, s6
	s_cbranch_scc0 .LBB16_38
	s_branch .LBB16_16
.LBB16_15:
	s_add_i32 s10, s31, 4
	s_delay_alu instid0(SALU_CYCLE_1)
	s_cmp_ge_u32 s10, s6
	s_cbranch_scc0 .LBB16_38
.LBB16_16:
	v_dual_mov_b32 v1, s8 :: v_dual_mov_b32 v2, s30
	v_dual_mov_b32 v3, s9 :: v_dual_mov_b32 v4, 0
	ds_store_b96 v4, v[1:3] offset:1056
.LBB16_17:
	s_or_b32 exec_lo, exec_lo, s29
	s_clause 0x3
	s_load_b32 s13, s[0:1], 0x23c
	s_load_b32 s14, s[0:1], 0x15c
	;; [unrolled: 1-line block ×3, first 2 shown]
	s_load_b128 s[8:11], s[0:1], 0xd8
	s_waitcnt lgkmcnt(0)
	s_mul_i32 s11, s5, s28
	s_add_i32 s28, s28, 1
	s_lshl_b32 s12, s11, 8
	s_waitcnt vmcnt(0)
	s_barrier
	buffer_gl0_inv
	s_sub_i32 s11, s8, s12
	s_delay_alu instid0(SALU_CYCLE_1) | instskip(SKIP_4) | instid1(VALU_DEP_1)
	s_add_u32 s11, s11, 0xff
	s_addc_u32 s15, 0, 0
	s_cmp_lt_u32 s28, s6
	v_alignbit_b32 v1, s15, s11, 8
	s_mov_b32 s15, 0
	v_readfirstlane_b32 s11, v1
	s_delay_alu instid0(VALU_DEP_1) | instskip(NEXT) | instid1(SALU_CYCLE_1)
	s_cselect_b32 s5, s5, s11
	s_cmp_eq_u32 s5, 0
	s_cbranch_scc1 .LBB16_40
; %bb.18:
	v_dual_mov_b32 v5, 0 :: v_dual_add_nc_u32 v4, s12, v0
	v_add_nc_u32_e32 v11, -1, v0
	s_mul_i32 s6, s7, s22
	v_lshrrev_b32_e32 v8, 5, v0
	ds_load_b96 v[1:3], v5 offset:1056
	s_clause 0x1
	s_load_b32 s23, s[0:1], 0xe8
	s_load_b32 s11, s[0:1], 0x1c8
	v_lshlrev_b32_e32 v9, 3, v0
	v_lshrrev_b32_e32 v10, 2, v0
	s_mul_i32 s22, s7, s14
	s_add_u32 s6, s20, s6
	s_mul_i32 s14, s7, s13
	v_bfe_i32 v6, v7, 0, 8
	s_addc_u32 s7, s21, 0
	v_lshrrev_b32_e32 v12, 5, v11
	s_add_u32 s12, s18, s22
	v_cmp_gt_u32_e64 s0, 32, v0
	s_addc_u32 s13, s19, 0
	s_lshl_b64 s[14:15], s[14:15], 3
	v_add_lshl_u32 v0, v8, v0, 2
	v_add_lshl_u32 v8, v10, v9, 2
	s_add_u32 s14, s16, s14
	v_add_nc_u32_e32 v6, 0x80, v6
	s_addc_u32 s15, s17, s15
	v_add_lshl_u32 v9, v12, v11, 2
	s_waitcnt lgkmcnt(0)
	v_add_nc_u32_e32 v1, v1, v2
	v_mbcnt_lo_u32_b32 v2, -1, 0
	v_mul_lo_u32 v10, s23, v4
	v_and_b32_e32 v7, 0xff, v7
	s_bitcmp1_b32 s10, 0
                                        ; implicit-def: $vgpr14
	s_delay_alu instid0(VALU_DEP_3)
	v_and_b32_e32 v11, 15, v2
	v_bfe_i32 v12, v2, 4, 1
	v_add_nc_u32_e32 v13, -1, v2
	s_cselect_b32 s1, -1, 0
	s_lshl_b32 s10, s23, 8
	s_branch .LBB16_21
.LBB16_19:                              ;   in Loop: Header=BB16_21 Depth=1
	s_or_b32 exec_lo, exec_lo, s16
	v_add_nc_u32_e32 v1, v17, v1
.LBB16_20:                              ;   in Loop: Header=BB16_21 Depth=1
	v_add_nc_u32_e32 v3, v16, v3
	v_add_nc_u32_e32 v10, s10, v10
	;; [unrolled: 1-line block ×3, first 2 shown]
	s_add_i32 s5, s5, -1
	s_delay_alu instid0(SALU_CYCLE_1)
	s_cmp_lg_u32 s5, 0
	s_cbranch_scc0 .LBB16_40
.LBB16_21:                              ; =>This Inner Loop Header: Depth=1
	v_mov_b32_e32 v17, 0
	v_mov_b32_e32 v15, 0
	s_mov_b32 s16, exec_lo
	v_cmpx_gt_u32_e64 s8, v4
	s_cbranch_execz .LBB16_23
; %bb.22:                               ;   in Loop: Header=BB16_21 Depth=1
	global_load_u8 v14, v10, s[6:7]
	s_waitcnt vmcnt(0)
	v_bfe_i32 v15, v14, 0, 8
	s_delay_alu instid0(VALU_DEP_1) | instskip(NEXT) | instid1(VALU_DEP_1)
	v_add_nc_u32_e32 v15, 0x80, v15
	v_cmp_gt_u32_e32 vcc_lo, v15, v6
	v_cndmask_b32_e64 v16, 0, 1, vcc_lo
	v_cmp_lt_u32_e32 vcc_lo, v15, v6
	v_cndmask_b32_e64 v15, 0, 1, vcc_lo
	v_cmp_eq_u16_e32 vcc_lo, v14, v7
	s_delay_alu instid0(VALU_DEP_2) | instskip(NEXT) | instid1(VALU_DEP_1)
	v_cndmask_b32_e64 v15, v15, v16, s1
	v_and_b32_e32 v17, 1, v15
	v_cndmask_b32_e64 v15, 0, 1, vcc_lo
.LBB16_23:                              ;   in Loop: Header=BB16_21 Depth=1
	s_or_b32 exec_lo, exec_lo, s16
	ds_store_b32 v0, v17
	s_waitcnt lgkmcnt(0)
	s_waitcnt_vscnt null, 0x0
	s_barrier
	buffer_gl0_inv
	s_and_saveexec_b32 s16, s0
	s_cbranch_execz .LBB16_25
; %bb.24:                               ;   in Loop: Header=BB16_21 Depth=1
	ds_load_2addr_b32 v[18:19], v8 offset1:1
	ds_load_2addr_b32 v[20:21], v8 offset0:2 offset1:3
	ds_load_2addr_b32 v[22:23], v8 offset0:4 offset1:5
	;; [unrolled: 1-line block ×3, first 2 shown]
	v_cmp_ne_u32_e32 vcc_lo, 0, v11
	; wave barrier
	s_waitcnt lgkmcnt(3)
	v_add_nc_u32_e32 v16, v19, v18
	s_waitcnt lgkmcnt(2)
	s_delay_alu instid0(VALU_DEP_1) | instskip(SKIP_1) | instid1(VALU_DEP_1)
	v_add3_u32 v16, v16, v20, v21
	s_waitcnt lgkmcnt(1)
	v_add3_u32 v16, v16, v22, v23
	s_waitcnt lgkmcnt(0)
	s_delay_alu instid0(VALU_DEP_1) | instskip(NEXT) | instid1(VALU_DEP_1)
	v_add3_u32 v16, v16, v24, v25
	v_mov_b32_dpp v19, v16 row_shr:1 row_mask:0xf bank_mask:0xf
	s_delay_alu instid0(VALU_DEP_1) | instskip(SKIP_1) | instid1(VALU_DEP_2)
	v_cndmask_b32_e32 v19, 0, v19, vcc_lo
	v_cmp_lt_u32_e32 vcc_lo, 1, v11
	v_add_nc_u32_e32 v16, v19, v16
	s_delay_alu instid0(VALU_DEP_1) | instskip(NEXT) | instid1(VALU_DEP_1)
	v_mov_b32_dpp v19, v16 row_shr:2 row_mask:0xf bank_mask:0xf
	v_cndmask_b32_e32 v19, 0, v19, vcc_lo
	v_cmp_lt_u32_e32 vcc_lo, 3, v11
	s_delay_alu instid0(VALU_DEP_2) | instskip(NEXT) | instid1(VALU_DEP_1)
	v_add_nc_u32_e32 v16, v16, v19
	v_mov_b32_dpp v19, v16 row_shr:4 row_mask:0xf bank_mask:0xf
	s_delay_alu instid0(VALU_DEP_1) | instskip(SKIP_1) | instid1(VALU_DEP_2)
	v_cndmask_b32_e32 v19, 0, v19, vcc_lo
	v_cmp_lt_u32_e32 vcc_lo, 7, v11
	v_add_nc_u32_e32 v16, v16, v19
	s_delay_alu instid0(VALU_DEP_1) | instskip(NEXT) | instid1(VALU_DEP_1)
	v_mov_b32_dpp v19, v16 row_shr:8 row_mask:0xf bank_mask:0xf
	v_cndmask_b32_e32 v19, 0, v19, vcc_lo
	v_cmp_gt_i32_e32 vcc_lo, 0, v13
	v_cndmask_b32_e32 v20, v13, v2, vcc_lo
	s_delay_alu instid0(VALU_DEP_1) | instskip(NEXT) | instid1(VALU_DEP_4)
	v_lshlrev_b32_e32 v20, 2, v20
	v_add_nc_u32_e32 v16, v16, v19
	ds_swizzle_b32 v19, v16 offset:swizzle(BROADCAST,32,15)
	s_waitcnt lgkmcnt(0)
	v_and_b32_e32 v19, v12, v19
	s_delay_alu instid0(VALU_DEP_1) | instskip(SKIP_3) | instid1(VALU_DEP_1)
	v_add_nc_u32_e32 v16, v16, v19
	ds_bpermute_b32 v16, v20, v16
	s_waitcnt lgkmcnt(0)
	v_add_nc_u32_e32 v16, v16, v18
	v_cndmask_b32_e64 v16, v16, v17, s3
	ds_store_b32 v8, v16
	; wave barrier
	ds_load_2addr_b32 v[18:19], v8 offset0:1 offset1:2
	ds_load_2addr_b32 v[20:21], v8 offset0:3 offset1:4
	;; [unrolled: 1-line block ×3, first 2 shown]
	ds_load_b32 v24, v8 offset:28
	s_waitcnt lgkmcnt(3)
	v_add_nc_u32_e32 v16, v18, v16
	s_delay_alu instid0(VALU_DEP_1) | instskip(SKIP_1) | instid1(VALU_DEP_1)
	v_add_nc_u32_e32 v18, v19, v16
	s_waitcnt lgkmcnt(2)
	v_add_nc_u32_e32 v19, v20, v18
	s_delay_alu instid0(VALU_DEP_1) | instskip(SKIP_1) | instid1(VALU_DEP_1)
	v_add_nc_u32_e32 v20, v21, v19
	s_waitcnt lgkmcnt(1)
	v_add_nc_u32_e32 v21, v22, v20
	s_delay_alu instid0(VALU_DEP_1) | instskip(SKIP_1) | instid1(VALU_DEP_1)
	v_add_nc_u32_e32 v22, v23, v21
	s_waitcnt lgkmcnt(0)
	v_add_nc_u32_e32 v23, v24, v22
	ds_store_2addr_b32 v8, v16, v18 offset0:1 offset1:2
	ds_store_2addr_b32 v8, v19, v20 offset0:3 offset1:4
	;; [unrolled: 1-line block ×3, first 2 shown]
	ds_store_b32 v8, v23 offset:28
.LBB16_25:                              ;   in Loop: Header=BB16_21 Depth=1
	s_or_b32 exec_lo, exec_lo, s16
	v_mov_b32_e32 v18, 0
	s_waitcnt lgkmcnt(0)
	s_barrier
	buffer_gl0_inv
	s_and_saveexec_b32 s16, s2
	s_cbranch_execz .LBB16_27
; %bb.26:                               ;   in Loop: Header=BB16_21 Depth=1
	ds_load_b32 v18, v9
.LBB16_27:                              ;   in Loop: Header=BB16_21 Depth=1
	s_or_b32 exec_lo, exec_lo, s16
	ds_load_b32 v16, v5 offset:1048
	s_mov_b32 s16, exec_lo
	s_waitcnt lgkmcnt(0)
	s_barrier
	buffer_gl0_inv
	v_cmpx_ne_u32_e32 0, v17
	s_cbranch_execz .LBB16_29
; %bb.28:                               ;   in Loop: Header=BB16_21 Depth=1
	v_dual_mov_b32 v18, v5 :: v_dual_add_nc_u32 v19, v18, v3
	s_delay_alu instid0(VALU_DEP_1) | instskip(SKIP_1) | instid1(VALU_DEP_2)
	v_mul_lo_u32 v17, v19, s4
	v_mul_lo_u32 v19, v19, s11
	v_lshlrev_b64 v[17:18], 3, v[17:18]
	s_delay_alu instid0(VALU_DEP_1) | instskip(NEXT) | instid1(VALU_DEP_2)
	v_add_co_u32 v17, vcc_lo, s14, v17
	v_add_co_ci_u32_e32 v18, vcc_lo, s15, v18, vcc_lo
	global_store_b8 v19, v14, s[12:13]
	global_store_b64 v[17:18], v[4:5], off
.LBB16_29:                              ;   in Loop: Header=BB16_21 Depth=1
	s_or_b32 exec_lo, exec_lo, s16
	v_cmp_le_u32_e32 vcc_lo, s9, v1
	s_cbranch_vccnz .LBB16_20
; %bb.30:                               ;   in Loop: Header=BB16_21 Depth=1
	ds_store_b32 v0, v15
	s_waitcnt lgkmcnt(0)
	s_waitcnt_vscnt null, 0x0
	s_barrier
	buffer_gl0_inv
	s_and_saveexec_b32 s16, s0
	s_cbranch_execz .LBB16_32
; %bb.31:                               ;   in Loop: Header=BB16_21 Depth=1
	ds_load_2addr_b32 v[17:18], v8 offset1:1
	ds_load_2addr_b32 v[19:20], v8 offset0:2 offset1:3
	ds_load_2addr_b32 v[21:22], v8 offset0:4 offset1:5
	;; [unrolled: 1-line block ×3, first 2 shown]
	v_cmp_ne_u32_e32 vcc_lo, 0, v11
	; wave barrier
	s_waitcnt lgkmcnt(3)
	v_add_nc_u32_e32 v18, v18, v17
	s_waitcnt lgkmcnt(2)
	s_delay_alu instid0(VALU_DEP_1) | instskip(SKIP_1) | instid1(VALU_DEP_1)
	v_add3_u32 v18, v18, v19, v20
	s_waitcnt lgkmcnt(1)
	v_add3_u32 v18, v18, v21, v22
	s_waitcnt lgkmcnt(0)
	s_delay_alu instid0(VALU_DEP_1) | instskip(NEXT) | instid1(VALU_DEP_1)
	v_add3_u32 v18, v18, v23, v24
	v_mov_b32_dpp v19, v18 row_shr:1 row_mask:0xf bank_mask:0xf
	s_delay_alu instid0(VALU_DEP_1) | instskip(SKIP_1) | instid1(VALU_DEP_2)
	v_cndmask_b32_e32 v19, 0, v19, vcc_lo
	v_cmp_lt_u32_e32 vcc_lo, 1, v11
	v_add_nc_u32_e32 v18, v19, v18
	s_delay_alu instid0(VALU_DEP_1) | instskip(NEXT) | instid1(VALU_DEP_1)
	v_mov_b32_dpp v19, v18 row_shr:2 row_mask:0xf bank_mask:0xf
	v_cndmask_b32_e32 v19, 0, v19, vcc_lo
	v_cmp_lt_u32_e32 vcc_lo, 3, v11
	s_delay_alu instid0(VALU_DEP_2) | instskip(NEXT) | instid1(VALU_DEP_1)
	v_add_nc_u32_e32 v18, v18, v19
	v_mov_b32_dpp v19, v18 row_shr:4 row_mask:0xf bank_mask:0xf
	s_delay_alu instid0(VALU_DEP_1) | instskip(SKIP_1) | instid1(VALU_DEP_2)
	v_cndmask_b32_e32 v19, 0, v19, vcc_lo
	v_cmp_lt_u32_e32 vcc_lo, 7, v11
	v_add_nc_u32_e32 v18, v18, v19
	s_delay_alu instid0(VALU_DEP_1) | instskip(NEXT) | instid1(VALU_DEP_1)
	v_mov_b32_dpp v19, v18 row_shr:8 row_mask:0xf bank_mask:0xf
	v_cndmask_b32_e32 v19, 0, v19, vcc_lo
	v_cmp_gt_i32_e32 vcc_lo, 0, v13
	v_cndmask_b32_e32 v20, v13, v2, vcc_lo
	s_delay_alu instid0(VALU_DEP_1) | instskip(NEXT) | instid1(VALU_DEP_4)
	v_lshlrev_b32_e32 v20, 2, v20
	v_add_nc_u32_e32 v18, v18, v19
	ds_swizzle_b32 v19, v18 offset:swizzle(BROADCAST,32,15)
	s_waitcnt lgkmcnt(0)
	v_and_b32_e32 v19, v12, v19
	s_delay_alu instid0(VALU_DEP_1) | instskip(SKIP_3) | instid1(VALU_DEP_1)
	v_add_nc_u32_e32 v18, v18, v19
	ds_bpermute_b32 v18, v20, v18
	s_waitcnt lgkmcnt(0)
	v_add_nc_u32_e32 v17, v18, v17
	v_cndmask_b32_e64 v23, v17, v15, s3
	ds_store_b32 v8, v23
	; wave barrier
	ds_load_2addr_b32 v[17:18], v8 offset0:1 offset1:2
	ds_load_2addr_b32 v[19:20], v8 offset0:3 offset1:4
	;; [unrolled: 1-line block ×3, first 2 shown]
	ds_load_b32 v24, v8 offset:28
	s_waitcnt lgkmcnt(3)
	v_add_nc_u32_e32 v17, v17, v23
	s_delay_alu instid0(VALU_DEP_1) | instskip(SKIP_1) | instid1(VALU_DEP_1)
	v_add_nc_u32_e32 v18, v18, v17
	s_waitcnt lgkmcnt(2)
	v_add_nc_u32_e32 v19, v19, v18
	s_delay_alu instid0(VALU_DEP_1) | instskip(SKIP_1) | instid1(VALU_DEP_1)
	v_add_nc_u32_e32 v20, v20, v19
	;; [unrolled: 4-line block ×3, first 2 shown]
	s_waitcnt lgkmcnt(0)
	v_add_nc_u32_e32 v23, v24, v22
	ds_store_2addr_b32 v8, v17, v18 offset0:1 offset1:2
	ds_store_2addr_b32 v8, v19, v20 offset0:3 offset1:4
	;; [unrolled: 1-line block ×3, first 2 shown]
	ds_store_b32 v8, v23 offset:28
.LBB16_32:                              ;   in Loop: Header=BB16_21 Depth=1
	s_or_b32 exec_lo, exec_lo, s16
	v_mov_b32_e32 v18, 0
	s_waitcnt lgkmcnt(0)
	s_barrier
	buffer_gl0_inv
	s_and_saveexec_b32 s16, s2
	s_cbranch_execz .LBB16_34
; %bb.33:                               ;   in Loop: Header=BB16_21 Depth=1
	ds_load_b32 v18, v9
.LBB16_34:                              ;   in Loop: Header=BB16_21 Depth=1
	s_or_b32 exec_lo, exec_lo, s16
	ds_load_b32 v17, v5 offset:1048
	s_mov_b32 s16, exec_lo
	s_waitcnt lgkmcnt(0)
	s_barrier
	buffer_gl0_inv
	v_cmpx_ne_u32_e32 0, v15
	s_cbranch_execz .LBB16_19
; %bb.35:                               ;   in Loop: Header=BB16_21 Depth=1
	v_add_nc_u32_e32 v15, v18, v1
	s_delay_alu instid0(VALU_DEP_1)
	v_cmp_gt_u32_e32 vcc_lo, s9, v15
	s_and_b32 exec_lo, exec_lo, vcc_lo
	s_cbranch_execz .LBB16_19
; %bb.36:                               ;   in Loop: Header=BB16_21 Depth=1
	v_mul_lo_u32 v18, v15, s4
	v_mov_b32_e32 v19, v5
	v_mul_lo_u32 v15, v15, s11
	s_delay_alu instid0(VALU_DEP_2) | instskip(NEXT) | instid1(VALU_DEP_1)
	v_lshlrev_b64 v[18:19], 3, v[18:19]
	v_add_co_u32 v18, vcc_lo, s14, v18
	s_delay_alu instid0(VALU_DEP_2)
	v_add_co_ci_u32_e32 v19, vcc_lo, s15, v19, vcc_lo
	global_store_b8 v15, v14, s[12:13]
	global_store_b64 v[18:19], v[4:5], off
	s_branch .LBB16_19
	.p2align	6
.LBB16_37:                              ;   in Loop: Header=BB16_38 Depth=1
	s_add_u32 s12, s12, 4
	s_addc_u32 s13, s13, 0
	s_waitcnt lgkmcnt(0)
	s_add_i32 s30, s11, s30
	s_add_u32 s14, s14, 4
	s_addc_u32 s15, s15, 0
	s_add_i32 s10, s10, 1
	s_delay_alu instid0(SALU_CYCLE_1)
	s_cmp_lt_u32 s10, s6
	s_cbranch_scc0 .LBB16_16
.LBB16_38:                              ; =>This Inner Loop Header: Depth=1
	s_load_b32 s11, s[12:13], 0x0
	s_cmp_ge_u32 s10, s28
	s_cbranch_scc1 .LBB16_37
; %bb.39:                               ;   in Loop: Header=BB16_38 Depth=1
	s_load_b32 s22, s[14:15], 0x0
	s_waitcnt lgkmcnt(0)
	s_add_i32 s9, s11, s9
	s_add_i32 s8, s22, s8
	s_branch .LBB16_37
.LBB16_40:
	s_nop 0
	s_sendmsg sendmsg(MSG_DEALLOC_VGPRS)
	s_endpgm
	.section	.rodata,"a",@progbits
	.p2align	6, 0x0
	.amdhsa_kernel _ZN2at6native6mbtopk10gatherTopKIajLi1EEEvNS_4cuda6detail10TensorInfoIKT_T0_EES8_S8_bjS8_NS5_IS6_S8_EES8_NS5_IlS8_EES8_jjPS6_PjSD_j
		.amdhsa_group_segment_fixed_size 1068
		.amdhsa_private_segment_fixed_size 0
		.amdhsa_kernarg_size 984
		.amdhsa_user_sgpr_count 13
		.amdhsa_user_sgpr_dispatch_ptr 0
		.amdhsa_user_sgpr_queue_ptr 0
		.amdhsa_user_sgpr_kernarg_segment_ptr 1
		.amdhsa_user_sgpr_dispatch_id 0
		.amdhsa_user_sgpr_private_segment_size 0
		.amdhsa_wavefront_size32 1
		.amdhsa_uses_dynamic_stack 0
		.amdhsa_enable_private_segment 0
		.amdhsa_system_sgpr_workgroup_id_x 1
		.amdhsa_system_sgpr_workgroup_id_y 1
		.amdhsa_system_sgpr_workgroup_id_z 1
		.amdhsa_system_sgpr_workgroup_info 0
		.amdhsa_system_vgpr_workitem_id 0
		.amdhsa_next_free_vgpr 26
		.amdhsa_next_free_sgpr 35
		.amdhsa_reserve_vcc 1
		.amdhsa_float_round_mode_32 0
		.amdhsa_float_round_mode_16_64 0
		.amdhsa_float_denorm_mode_32 3
		.amdhsa_float_denorm_mode_16_64 3
		.amdhsa_dx10_clamp 1
		.amdhsa_ieee_mode 1
		.amdhsa_fp16_overflow 0
		.amdhsa_workgroup_processor_mode 1
		.amdhsa_memory_ordered 1
		.amdhsa_forward_progress 0
		.amdhsa_shared_vgpr_count 0
		.amdhsa_exception_fp_ieee_invalid_op 0
		.amdhsa_exception_fp_denorm_src 0
		.amdhsa_exception_fp_ieee_div_zero 0
		.amdhsa_exception_fp_ieee_overflow 0
		.amdhsa_exception_fp_ieee_underflow 0
		.amdhsa_exception_fp_ieee_inexact 0
		.amdhsa_exception_int_div_zero 0
	.end_amdhsa_kernel
	.section	.text._ZN2at6native6mbtopk10gatherTopKIajLi1EEEvNS_4cuda6detail10TensorInfoIKT_T0_EES8_S8_bjS8_NS5_IS6_S8_EES8_NS5_IlS8_EES8_jjPS6_PjSD_j,"axG",@progbits,_ZN2at6native6mbtopk10gatherTopKIajLi1EEEvNS_4cuda6detail10TensorInfoIKT_T0_EES8_S8_bjS8_NS5_IS6_S8_EES8_NS5_IlS8_EES8_jjPS6_PjSD_j,comdat
.Lfunc_end16:
	.size	_ZN2at6native6mbtopk10gatherTopKIajLi1EEEvNS_4cuda6detail10TensorInfoIKT_T0_EES8_S8_bjS8_NS5_IS6_S8_EES8_NS5_IlS8_EES8_jjPS6_PjSD_j, .Lfunc_end16-_ZN2at6native6mbtopk10gatherTopKIajLi1EEEvNS_4cuda6detail10TensorInfoIKT_T0_EES8_S8_bjS8_NS5_IS6_S8_EES8_NS5_IlS8_EES8_jjPS6_PjSD_j
                                        ; -- End function
	.section	.AMDGPU.csdata,"",@progbits
; Kernel info:
; codeLenInByte = 2396
; NumSgprs: 37
; NumVgprs: 26
; ScratchSize: 0
; MemoryBound: 0
; FloatMode: 240
; IeeeMode: 1
; LDSByteSize: 1068 bytes/workgroup (compile time only)
; SGPRBlocks: 4
; VGPRBlocks: 3
; NumSGPRsForWavesPerEU: 37
; NumVGPRsForWavesPerEU: 26
; Occupancy: 16
; WaveLimiterHint : 1
; COMPUTE_PGM_RSRC2:SCRATCH_EN: 0
; COMPUTE_PGM_RSRC2:USER_SGPR: 13
; COMPUTE_PGM_RSRC2:TRAP_HANDLER: 0
; COMPUTE_PGM_RSRC2:TGID_X_EN: 1
; COMPUTE_PGM_RSRC2:TGID_Y_EN: 1
; COMPUTE_PGM_RSRC2:TGID_Z_EN: 1
; COMPUTE_PGM_RSRC2:TIDIG_COMP_CNT: 0
	.section	.text._ZN2at6native6sbtopk10gatherTopKIajLi1ELb0EEEvNS_4cuda6detail10TensorInfoIKT_T0_EES8_S8_bS8_S8_NS5_IS6_S8_EES8_NS5_IlS8_EES8_PS6_,"axG",@progbits,_ZN2at6native6sbtopk10gatherTopKIajLi1ELb0EEEvNS_4cuda6detail10TensorInfoIKT_T0_EES8_S8_bS8_S8_NS5_IS6_S8_EES8_NS5_IlS8_EES8_PS6_,comdat
	.protected	_ZN2at6native6sbtopk10gatherTopKIajLi1ELb0EEEvNS_4cuda6detail10TensorInfoIKT_T0_EES8_S8_bS8_S8_NS5_IS6_S8_EES8_NS5_IlS8_EES8_PS6_ ; -- Begin function _ZN2at6native6sbtopk10gatherTopKIajLi1ELb0EEEvNS_4cuda6detail10TensorInfoIKT_T0_EES8_S8_bS8_S8_NS5_IS6_S8_EES8_NS5_IlS8_EES8_PS6_
	.globl	_ZN2at6native6sbtopk10gatherTopKIajLi1ELb0EEEvNS_4cuda6detail10TensorInfoIKT_T0_EES8_S8_bS8_S8_NS5_IS6_S8_EES8_NS5_IlS8_EES8_PS6_
	.p2align	8
	.type	_ZN2at6native6sbtopk10gatherTopKIajLi1ELb0EEEvNS_4cuda6detail10TensorInfoIKT_T0_EES8_S8_bS8_S8_NS5_IS6_S8_EES8_NS5_IlS8_EES8_PS6_,@function
_ZN2at6native6sbtopk10gatherTopKIajLi1ELb0EEEvNS_4cuda6detail10TensorInfoIKT_T0_EES8_S8_bS8_S8_NS5_IS6_S8_EES8_NS5_IlS8_EES8_PS6_: ; @_ZN2at6native6sbtopk10gatherTopKIajLi1ELb0EEEvNS_4cuda6detail10TensorInfoIKT_T0_EES8_S8_bS8_S8_NS5_IS6_S8_EES8_NS5_IlS8_EES8_PS6_
; %bb.0:
	s_clause 0x1
	s_load_b64 s[4:5], s[0:1], 0x2b8
	s_load_b128 s[36:39], s[0:1], 0xd8
	s_add_u32 s6, s0, 0x2b8
	s_addc_u32 s7, s1, 0
	s_waitcnt lgkmcnt(0)
	s_mul_i32 s2, s5, s15
	s_delay_alu instid0(SALU_CYCLE_1) | instskip(NEXT) | instid1(SALU_CYCLE_1)
	s_add_i32 s2, s2, s14
	s_mul_i32 s44, s2, s4
	s_delay_alu instid0(SALU_CYCLE_1) | instskip(NEXT) | instid1(SALU_CYCLE_1)
	s_add_i32 s44, s44, s13
	s_cmp_ge_u32 s44, s39
	s_cbranch_scc1 .LBB17_463
; %bb.1:
	s_clause 0x4
	s_load_b64 s[40:41], s[0:1], 0x1d0
	s_load_b64 s[42:43], s[0:1], 0xf0
	s_load_b32 s34, s[0:1], 0xe8
	s_load_b32 s8, s[0:1], 0x6c
	s_load_b64 s[2:3], s[0:1], 0x0
	v_cmp_eq_u32_e64 s5, 0, v0
	s_mov_b32 s47, 0
	s_delay_alu instid0(VALU_DEP_1)
	s_and_saveexec_b32 s9, s5
	s_cbranch_execz .LBB17_3
; %bb.2:
	v_dual_mov_b32 v1, 0 :: v_dual_mov_b32 v2, s36
	s_delay_alu instid0(VALU_DEP_1)
	v_mov_b32_e32 v3, v1
	ds_store_b96 v1, v[1:3] offset:4096
.LBB17_3:
	s_or_b32 exec_lo, exec_lo, s9
	s_waitcnt lgkmcnt(0)
	s_barrier
	buffer_gl0_inv
	s_load_b32 s9, s[6:7], 0xc
	s_mul_i32 s8, s8, s44
	v_mbcnt_lo_u32_b32 v12, -1, 0
	s_add_u32 s30, s2, s8
	s_addc_u32 s31, s3, 0
	s_bitcmp1_b32 s38, 0
	v_cmp_gt_u32_e32 vcc_lo, 32, v0
	s_cselect_b32 s3, -1, 0
	v_cmp_gt_i32_e64 s2, 4, v12
	s_xor_b32 s48, s3, -1
	v_mul_lo_u32 v14, v0, s34
	s_clause 0x1
	s_load_b32 s45, s[0:1], 0x23c
	s_load_b32 s46, s[0:1], 0x15c
	v_dual_mov_b32 v26, s37 :: v_dual_lshlrev_b32 v13, 2, v0
	s_and_b32 s49, vcc_lo, s2
	v_lshl_or_b32 v21, v12, 2, 0xc00
	v_mov_b32_e32 v25, 0
	s_delay_alu instid0(VALU_DEP_3)
	v_or_b32_e32 v3, 3, v13
	v_mad_u64_u32 v[9:10], null, s34, v13, s[34:35]
	s_waitcnt lgkmcnt(0)
	s_and_b32 s33, s9, 0xffff
	s_bfe_u32 s2, s9, 0xb0005
	s_lshl_b32 s50, s33, 2
	s_cmpk_gt_u32 s36, 0xc00
	v_cvt_f32_u32_e32 v1, s50
	s_cselect_b32 s51, -1, 0
	s_cmp_gt_u32 s33, 31
	v_cvt_f32_u32_e32 v2, s33
	s_cselect_b32 s52, -1, 0
	v_rcp_iflag_f32_e32 v1, v1
	s_add_i32 s53, s33, -1
	v_mul_lo_u32 v18, s34, v3
	s_add_i32 s9, s53, s36
	s_cmp_lt_u32 s13, s4
	v_rcp_iflag_f32_e32 v2, v2
	s_cselect_b32 s4, 12, 18
	v_mov_b32_e32 v22, 0
	s_add_u32 s38, s6, s4
	s_addc_u32 s39, s7, 0
	s_waitcnt_depctr 0xfff
	v_mul_f32_e32 v1, 0x4f7ffffe, v1
	s_add_i32 s4, s2, -1
	s_bfe_u32 s54, s33, 0x30005
	s_cmp_gt_u32 s4, 6
	v_lshlrev_b32_e32 v19, 2, v14
	v_cvt_u32_f32_e32 v1, v1
	s_cselect_b32 s55, -1, 0
	s_and_b32 s56, s2, 0x7f8
	s_cmp_lg_u32 s54, 0
	v_mov_b32_e32 v24, 0
	v_readfirstlane_b32 s2, v1
	s_cselect_b32 s57, -1, 0
	s_sub_i32 s4, 0, s50
	v_mul_f32_e32 v1, 0x4f7ffffe, v2
	v_lshrrev_b32_e32 v2, 3, v0
	s_mul_i32 s4, s4, s2
	v_mov_b32_e32 v15, 0
	s_mul_hi_u32 s6, s2, s4
	v_cvt_u32_f32_e32 v1, v1
	v_and_b32_e32 v16, 0x7c, v2
	s_add_i32 s58, s2, s6
	v_cmp_gt_u32_e64 s4, s36, v0
	s_mul_hi_u32 s2, s36, s58
	v_cmp_gt_u32_e64 s6, 2, v0
	s_mul_i32 s2, s2, s50
	v_mov_b32_e32 v23, 0
	s_sub_i32 s7, s36, s2
	v_cmp_eq_u32_e64 s2, 0, v12
	s_sub_i32 s8, s7, s50
	s_cmp_ge_u32 s7, s50
	s_mul_i32 s35, s34, s33
	s_cselect_b32 s7, s8, s7
	v_readfirstlane_b32 s8, v1
	s_sub_i32 s10, s7, s50
	s_cmp_ge_u32 s7, s50
	v_lshlrev_b64 v[1:2], v12, -1
	s_cselect_b32 s10, s10, s7
	s_sub_i32 s7, 0, s33
	s_sub_i32 s60, s36, s10
	s_mul_i32 s7, s7, s8
	v_add_nc_u32_e32 v17, s60, v0
	s_mul_hi_u32 s7, s8, s7
	v_not_b32_e32 v11, v1
	s_add_i32 s59, s8, s7
	v_add_co_u32 v5, s7, s30, v14
	s_delay_alu instid0(VALU_DEP_1)
	v_add_co_ci_u32_e64 v6, null, s31, 0, s7
	s_mul_hi_u32 s7, s9, s59
	v_add3_u32 v1, s33, s36, v0
	s_mul_i32 s7, s7, s33
	v_mul_lo_u32 v4, v17, s34
	s_sub_i32 s7, s9, s7
	v_or_b32_e32 v2, 2, v13
	s_sub_i32 s8, s7, s33
	s_cmp_ge_u32 s7, s33
	v_subrev_nc_u32_e32 v1, s10, v1
	s_cselect_b32 s8, s8, s7
	v_mul_lo_u32 v10, s34, v2
	s_sub_i32 s11, s8, s33
	s_cmp_ge_u32 s8, s33
	v_mul_lo_u32 v20, s34, v1
	s_cselect_b32 s11, s11, s8
	v_cmp_gt_u32_e64 s7, s60, v13
	s_sub_i32 s61, s9, s11
	v_add_co_u32 v7, s9, s30, v4
	v_cmp_gt_u32_e64 s8, s36, v17
	v_add_co_ci_u32_e64 v8, null, s31, 0, s9
	v_cmp_gt_u32_e64 s9, s61, v0
	s_mov_b32 s68, 6
	s_lshl_b32 s63, s35, 2
	s_mov_b32 s64, 0
                                        ; implicit-def: $sgpr62
                                        ; implicit-def: $sgpr67
                                        ; implicit-def: $sgpr66
                                        ; implicit-def: $sgpr69
                                        ; implicit-def: $sgpr65
                                        ; implicit-def: $sgpr70
                                        ; implicit-def: $sgpr72
                                        ; implicit-def: $sgpr71
                                        ; implicit-def: $sgpr73
                                        ; implicit-def: $sgpr74
	s_branch .LBB17_6
.LBB17_4:                               ;   in Loop: Header=BB17_6 Depth=1
	s_or_b32 exec_lo, exec_lo, s13
	v_dual_mov_b32 v23, v2 :: v_dual_mov_b32 v24, v1
	v_dual_mov_b32 v26, v4 :: v_dual_mov_b32 v25, v3
	s_and_not1_b32 s13, s74, exec_lo
	s_and_b32 s12, s12, exec_lo
	s_and_not1_b32 s73, s73, exec_lo
	s_or_b32 s74, s13, s12
	s_and_not1_b32 s71, s71, exec_lo
	s_and_not1_b32 s72, s72, exec_lo
	;; [unrolled: 1-line block ×3, first 2 shown]
	s_or_not1_b32 s12, s11, exec_lo
.LBB17_5:                               ;   in Loop: Header=BB17_6 Depth=1
	s_or_b32 exec_lo, exec_lo, s10
	s_delay_alu instid0(SALU_CYCLE_1) | instskip(NEXT) | instid1(SALU_CYCLE_1)
	s_and_b32 s10, exec_lo, s12
	s_or_b32 s47, s10, s47
	s_and_not1_b32 s10, s65, exec_lo
	s_and_b32 s11, s74, exec_lo
	s_and_not1_b32 s12, s69, exec_lo
	s_or_b32 s65, s10, s11
	s_and_b32 s10, s73, exec_lo
	s_and_not1_b32 s11, s66, exec_lo
	s_and_b32 s13, s71, exec_lo
	s_or_b32 s69, s12, s10
	s_or_b32 s66, s11, s13
	s_and_not1_b32 s10, s67, exec_lo
	s_and_b32 s11, s72, exec_lo
	s_and_not1_b32 s12, s62, exec_lo
	s_and_b32 s13, s70, exec_lo
	s_or_b32 s67, s10, s11
	s_or_b32 s62, s12, s13
	s_and_not1_b32 exec_lo, exec_lo, s47
	s_cbranch_execz .LBB17_403
.LBB17_6:                               ; =>This Loop Header: Depth=1
                                        ;     Child Loop BB17_11 Depth 2
                                        ;     Child Loop BB17_26 Depth 2
	;; [unrolled: 1-line block ×24, first 2 shown]
	ds_load_b64 v[1:2], v22 offset:4096
	s_waitcnt lgkmcnt(0)
	v_readfirstlane_b32 s75, v1
	s_delay_alu instid0(VALU_DEP_1)
	s_cmp_lg_u32 s75, 0
	s_cbranch_scc1 .LBB17_33
; %bb.7:                                ;   in Loop: Header=BB17_6 Depth=1
	s_and_b32 vcc_lo, exec_lo, s51
	s_cbranch_vccz .LBB17_19
; %bb.8:                                ;   in Loop: Header=BB17_6 Depth=1
	v_cmp_gt_u32_e32 vcc_lo, 0xc01, v2
	s_mov_b32 s75, 0
	s_mov_b32 s10, 0
	s_cbranch_vccz .LBB17_20
; %bb.9:                                ;   in Loop: Header=BB17_6 Depth=1
	global_load_u16 v1, v22, s[38:39]
	global_load_u8 v4, v[5:6], off
	v_mov_b32_e32 v27, v0
	s_mov_b32 s12, 0
	s_waitcnt vmcnt(1)
	v_add_nc_u32_e32 v2, v0, v1
	v_mul_lo_u32 v3, s34, v1
	s_delay_alu instid0(VALU_DEP_2)
	v_mul_lo_u32 v2, s34, v2
	s_branch .LBB17_11
.LBB17_10:                              ;   in Loop: Header=BB17_11 Depth=2
	s_or_b32 exec_lo, exec_lo, s11
	v_add_nc_u32_e32 v2, v2, v3
	v_mov_b32_e32 v4, v28
	s_and_not1_b32 exec_lo, exec_lo, s12
	s_cbranch_execz .LBB17_84
.LBB17_11:                              ;   Parent Loop BB17_6 Depth=1
                                        ; =>  This Inner Loop Header: Depth=2
	v_dual_mov_b32 v28, 0 :: v_dual_add_nc_u32 v27, v27, v1
	s_waitcnt lgkmcnt(0)
	v_mov_b32_e32 v29, 0
	s_mov_b32 s11, exec_lo
	s_delay_alu instid0(VALU_DEP_2)
	v_cmp_le_u32_e32 vcc_lo, s36, v27
	v_cmpx_gt_u32_e64 s36, v27
	s_cbranch_execz .LBB17_13
; %bb.12:                               ;   in Loop: Header=BB17_11 Depth=2
	global_load_u8 v28, v2, s[30:31]
.LBB17_13:                              ;   in Loop: Header=BB17_11 Depth=2
	s_or_b32 exec_lo, exec_lo, s11
	s_waitcnt vmcnt(0)
	v_bfe_i32 v30, v4, 0, 8
	s_delay_alu instid0(VALU_DEP_1) | instskip(NEXT) | instid1(VALU_DEP_1)
	v_add_nc_u32_e32 v30, 0x80, v30
	v_and_b32_e32 v30, v30, v23
	s_delay_alu instid0(VALU_DEP_1) | instskip(NEXT) | instid1(VALU_DEP_1)
	v_cmp_eq_u32_e64 s10, v30, v24
	s_cmp_lg_u32 s10, 0
	s_cselect_b32 s11, -1, 0
	s_delay_alu instid0(SALU_CYCLE_1) | instskip(NEXT) | instid1(SALU_CYCLE_1)
	s_and_b32 s11, s2, s11
	s_and_saveexec_b32 s13, s11
	s_cbranch_execz .LBB17_17
; %bb.14:                               ;   in Loop: Header=BB17_11 Depth=2
	s_mov_b32 s16, exec_lo
	s_bcnt1_i32_b32 s14, s10
	v_mbcnt_lo_u32_b32 v29, s16, 0
	s_mov_b32 s15, exec_lo
                                        ; implicit-def: $vgpr30
	s_delay_alu instid0(VALU_DEP_1)
	v_cmpx_eq_u32_e32 0, v29
	s_cbranch_execz .LBB17_16
; %bb.15:                               ;   in Loop: Header=BB17_11 Depth=2
	s_bcnt1_i32_b32 s11, s16
	s_delay_alu instid0(SALU_CYCLE_1) | instskip(NEXT) | instid1(SALU_CYCLE_1)
	s_mul_i32 s11, s14, s11
	v_mov_b32_e32 v30, s11
	ds_add_rtn_u32 v30, v22, v30 offset:4104
.LBB17_16:                              ;   in Loop: Header=BB17_11 Depth=2
	s_or_b32 exec_lo, exec_lo, s15
	s_waitcnt lgkmcnt(0)
	v_readfirstlane_b32 s11, v30
	s_delay_alu instid0(VALU_DEP_1)
	v_mad_u32_u24 v29, s14, v29, s11
.LBB17_17:                              ;   in Loop: Header=BB17_11 Depth=2
	s_or_b32 exec_lo, exec_lo, s13
	ds_bpermute_b32 v29, v22, v29
	s_and_b32 s11, exec_lo, vcc_lo
	s_delay_alu instid0(SALU_CYCLE_1)
	s_or_b32 s12, s11, s12
	s_and_saveexec_b32 s11, s10
	s_cbranch_execz .LBB17_10
; %bb.18:                               ;   in Loop: Header=BB17_11 Depth=2
	v_and_b32_e32 v30, s10, v11
	s_waitcnt lgkmcnt(0)
	s_delay_alu instid0(VALU_DEP_1)
	v_bcnt_u32_b32 v29, v30, v29
	ds_store_b8 v29, v4
	s_branch .LBB17_10
.LBB17_19:                              ;   in Loop: Header=BB17_6 Depth=1
	s_mov_b32 s75, -1
	s_mov_b32 s10, 0
.LBB17_20:                              ;   in Loop: Header=BB17_6 Depth=1
	s_and_b32 vcc_lo, exec_lo, s75
	s_cbranch_vccz .LBB17_31
.LBB17_21:                              ;   in Loop: Header=BB17_6 Depth=1
	v_mov_b32_e32 v1, 0
	s_and_saveexec_b32 s10, s4
	s_cbranch_execz .LBB17_23
; %bb.22:                               ;   in Loop: Header=BB17_6 Depth=1
	global_load_u8 v1, v[5:6], off
.LBB17_23:                              ;   in Loop: Header=BB17_6 Depth=1
	s_or_b32 exec_lo, exec_lo, s10
	s_and_saveexec_b32 s11, s4
	s_cbranch_execz .LBB17_28
; %bb.24:                               ;   in Loop: Header=BB17_6 Depth=1
	global_load_u16 v2, v22, s[38:39]
	v_mov_b32_e32 v27, v0
	s_mov_b32 s12, 0
	s_waitcnt vmcnt(0)
	v_add_nc_u32_e32 v3, v0, v2
	v_mul_lo_u32 v4, s34, v2
	s_delay_alu instid0(VALU_DEP_2)
	v_mul_lo_u32 v3, s34, v3
	s_branch .LBB17_26
	.p2align	6
.LBB17_25:                              ;   in Loop: Header=BB17_26 Depth=2
	s_or_b32 exec_lo, exec_lo, s13
	ds_store_b8 v27, v1
	v_add_nc_u32_e32 v3, v3, v4
	s_waitcnt vmcnt(0)
	v_mov_b32_e32 v1, v29
	v_mov_b32_e32 v27, v28
	s_and_b32 s10, exec_lo, vcc_lo
	s_delay_alu instid0(SALU_CYCLE_1) | instskip(NEXT) | instid1(SALU_CYCLE_1)
	s_or_b32 s12, s10, s12
	s_and_not1_b32 exec_lo, exec_lo, s12
	s_cbranch_execz .LBB17_28
.LBB17_26:                              ;   Parent Loop BB17_6 Depth=1
                                        ; =>  This Inner Loop Header: Depth=2
	v_dual_mov_b32 v29, 0 :: v_dual_add_nc_u32 v28, v27, v2
	s_mov_b32 s13, exec_lo
	s_delay_alu instid0(VALU_DEP_1)
	v_cmp_le_u32_e32 vcc_lo, s36, v28
	v_cmpx_gt_u32_e64 s36, v28
	s_cbranch_execz .LBB17_25
; %bb.27:                               ;   in Loop: Header=BB17_26 Depth=2
	global_load_u8 v29, v3, s[30:31]
	s_branch .LBB17_25
.LBB17_28:                              ;   in Loop: Header=BB17_6 Depth=1
	s_or_b32 exec_lo, exec_lo, s11
	s_waitcnt vmcnt(0) lgkmcnt(0)
	s_barrier
	buffer_gl0_inv
	s_and_saveexec_b32 s10, s5
	s_cbranch_execz .LBB17_30
; %bb.29:                               ;   in Loop: Header=BB17_6 Depth=1
	v_mov_b32_e32 v1, s36
	ds_store_b32 v22, v1 offset:4096
.LBB17_30:                              ;   in Loop: Header=BB17_6 Depth=1
	s_or_b32 exec_lo, exec_lo, s10
	s_mov_b32 s10, -1
	s_waitcnt lgkmcnt(0)
	s_barrier
                                        ; implicit-def: $sgpr75
.LBB17_31:                              ;   in Loop: Header=BB17_6 Depth=1
	s_and_b32 vcc_lo, exec_lo, s10
	s_cbranch_vccz .LBB17_33
; %bb.32:                               ;   in Loop: Header=BB17_6 Depth=1
	buffer_gl0_inv
	ds_load_b32 v1, v22 offset:4096
	s_waitcnt lgkmcnt(0)
	v_readfirstlane_b32 s75, v1
.LBB17_33:                              ;   in Loop: Header=BB17_6 Depth=1
	s_delay_alu instid0(VALU_DEP_1)
	s_cmp_lt_i32 s75, 1
	s_cbranch_scc0 .LBB17_37
; %bb.34:                               ;   in Loop: Header=BB17_6 Depth=1
	v_dual_mov_b32 v1, 0 :: v_dual_mov_b32 v2, 0
	v_dual_mov_b32 v3, 0 :: v_dual_mov_b32 v4, 0
	s_mov_b32 s77, 0
	s_and_saveexec_b32 s76, s7
	s_cbranch_execnz .LBB17_38
; %bb.35:                               ;   in Loop: Header=BB17_6 Depth=1
	s_or_b32 exec_lo, exec_lo, s76
	v_mov_b32_e32 v30, 0
	s_and_saveexec_b32 s10, s8
	s_cbranch_execnz .LBB17_41
.LBB17_36:                              ;   in Loop: Header=BB17_6 Depth=1
	s_or_b32 exec_lo, exec_lo, s10
	s_and_saveexec_b32 s14, s8
	s_cbranch_execnz .LBB17_42
	s_branch .LBB17_47
.LBB17_37:                              ;   in Loop: Header=BB17_6 Depth=1
                                        ; implicit-def: $vgpr4
	s_cbranch_execnz .LBB17_48
	s_branch .LBB17_57
.LBB17_38:                              ;   in Loop: Header=BB17_6 Depth=1
	v_mov_b32_e32 v27, v13
	s_and_b32 s78, s68, 0xfe
	s_mov_b32 s79, 0
	s_mov_b32 s80, 0
	s_mov_b32 s81, 0
	s_mov_b32 s82, 0
	s_mov_b32 s83, 0
.LBB17_39:                              ;   Parent Loop BB17_6 Depth=1
                                        ; =>  This Inner Loop Header: Depth=2
	v_add_nc_u32_e32 v1, s79, v19
	v_add_nc_u32_e32 v2, s79, v9
	;; [unrolled: 1-line block ×5, first 2 shown]
	s_clause 0x3
	global_load_i8 v1, v1, s[30:31]
	global_load_i8 v2, v2, s[30:31]
	;; [unrolled: 1-line block ×4, first 2 shown]
	s_add_i32 s79, s79, s63
	v_cmp_le_u32_e32 vcc_lo, s60, v27
	s_waitcnt vmcnt(3)
	v_add_nc_u32_e32 v1, 0x80, v1
	s_waitcnt vmcnt(2)
	v_add_nc_u32_e32 v2, 0x80, v2
	;; [unrolled: 2-line block ×4, first 2 shown]
	v_and_b32_e32 v28, v1, v23
	v_bfe_u32 v1, v1, s78, 2
	v_and_b32_e32 v29, v2, v23
	v_bfe_u32 v2, v2, s78, 2
	;; [unrolled: 2-line block ×3, first 2 shown]
	v_cmp_eq_u32_e64 s10, v28, v24
	v_cmp_eq_u32_e64 s14, 0, v1
	v_and_b32_e32 v31, v4, v23
	v_bfe_u32 v4, v4, s78, 2
	v_cmp_eq_u32_e64 s11, v29, v24
	v_cmp_eq_u32_e64 s15, 0, v2
	;; [unrolled: 1-line block ×4, first 2 shown]
	s_and_b32 s14, s10, s14
	v_cmp_eq_u32_e64 s13, v31, v24
	v_cmp_eq_u32_e64 s17, 0, v4
	;; [unrolled: 1-line block ×5, first 2 shown]
	v_cndmask_b32_e64 v1, 0, 1, s14
	s_and_b32 s14, s11, s15
	v_cmp_eq_u32_e64 s19, 1, v2
	v_cmp_eq_u32_e64 s23, 2, v2
	v_cmp_eq_u32_e64 s27, 3, v2
	v_cndmask_b32_e64 v2, 0, 1, s14
	s_and_b32 s14, s12, s16
	v_cmp_eq_u32_e64 s20, 1, v3
	v_cmp_eq_u32_e64 s24, 2, v3
	v_cmp_eq_u32_e64 s28, 3, v3
	;; [unrolled: 5-line block ×3, first 2 shown]
	v_cndmask_b32_e64 v4, 0, 1, s14
	s_and_b32 s14, s10, s18
	s_delay_alu instid0(SALU_CYCLE_1) | instskip(SKIP_1) | instid1(SALU_CYCLE_1)
	v_cndmask_b32_e64 v28, 0, 1, s14
	s_and_b32 s14, s11, s19
	v_cndmask_b32_e64 v29, 0, 1, s14
	s_and_b32 s14, s12, s20
	s_delay_alu instid0(SALU_CYCLE_1) | instskip(SKIP_1) | instid1(VALU_DEP_2)
	v_cndmask_b32_e64 v30, 0, 1, s14
	s_and_b32 s14, s13, s21
	v_cmp_ne_u32_e64 s15, 0, v29
	v_cndmask_b32_e64 v31, 0, 1, s14
	s_and_b32 s14, s10, s22
	s_and_b32 s10, s10, s26
	v_cndmask_b32_e64 v32, 0, 1, s14
	s_and_b32 s14, s11, s23
	v_cndmask_b32_e64 v36, 0, 1, s10
	;; [unrolled: 2-line block ×7, first 2 shown]
	v_cndmask_b32_e64 v39, 0, 1, s10
	v_cmp_ne_u32_e64 s10, 0, v1
	v_cmp_ne_u32_e64 s14, 0, v28
	;; [unrolled: 1-line block ×11, first 2 shown]
	s_bcnt1_i32_b32 s10, s10
	s_bcnt1_i32_b32 s14, s14
	;; [unrolled: 1-line block ×4, first 2 shown]
	v_cmp_ne_u32_e64 s13, 0, v4
	v_cmp_ne_u32_e64 s17, 0, v31
	;; [unrolled: 1-line block ×4, first 2 shown]
	s_bcnt1_i32_b32 s11, s11
	s_bcnt1_i32_b32 s15, s15
	s_bcnt1_i32_b32 s19, s19
	s_bcnt1_i32_b32 s23, s23
	s_add_i32 s10, s10, s83
	s_add_i32 s14, s14, s82
	s_add_i32 s18, s18, s81
	s_add_i32 s22, s22, s80
	s_bcnt1_i32_b32 s12, s12
	s_bcnt1_i32_b32 s16, s16
	s_bcnt1_i32_b32 s20, s20
	s_bcnt1_i32_b32 s24, s24
	s_add_i32 s10, s10, s11
	s_add_i32 s11, s14, s15
	s_add_i32 s14, s18, s19
	s_add_i32 s15, s22, s23
	s_bcnt1_i32_b32 s13, s13
	s_bcnt1_i32_b32 s17, s17
	s_bcnt1_i32_b32 s21, s21
	s_bcnt1_i32_b32 s25, s25
	s_add_i32 s10, s10, s12
	s_add_i32 s11, s11, s16
	s_add_i32 s12, s14, s20
	s_add_i32 s14, s15, s24
	s_add_i32 s83, s10, s13
	s_add_i32 s82, s11, s17
	;; [unrolled: 1-line block ×4, first 2 shown]
	v_mov_b32_e32 v3, s81
	v_dual_mov_b32 v1, s83 :: v_dual_mov_b32 v2, s82
	v_mov_b32_e32 v4, s80
	s_or_b32 s77, vcc_lo, s77
	s_delay_alu instid0(SALU_CYCLE_1)
	s_and_not1_b32 exec_lo, exec_lo, s77
	s_cbranch_execnz .LBB17_39
; %bb.40:                               ;   in Loop: Header=BB17_6 Depth=1
	s_or_b32 exec_lo, exec_lo, s77
	s_delay_alu instid0(SALU_CYCLE_1)
	s_or_b32 exec_lo, exec_lo, s76
	v_mov_b32_e32 v30, 0
	s_and_saveexec_b32 s10, s8
	s_cbranch_execz .LBB17_36
.LBB17_41:                              ;   in Loop: Header=BB17_6 Depth=1
	global_load_u8 v30, v[7:8], off
	s_or_b32 exec_lo, exec_lo, s10
	s_and_saveexec_b32 s14, s8
	s_cbranch_execz .LBB17_47
.LBB17_42:                              ;   in Loop: Header=BB17_6 Depth=1
	v_dual_mov_b32 v27, v20 :: v_dual_mov_b32 v28, v17
	s_and_b32 s16, s68, 0xfe
	s_mov_b32 s15, 0
	s_branch .LBB17_44
.LBB17_43:                              ;   in Loop: Header=BB17_44 Depth=2
	s_or_b32 exec_lo, exec_lo, s11
	s_waitcnt vmcnt(0)
	v_bfe_i32 v30, v30, 0, 8
	s_and_b32 s11, exec_lo, vcc_lo
	v_add_nc_u32_e32 v27, s35, v27
	s_or_b32 s15, s11, s15
	s_delay_alu instid0(VALU_DEP_2) | instskip(NEXT) | instid1(VALU_DEP_1)
	v_add_nc_u32_e32 v30, 0x80, v30
	v_and_b32_e32 v31, v30, v23
	v_bfe_u32 v30, v30, s16, 2
	s_delay_alu instid0(VALU_DEP_2) | instskip(NEXT) | instid1(VALU_DEP_2)
	v_cmp_eq_u32_e32 vcc_lo, v31, v24
	v_cmp_eq_u32_e64 s10, 0, v30
	v_cmp_eq_u32_e64 s11, 1, v30
	;; [unrolled: 1-line block ×4, first 2 shown]
	s_delay_alu instid0(VALU_DEP_4) | instskip(NEXT) | instid1(SALU_CYCLE_1)
	s_and_b32 s10, vcc_lo, s10
	v_cndmask_b32_e64 v30, 0, 1, s10
	s_and_b32 s10, vcc_lo, s11
	s_delay_alu instid0(SALU_CYCLE_1) | instskip(SKIP_1) | instid1(SALU_CYCLE_1)
	v_cndmask_b32_e64 v31, 0, 1, s10
	s_and_b32 s10, vcc_lo, s12
	v_cndmask_b32_e64 v32, 0, 1, s10
	s_and_b32 s10, vcc_lo, s13
	v_cmp_ne_u32_e32 vcc_lo, 0, v30
	v_mov_b32_e32 v30, v29
	v_cndmask_b32_e64 v33, 0, 1, s10
	v_cmp_ne_u32_e64 s10, 0, v31
	v_cmp_ne_u32_e64 s11, 0, v32
	s_bcnt1_i32_b32 s13, vcc_lo
	s_delay_alu instid0(VALU_DEP_3) | instskip(NEXT) | instid1(VALU_DEP_3)
	v_cmp_ne_u32_e64 s12, 0, v33
	s_bcnt1_i32_b32 s10, s10
	s_delay_alu instid0(VALU_DEP_2)
	s_bcnt1_i32_b32 s11, s11
	v_add_nc_u32_e32 v1, s13, v1
	v_add_nc_u32_e32 v2, s10, v2
	s_bcnt1_i32_b32 s12, s12
	v_add_nc_u32_e32 v3, s11, v3
	v_add_nc_u32_e32 v4, s12, v4
	s_and_not1_b32 exec_lo, exec_lo, s15
	s_cbranch_execz .LBB17_46
.LBB17_44:                              ;   Parent Loop BB17_6 Depth=1
                                        ; =>  This Inner Loop Header: Depth=2
	s_delay_alu instid0(VALU_DEP_1) | instskip(SKIP_1) | instid1(VALU_DEP_1)
	v_dual_mov_b32 v29, 0 :: v_dual_add_nc_u32 v28, s33, v28
	s_mov_b32 s11, exec_lo
	v_cmp_le_u32_e32 vcc_lo, s36, v28
	v_cmpx_gt_u32_e64 s36, v28
	s_cbranch_execz .LBB17_43
; %bb.45:                               ;   in Loop: Header=BB17_44 Depth=2
	global_load_u8 v29, v27, s[30:31]
	s_branch .LBB17_43
.LBB17_46:                              ;   in Loop: Header=BB17_6 Depth=1
	s_or_b32 exec_lo, exec_lo, s15
.LBB17_47:                              ;   in Loop: Header=BB17_6 Depth=1
	s_delay_alu instid0(SALU_CYCLE_1)
	s_or_b32 exec_lo, exec_lo, s14
	s_branch .LBB17_57
.LBB17_48:                              ;   in Loop: Header=BB17_6 Depth=1
	s_mul_hi_u32 s10, s75, s58
	v_dual_mov_b32 v1, 0 :: v_dual_mov_b32 v2, 0
	s_mul_i32 s10, s10, s50
	v_dual_mov_b32 v3, 0 :: v_dual_mov_b32 v4, 0
	s_sub_i32 s10, s75, s10
	s_mov_b32 s78, 0
	s_sub_i32 s11, s10, s50
	s_cmp_ge_u32 s10, s50
	s_mov_b32 s77, exec_lo
	s_cselect_b32 s10, s11, s10
	s_delay_alu instid0(SALU_CYCLE_1) | instskip(SKIP_2) | instid1(SALU_CYCLE_1)
	s_sub_i32 s11, s10, s50
	s_cmp_ge_u32 s10, s50
	s_cselect_b32 s10, s11, s10
	s_sub_i32 s76, s75, s10
	s_delay_alu instid0(SALU_CYCLE_1)
	v_cmpx_gt_u32_e64 s76, v13
	s_cbranch_execz .LBB17_52
; %bb.49:                               ;   in Loop: Header=BB17_6 Depth=1
	v_mov_b32_e32 v27, v13
	s_and_b32 s79, s68, 0xfe
	s_mov_b32 s80, 0
	s_mov_b32 s81, 0
	s_mov_b32 s82, 0
	s_mov_b32 s83, 0
.LBB17_50:                              ;   Parent Loop BB17_6 Depth=1
                                        ; =>  This Inner Loop Header: Depth=2
	ds_load_b32 v1, v27
	s_waitcnt lgkmcnt(0)
	v_bfe_i32 v2, v1, 0, 8
	v_bfe_i32 v3, v1, 8, 8
	;; [unrolled: 1-line block ×3, first 2 shown]
	v_ashrrev_i32_e32 v1, 24, v1
	s_delay_alu instid0(VALU_DEP_4) | instskip(NEXT) | instid1(VALU_DEP_4)
	v_add_nc_u32_e32 v2, 0x80, v2
	v_add_nc_u32_e32 v3, 0x80, v3
	s_delay_alu instid0(VALU_DEP_4) | instskip(NEXT) | instid1(VALU_DEP_4)
	v_add_nc_u32_e32 v4, 0x80, v4
	v_add_nc_u32_e32 v1, 0x80, v1
	s_delay_alu instid0(VALU_DEP_4)
	v_and_b32_e32 v28, v2, v23
	v_bfe_u32 v2, v2, s79, 2
	v_and_b32_e32 v29, v3, v23
	v_bfe_u32 v3, v3, s79, 2
	s_waitcnt vmcnt(0)
	v_and_b32_e32 v30, v4, v23
	v_bfe_u32 v4, v4, s79, 2
	v_cmp_eq_u32_e64 s10, v28, v24
	v_cmp_eq_u32_e64 s14, 0, v2
	v_and_b32_e32 v31, v1, v23
	v_bfe_u32 v1, v1, s79, 2
	v_cmp_eq_u32_e64 s11, v29, v24
	v_cmp_eq_u32_e64 s15, 0, v3
	;; [unrolled: 1-line block ×4, first 2 shown]
	s_and_b32 s14, s10, s14
	v_cmp_eq_u32_e64 s13, v31, v24
	v_cmp_eq_u32_e64 s17, 0, v1
	;; [unrolled: 1-line block ×5, first 2 shown]
	v_cndmask_b32_e64 v1, 0, 1, s14
	s_and_b32 s14, s11, s15
	v_cmp_eq_u32_e64 s18, 1, v2
	v_cmp_eq_u32_e64 s22, 2, v2
	v_cmp_eq_u32_e64 s26, 3, v2
	v_cndmask_b32_e64 v2, 0, 1, s14
	s_and_b32 s14, s12, s16
	v_cmp_eq_u32_e64 s19, 1, v3
	v_cmp_eq_u32_e64 s23, 2, v3
	v_cmp_eq_u32_e64 s27, 3, v3
	;; [unrolled: 5-line block ×3, first 2 shown]
	v_cndmask_b32_e64 v4, 0, 1, s14
	s_and_b32 s14, s10, s18
	s_delay_alu instid0(SALU_CYCLE_1) | instskip(SKIP_1) | instid1(SALU_CYCLE_1)
	v_cndmask_b32_e64 v28, 0, 1, s14
	s_and_b32 s14, s11, s19
	v_cndmask_b32_e64 v29, 0, 1, s14
	s_and_b32 s14, s12, s20
	s_delay_alu instid0(SALU_CYCLE_1) | instskip(SKIP_1) | instid1(VALU_DEP_2)
	v_cndmask_b32_e64 v30, 0, 1, s14
	s_and_b32 s14, s13, s21
	v_cmp_ne_u32_e64 s15, 0, v29
	v_cndmask_b32_e64 v31, 0, 1, s14
	s_and_b32 s14, s10, s22
	s_and_b32 s10, s10, s26
	v_cndmask_b32_e64 v32, 0, 1, s14
	s_and_b32 s14, s11, s23
	v_cndmask_b32_e64 v36, 0, 1, s10
	s_and_b32 s10, s11, s27
	v_cndmask_b32_e64 v33, 0, 1, s14
	s_and_b32 s14, s12, s24
	v_cndmask_b32_e64 v37, 0, 1, s10
	s_and_b32 s10, s12, s28
	v_cndmask_b32_e64 v34, 0, 1, s14
	s_and_b32 s14, s13, s25
	v_cndmask_b32_e64 v38, 0, 1, s10
	s_and_b32 s10, s13, s29
	v_cndmask_b32_e64 v35, 0, 1, s14
	v_cndmask_b32_e64 v39, 0, 1, s10
	v_cmp_ne_u32_e64 s10, 0, v1
	v_cmp_ne_u32_e64 s14, 0, v28
	;; [unrolled: 1-line block ×6, first 2 shown]
	s_bcnt1_i32_b32 s10, s10
	s_bcnt1_i32_b32 s14, s14
	v_cmp_ne_u32_e64 s17, 0, v31
	v_cmp_ne_u32_e64 s19, 0, v33
	;; [unrolled: 1-line block ×3, first 2 shown]
	s_bcnt1_i32_b32 s11, s11
	s_bcnt1_i32_b32 s15, s15
	s_add_i32 s10, s10, s83
	s_add_i32 s14, s14, s82
	v_cmp_ne_u32_e64 s12, 0, v3
	v_cmp_ne_u32_e64 s20, 0, v34
	;; [unrolled: 1-line block ×3, first 2 shown]
	s_bcnt1_i32_b32 s16, s16
	s_add_i32 s10, s10, s11
	s_add_i32 s11, s14, s15
	s_bcnt1_i32_b32 s18, s18
	s_bcnt1_i32_b32 s22, s22
	v_cmp_ne_u32_e64 s13, 0, v4
	v_cmp_ne_u32_e64 s21, 0, v35
	;; [unrolled: 1-line block ×3, first 2 shown]
	s_bcnt1_i32_b32 s17, s17
	s_add_i32 s11, s11, s16
	s_bcnt1_i32_b32 s19, s19
	s_bcnt1_i32_b32 s23, s23
	s_add_i32 s18, s18, s81
	s_add_i32 s22, s22, s80
	;; [unrolled: 1-line block ×3, first 2 shown]
	s_delay_alu instid0(SALU_CYCLE_1)
	v_dual_mov_b32 v2, s82 :: v_dual_add_nc_u32 v27, s50, v27
	s_bcnt1_i32_b32 s12, s12
	s_bcnt1_i32_b32 s20, s20
	;; [unrolled: 1-line block ×3, first 2 shown]
	s_add_i32 s14, s18, s19
	s_add_i32 s15, s22, s23
	s_bcnt1_i32_b32 s13, s13
	s_bcnt1_i32_b32 s21, s21
	;; [unrolled: 1-line block ×3, first 2 shown]
	s_add_i32 s10, s10, s12
	s_add_i32 s12, s14, s20
	;; [unrolled: 1-line block ×3, first 2 shown]
	v_cmp_le_u32_e32 vcc_lo, s76, v27
	s_add_i32 s83, s10, s13
	s_add_i32 s81, s12, s21
	;; [unrolled: 1-line block ×3, first 2 shown]
	v_mov_b32_e32 v1, s83
	v_dual_mov_b32 v3, s81 :: v_dual_mov_b32 v4, s80
	s_or_b32 s78, vcc_lo, s78
	s_delay_alu instid0(SALU_CYCLE_1)
	s_and_not1_b32 exec_lo, exec_lo, s78
	s_cbranch_execnz .LBB17_50
; %bb.51:                               ;   in Loop: Header=BB17_6 Depth=1
	s_or_b32 exec_lo, exec_lo, s78
.LBB17_52:                              ;   in Loop: Header=BB17_6 Depth=1
	s_delay_alu instid0(SALU_CYCLE_1) | instskip(SKIP_2) | instid1(VALU_DEP_1)
	s_or_b32 exec_lo, exec_lo, s77
	v_add_nc_u32_e32 v27, s76, v0
	s_mov_b32 s15, exec_lo
	v_cmpx_gt_u32_e64 s75, v27
	s_cbranch_execz .LBB17_56
; %bb.53:                               ;   in Loop: Header=BB17_6 Depth=1
	s_and_b32 s17, s68, 0xfe
	s_mov_b32 s16, 0
.LBB17_54:                              ;   Parent Loop BB17_6 Depth=1
                                        ; =>  This Inner Loop Header: Depth=2
	ds_load_i8 v28, v27
	v_add_nc_u32_e32 v27, s33, v27
	s_delay_alu instid0(VALU_DEP_1) | instskip(SKIP_2) | instid1(VALU_DEP_1)
	v_cmp_le_u32_e32 vcc_lo, s75, v27
	s_waitcnt lgkmcnt(0)
	v_add_nc_u32_e32 v28, 0x80, v28
	v_and_b32_e32 v29, v28, v23
	v_bfe_u32 v28, v28, s17, 2
	s_delay_alu instid0(VALU_DEP_2) | instskip(NEXT) | instid1(VALU_DEP_2)
	v_cmp_eq_u32_e64 s10, v29, v24
	v_cmp_eq_u32_e64 s11, 0, v28
	;; [unrolled: 1-line block ×5, first 2 shown]
	s_delay_alu instid0(VALU_DEP_4) | instskip(NEXT) | instid1(SALU_CYCLE_1)
	s_and_b32 s11, s10, s11
	v_cndmask_b32_e64 v28, 0, 1, s11
	s_and_b32 s11, s10, s12
	s_delay_alu instid0(SALU_CYCLE_1)
	v_cndmask_b32_e64 v29, 0, 1, s11
	s_and_b32 s11, s10, s13
	s_and_b32 s10, s10, s14
	s_waitcnt vmcnt(0)
	v_cndmask_b32_e64 v30, 0, 1, s11
	v_cndmask_b32_e64 v31, 0, 1, s10
	v_cmp_ne_u32_e64 s10, 0, v28
	v_cmp_ne_u32_e64 s11, 0, v29
	s_delay_alu instid0(VALU_DEP_4) | instskip(NEXT) | instid1(VALU_DEP_4)
	v_cmp_ne_u32_e64 s12, 0, v30
	v_cmp_ne_u32_e64 s13, 0, v31
	s_delay_alu instid0(VALU_DEP_4) | instskip(NEXT) | instid1(VALU_DEP_3)
	s_bcnt1_i32_b32 s10, s10
	s_bcnt1_i32_b32 s11, s11
	v_add_nc_u32_e32 v1, s10, v1
	s_bcnt1_i32_b32 s12, s12
	s_bcnt1_i32_b32 s13, s13
	v_add_nc_u32_e32 v2, s11, v2
	v_add_nc_u32_e32 v3, s12, v3
	;; [unrolled: 1-line block ×3, first 2 shown]
	s_or_b32 s16, vcc_lo, s16
	s_delay_alu instid0(SALU_CYCLE_1)
	s_and_not1_b32 exec_lo, exec_lo, s16
	s_cbranch_execnz .LBB17_54
; %bb.55:                               ;   in Loop: Header=BB17_6 Depth=1
	s_or_b32 exec_lo, exec_lo, s16
.LBB17_56:                              ;   in Loop: Header=BB17_6 Depth=1
	s_delay_alu instid0(SALU_CYCLE_1)
	s_or_b32 exec_lo, exec_lo, s15
.LBB17_57:                              ;   in Loop: Header=BB17_6 Depth=1
	s_lshl_b32 s10, s64, 7
	s_and_saveexec_b32 s11, s2
	s_cbranch_execz .LBB17_59
; %bb.58:                               ;   in Loop: Header=BB17_6 Depth=1
	v_or_b32_e32 v27, s10, v16
	s_delay_alu instid0(VALU_DEP_1)
	v_lshlrev_b32_e32 v27, 2, v27
	ds_store_b128 v27, v[1:4] offset:3072
.LBB17_59:                              ;   in Loop: Header=BB17_6 Depth=1
	s_or_b32 exec_lo, exec_lo, s11
	s_waitcnt vmcnt(0) lgkmcnt(0)
	s_barrier
	buffer_gl0_inv
	s_and_saveexec_b32 s11, s49
	s_cbranch_execz .LBB17_69
; %bb.60:                               ;   in Loop: Header=BB17_6 Depth=1
	v_mov_b32_e32 v1, 0
	s_and_not1_b32 vcc_lo, exec_lo, s52
	s_cbranch_vccnz .LBB17_68
; %bb.61:                               ;   in Loop: Header=BB17_6 Depth=1
	v_mov_b32_e32 v1, 0
	s_and_not1_b32 vcc_lo, exec_lo, s55
	s_mov_b32 s12, 0
	s_cbranch_vccnz .LBB17_65
; %bb.62:                               ;   in Loop: Header=BB17_6 Depth=1
	v_lshl_add_u32 v2, s64, 9, v21
	v_mov_b32_e32 v1, 0
	.p2align	6
.LBB17_63:                              ;   Parent Loop BB17_6 Depth=1
                                        ; =>  This Inner Loop Header: Depth=2
	ds_load_2addr_b32 v[3:4], v2 offset1:4
	ds_load_2addr_b32 v[27:28], v2 offset0:8 offset1:12
	ds_load_2addr_b32 v[29:30], v2 offset0:16 offset1:20
	;; [unrolled: 1-line block ×3, first 2 shown]
	v_add_nc_u32_e32 v2, 0x80, v2
	s_add_i32 s12, s12, 8
	s_delay_alu instid0(SALU_CYCLE_1) | instskip(SKIP_3) | instid1(VALU_DEP_1)
	s_cmp_eq_u32 s56, s12
	s_waitcnt lgkmcnt(3)
	v_add3_u32 v1, v3, v1, v4
	s_waitcnt lgkmcnt(2)
	v_add3_u32 v1, v27, v1, v28
	s_waitcnt lgkmcnt(1)
	s_delay_alu instid0(VALU_DEP_1) | instskip(SKIP_1) | instid1(VALU_DEP_1)
	v_add3_u32 v1, v29, v1, v30
	s_waitcnt lgkmcnt(0)
	v_add3_u32 v1, v31, v1, v32
	s_cbranch_scc0 .LBB17_63
; %bb.64:                               ;   in Loop: Header=BB17_6 Depth=1
	s_mov_b32 s12, s56
.LBB17_65:                              ;   in Loop: Header=BB17_6 Depth=1
	s_and_not1_b32 vcc_lo, exec_lo, s57
	s_cbranch_vccnz .LBB17_68
; %bb.66:                               ;   in Loop: Header=BB17_6 Depth=1
	s_lshl_b32 s13, s64, 9
	s_lshl_b32 s12, s12, 4
	s_delay_alu instid0(SALU_CYCLE_1)
	v_add3_u32 v2, s13, s12, v21
	s_mov_b32 s12, s54
.LBB17_67:                              ;   Parent Loop BB17_6 Depth=1
                                        ; =>  This Inner Loop Header: Depth=2
	ds_load_b32 v3, v2
	v_add_nc_u32_e32 v2, 16, v2
	s_add_i32 s12, s12, -1
	s_delay_alu instid0(SALU_CYCLE_1)
	s_cmp_lg_u32 s12, 0
	s_waitcnt lgkmcnt(0)
	v_add_nc_u32_e32 v1, v3, v1
	s_cbranch_scc1 .LBB17_67
.LBB17_68:                              ;   in Loop: Header=BB17_6 Depth=1
	v_add_lshl_u32 v2, s10, v12, 2
	ds_store_b32 v2, v1 offset:3072
.LBB17_69:                              ;   in Loop: Header=BB17_6 Depth=1
	s_or_b32 exec_lo, exec_lo, s11
	s_lshl_b32 s10, s10, 2
	s_waitcnt lgkmcnt(0)
	v_mov_b32_e32 v1, s10
	s_barrier
	buffer_gl0_inv
	s_and_b32 s17, s68, 0xfe
	v_cmp_eq_u32_e64 s10, 1, v26
	ds_load_b128 v[1:4], v1 offset:3072
	s_lshl_b32 s13, 3, s17
	s_and_not1_b32 vcc_lo, exec_lo, s48
	s_not_b32 s14, s13
	s_waitcnt lgkmcnt(0)
	v_readfirstlane_b32 s12, v1
	v_readfirstlane_b32 s16, v2
	;; [unrolled: 1-line block ×4, first 2 shown]
	s_cbranch_vccnz .LBB17_82
; %bb.70:                               ;   in Loop: Header=BB17_6 Depth=1
	s_cmp_eq_u32 s12, 1
	v_dual_mov_b32 v1, v24 :: v_dual_mov_b32 v2, v23
	v_mov_b32_e32 v3, v25
	s_cselect_b32 s11, -1, 0
	s_mov_b32 s26, -1
	s_and_b32 s25, s11, s10
                                        ; implicit-def: $sgpr15
                                        ; implicit-def: $sgpr22
                                        ; implicit-def: $sgpr21
	s_delay_alu instid0(SALU_CYCLE_1)
	s_and_saveexec_b32 s20, s25
	s_cbranch_execz .LBB17_101
; %bb.71:                               ;   in Loop: Header=BB17_6 Depth=1
	ds_load_b32 v1, v22 offset:4096
	s_waitcnt lgkmcnt(0)
	s_barrier
	buffer_gl0_inv
	v_readfirstlane_b32 s15, v1
	s_and_saveexec_b32 s11, s6
	s_cbranch_execz .LBB17_73
; %bb.72:                               ;   in Loop: Header=BB17_6 Depth=1
	ds_store_b8 v0, v15 offset:3072
.LBB17_73:                              ;   in Loop: Header=BB17_6 Depth=1
	s_or_b32 exec_lo, exec_lo, s11
	v_and_b32_e32 v1, s14, v24
	v_or_b32_e32 v2, s13, v23
	s_cmp_eq_u32 s15, 0
	s_waitcnt lgkmcnt(0)
	s_barrier
	buffer_gl0_inv
	s_cbranch_scc1 .LBB17_87
; %bb.74:                               ;   in Loop: Header=BB17_6 Depth=1
	s_add_i32 s11, s15, s53
                                        ; implicit-def: $vgpr3
	s_delay_alu instid0(SALU_CYCLE_1) | instskip(NEXT) | instid1(SALU_CYCLE_1)
	s_mul_hi_u32 s21, s11, s59
	s_mul_i32 s21, s21, s33
	s_delay_alu instid0(SALU_CYCLE_1) | instskip(NEXT) | instid1(SALU_CYCLE_1)
	s_sub_i32 s21, s11, s21
	s_sub_i32 s22, s21, s33
	s_cmp_ge_u32 s21, s33
	s_cselect_b32 s21, s22, s21
	s_delay_alu instid0(SALU_CYCLE_1) | instskip(SKIP_2) | instid1(SALU_CYCLE_1)
	s_sub_i32 s22, s21, s33
	s_cmp_ge_u32 s21, s33
	s_cselect_b32 s21, s22, s21
	s_sub_i32 s22, s11, s21
	s_mov_b32 s11, 0
	s_mov_b32 s21, exec_lo
	v_cmpx_gt_u32_e64 s22, v0
	s_cbranch_execz .LBB17_89
; %bb.75:                               ;   in Loop: Header=BB17_6 Depth=1
	v_mov_b32_e32 v3, v0
	s_mov_b32 s23, 0
                                        ; implicit-def: $sgpr24
	s_set_inst_prefetch_distance 0x1
	s_branch .LBB17_77
	.p2align	6
.LBB17_76:                              ;   in Loop: Header=BB17_77 Depth=2
	s_or_b32 exec_lo, exec_lo, s11
	s_waitcnt lgkmcnt(0)
	s_barrier
	buffer_gl0_inv
	ds_load_u16 v4, v22 offset:3072
	v_add_nc_u32_e32 v3, s33, v3
	s_waitcnt lgkmcnt(0)
	s_barrier
	buffer_gl0_inv
	v_cmp_le_u32_e32 vcc_lo, s22, v3
	v_and_b32_e32 v27, 0xff, v4
	s_delay_alu instid0(VALU_DEP_1) | instskip(NEXT) | instid1(VALU_DEP_1)
	v_cmp_ne_u16_e64 s11, 0, v27
	s_or_b32 s26, vcc_lo, s11
	s_delay_alu instid0(SALU_CYCLE_1) | instskip(NEXT) | instid1(SALU_CYCLE_1)
	s_and_b32 s26, exec_lo, s26
	s_or_b32 s23, s26, s23
	s_and_not1_b32 s24, s24, exec_lo
	s_and_b32 s11, s11, exec_lo
	s_delay_alu instid0(SALU_CYCLE_1)
	s_or_b32 s24, s24, s11
	s_and_not1_b32 exec_lo, exec_lo, s23
	s_cbranch_execz .LBB17_88
.LBB17_77:                              ;   Parent Loop BB17_6 Depth=1
                                        ; =>  This Inner Loop Header: Depth=2
	s_delay_alu instid0(VALU_DEP_1)
	v_cmp_gt_u32_e32 vcc_lo, s15, v3
	v_mov_b32_e32 v4, 0
	s_and_saveexec_b32 s11, vcc_lo
	s_cbranch_execz .LBB17_79
; %bb.78:                               ;   in Loop: Header=BB17_77 Depth=2
	ds_load_u8 v4, v3
.LBB17_79:                              ;   in Loop: Header=BB17_77 Depth=2
	s_or_b32 exec_lo, exec_lo, s11
	s_and_saveexec_b32 s11, vcc_lo
	s_cbranch_execz .LBB17_76
; %bb.80:                               ;   in Loop: Header=BB17_77 Depth=2
	s_waitcnt lgkmcnt(0)
	v_bfe_i32 v27, v4, 0, 8
	s_delay_alu instid0(VALU_DEP_1) | instskip(NEXT) | instid1(VALU_DEP_1)
	v_add_nc_u32_e32 v27, 0x80, v27
	v_and_b32_e32 v27, v27, v2
	s_delay_alu instid0(VALU_DEP_1)
	v_cmp_eq_u32_e32 vcc_lo, v27, v1
	s_and_b32 exec_lo, exec_lo, vcc_lo
	s_cbranch_execz .LBB17_76
; %bb.81:                               ;   in Loop: Header=BB17_77 Depth=2
	v_lshlrev_b16 v4, 8, v4
	s_delay_alu instid0(VALU_DEP_1)
	v_or_b32_e32 v4, 1, v4
	ds_store_b16 v22, v4 offset:3072
	s_branch .LBB17_76
.LBB17_82:                              ;   in Loop: Header=BB17_6 Depth=1
	s_mov_b32 s20, 0
	s_mov_b32 s11, 0
                                        ; implicit-def: $sgpr21
                                        ; implicit-def: $sgpr22
                                        ; implicit-def: $sgpr15
                                        ; implicit-def: $vgpr27
                                        ; implicit-def: $vgpr4
                                        ; implicit-def: $vgpr1
                                        ; implicit-def: $vgpr2
                                        ; implicit-def: $vgpr3
	s_cbranch_execnz .LBB17_237
.LBB17_83:                              ;   in Loop: Header=BB17_6 Depth=1
	s_mov_b32 s23, s15
	s_mov_b32 s24, s15
	s_and_saveexec_b32 s10, s20
	s_cbranch_execnz .LBB17_399
	s_branch .LBB17_400
.LBB17_84:                              ;   in Loop: Header=BB17_6 Depth=1
	s_or_b32 exec_lo, exec_lo, s12
	s_waitcnt lgkmcnt(0)
	s_barrier
	buffer_gl0_inv
	s_and_saveexec_b32 s10, s5
	s_cbranch_execz .LBB17_86
; %bb.85:                               ;   in Loop: Header=BB17_6 Depth=1
	ds_load_b32 v1, v22 offset:4104
	s_waitcnt lgkmcnt(0)
	ds_store_b32 v22, v1 offset:4096
.LBB17_86:                              ;   in Loop: Header=BB17_6 Depth=1
	s_or_b32 exec_lo, exec_lo, s10
	s_waitcnt lgkmcnt(0)
	s_mov_b32 s10, -1
	s_barrier
	s_and_b32 vcc_lo, exec_lo, s75
	s_cbranch_vccnz .LBB17_21
	s_branch .LBB17_31
.LBB17_87:                              ;   in Loop: Header=BB17_6 Depth=1
	s_mov_b32 s15, -1
	s_mov_b32 s11, 0
                                        ; implicit-def: $sgpr21
                                        ; implicit-def: $vgpr3
	s_mov_b32 s22, s15
	s_cbranch_execnz .LBB17_90
	s_branch .LBB17_100
.LBB17_88:                              ;   in Loop: Header=BB17_6 Depth=1
	s_set_inst_prefetch_distance 0x2
	s_or_b32 exec_lo, exec_lo, s23
	v_lshrrev_b16 v3, 8, v4
	s_and_b32 s11, s24, exec_lo
.LBB17_89:                              ;   in Loop: Header=BB17_6 Depth=1
	s_or_b32 exec_lo, exec_lo, s21
	s_mov_b32 s21, -1
	s_mov_b32 s15, 0
	s_delay_alu instid0(SALU_CYCLE_1)
	s_mov_b32 s22, s15
	s_branch .LBB17_100
.LBB17_90:                              ;   in Loop: Header=BB17_6 Depth=1
	s_mov_b32 s11, 0
                                        ; implicit-def: $vgpr3
	s_and_saveexec_b32 s15, s9
	s_cbranch_execz .LBB17_99
; %bb.91:                               ;   in Loop: Header=BB17_6 Depth=1
	v_dual_mov_b32 v3, v14 :: v_dual_mov_b32 v4, v0
	s_mov_b32 s21, 0
                                        ; implicit-def: $sgpr22
	s_set_inst_prefetch_distance 0x1
	s_branch .LBB17_93
	.p2align	6
.LBB17_92:                              ;   in Loop: Header=BB17_93 Depth=2
	s_or_b32 exec_lo, exec_lo, s11
	s_waitcnt vmcnt(0) lgkmcnt(0)
	s_barrier
	buffer_gl0_inv
	ds_load_u16 v27, v22 offset:3072
	v_add_nc_u32_e32 v4, s33, v4
	v_add_nc_u32_e32 v3, s35, v3
	s_waitcnt lgkmcnt(0)
	s_barrier
	buffer_gl0_inv
	v_cmp_le_u32_e32 vcc_lo, s61, v4
	v_and_b32_e32 v28, 0xff, v27
	s_delay_alu instid0(VALU_DEP_1) | instskip(NEXT) | instid1(VALU_DEP_1)
	v_cmp_ne_u16_e64 s11, 0, v28
	s_or_b32 s23, vcc_lo, s11
	s_delay_alu instid0(SALU_CYCLE_1) | instskip(NEXT) | instid1(SALU_CYCLE_1)
	s_and_b32 s23, exec_lo, s23
	s_or_b32 s21, s23, s21
	s_and_not1_b32 s22, s22, exec_lo
	s_and_b32 s11, s11, exec_lo
	s_delay_alu instid0(SALU_CYCLE_1)
	s_or_b32 s22, s22, s11
	s_and_not1_b32 exec_lo, exec_lo, s21
	s_cbranch_execz .LBB17_98
.LBB17_93:                              ;   Parent Loop BB17_6 Depth=1
                                        ; =>  This Inner Loop Header: Depth=2
	s_delay_alu instid0(VALU_DEP_1)
	v_cmp_gt_u32_e32 vcc_lo, s36, v4
	v_mov_b32_e32 v27, 0
	s_and_saveexec_b32 s11, vcc_lo
	s_cbranch_execz .LBB17_95
; %bb.94:                               ;   in Loop: Header=BB17_93 Depth=2
	global_load_u8 v27, v3, s[30:31]
.LBB17_95:                              ;   in Loop: Header=BB17_93 Depth=2
	s_or_b32 exec_lo, exec_lo, s11
	s_and_saveexec_b32 s11, vcc_lo
	s_cbranch_execz .LBB17_92
; %bb.96:                               ;   in Loop: Header=BB17_93 Depth=2
	s_waitcnt vmcnt(0)
	v_bfe_i32 v28, v27, 0, 8
	s_delay_alu instid0(VALU_DEP_1) | instskip(NEXT) | instid1(VALU_DEP_1)
	v_add_nc_u32_e32 v28, 0x80, v28
	v_and_b32_e32 v28, v28, v2
	s_delay_alu instid0(VALU_DEP_1)
	v_cmp_eq_u32_e32 vcc_lo, v28, v1
	s_and_b32 exec_lo, exec_lo, vcc_lo
	s_cbranch_execz .LBB17_92
; %bb.97:                               ;   in Loop: Header=BB17_93 Depth=2
	v_lshlrev_b16 v27, 8, v27
	s_delay_alu instid0(VALU_DEP_1)
	v_or_b32_e32 v27, 1, v27
	ds_store_b16 v22, v27 offset:3072
	s_branch .LBB17_92
.LBB17_98:                              ;   in Loop: Header=BB17_6 Depth=1
	s_set_inst_prefetch_distance 0x2
	s_or_b32 exec_lo, exec_lo, s21
	v_lshrrev_b16 v3, 8, v27
	s_and_b32 s11, s22, exec_lo
.LBB17_99:                              ;   in Loop: Header=BB17_6 Depth=1
	s_or_b32 exec_lo, exec_lo, s15
	s_mov_b32 s22, -1
	s_mov_b32 s15, 0
	s_mov_b32 s21, 0
.LBB17_100:                             ;   in Loop: Header=BB17_6 Depth=1
	s_or_not1_b32 s26, s11, exec_lo
.LBB17_101:                             ;   in Loop: Header=BB17_6 Depth=1
	s_or_b32 exec_lo, exec_lo, s20
	s_mov_b32 s23, 0
	s_mov_b32 s20, 0
	;; [unrolled: 1-line block ×3, first 2 shown]
                                        ; implicit-def: $vgpr27
                                        ; implicit-def: $vgpr4
	s_and_saveexec_b32 s24, s26
	s_cbranch_execz .LBB17_236
; %bb.102:                              ;   in Loop: Header=BB17_6 Depth=1
	v_dual_mov_b32 v4, 1 :: v_dual_mov_b32 v27, 1
	s_xor_b32 s25, s25, -1
	s_delay_alu instid0(SALU_CYCLE_1)
	s_and_saveexec_b32 s11, s25
	s_cbranch_execz .LBB17_112
; %bb.103:                              ;   in Loop: Header=BB17_6 Depth=1
	s_mov_b32 s25, exec_lo
                                        ; implicit-def: $sgpr26
                                        ; implicit-def: $sgpr20
	v_cmpx_ge_u32_e64 s12, v26
	s_xor_b32 s25, exec_lo, s25
	s_cbranch_execz .LBB17_109
; %bb.104:                              ;   in Loop: Header=BB17_6 Depth=1
	ds_load_b32 v4, v22 offset:4096
	s_waitcnt lgkmcnt(0)
	v_cmp_ne_u32_e32 vcc_lo, 0, v4
	s_cbranch_vccnz .LBB17_108
; %bb.105:                              ;   in Loop: Header=BB17_6 Depth=1
	s_and_saveexec_b32 s20, s5
	s_cbranch_execz .LBB17_107
; %bb.106:                              ;   in Loop: Header=BB17_6 Depth=1
	v_mov_b32_e32 v4, s12
	ds_store_b32 v22, v4 offset:4100
.LBB17_107:                             ;   in Loop: Header=BB17_6 Depth=1
	s_or_b32 exec_lo, exec_lo, s20
	s_waitcnt lgkmcnt(0)
	s_barrier
	buffer_gl0_inv
.LBB17_108:                             ;   in Loop: Header=BB17_6 Depth=1
	v_and_b32_e32 v1, s14, v1
	v_or_b32_e32 v2, s13, v2
	s_mov_b32 s20, 0
	s_mov_b32 s26, 8
.LBB17_109:                             ;   in Loop: Header=BB17_6 Depth=1
	s_or_saveexec_b32 s25, s25
	v_dual_mov_b32 v27, s26 :: v_dual_mov_b32 v4, v26
	s_xor_b32 exec_lo, exec_lo, s25
; %bb.110:                              ;   in Loop: Header=BB17_6 Depth=1
	v_subrev_nc_u32_e32 v4, s12, v26
	v_mov_b32_e32 v27, 0
	s_or_b32 s20, s20, exec_lo
; %bb.111:                              ;   in Loop: Header=BB17_6 Depth=1
	s_or_b32 exec_lo, exec_lo, s25
	s_delay_alu instid0(SALU_CYCLE_1)
	s_and_b32 s20, s20, exec_lo
.LBB17_112:                             ;   in Loop: Header=BB17_6 Depth=1
	s_or_b32 exec_lo, exec_lo, s11
	s_mov_b32 s11, -1
                                        ; implicit-def: $sgpr25
                                        ; implicit-def: $sgpr27
                                        ; implicit-def: $sgpr28
	s_and_saveexec_b32 s26, s20
	s_delay_alu instid0(SALU_CYCLE_1)
	s_xor_b32 s20, exec_lo, s26
	s_cbranch_execz .LBB17_233
; %bb.113:                              ;   in Loop: Header=BB17_6 Depth=1
	v_cmp_eq_u32_e32 vcc_lo, 1, v4
	s_cmp_eq_u32 s16, 1
                                        ; implicit-def: $sgpr25
                                        ; implicit-def: $sgpr27
                                        ; implicit-def: $sgpr26
	s_cselect_b32 s11, -1, 0
	s_delay_alu instid0(SALU_CYCLE_1)
	s_and_b32 s29, s11, vcc_lo
	s_mov_b32 s11, -1
	s_and_saveexec_b32 s28, s29
	s_cbranch_execz .LBB17_139
; %bb.114:                              ;   in Loop: Header=BB17_6 Depth=1
	ds_load_b32 v3, v22 offset:4096
	s_waitcnt lgkmcnt(0)
	s_barrier
	buffer_gl0_inv
	v_readfirstlane_b32 s25, v3
	s_and_saveexec_b32 s11, s6
	s_cbranch_execz .LBB17_116
; %bb.115:                              ;   in Loop: Header=BB17_6 Depth=1
	ds_store_b8 v0, v15 offset:3072
.LBB17_116:                             ;   in Loop: Header=BB17_6 Depth=1
	s_or_b32 exec_lo, exec_lo, s11
	s_lshl_b32 s11, 1, s17
	v_or_b32_e32 v2, s13, v2
	v_and_or_b32 v1, v1, s14, s11
	s_cmp_eq_u32 s25, 0
	s_waitcnt lgkmcnt(0)
	s_barrier
	buffer_gl0_inv
	s_cbranch_scc1 .LBB17_125
; %bb.117:                              ;   in Loop: Header=BB17_6 Depth=1
	s_add_i32 s11, s25, s53
                                        ; implicit-def: $vgpr3
	s_delay_alu instid0(SALU_CYCLE_1) | instskip(NEXT) | instid1(SALU_CYCLE_1)
	s_mul_hi_u32 s26, s11, s59
	s_mul_i32 s26, s26, s33
	s_delay_alu instid0(SALU_CYCLE_1) | instskip(NEXT) | instid1(SALU_CYCLE_1)
	s_sub_i32 s26, s11, s26
	s_sub_i32 s27, s26, s33
	s_cmp_ge_u32 s26, s33
	s_cselect_b32 s26, s27, s26
	s_delay_alu instid0(SALU_CYCLE_1) | instskip(SKIP_2) | instid1(SALU_CYCLE_1)
	s_sub_i32 s27, s26, s33
	s_cmp_ge_u32 s26, s33
	s_cselect_b32 s26, s27, s26
	s_sub_i32 s27, s11, s26
	s_mov_b32 s11, 0
	s_mov_b32 s26, exec_lo
	v_cmpx_gt_u32_e64 s27, v0
	s_cbranch_execz .LBB17_127
; %bb.118:                              ;   in Loop: Header=BB17_6 Depth=1
	v_mov_b32_e32 v3, v0
	s_mov_b32 s75, 0
                                        ; implicit-def: $sgpr76
	s_set_inst_prefetch_distance 0x1
	s_branch .LBB17_120
	.p2align	6
.LBB17_119:                             ;   in Loop: Header=BB17_120 Depth=2
	s_or_b32 exec_lo, exec_lo, s11
	s_waitcnt lgkmcnt(0)
	s_barrier
	buffer_gl0_inv
	ds_load_u16 v27, v22 offset:3072
	v_add_nc_u32_e32 v3, s33, v3
	s_waitcnt lgkmcnt(0)
	s_barrier
	buffer_gl0_inv
	v_cmp_le_u32_e32 vcc_lo, s27, v3
	v_and_b32_e32 v28, 0xff, v27
	s_delay_alu instid0(VALU_DEP_1) | instskip(NEXT) | instid1(VALU_DEP_1)
	v_cmp_ne_u16_e64 s11, 0, v28
	s_or_b32 s77, vcc_lo, s11
	s_delay_alu instid0(SALU_CYCLE_1) | instskip(NEXT) | instid1(SALU_CYCLE_1)
	s_and_b32 s77, exec_lo, s77
	s_or_b32 s75, s77, s75
	s_and_not1_b32 s76, s76, exec_lo
	s_and_b32 s11, s11, exec_lo
	s_delay_alu instid0(SALU_CYCLE_1)
	s_or_b32 s76, s76, s11
	s_and_not1_b32 exec_lo, exec_lo, s75
	s_cbranch_execz .LBB17_126
.LBB17_120:                             ;   Parent Loop BB17_6 Depth=1
                                        ; =>  This Inner Loop Header: Depth=2
	s_delay_alu instid0(VALU_DEP_1)
	v_cmp_gt_u32_e32 vcc_lo, s25, v3
	v_mov_b32_e32 v27, 0
	s_and_saveexec_b32 s11, vcc_lo
	s_cbranch_execz .LBB17_122
; %bb.121:                              ;   in Loop: Header=BB17_120 Depth=2
	ds_load_u8 v27, v3
.LBB17_122:                             ;   in Loop: Header=BB17_120 Depth=2
	s_or_b32 exec_lo, exec_lo, s11
	s_and_saveexec_b32 s11, vcc_lo
	s_cbranch_execz .LBB17_119
; %bb.123:                              ;   in Loop: Header=BB17_120 Depth=2
	s_waitcnt lgkmcnt(0)
	v_bfe_i32 v28, v27, 0, 8
	s_delay_alu instid0(VALU_DEP_1) | instskip(NEXT) | instid1(VALU_DEP_1)
	v_add_nc_u32_e32 v28, 0x80, v28
	v_and_b32_e32 v28, v28, v2
	s_delay_alu instid0(VALU_DEP_1)
	v_cmp_eq_u32_e32 vcc_lo, v28, v1
	s_and_b32 exec_lo, exec_lo, vcc_lo
	s_cbranch_execz .LBB17_119
; %bb.124:                              ;   in Loop: Header=BB17_120 Depth=2
	v_lshlrev_b16 v27, 8, v27
	s_delay_alu instid0(VALU_DEP_1)
	v_or_b32_e32 v27, 1, v27
	ds_store_b16 v22, v27 offset:3072
	s_branch .LBB17_119
.LBB17_125:                             ;   in Loop: Header=BB17_6 Depth=1
	s_mov_b32 s25, -1
	s_mov_b32 s11, 0
                                        ; implicit-def: $sgpr26
                                        ; implicit-def: $vgpr3
	s_mov_b32 s27, s25
	s_cbranch_execnz .LBB17_128
	s_branch .LBB17_138
.LBB17_126:                             ;   in Loop: Header=BB17_6 Depth=1
	s_set_inst_prefetch_distance 0x2
	s_or_b32 exec_lo, exec_lo, s75
	v_lshrrev_b16 v3, 8, v27
	s_and_b32 s11, s76, exec_lo
.LBB17_127:                             ;   in Loop: Header=BB17_6 Depth=1
	s_or_b32 exec_lo, exec_lo, s26
	s_mov_b32 s26, -1
	s_mov_b32 s25, 0
	s_delay_alu instid0(SALU_CYCLE_1)
	s_mov_b32 s27, s25
	s_branch .LBB17_138
.LBB17_128:                             ;   in Loop: Header=BB17_6 Depth=1
	s_mov_b32 s11, 0
                                        ; implicit-def: $vgpr3
	s_and_saveexec_b32 s25, s9
	s_cbranch_execz .LBB17_137
; %bb.129:                              ;   in Loop: Header=BB17_6 Depth=1
	v_mov_b32_e32 v3, v14
	v_mov_b32_e32 v27, v0
	s_mov_b32 s26, 0
                                        ; implicit-def: $sgpr27
	s_set_inst_prefetch_distance 0x1
	s_branch .LBB17_131
	.p2align	6
.LBB17_130:                             ;   in Loop: Header=BB17_131 Depth=2
	s_or_b32 exec_lo, exec_lo, s11
	s_waitcnt vmcnt(0) lgkmcnt(0)
	s_barrier
	buffer_gl0_inv
	ds_load_u16 v28, v22 offset:3072
	v_add_nc_u32_e32 v27, s33, v27
	v_add_nc_u32_e32 v3, s35, v3
	s_waitcnt lgkmcnt(0)
	s_barrier
	buffer_gl0_inv
	v_cmp_le_u32_e32 vcc_lo, s61, v27
	v_and_b32_e32 v29, 0xff, v28
	s_delay_alu instid0(VALU_DEP_1) | instskip(NEXT) | instid1(VALU_DEP_1)
	v_cmp_ne_u16_e64 s11, 0, v29
	s_or_b32 s75, vcc_lo, s11
	s_delay_alu instid0(SALU_CYCLE_1) | instskip(NEXT) | instid1(SALU_CYCLE_1)
	s_and_b32 s75, exec_lo, s75
	s_or_b32 s26, s75, s26
	s_and_not1_b32 s27, s27, exec_lo
	s_and_b32 s11, s11, exec_lo
	s_delay_alu instid0(SALU_CYCLE_1)
	s_or_b32 s27, s27, s11
	s_and_not1_b32 exec_lo, exec_lo, s26
	s_cbranch_execz .LBB17_136
.LBB17_131:                             ;   Parent Loop BB17_6 Depth=1
                                        ; =>  This Inner Loop Header: Depth=2
	s_delay_alu instid0(VALU_DEP_1)
	v_cmp_gt_u32_e32 vcc_lo, s36, v27
	v_mov_b32_e32 v28, 0
	s_and_saveexec_b32 s11, vcc_lo
	s_cbranch_execz .LBB17_133
; %bb.132:                              ;   in Loop: Header=BB17_131 Depth=2
	global_load_u8 v28, v3, s[30:31]
.LBB17_133:                             ;   in Loop: Header=BB17_131 Depth=2
	s_or_b32 exec_lo, exec_lo, s11
	s_and_saveexec_b32 s11, vcc_lo
	s_cbranch_execz .LBB17_130
; %bb.134:                              ;   in Loop: Header=BB17_131 Depth=2
	s_waitcnt vmcnt(0)
	v_bfe_i32 v29, v28, 0, 8
	s_delay_alu instid0(VALU_DEP_1) | instskip(NEXT) | instid1(VALU_DEP_1)
	v_add_nc_u32_e32 v29, 0x80, v29
	v_and_b32_e32 v29, v29, v2
	s_delay_alu instid0(VALU_DEP_1)
	v_cmp_eq_u32_e32 vcc_lo, v29, v1
	s_and_b32 exec_lo, exec_lo, vcc_lo
	s_cbranch_execz .LBB17_130
; %bb.135:                              ;   in Loop: Header=BB17_131 Depth=2
	v_lshlrev_b16 v28, 8, v28
	s_delay_alu instid0(VALU_DEP_1)
	v_or_b32_e32 v28, 1, v28
	ds_store_b16 v22, v28 offset:3072
	s_branch .LBB17_130
.LBB17_136:                             ;   in Loop: Header=BB17_6 Depth=1
	s_set_inst_prefetch_distance 0x2
	s_or_b32 exec_lo, exec_lo, s26
	v_lshrrev_b16 v3, 8, v28
	s_and_b32 s11, s27, exec_lo
.LBB17_137:                             ;   in Loop: Header=BB17_6 Depth=1
	s_or_b32 exec_lo, exec_lo, s25
	s_mov_b32 s27, -1
	s_mov_b32 s25, 0
	s_mov_b32 s26, 0
.LBB17_138:                             ;   in Loop: Header=BB17_6 Depth=1
	s_or_not1_b32 s11, s11, exec_lo
.LBB17_139:                             ;   in Loop: Header=BB17_6 Depth=1
	s_or_b32 exec_lo, exec_lo, s28
	s_mov_b32 s75, 0
                                        ; implicit-def: $vgpr27
	s_and_saveexec_b32 s28, s11
	s_cbranch_execz .LBB17_232
; %bb.140:                              ;   in Loop: Header=BB17_6 Depth=1
	v_dual_mov_b32 v28, 1 :: v_dual_mov_b32 v27, 1
	s_xor_b32 s29, s29, -1
	s_mov_b32 s76, 0
	s_and_saveexec_b32 s11, s29
	s_cbranch_execz .LBB17_150
; %bb.141:                              ;   in Loop: Header=BB17_6 Depth=1
	s_mov_b32 s75, exec_lo
                                        ; implicit-def: $sgpr76
                                        ; implicit-def: $sgpr29
	v_cmpx_ge_u32_e64 s16, v4
	s_xor_b32 s75, exec_lo, s75
	s_cbranch_execz .LBB17_147
; %bb.142:                              ;   in Loop: Header=BB17_6 Depth=1
	ds_load_b32 v27, v22 offset:4096
	s_waitcnt lgkmcnt(0)
	v_cmp_ne_u32_e32 vcc_lo, 0, v27
	s_cbranch_vccnz .LBB17_146
; %bb.143:                              ;   in Loop: Header=BB17_6 Depth=1
	s_and_saveexec_b32 s29, s5
	s_cbranch_execz .LBB17_145
; %bb.144:                              ;   in Loop: Header=BB17_6 Depth=1
	v_mov_b32_e32 v27, s16
	ds_store_b32 v22, v27 offset:4100
.LBB17_145:                             ;   in Loop: Header=BB17_6 Depth=1
	s_or_b32 exec_lo, exec_lo, s29
	s_waitcnt lgkmcnt(0)
	s_barrier
	buffer_gl0_inv
.LBB17_146:                             ;   in Loop: Header=BB17_6 Depth=1
	s_lshl_b32 s29, 1, s17
	v_or_b32_e32 v2, s13, v2
	v_and_or_b32 v1, v1, s14, s29
	s_mov_b32 s29, 0
	s_mov_b32 s76, 8
.LBB17_147:                             ;   in Loop: Header=BB17_6 Depth=1
	s_or_saveexec_b32 s75, s75
	v_mov_b32_e32 v27, s76
	s_xor_b32 exec_lo, exec_lo, s75
; %bb.148:                              ;   in Loop: Header=BB17_6 Depth=1
	v_subrev_nc_u32_e32 v4, s16, v4
	v_mov_b32_e32 v27, 0
	s_or_b32 s29, s29, exec_lo
; %bb.149:                              ;   in Loop: Header=BB17_6 Depth=1
	s_or_b32 exec_lo, exec_lo, s75
	s_delay_alu instid0(VALU_DEP_2)
	v_mov_b32_e32 v28, v4
	s_and_b32 s76, s29, exec_lo
.LBB17_150:                             ;   in Loop: Header=BB17_6 Depth=1
	s_or_b32 exec_lo, exec_lo, s11
	s_mov_b32 s11, -1
                                        ; implicit-def: $sgpr75
                                        ; implicit-def: $sgpr77
                                        ; implicit-def: $sgpr78
	s_and_saveexec_b32 s29, s76
	s_cbranch_execz .LBB17_231
; %bb.151:                              ;   in Loop: Header=BB17_6 Depth=1
	v_cmp_eq_u32_e32 vcc_lo, 1, v28
	s_cmp_eq_u32 s18, 1
                                        ; implicit-def: $sgpr75
                                        ; implicit-def: $sgpr77
                                        ; implicit-def: $sgpr76
	s_cselect_b32 s11, -1, 0
	s_delay_alu instid0(SALU_CYCLE_1)
	s_and_b32 s79, s11, vcc_lo
	s_mov_b32 s11, -1
	s_and_saveexec_b32 s78, s79
	s_cbranch_execz .LBB17_177
; %bb.152:                              ;   in Loop: Header=BB17_6 Depth=1
	ds_load_b32 v3, v22 offset:4096
	s_waitcnt lgkmcnt(0)
	s_barrier
	buffer_gl0_inv
	v_readfirstlane_b32 s75, v3
	s_and_saveexec_b32 s11, s6
	s_cbranch_execz .LBB17_154
; %bb.153:                              ;   in Loop: Header=BB17_6 Depth=1
	ds_store_b8 v0, v15 offset:3072
.LBB17_154:                             ;   in Loop: Header=BB17_6 Depth=1
	s_or_b32 exec_lo, exec_lo, s11
	s_lshl_b32 s11, 2, s17
	v_or_b32_e32 v2, s13, v2
	v_and_or_b32 v1, v1, s14, s11
	s_cmp_eq_u32 s75, 0
	s_waitcnt lgkmcnt(0)
	s_barrier
	buffer_gl0_inv
	s_cbranch_scc1 .LBB17_163
; %bb.155:                              ;   in Loop: Header=BB17_6 Depth=1
	s_add_i32 s11, s75, s53
                                        ; implicit-def: $vgpr3
	s_delay_alu instid0(SALU_CYCLE_1) | instskip(NEXT) | instid1(SALU_CYCLE_1)
	s_mul_hi_u32 s76, s11, s59
	s_mul_i32 s76, s76, s33
	s_delay_alu instid0(SALU_CYCLE_1) | instskip(NEXT) | instid1(SALU_CYCLE_1)
	s_sub_i32 s76, s11, s76
	s_sub_i32 s77, s76, s33
	s_cmp_ge_u32 s76, s33
	s_cselect_b32 s76, s77, s76
	s_delay_alu instid0(SALU_CYCLE_1) | instskip(SKIP_2) | instid1(SALU_CYCLE_1)
	s_sub_i32 s77, s76, s33
	s_cmp_ge_u32 s76, s33
	s_cselect_b32 s76, s77, s76
	s_sub_i32 s77, s11, s76
	s_mov_b32 s11, 0
	s_mov_b32 s76, exec_lo
	v_cmpx_gt_u32_e64 s77, v0
	s_cbranch_execz .LBB17_165
; %bb.156:                              ;   in Loop: Header=BB17_6 Depth=1
	v_mov_b32_e32 v3, v0
	s_mov_b32 s80, 0
                                        ; implicit-def: $sgpr81
	s_set_inst_prefetch_distance 0x1
	s_branch .LBB17_158
	.p2align	6
.LBB17_157:                             ;   in Loop: Header=BB17_158 Depth=2
	s_or_b32 exec_lo, exec_lo, s11
	s_waitcnt lgkmcnt(0)
	s_barrier
	buffer_gl0_inv
	ds_load_u16 v4, v22 offset:3072
	v_add_nc_u32_e32 v3, s33, v3
	s_waitcnt lgkmcnt(0)
	s_barrier
	buffer_gl0_inv
	v_cmp_le_u32_e32 vcc_lo, s77, v3
	v_and_b32_e32 v27, 0xff, v4
	s_delay_alu instid0(VALU_DEP_1) | instskip(NEXT) | instid1(VALU_DEP_1)
	v_cmp_ne_u16_e64 s11, 0, v27
	s_or_b32 s82, vcc_lo, s11
	s_delay_alu instid0(SALU_CYCLE_1) | instskip(NEXT) | instid1(SALU_CYCLE_1)
	s_and_b32 s82, exec_lo, s82
	s_or_b32 s80, s82, s80
	s_and_not1_b32 s81, s81, exec_lo
	s_and_b32 s11, s11, exec_lo
	s_delay_alu instid0(SALU_CYCLE_1)
	s_or_b32 s81, s81, s11
	s_and_not1_b32 exec_lo, exec_lo, s80
	s_cbranch_execz .LBB17_164
.LBB17_158:                             ;   Parent Loop BB17_6 Depth=1
                                        ; =>  This Inner Loop Header: Depth=2
	s_delay_alu instid0(VALU_DEP_1)
	v_cmp_gt_u32_e32 vcc_lo, s75, v3
	v_mov_b32_e32 v4, 0
	s_and_saveexec_b32 s11, vcc_lo
	s_cbranch_execz .LBB17_160
; %bb.159:                              ;   in Loop: Header=BB17_158 Depth=2
	ds_load_u8 v4, v3
.LBB17_160:                             ;   in Loop: Header=BB17_158 Depth=2
	s_or_b32 exec_lo, exec_lo, s11
	s_and_saveexec_b32 s11, vcc_lo
	s_cbranch_execz .LBB17_157
; %bb.161:                              ;   in Loop: Header=BB17_158 Depth=2
	s_waitcnt lgkmcnt(0)
	v_bfe_i32 v27, v4, 0, 8
	s_delay_alu instid0(VALU_DEP_1) | instskip(NEXT) | instid1(VALU_DEP_1)
	v_add_nc_u32_e32 v27, 0x80, v27
	v_and_b32_e32 v27, v27, v2
	s_delay_alu instid0(VALU_DEP_1)
	v_cmp_eq_u32_e32 vcc_lo, v27, v1
	s_and_b32 exec_lo, exec_lo, vcc_lo
	s_cbranch_execz .LBB17_157
; %bb.162:                              ;   in Loop: Header=BB17_158 Depth=2
	v_lshlrev_b16 v4, 8, v4
	s_delay_alu instid0(VALU_DEP_1)
	v_or_b32_e32 v4, 1, v4
	ds_store_b16 v22, v4 offset:3072
	s_branch .LBB17_157
.LBB17_163:                             ;   in Loop: Header=BB17_6 Depth=1
	s_mov_b32 s75, -1
	s_mov_b32 s11, 0
                                        ; implicit-def: $sgpr76
                                        ; implicit-def: $vgpr3
	s_mov_b32 s77, s75
	s_cbranch_execnz .LBB17_166
	s_branch .LBB17_176
.LBB17_164:                             ;   in Loop: Header=BB17_6 Depth=1
	s_set_inst_prefetch_distance 0x2
	s_or_b32 exec_lo, exec_lo, s80
	v_lshrrev_b16 v3, 8, v4
	s_and_b32 s11, s81, exec_lo
.LBB17_165:                             ;   in Loop: Header=BB17_6 Depth=1
	s_or_b32 exec_lo, exec_lo, s76
	s_mov_b32 s76, -1
	s_mov_b32 s75, 0
	s_delay_alu instid0(SALU_CYCLE_1)
	s_mov_b32 s77, s75
	s_branch .LBB17_176
.LBB17_166:                             ;   in Loop: Header=BB17_6 Depth=1
	s_mov_b32 s11, 0
                                        ; implicit-def: $vgpr3
	s_and_saveexec_b32 s75, s9
	s_cbranch_execz .LBB17_175
; %bb.167:                              ;   in Loop: Header=BB17_6 Depth=1
	v_dual_mov_b32 v3, v14 :: v_dual_mov_b32 v4, v0
	s_mov_b32 s76, 0
                                        ; implicit-def: $sgpr77
	s_set_inst_prefetch_distance 0x1
	s_branch .LBB17_169
	.p2align	6
.LBB17_168:                             ;   in Loop: Header=BB17_169 Depth=2
	s_or_b32 exec_lo, exec_lo, s11
	s_waitcnt vmcnt(0) lgkmcnt(0)
	s_barrier
	buffer_gl0_inv
	ds_load_u16 v27, v22 offset:3072
	v_add_nc_u32_e32 v4, s33, v4
	v_add_nc_u32_e32 v3, s35, v3
	s_waitcnt lgkmcnt(0)
	s_barrier
	buffer_gl0_inv
	v_cmp_le_u32_e32 vcc_lo, s61, v4
	v_and_b32_e32 v29, 0xff, v27
	s_delay_alu instid0(VALU_DEP_1) | instskip(NEXT) | instid1(VALU_DEP_1)
	v_cmp_ne_u16_e64 s11, 0, v29
	s_or_b32 s80, vcc_lo, s11
	s_delay_alu instid0(SALU_CYCLE_1) | instskip(NEXT) | instid1(SALU_CYCLE_1)
	s_and_b32 s80, exec_lo, s80
	s_or_b32 s76, s80, s76
	s_and_not1_b32 s77, s77, exec_lo
	s_and_b32 s11, s11, exec_lo
	s_delay_alu instid0(SALU_CYCLE_1)
	s_or_b32 s77, s77, s11
	s_and_not1_b32 exec_lo, exec_lo, s76
	s_cbranch_execz .LBB17_174
.LBB17_169:                             ;   Parent Loop BB17_6 Depth=1
                                        ; =>  This Inner Loop Header: Depth=2
	s_delay_alu instid0(VALU_DEP_1)
	v_cmp_gt_u32_e32 vcc_lo, s36, v4
	v_mov_b32_e32 v27, 0
	s_and_saveexec_b32 s11, vcc_lo
	s_cbranch_execz .LBB17_171
; %bb.170:                              ;   in Loop: Header=BB17_169 Depth=2
	global_load_u8 v27, v3, s[30:31]
.LBB17_171:                             ;   in Loop: Header=BB17_169 Depth=2
	s_or_b32 exec_lo, exec_lo, s11
	s_and_saveexec_b32 s11, vcc_lo
	s_cbranch_execz .LBB17_168
; %bb.172:                              ;   in Loop: Header=BB17_169 Depth=2
	s_waitcnt vmcnt(0)
	v_bfe_i32 v29, v27, 0, 8
	s_delay_alu instid0(VALU_DEP_1) | instskip(NEXT) | instid1(VALU_DEP_1)
	v_add_nc_u32_e32 v29, 0x80, v29
	v_and_b32_e32 v29, v29, v2
	s_delay_alu instid0(VALU_DEP_1)
	v_cmp_eq_u32_e32 vcc_lo, v29, v1
	s_and_b32 exec_lo, exec_lo, vcc_lo
	s_cbranch_execz .LBB17_168
; %bb.173:                              ;   in Loop: Header=BB17_169 Depth=2
	v_lshlrev_b16 v27, 8, v27
	s_delay_alu instid0(VALU_DEP_1)
	v_or_b32_e32 v27, 1, v27
	ds_store_b16 v22, v27 offset:3072
	s_branch .LBB17_168
.LBB17_174:                             ;   in Loop: Header=BB17_6 Depth=1
	s_set_inst_prefetch_distance 0x2
	s_or_b32 exec_lo, exec_lo, s76
	v_lshrrev_b16 v3, 8, v27
	s_and_b32 s11, s77, exec_lo
.LBB17_175:                             ;   in Loop: Header=BB17_6 Depth=1
	s_or_b32 exec_lo, exec_lo, s75
	s_mov_b32 s77, -1
	s_mov_b32 s75, 0
	s_mov_b32 s76, 0
.LBB17_176:                             ;   in Loop: Header=BB17_6 Depth=1
	s_or_not1_b32 s11, s11, exec_lo
.LBB17_177:                             ;   in Loop: Header=BB17_6 Depth=1
	s_or_b32 exec_lo, exec_lo, s78
	s_mov_b32 s80, 0
                                        ; implicit-def: $vgpr27
	s_and_saveexec_b32 s78, s11
	s_cbranch_execz .LBB17_230
; %bb.178:                              ;   in Loop: Header=BB17_6 Depth=1
	v_dual_mov_b32 v4, 1 :: v_dual_mov_b32 v27, 1
	s_xor_b32 s79, s79, -1
	s_mov_b32 s81, 0
	s_and_saveexec_b32 s11, s79
	s_cbranch_execz .LBB17_188
; %bb.179:                              ;   in Loop: Header=BB17_6 Depth=1
	s_mov_b32 s80, exec_lo
                                        ; implicit-def: $sgpr81
                                        ; implicit-def: $sgpr79
	v_cmpx_ge_u32_e64 s18, v28
	s_xor_b32 s80, exec_lo, s80
	s_cbranch_execz .LBB17_185
; %bb.180:                              ;   in Loop: Header=BB17_6 Depth=1
	ds_load_b32 v4, v22 offset:4096
	s_waitcnt lgkmcnt(0)
	v_cmp_ne_u32_e32 vcc_lo, 0, v4
	s_cbranch_vccnz .LBB17_184
; %bb.181:                              ;   in Loop: Header=BB17_6 Depth=1
	s_and_saveexec_b32 s79, s5
	s_cbranch_execz .LBB17_183
; %bb.182:                              ;   in Loop: Header=BB17_6 Depth=1
	v_mov_b32_e32 v4, s18
	ds_store_b32 v22, v4 offset:4100
.LBB17_183:                             ;   in Loop: Header=BB17_6 Depth=1
	s_or_b32 exec_lo, exec_lo, s79
	s_waitcnt lgkmcnt(0)
	s_barrier
	buffer_gl0_inv
.LBB17_184:                             ;   in Loop: Header=BB17_6 Depth=1
	s_lshl_b32 s79, 2, s17
	v_or_b32_e32 v2, s13, v2
	v_and_or_b32 v1, v1, s14, s79
	s_mov_b32 s79, 0
	s_mov_b32 s81, 8
.LBB17_185:                             ;   in Loop: Header=BB17_6 Depth=1
	s_or_saveexec_b32 s80, s80
	v_mov_b32_e32 v27, s81
	s_xor_b32 exec_lo, exec_lo, s80
; %bb.186:                              ;   in Loop: Header=BB17_6 Depth=1
	v_subrev_nc_u32_e32 v28, s18, v28
	v_mov_b32_e32 v27, 0
	s_or_b32 s79, s79, exec_lo
; %bb.187:                              ;   in Loop: Header=BB17_6 Depth=1
	s_or_b32 exec_lo, exec_lo, s80
	s_delay_alu instid0(VALU_DEP_2)
	v_mov_b32_e32 v4, v28
	s_and_b32 s81, s79, exec_lo
.LBB17_188:                             ;   in Loop: Header=BB17_6 Depth=1
	s_or_b32 exec_lo, exec_lo, s11
	s_mov_b32 s80, -1
                                        ; implicit-def: $sgpr11
                                        ; implicit-def: $sgpr83
                                        ; implicit-def: $sgpr82
	s_and_saveexec_b32 s79, s81
	s_cbranch_execz .LBB17_229
; %bb.189:                              ;   in Loop: Header=BB17_6 Depth=1
	v_cmp_eq_u32_e32 vcc_lo, 1, v4
	s_cmp_eq_u32 s19, 1
	s_mov_b32 s84, -1
	s_cselect_b32 s11, -1, 0
                                        ; implicit-def: $sgpr83
                                        ; implicit-def: $sgpr82
	s_delay_alu instid0(SALU_CYCLE_1) | instskip(NEXT) | instid1(SALU_CYCLE_1)
	s_and_b32 s80, s11, vcc_lo
                                        ; implicit-def: $sgpr11
	s_and_saveexec_b32 s81, s80
	s_cbranch_execz .LBB17_216
; %bb.190:                              ;   in Loop: Header=BB17_6 Depth=1
	ds_load_b32 v3, v22 offset:4096
	s_waitcnt lgkmcnt(0)
	s_barrier
	buffer_gl0_inv
	v_readfirstlane_b32 s82, v3
	s_and_saveexec_b32 s11, s6
	s_cbranch_execz .LBB17_192
; %bb.191:                              ;   in Loop: Header=BB17_6 Depth=1
	ds_store_b8 v0, v15 offset:3072
.LBB17_192:                             ;   in Loop: Header=BB17_6 Depth=1
	s_or_b32 exec_lo, exec_lo, s11
	v_or_b32_e32 v1, s13, v1
	v_or_b32_e32 v2, s13, v2
	s_cmp_eq_u32 s82, 0
	s_waitcnt lgkmcnt(0)
	s_barrier
	buffer_gl0_inv
	s_cbranch_scc1 .LBB17_201
; %bb.193:                              ;   in Loop: Header=BB17_6 Depth=1
	s_add_i32 s11, s82, s53
                                        ; implicit-def: $vgpr3
	s_delay_alu instid0(SALU_CYCLE_1) | instskip(NEXT) | instid1(SALU_CYCLE_1)
	s_mul_hi_u32 s83, s11, s59
	s_mul_i32 s83, s83, s33
	s_delay_alu instid0(SALU_CYCLE_1) | instskip(NEXT) | instid1(SALU_CYCLE_1)
	s_sub_i32 s83, s11, s83
	s_sub_i32 s84, s83, s33
	s_cmp_ge_u32 s83, s33
	s_cselect_b32 s83, s84, s83
	s_delay_alu instid0(SALU_CYCLE_1)
	s_sub_i32 s84, s83, s33
	s_cmp_ge_u32 s83, s33
	s_cselect_b32 s83, s84, s83
	s_mov_b32 s84, 0
	s_sub_i32 s85, s11, s83
	s_mov_b32 s83, exec_lo
	v_cmpx_gt_u32_e64 s85, v0
	s_cbranch_execz .LBB17_203
; %bb.194:                              ;   in Loop: Header=BB17_6 Depth=1
	v_mov_b32_e32 v3, v0
                                        ; implicit-def: $sgpr86
	s_set_inst_prefetch_distance 0x1
	s_branch .LBB17_196
	.p2align	6
.LBB17_195:                             ;   in Loop: Header=BB17_196 Depth=2
	s_or_b32 exec_lo, exec_lo, s11
	s_waitcnt lgkmcnt(0)
	s_barrier
	buffer_gl0_inv
	ds_load_u16 v27, v22 offset:3072
	v_add_nc_u32_e32 v3, s33, v3
	s_waitcnt lgkmcnt(0)
	s_barrier
	buffer_gl0_inv
	v_cmp_le_u32_e32 vcc_lo, s85, v3
	v_and_b32_e32 v28, 0xff, v27
	s_delay_alu instid0(VALU_DEP_1) | instskip(NEXT) | instid1(VALU_DEP_1)
	v_cmp_ne_u16_e64 s11, 0, v28
	s_or_b32 s87, vcc_lo, s11
	s_delay_alu instid0(SALU_CYCLE_1) | instskip(NEXT) | instid1(SALU_CYCLE_1)
	s_and_b32 s87, exec_lo, s87
	s_or_b32 s84, s87, s84
	s_and_not1_b32 s86, s86, exec_lo
	s_and_b32 s11, s11, exec_lo
	s_delay_alu instid0(SALU_CYCLE_1)
	s_or_b32 s86, s86, s11
	s_and_not1_b32 exec_lo, exec_lo, s84
	s_cbranch_execz .LBB17_202
.LBB17_196:                             ;   Parent Loop BB17_6 Depth=1
                                        ; =>  This Inner Loop Header: Depth=2
	s_delay_alu instid0(VALU_DEP_1)
	v_cmp_gt_u32_e32 vcc_lo, s82, v3
	v_mov_b32_e32 v27, 0
	s_and_saveexec_b32 s11, vcc_lo
	s_cbranch_execz .LBB17_198
; %bb.197:                              ;   in Loop: Header=BB17_196 Depth=2
	ds_load_u8 v27, v3
.LBB17_198:                             ;   in Loop: Header=BB17_196 Depth=2
	s_or_b32 exec_lo, exec_lo, s11
	s_and_saveexec_b32 s11, vcc_lo
	s_cbranch_execz .LBB17_195
; %bb.199:                              ;   in Loop: Header=BB17_196 Depth=2
	s_waitcnt lgkmcnt(0)
	v_bfe_i32 v28, v27, 0, 8
	s_delay_alu instid0(VALU_DEP_1) | instskip(NEXT) | instid1(VALU_DEP_1)
	v_add_nc_u32_e32 v28, 0x80, v28
	v_and_b32_e32 v28, v28, v2
	s_delay_alu instid0(VALU_DEP_1)
	v_cmp_eq_u32_e32 vcc_lo, v28, v1
	s_and_b32 exec_lo, exec_lo, vcc_lo
	s_cbranch_execz .LBB17_195
; %bb.200:                              ;   in Loop: Header=BB17_196 Depth=2
	v_lshlrev_b16 v27, 8, v27
	s_delay_alu instid0(VALU_DEP_1)
	v_or_b32_e32 v27, 1, v27
	ds_store_b16 v22, v27 offset:3072
	s_branch .LBB17_195
.LBB17_201:                             ;   in Loop: Header=BB17_6 Depth=1
	s_mov_b32 s11, -1
	s_mov_b32 s84, 0
                                        ; implicit-def: $sgpr82
                                        ; implicit-def: $vgpr3
	s_branch .LBB17_204
.LBB17_202:                             ;   in Loop: Header=BB17_6 Depth=1
	s_set_inst_prefetch_distance 0x2
	s_or_b32 exec_lo, exec_lo, s84
	v_lshrrev_b16 v3, 8, v27
	s_and_b32 s84, s86, exec_lo
.LBB17_203:                             ;   in Loop: Header=BB17_6 Depth=1
	s_or_b32 exec_lo, exec_lo, s83
	s_mov_b32 s82, -1
	s_mov_b32 s11, 0
.LBB17_204:                             ;   in Loop: Header=BB17_6 Depth=1
	s_delay_alu instid0(SALU_CYCLE_1)
	s_and_b32 vcc_lo, exec_lo, s11
	s_mov_b32 s83, s11
	s_cbranch_vccz .LBB17_215
; %bb.205:                              ;   in Loop: Header=BB17_6 Depth=1
	s_mov_b32 s84, 0
                                        ; implicit-def: $vgpr3
	s_and_saveexec_b32 s82, s9
	s_cbranch_execz .LBB17_214
; %bb.206:                              ;   in Loop: Header=BB17_6 Depth=1
	v_mov_b32_e32 v3, v14
	v_mov_b32_e32 v27, v0
	s_mov_b32 s83, 0
                                        ; implicit-def: $sgpr84
	s_set_inst_prefetch_distance 0x1
	s_branch .LBB17_208
	.p2align	6
.LBB17_207:                             ;   in Loop: Header=BB17_208 Depth=2
	s_or_b32 exec_lo, exec_lo, s11
	s_waitcnt vmcnt(0) lgkmcnt(0)
	s_barrier
	buffer_gl0_inv
	ds_load_u16 v28, v22 offset:3072
	v_add_nc_u32_e32 v27, s33, v27
	v_add_nc_u32_e32 v3, s35, v3
	s_waitcnt lgkmcnt(0)
	s_barrier
	buffer_gl0_inv
	v_cmp_le_u32_e32 vcc_lo, s61, v27
	v_and_b32_e32 v29, 0xff, v28
	s_delay_alu instid0(VALU_DEP_1) | instskip(NEXT) | instid1(VALU_DEP_1)
	v_cmp_ne_u16_e64 s11, 0, v29
	s_or_b32 s85, vcc_lo, s11
	s_delay_alu instid0(SALU_CYCLE_1) | instskip(NEXT) | instid1(SALU_CYCLE_1)
	s_and_b32 s85, exec_lo, s85
	s_or_b32 s83, s85, s83
	s_and_not1_b32 s84, s84, exec_lo
	s_and_b32 s11, s11, exec_lo
	s_delay_alu instid0(SALU_CYCLE_1)
	s_or_b32 s84, s84, s11
	s_and_not1_b32 exec_lo, exec_lo, s83
	s_cbranch_execz .LBB17_213
.LBB17_208:                             ;   Parent Loop BB17_6 Depth=1
                                        ; =>  This Inner Loop Header: Depth=2
	s_delay_alu instid0(VALU_DEP_1)
	v_cmp_gt_u32_e32 vcc_lo, s36, v27
	v_mov_b32_e32 v28, 0
	s_and_saveexec_b32 s11, vcc_lo
	s_cbranch_execz .LBB17_210
; %bb.209:                              ;   in Loop: Header=BB17_208 Depth=2
	global_load_u8 v28, v3, s[30:31]
.LBB17_210:                             ;   in Loop: Header=BB17_208 Depth=2
	s_or_b32 exec_lo, exec_lo, s11
	s_and_saveexec_b32 s11, vcc_lo
	s_cbranch_execz .LBB17_207
; %bb.211:                              ;   in Loop: Header=BB17_208 Depth=2
	s_waitcnt vmcnt(0)
	v_bfe_i32 v29, v28, 0, 8
	s_delay_alu instid0(VALU_DEP_1) | instskip(NEXT) | instid1(VALU_DEP_1)
	v_add_nc_u32_e32 v29, 0x80, v29
	v_and_b32_e32 v29, v29, v2
	s_delay_alu instid0(VALU_DEP_1)
	v_cmp_eq_u32_e32 vcc_lo, v29, v1
	s_and_b32 exec_lo, exec_lo, vcc_lo
	s_cbranch_execz .LBB17_207
; %bb.212:                              ;   in Loop: Header=BB17_208 Depth=2
	v_lshlrev_b16 v28, 8, v28
	s_delay_alu instid0(VALU_DEP_1)
	v_or_b32_e32 v28, 1, v28
	ds_store_b16 v22, v28 offset:3072
	s_branch .LBB17_207
.LBB17_213:                             ;   in Loop: Header=BB17_6 Depth=1
	s_set_inst_prefetch_distance 0x2
	s_or_b32 exec_lo, exec_lo, s83
	v_lshrrev_b16 v3, 8, v28
	s_and_b32 s84, s84, exec_lo
.LBB17_214:                             ;   in Loop: Header=BB17_6 Depth=1
	s_or_b32 exec_lo, exec_lo, s82
	s_mov_b32 s83, -1
	s_mov_b32 s11, 0
	s_mov_b32 s82, 0
.LBB17_215:                             ;   in Loop: Header=BB17_6 Depth=1
	s_or_not1_b32 s84, s84, exec_lo
.LBB17_216:                             ;   in Loop: Header=BB17_6 Depth=1
	s_or_b32 exec_lo, exec_lo, s81
	s_mov_b32 s85, 0
                                        ; implicit-def: $vgpr27
                                        ; implicit-def: $vgpr28
	s_and_saveexec_b32 s81, s84
	s_cbranch_execz .LBB17_228
; %bb.217:                              ;   in Loop: Header=BB17_6 Depth=1
	v_dual_mov_b32 v27, 1 :: v_dual_mov_b32 v28, 1
	s_xor_b32 s84, s80, -1
	s_delay_alu instid0(SALU_CYCLE_1)
	s_and_saveexec_b32 s80, s84
	s_cbranch_execz .LBB17_227
; %bb.218:                              ;   in Loop: Header=BB17_6 Depth=1
	s_mov_b32 s84, exec_lo
                                        ; implicit-def: $sgpr85
	v_cmpx_ge_u32_e64 s19, v4
	s_xor_b32 s84, exec_lo, s84
	s_cbranch_execz .LBB17_224
; %bb.219:                              ;   in Loop: Header=BB17_6 Depth=1
	ds_load_b32 v27, v22 offset:4096
	s_waitcnt lgkmcnt(0)
	v_cmp_ne_u32_e32 vcc_lo, 0, v27
	s_cbranch_vccnz .LBB17_223
; %bb.220:                              ;   in Loop: Header=BB17_6 Depth=1
	s_and_saveexec_b32 s85, s5
	s_cbranch_execz .LBB17_222
; %bb.221:                              ;   in Loop: Header=BB17_6 Depth=1
	v_mov_b32_e32 v27, s19
	ds_store_b32 v22, v27 offset:4100
.LBB17_222:                             ;   in Loop: Header=BB17_6 Depth=1
	s_or_b32 exec_lo, exec_lo, s85
	s_waitcnt lgkmcnt(0)
	s_barrier
	buffer_gl0_inv
.LBB17_223:                             ;   in Loop: Header=BB17_6 Depth=1
	v_or_b32_e32 v1, s13, v1
	v_or_b32_e32 v2, s13, v2
	s_mov_b32 s85, 8
.LBB17_224:                             ;   in Loop: Header=BB17_6 Depth=1
	s_or_saveexec_b32 s84, s84
	v_mov_b32_e32 v27, s85
	s_xor_b32 exec_lo, exec_lo, s84
; %bb.225:                              ;   in Loop: Header=BB17_6 Depth=1
	v_subrev_nc_u32_e32 v4, s19, v4
	v_mov_b32_e32 v27, 8
; %bb.226:                              ;   in Loop: Header=BB17_6 Depth=1
	s_or_b32 exec_lo, exec_lo, s84
	s_delay_alu instid0(VALU_DEP_2)
	v_mov_b32_e32 v28, v4
.LBB17_227:                             ;   in Loop: Header=BB17_6 Depth=1
	s_or_b32 exec_lo, exec_lo, s80
	s_delay_alu instid0(SALU_CYCLE_1)
	s_mov_b32 s85, exec_lo
.LBB17_228:                             ;   in Loop: Header=BB17_6 Depth=1
	s_or_b32 exec_lo, exec_lo, s81
	s_delay_alu instid0(VALU_DEP_1)
	v_mov_b32_e32 v4, v28
	s_or_not1_b32 s80, s85, exec_lo
.LBB17_229:                             ;   in Loop: Header=BB17_6 Depth=1
	s_or_b32 exec_lo, exec_lo, s79
	s_delay_alu instid0(SALU_CYCLE_1)
	s_and_not1_b32 s75, s75, exec_lo
	s_and_b32 s11, s11, exec_lo
	v_mov_b32_e32 v28, v4
	s_or_b32 s75, s75, s11
	s_and_not1_b32 s11, s77, exec_lo
	s_and_b32 s77, s83, exec_lo
	s_and_not1_b32 s76, s76, exec_lo
	s_and_b32 s79, s82, exec_lo
	s_or_b32 s77, s11, s77
	s_or_b32 s76, s76, s79
	s_and_b32 s80, s80, exec_lo
.LBB17_230:                             ;   in Loop: Header=BB17_6 Depth=1
	s_or_b32 exec_lo, exec_lo, s78
	s_delay_alu instid0(SALU_CYCLE_1)
	s_and_b32 s78, s75, exec_lo
	s_and_b32 s77, s77, exec_lo
	;; [unrolled: 1-line block ×3, first 2 shown]
	s_or_not1_b32 s11, s80, exec_lo
.LBB17_231:                             ;   in Loop: Header=BB17_6 Depth=1
	s_or_b32 exec_lo, exec_lo, s29
	s_delay_alu instid0(SALU_CYCLE_1)
	s_and_not1_b32 s25, s25, exec_lo
	s_and_b32 s29, s78, exec_lo
	v_mov_b32_e32 v4, v28
	s_or_b32 s25, s25, s29
	s_and_not1_b32 s27, s27, exec_lo
	s_and_b32 s29, s77, exec_lo
	s_and_not1_b32 s26, s26, exec_lo
	s_and_b32 s75, s75, exec_lo
	s_or_b32 s27, s27, s29
	s_or_b32 s26, s26, s75
	s_and_b32 s75, s11, exec_lo
.LBB17_232:                             ;   in Loop: Header=BB17_6 Depth=1
	s_or_b32 exec_lo, exec_lo, s28
	s_delay_alu instid0(SALU_CYCLE_1)
	s_and_b32 s28, s25, exec_lo
	s_and_b32 s27, s27, exec_lo
	;; [unrolled: 1-line block ×3, first 2 shown]
	s_or_not1_b32 s11, s75, exec_lo
.LBB17_233:                             ;   in Loop: Header=BB17_6 Depth=1
	s_or_b32 exec_lo, exec_lo, s20
	s_mov_b32 s20, 0
	s_mov_b32 s26, 0
	s_and_saveexec_b32 s29, s11
	s_delay_alu instid0(SALU_CYCLE_1)
	s_xor_b32 s29, exec_lo, s29
; %bb.234:                              ;   in Loop: Header=BB17_6 Depth=1
	v_cmp_ne_u32_e32 vcc_lo, 8, v27
	v_cmp_eq_u32_e64 s11, 8, v27
	s_and_not1_b32 s28, s28, exec_lo
	s_and_not1_b32 s27, s27, exec_lo
	;; [unrolled: 1-line block ×3, first 2 shown]
	s_and_b32 s26, vcc_lo, exec_lo
	s_and_b32 s20, s11, exec_lo
; %bb.235:                              ;   in Loop: Header=BB17_6 Depth=1
	s_or_b32 exec_lo, exec_lo, s29
	s_delay_alu instid0(SALU_CYCLE_1)
	s_and_not1_b32 s11, s15, exec_lo
	s_and_b32 s15, s28, exec_lo
	s_and_not1_b32 s21, s21, exec_lo
	s_or_b32 s15, s11, s15
	s_and_not1_b32 s11, s22, exec_lo
	s_and_b32 s22, s27, exec_lo
	s_and_b32 s25, s25, exec_lo
	s_or_b32 s22, s11, s22
	s_or_b32 s21, s21, s25
	s_and_b32 s11, s26, exec_lo
	s_and_b32 s20, s20, exec_lo
.LBB17_236:                             ;   in Loop: Header=BB17_6 Depth=1
	s_or_b32 exec_lo, exec_lo, s24
	s_delay_alu instid0(SALU_CYCLE_1)
	s_and_b32 vcc_lo, exec_lo, s23
	s_cbranch_vccz .LBB17_83
.LBB17_237:                             ;   in Loop: Header=BB17_6 Depth=1
	s_cmp_eq_u32 s19, 1
                                        ; implicit-def: $sgpr23
                                        ; implicit-def: $sgpr24
	s_cselect_b32 s15, -1, 0
	s_delay_alu instid0(SALU_CYCLE_1)
	s_and_b32 s22, s15, s10
	s_mov_b32 s10, -1
                                        ; implicit-def: $sgpr15
	s_and_saveexec_b32 s21, s22
	s_cbranch_execz .LBB17_263
; %bb.238:                              ;   in Loop: Header=BB17_6 Depth=1
	ds_load_b32 v1, v22 offset:4096
	s_waitcnt lgkmcnt(0)
	s_barrier
	buffer_gl0_inv
	v_readfirstlane_b32 s15, v1
	s_and_saveexec_b32 s10, s6
	s_cbranch_execz .LBB17_240
; %bb.239:                              ;   in Loop: Header=BB17_6 Depth=1
	ds_store_b8 v0, v15 offset:3072
.LBB17_240:                             ;   in Loop: Header=BB17_6 Depth=1
	s_or_b32 exec_lo, exec_lo, s10
	v_or_b32_e32 v24, s13, v24
	v_or_b32_e32 v23, s13, v23
	s_cmp_eq_u32 s15, 0
	s_waitcnt lgkmcnt(0)
	s_barrier
	buffer_gl0_inv
	s_cbranch_scc1 .LBB17_249
; %bb.241:                              ;   in Loop: Header=BB17_6 Depth=1
	s_add_i32 s10, s15, s53
                                        ; implicit-def: $vgpr25
	s_delay_alu instid0(SALU_CYCLE_1) | instskip(NEXT) | instid1(SALU_CYCLE_1)
	s_mul_hi_u32 s23, s10, s59
	s_mul_i32 s23, s23, s33
	s_delay_alu instid0(SALU_CYCLE_1) | instskip(NEXT) | instid1(SALU_CYCLE_1)
	s_sub_i32 s23, s10, s23
	s_sub_i32 s24, s23, s33
	s_cmp_ge_u32 s23, s33
	s_cselect_b32 s23, s24, s23
	s_delay_alu instid0(SALU_CYCLE_1) | instskip(SKIP_2) | instid1(SALU_CYCLE_1)
	s_sub_i32 s24, s23, s33
	s_cmp_ge_u32 s23, s33
	s_cselect_b32 s23, s24, s23
	s_sub_i32 s24, s10, s23
	s_mov_b32 s10, 0
	s_mov_b32 s23, exec_lo
	v_cmpx_gt_u32_e64 s24, v0
	s_cbranch_execz .LBB17_251
; %bb.242:                              ;   in Loop: Header=BB17_6 Depth=1
	v_mov_b32_e32 v1, v0
	s_mov_b32 s25, 0
                                        ; implicit-def: $sgpr26
	s_set_inst_prefetch_distance 0x1
	s_branch .LBB17_244
	.p2align	6
.LBB17_243:                             ;   in Loop: Header=BB17_244 Depth=2
	s_or_b32 exec_lo, exec_lo, s10
	s_waitcnt lgkmcnt(0)
	s_barrier
	buffer_gl0_inv
	ds_load_u16 v2, v22 offset:3072
	v_add_nc_u32_e32 v1, s33, v1
	s_waitcnt lgkmcnt(0)
	s_barrier
	buffer_gl0_inv
	v_cmp_le_u32_e32 vcc_lo, s24, v1
	v_and_b32_e32 v3, 0xff, v2
	s_delay_alu instid0(VALU_DEP_1) | instskip(NEXT) | instid1(VALU_DEP_1)
	v_cmp_ne_u16_e64 s10, 0, v3
	s_or_b32 s27, vcc_lo, s10
	s_delay_alu instid0(SALU_CYCLE_1) | instskip(NEXT) | instid1(SALU_CYCLE_1)
	s_and_b32 s27, exec_lo, s27
	s_or_b32 s25, s27, s25
	s_and_not1_b32 s26, s26, exec_lo
	s_and_b32 s10, s10, exec_lo
	s_delay_alu instid0(SALU_CYCLE_1)
	s_or_b32 s26, s26, s10
	s_and_not1_b32 exec_lo, exec_lo, s25
	s_cbranch_execz .LBB17_250
.LBB17_244:                             ;   Parent Loop BB17_6 Depth=1
                                        ; =>  This Inner Loop Header: Depth=2
	s_delay_alu instid0(VALU_DEP_1)
	v_cmp_gt_u32_e32 vcc_lo, s15, v1
	v_mov_b32_e32 v2, 0
	s_and_saveexec_b32 s10, vcc_lo
	s_cbranch_execz .LBB17_246
; %bb.245:                              ;   in Loop: Header=BB17_244 Depth=2
	ds_load_u8 v2, v1
.LBB17_246:                             ;   in Loop: Header=BB17_244 Depth=2
	s_or_b32 exec_lo, exec_lo, s10
	s_and_saveexec_b32 s10, vcc_lo
	s_cbranch_execz .LBB17_243
; %bb.247:                              ;   in Loop: Header=BB17_244 Depth=2
	s_waitcnt lgkmcnt(0)
	v_bfe_i32 v3, v2, 0, 8
	s_delay_alu instid0(VALU_DEP_1) | instskip(NEXT) | instid1(VALU_DEP_1)
	v_add_nc_u32_e32 v3, 0x80, v3
	v_and_b32_e32 v3, v3, v23
	s_delay_alu instid0(VALU_DEP_1)
	v_cmp_eq_u32_e32 vcc_lo, v3, v24
	s_and_b32 exec_lo, exec_lo, vcc_lo
	s_cbranch_execz .LBB17_243
; %bb.248:                              ;   in Loop: Header=BB17_244 Depth=2
	v_lshlrev_b16 v2, 8, v2
	s_delay_alu instid0(VALU_DEP_1)
	v_or_b32_e32 v2, 1, v2
	ds_store_b16 v22, v2 offset:3072
	s_branch .LBB17_243
.LBB17_249:                             ;   in Loop: Header=BB17_6 Depth=1
	s_mov_b32 s23, -1
	s_mov_b32 s10, 0
                                        ; implicit-def: $sgpr24
                                        ; implicit-def: $vgpr25
	s_mov_b32 s15, s23
	s_cbranch_execnz .LBB17_252
	s_branch .LBB17_262
.LBB17_250:                             ;   in Loop: Header=BB17_6 Depth=1
	s_set_inst_prefetch_distance 0x2
	s_or_b32 exec_lo, exec_lo, s25
	v_lshrrev_b16 v25, 8, v2
	s_and_b32 s10, s26, exec_lo
.LBB17_251:                             ;   in Loop: Header=BB17_6 Depth=1
	s_or_b32 exec_lo, exec_lo, s23
	s_mov_b32 s23, 0
	s_mov_b32 s24, -1
	s_mov_b32 s15, s23
	s_branch .LBB17_262
.LBB17_252:                             ;   in Loop: Header=BB17_6 Depth=1
	s_mov_b32 s10, 0
                                        ; implicit-def: $vgpr25
	s_and_saveexec_b32 s15, s9
	s_cbranch_execz .LBB17_261
; %bb.253:                              ;   in Loop: Header=BB17_6 Depth=1
	v_dual_mov_b32 v1, v14 :: v_dual_mov_b32 v2, v0
	s_mov_b32 s23, 0
                                        ; implicit-def: $sgpr24
	s_set_inst_prefetch_distance 0x1
	s_branch .LBB17_255
	.p2align	6
.LBB17_254:                             ;   in Loop: Header=BB17_255 Depth=2
	s_or_b32 exec_lo, exec_lo, s10
	s_waitcnt vmcnt(0) lgkmcnt(0)
	s_barrier
	buffer_gl0_inv
	ds_load_u16 v3, v22 offset:3072
	v_add_nc_u32_e32 v2, s33, v2
	v_add_nc_u32_e32 v1, s35, v1
	s_waitcnt lgkmcnt(0)
	s_barrier
	buffer_gl0_inv
	v_cmp_le_u32_e32 vcc_lo, s61, v2
	v_and_b32_e32 v4, 0xff, v3
	s_delay_alu instid0(VALU_DEP_1) | instskip(NEXT) | instid1(VALU_DEP_1)
	v_cmp_ne_u16_e64 s10, 0, v4
	s_or_b32 s25, vcc_lo, s10
	s_delay_alu instid0(SALU_CYCLE_1) | instskip(NEXT) | instid1(SALU_CYCLE_1)
	s_and_b32 s25, exec_lo, s25
	s_or_b32 s23, s25, s23
	s_and_not1_b32 s24, s24, exec_lo
	s_and_b32 s10, s10, exec_lo
	s_delay_alu instid0(SALU_CYCLE_1)
	s_or_b32 s24, s24, s10
	s_and_not1_b32 exec_lo, exec_lo, s23
	s_cbranch_execz .LBB17_260
.LBB17_255:                             ;   Parent Loop BB17_6 Depth=1
                                        ; =>  This Inner Loop Header: Depth=2
	s_delay_alu instid0(VALU_DEP_1)
	v_cmp_gt_u32_e32 vcc_lo, s36, v2
	v_mov_b32_e32 v3, 0
	s_and_saveexec_b32 s10, vcc_lo
	s_cbranch_execz .LBB17_257
; %bb.256:                              ;   in Loop: Header=BB17_255 Depth=2
	global_load_u8 v3, v1, s[30:31]
.LBB17_257:                             ;   in Loop: Header=BB17_255 Depth=2
	s_or_b32 exec_lo, exec_lo, s10
	s_and_saveexec_b32 s10, vcc_lo
	s_cbranch_execz .LBB17_254
; %bb.258:                              ;   in Loop: Header=BB17_255 Depth=2
	s_waitcnt vmcnt(0)
	v_bfe_i32 v4, v3, 0, 8
	s_delay_alu instid0(VALU_DEP_1) | instskip(NEXT) | instid1(VALU_DEP_1)
	v_add_nc_u32_e32 v4, 0x80, v4
	v_and_b32_e32 v4, v4, v23
	s_delay_alu instid0(VALU_DEP_1)
	v_cmp_eq_u32_e32 vcc_lo, v4, v24
	s_and_b32 exec_lo, exec_lo, vcc_lo
	s_cbranch_execz .LBB17_254
; %bb.259:                              ;   in Loop: Header=BB17_255 Depth=2
	v_lshlrev_b16 v3, 8, v3
	s_delay_alu instid0(VALU_DEP_1)
	v_or_b32_e32 v3, 1, v3
	ds_store_b16 v22, v3 offset:3072
	s_branch .LBB17_254
.LBB17_260:                             ;   in Loop: Header=BB17_6 Depth=1
	s_set_inst_prefetch_distance 0x2
	s_or_b32 exec_lo, exec_lo, s23
	v_lshrrev_b16 v25, 8, v3
	s_and_b32 s10, s24, exec_lo
.LBB17_261:                             ;   in Loop: Header=BB17_6 Depth=1
	s_or_b32 exec_lo, exec_lo, s15
	s_mov_b32 s24, 0
	s_mov_b32 s23, -1
	s_mov_b32 s15, 0
.LBB17_262:                             ;   in Loop: Header=BB17_6 Depth=1
	s_or_not1_b32 s10, s10, exec_lo
.LBB17_263:                             ;   in Loop: Header=BB17_6 Depth=1
	s_or_b32 exec_lo, exec_lo, s21
                                        ; implicit-def: $vgpr27
                                        ; implicit-def: $vgpr4
                                        ; implicit-def: $vgpr1
                                        ; implicit-def: $vgpr2
                                        ; implicit-def: $vgpr3
	s_and_saveexec_b32 s21, s10
	s_cbranch_execz .LBB17_398
; %bb.264:                              ;   in Loop: Header=BB17_6 Depth=1
	v_dual_mov_b32 v4, 1 :: v_dual_mov_b32 v27, 1
	s_xor_b32 s22, s22, -1
	s_mov_b32 s28, 0
	s_and_saveexec_b32 s10, s22
	s_cbranch_execz .LBB17_274
; %bb.265:                              ;   in Loop: Header=BB17_6 Depth=1
	s_mov_b32 s25, exec_lo
                                        ; implicit-def: $sgpr26
                                        ; implicit-def: $sgpr22
	v_cmpx_ge_u32_e64 s19, v26
	s_xor_b32 s25, exec_lo, s25
	s_cbranch_execz .LBB17_271
; %bb.266:                              ;   in Loop: Header=BB17_6 Depth=1
	ds_load_b32 v1, v22 offset:4096
	s_waitcnt lgkmcnt(0)
	v_cmp_ne_u32_e32 vcc_lo, 0, v1
	s_cbranch_vccnz .LBB17_270
; %bb.267:                              ;   in Loop: Header=BB17_6 Depth=1
	s_and_saveexec_b32 s22, s5
	s_cbranch_execz .LBB17_269
; %bb.268:                              ;   in Loop: Header=BB17_6 Depth=1
	v_mov_b32_e32 v1, s19
	ds_store_b32 v22, v1 offset:4100
.LBB17_269:                             ;   in Loop: Header=BB17_6 Depth=1
	s_or_b32 exec_lo, exec_lo, s22
	s_waitcnt lgkmcnt(0)
	s_barrier
	buffer_gl0_inv
.LBB17_270:                             ;   in Loop: Header=BB17_6 Depth=1
	v_or_b32_e32 v24, s13, v24
	v_or_b32_e32 v23, s13, v23
	s_mov_b32 s22, 0
	s_mov_b32 s26, 5
.LBB17_271:                             ;   in Loop: Header=BB17_6 Depth=1
	s_or_saveexec_b32 s25, s25
	v_mov_b32_e32 v27, s26
	s_xor_b32 exec_lo, exec_lo, s25
; %bb.272:                              ;   in Loop: Header=BB17_6 Depth=1
	v_subrev_nc_u32_e32 v26, s19, v26
	v_mov_b32_e32 v27, 0
	s_or_b32 s22, s22, exec_lo
; %bb.273:                              ;   in Loop: Header=BB17_6 Depth=1
	s_or_b32 exec_lo, exec_lo, s25
	s_delay_alu instid0(VALU_DEP_2)
	v_mov_b32_e32 v4, v26
	s_and_b32 s28, s22, exec_lo
.LBB17_274:                             ;   in Loop: Header=BB17_6 Depth=1
	s_or_b32 exec_lo, exec_lo, s10
	s_mov_b32 s26, -1
                                        ; implicit-def: $sgpr22
                                        ; implicit-def: $sgpr25
                                        ; implicit-def: $sgpr27
	s_and_saveexec_b32 s10, s28
	s_delay_alu instid0(SALU_CYCLE_1)
	s_xor_b32 s19, exec_lo, s10
	s_cbranch_execz .LBB17_395
; %bb.275:                              ;   in Loop: Header=BB17_6 Depth=1
	v_cmp_eq_u32_e32 vcc_lo, 1, v4
	s_cmp_eq_u32 s18, 1
                                        ; implicit-def: $sgpr22
                                        ; implicit-def: $sgpr25
                                        ; implicit-def: $sgpr26
	s_cselect_b32 s10, -1, 0
	s_delay_alu instid0(SALU_CYCLE_1)
	s_and_b32 s28, s10, vcc_lo
	s_mov_b32 s10, -1
	s_and_saveexec_b32 s27, s28
	s_cbranch_execz .LBB17_301
; %bb.276:                              ;   in Loop: Header=BB17_6 Depth=1
	ds_load_b32 v1, v22 offset:4096
	s_waitcnt lgkmcnt(0)
	s_barrier
	buffer_gl0_inv
	v_readfirstlane_b32 s22, v1
	s_and_saveexec_b32 s10, s6
	s_cbranch_execz .LBB17_278
; %bb.277:                              ;   in Loop: Header=BB17_6 Depth=1
	ds_store_b8 v0, v15 offset:3072
.LBB17_278:                             ;   in Loop: Header=BB17_6 Depth=1
	s_or_b32 exec_lo, exec_lo, s10
	s_lshl_b32 s10, 2, s17
	v_or_b32_e32 v23, s13, v23
	v_and_or_b32 v24, v24, s14, s10
	s_cmp_eq_u32 s22, 0
	s_waitcnt lgkmcnt(0)
	s_barrier
	buffer_gl0_inv
	s_cbranch_scc1 .LBB17_287
; %bb.279:                              ;   in Loop: Header=BB17_6 Depth=1
	s_add_i32 s10, s22, s53
                                        ; implicit-def: $vgpr25
	s_delay_alu instid0(SALU_CYCLE_1) | instskip(NEXT) | instid1(SALU_CYCLE_1)
	s_mul_hi_u32 s25, s10, s59
	s_mul_i32 s25, s25, s33
	s_delay_alu instid0(SALU_CYCLE_1) | instskip(NEXT) | instid1(SALU_CYCLE_1)
	s_sub_i32 s25, s10, s25
	s_sub_i32 s26, s25, s33
	s_cmp_ge_u32 s25, s33
	s_cselect_b32 s25, s26, s25
	s_delay_alu instid0(SALU_CYCLE_1) | instskip(SKIP_2) | instid1(SALU_CYCLE_1)
	s_sub_i32 s26, s25, s33
	s_cmp_ge_u32 s25, s33
	s_cselect_b32 s25, s26, s25
	s_sub_i32 s26, s10, s25
	s_mov_b32 s10, 0
	s_mov_b32 s25, exec_lo
	v_cmpx_gt_u32_e64 s26, v0
	s_cbranch_execz .LBB17_289
; %bb.280:                              ;   in Loop: Header=BB17_6 Depth=1
	v_mov_b32_e32 v1, v0
	s_mov_b32 s29, 0
                                        ; implicit-def: $sgpr75
	s_set_inst_prefetch_distance 0x1
	s_branch .LBB17_282
	.p2align	6
.LBB17_281:                             ;   in Loop: Header=BB17_282 Depth=2
	s_or_b32 exec_lo, exec_lo, s10
	s_waitcnt lgkmcnt(0)
	s_barrier
	buffer_gl0_inv
	ds_load_u16 v2, v22 offset:3072
	v_add_nc_u32_e32 v1, s33, v1
	s_waitcnt lgkmcnt(0)
	s_barrier
	buffer_gl0_inv
	v_cmp_le_u32_e32 vcc_lo, s26, v1
	v_and_b32_e32 v3, 0xff, v2
	s_delay_alu instid0(VALU_DEP_1) | instskip(NEXT) | instid1(VALU_DEP_1)
	v_cmp_ne_u16_e64 s10, 0, v3
	s_or_b32 s76, vcc_lo, s10
	s_delay_alu instid0(SALU_CYCLE_1) | instskip(NEXT) | instid1(SALU_CYCLE_1)
	s_and_b32 s76, exec_lo, s76
	s_or_b32 s29, s76, s29
	s_and_not1_b32 s75, s75, exec_lo
	s_and_b32 s10, s10, exec_lo
	s_delay_alu instid0(SALU_CYCLE_1)
	s_or_b32 s75, s75, s10
	s_and_not1_b32 exec_lo, exec_lo, s29
	s_cbranch_execz .LBB17_288
.LBB17_282:                             ;   Parent Loop BB17_6 Depth=1
                                        ; =>  This Inner Loop Header: Depth=2
	s_delay_alu instid0(VALU_DEP_1)
	v_cmp_gt_u32_e32 vcc_lo, s22, v1
	v_mov_b32_e32 v2, 0
	s_and_saveexec_b32 s10, vcc_lo
	s_cbranch_execz .LBB17_284
; %bb.283:                              ;   in Loop: Header=BB17_282 Depth=2
	ds_load_u8 v2, v1
.LBB17_284:                             ;   in Loop: Header=BB17_282 Depth=2
	s_or_b32 exec_lo, exec_lo, s10
	s_and_saveexec_b32 s10, vcc_lo
	s_cbranch_execz .LBB17_281
; %bb.285:                              ;   in Loop: Header=BB17_282 Depth=2
	s_waitcnt lgkmcnt(0)
	v_bfe_i32 v3, v2, 0, 8
	s_delay_alu instid0(VALU_DEP_1) | instskip(NEXT) | instid1(VALU_DEP_1)
	v_add_nc_u32_e32 v3, 0x80, v3
	v_and_b32_e32 v3, v3, v23
	s_delay_alu instid0(VALU_DEP_1)
	v_cmp_eq_u32_e32 vcc_lo, v3, v24
	s_and_b32 exec_lo, exec_lo, vcc_lo
	s_cbranch_execz .LBB17_281
; %bb.286:                              ;   in Loop: Header=BB17_282 Depth=2
	v_lshlrev_b16 v2, 8, v2
	s_delay_alu instid0(VALU_DEP_1)
	v_or_b32_e32 v2, 1, v2
	ds_store_b16 v22, v2 offset:3072
	s_branch .LBB17_281
.LBB17_287:                             ;   in Loop: Header=BB17_6 Depth=1
	s_mov_b32 s22, -1
	s_mov_b32 s10, 0
                                        ; implicit-def: $sgpr25
                                        ; implicit-def: $vgpr25
	s_mov_b32 s26, s22
	s_cbranch_execnz .LBB17_290
	s_branch .LBB17_300
.LBB17_288:                             ;   in Loop: Header=BB17_6 Depth=1
	s_set_inst_prefetch_distance 0x2
	s_or_b32 exec_lo, exec_lo, s29
	v_lshrrev_b16 v25, 8, v2
	s_and_b32 s10, s75, exec_lo
.LBB17_289:                             ;   in Loop: Header=BB17_6 Depth=1
	s_or_b32 exec_lo, exec_lo, s25
	s_mov_b32 s22, 0
	s_mov_b32 s25, -1
	s_mov_b32 s26, s22
	s_branch .LBB17_300
.LBB17_290:                             ;   in Loop: Header=BB17_6 Depth=1
	s_mov_b32 s10, 0
                                        ; implicit-def: $vgpr25
	s_and_saveexec_b32 s22, s9
	s_cbranch_execz .LBB17_299
; %bb.291:                              ;   in Loop: Header=BB17_6 Depth=1
	v_dual_mov_b32 v1, v14 :: v_dual_mov_b32 v2, v0
	s_mov_b32 s25, 0
                                        ; implicit-def: $sgpr26
	s_set_inst_prefetch_distance 0x1
	s_branch .LBB17_293
	.p2align	6
.LBB17_292:                             ;   in Loop: Header=BB17_293 Depth=2
	s_or_b32 exec_lo, exec_lo, s10
	s_waitcnt vmcnt(0) lgkmcnt(0)
	s_barrier
	buffer_gl0_inv
	ds_load_u16 v3, v22 offset:3072
	v_add_nc_u32_e32 v2, s33, v2
	v_add_nc_u32_e32 v1, s35, v1
	s_waitcnt lgkmcnt(0)
	s_barrier
	buffer_gl0_inv
	v_cmp_le_u32_e32 vcc_lo, s61, v2
	v_and_b32_e32 v25, 0xff, v3
	s_delay_alu instid0(VALU_DEP_1) | instskip(NEXT) | instid1(VALU_DEP_1)
	v_cmp_ne_u16_e64 s10, 0, v25
	s_or_b32 s29, vcc_lo, s10
	s_delay_alu instid0(SALU_CYCLE_1) | instskip(NEXT) | instid1(SALU_CYCLE_1)
	s_and_b32 s29, exec_lo, s29
	s_or_b32 s25, s29, s25
	s_and_not1_b32 s26, s26, exec_lo
	s_and_b32 s10, s10, exec_lo
	s_delay_alu instid0(SALU_CYCLE_1)
	s_or_b32 s26, s26, s10
	s_and_not1_b32 exec_lo, exec_lo, s25
	s_cbranch_execz .LBB17_298
.LBB17_293:                             ;   Parent Loop BB17_6 Depth=1
                                        ; =>  This Inner Loop Header: Depth=2
	s_delay_alu instid0(VALU_DEP_1)
	v_cmp_gt_u32_e32 vcc_lo, s36, v2
	v_mov_b32_e32 v3, 0
	s_and_saveexec_b32 s10, vcc_lo
	s_cbranch_execz .LBB17_295
; %bb.294:                              ;   in Loop: Header=BB17_293 Depth=2
	global_load_u8 v3, v1, s[30:31]
.LBB17_295:                             ;   in Loop: Header=BB17_293 Depth=2
	s_or_b32 exec_lo, exec_lo, s10
	s_and_saveexec_b32 s10, vcc_lo
	s_cbranch_execz .LBB17_292
; %bb.296:                              ;   in Loop: Header=BB17_293 Depth=2
	s_waitcnt vmcnt(0)
	v_bfe_i32 v25, v3, 0, 8
	s_delay_alu instid0(VALU_DEP_1) | instskip(NEXT) | instid1(VALU_DEP_1)
	v_add_nc_u32_e32 v25, 0x80, v25
	v_and_b32_e32 v25, v25, v23
	s_delay_alu instid0(VALU_DEP_1)
	v_cmp_eq_u32_e32 vcc_lo, v25, v24
	s_and_b32 exec_lo, exec_lo, vcc_lo
	s_cbranch_execz .LBB17_292
; %bb.297:                              ;   in Loop: Header=BB17_293 Depth=2
	v_lshlrev_b16 v3, 8, v3
	s_delay_alu instid0(VALU_DEP_1)
	v_or_b32_e32 v3, 1, v3
	ds_store_b16 v22, v3 offset:3072
	s_branch .LBB17_292
.LBB17_298:                             ;   in Loop: Header=BB17_6 Depth=1
	s_set_inst_prefetch_distance 0x2
	s_or_b32 exec_lo, exec_lo, s25
	v_lshrrev_b16 v25, 8, v3
	s_and_b32 s10, s26, exec_lo
.LBB17_299:                             ;   in Loop: Header=BB17_6 Depth=1
	s_or_b32 exec_lo, exec_lo, s22
	s_mov_b32 s25, 0
	s_mov_b32 s22, -1
	s_mov_b32 s26, 0
.LBB17_300:                             ;   in Loop: Header=BB17_6 Depth=1
	s_or_not1_b32 s10, s10, exec_lo
.LBB17_301:                             ;   in Loop: Header=BB17_6 Depth=1
	s_or_b32 exec_lo, exec_lo, s27
	s_mov_b32 s29, 0
                                        ; implicit-def: $vgpr27
	s_and_saveexec_b32 s27, s10
	s_cbranch_execz .LBB17_394
; %bb.302:                              ;   in Loop: Header=BB17_6 Depth=1
	v_mov_b32_e32 v1, 1
	v_mov_b32_e32 v27, 1
	s_xor_b32 s28, s28, -1
	s_mov_b32 s75, 0
	s_and_saveexec_b32 s10, s28
	s_cbranch_execz .LBB17_312
; %bb.303:                              ;   in Loop: Header=BB17_6 Depth=1
	s_mov_b32 s29, exec_lo
                                        ; implicit-def: $sgpr75
                                        ; implicit-def: $sgpr28
	v_cmpx_ge_u32_e64 s18, v4
	s_xor_b32 s29, exec_lo, s29
	s_cbranch_execz .LBB17_309
; %bb.304:                              ;   in Loop: Header=BB17_6 Depth=1
	ds_load_b32 v1, v22 offset:4096
	s_waitcnt lgkmcnt(0)
	v_cmp_ne_u32_e32 vcc_lo, 0, v1
	s_cbranch_vccnz .LBB17_308
; %bb.305:                              ;   in Loop: Header=BB17_6 Depth=1
	s_and_saveexec_b32 s28, s5
	s_cbranch_execz .LBB17_307
; %bb.306:                              ;   in Loop: Header=BB17_6 Depth=1
	v_mov_b32_e32 v1, s18
	ds_store_b32 v22, v1 offset:4100
.LBB17_307:                             ;   in Loop: Header=BB17_6 Depth=1
	s_or_b32 exec_lo, exec_lo, s28
	s_waitcnt lgkmcnt(0)
	s_barrier
	buffer_gl0_inv
.LBB17_308:                             ;   in Loop: Header=BB17_6 Depth=1
	s_lshl_b32 s28, 2, s17
	v_or_b32_e32 v23, s13, v23
	v_and_or_b32 v24, v24, s14, s28
	s_mov_b32 s28, 0
	s_mov_b32 s75, 5
.LBB17_309:                             ;   in Loop: Header=BB17_6 Depth=1
	s_or_saveexec_b32 s29, s29
	v_mov_b32_e32 v27, s75
	s_xor_b32 exec_lo, exec_lo, s29
; %bb.310:                              ;   in Loop: Header=BB17_6 Depth=1
	v_subrev_nc_u32_e32 v4, s18, v4
	v_mov_b32_e32 v27, 0
	s_or_b32 s28, s28, exec_lo
; %bb.311:                              ;   in Loop: Header=BB17_6 Depth=1
	s_or_b32 exec_lo, exec_lo, s29
	s_delay_alu instid0(VALU_DEP_2)
	v_mov_b32_e32 v1, v4
	s_and_b32 s75, s28, exec_lo
.LBB17_312:                             ;   in Loop: Header=BB17_6 Depth=1
	s_or_b32 exec_lo, exec_lo, s10
	s_mov_b32 s10, -1
                                        ; implicit-def: $sgpr28
                                        ; implicit-def: $sgpr29
                                        ; implicit-def: $sgpr76
	s_and_saveexec_b32 s18, s75
	s_cbranch_execz .LBB17_393
; %bb.313:                              ;   in Loop: Header=BB17_6 Depth=1
	v_cmp_eq_u32_e32 vcc_lo, 1, v1
	s_cmp_eq_u32 s16, 1
                                        ; implicit-def: $sgpr28
                                        ; implicit-def: $sgpr29
                                        ; implicit-def: $sgpr75
	s_cselect_b32 s10, -1, 0
	s_delay_alu instid0(SALU_CYCLE_1)
	s_and_b32 s77, s10, vcc_lo
	s_mov_b32 s10, -1
	s_and_saveexec_b32 s76, s77
	s_cbranch_execz .LBB17_339
; %bb.314:                              ;   in Loop: Header=BB17_6 Depth=1
	ds_load_b32 v2, v22 offset:4096
	s_waitcnt lgkmcnt(0)
	s_barrier
	buffer_gl0_inv
	v_readfirstlane_b32 s28, v2
	s_and_saveexec_b32 s10, s6
	s_cbranch_execz .LBB17_316
; %bb.315:                              ;   in Loop: Header=BB17_6 Depth=1
	ds_store_b8 v0, v15 offset:3072
.LBB17_316:                             ;   in Loop: Header=BB17_6 Depth=1
	s_or_b32 exec_lo, exec_lo, s10
	s_lshl_b32 s10, 1, s17
	v_or_b32_e32 v23, s13, v23
	v_and_or_b32 v24, v24, s14, s10
	s_cmp_eq_u32 s28, 0
	s_waitcnt lgkmcnt(0)
	s_barrier
	buffer_gl0_inv
	s_cbranch_scc1 .LBB17_325
; %bb.317:                              ;   in Loop: Header=BB17_6 Depth=1
	s_add_i32 s10, s28, s53
                                        ; implicit-def: $vgpr25
	s_delay_alu instid0(SALU_CYCLE_1) | instskip(NEXT) | instid1(SALU_CYCLE_1)
	s_mul_hi_u32 s29, s10, s59
	s_mul_i32 s29, s29, s33
	s_delay_alu instid0(SALU_CYCLE_1) | instskip(NEXT) | instid1(SALU_CYCLE_1)
	s_sub_i32 s29, s10, s29
	s_sub_i32 s75, s29, s33
	s_cmp_ge_u32 s29, s33
	s_cselect_b32 s29, s75, s29
	s_delay_alu instid0(SALU_CYCLE_1) | instskip(SKIP_2) | instid1(SALU_CYCLE_1)
	s_sub_i32 s75, s29, s33
	s_cmp_ge_u32 s29, s33
	s_cselect_b32 s29, s75, s29
	s_sub_i32 s75, s10, s29
	s_mov_b32 s10, 0
	s_mov_b32 s29, exec_lo
	v_cmpx_gt_u32_e64 s75, v0
	s_cbranch_execz .LBB17_327
; %bb.318:                              ;   in Loop: Header=BB17_6 Depth=1
	v_mov_b32_e32 v2, v0
	s_mov_b32 s78, 0
                                        ; implicit-def: $sgpr79
	s_set_inst_prefetch_distance 0x1
	s_branch .LBB17_320
	.p2align	6
.LBB17_319:                             ;   in Loop: Header=BB17_320 Depth=2
	s_or_b32 exec_lo, exec_lo, s10
	s_waitcnt lgkmcnt(0)
	s_barrier
	buffer_gl0_inv
	ds_load_u16 v3, v22 offset:3072
	v_add_nc_u32_e32 v2, s33, v2
	s_waitcnt lgkmcnt(0)
	s_barrier
	buffer_gl0_inv
	v_cmp_le_u32_e32 vcc_lo, s75, v2
	v_and_b32_e32 v4, 0xff, v3
	s_delay_alu instid0(VALU_DEP_1) | instskip(NEXT) | instid1(VALU_DEP_1)
	v_cmp_ne_u16_e64 s10, 0, v4
	s_or_b32 s80, vcc_lo, s10
	s_delay_alu instid0(SALU_CYCLE_1) | instskip(NEXT) | instid1(SALU_CYCLE_1)
	s_and_b32 s80, exec_lo, s80
	s_or_b32 s78, s80, s78
	s_and_not1_b32 s79, s79, exec_lo
	s_and_b32 s10, s10, exec_lo
	s_delay_alu instid0(SALU_CYCLE_1)
	s_or_b32 s79, s79, s10
	s_and_not1_b32 exec_lo, exec_lo, s78
	s_cbranch_execz .LBB17_326
.LBB17_320:                             ;   Parent Loop BB17_6 Depth=1
                                        ; =>  This Inner Loop Header: Depth=2
	s_delay_alu instid0(VALU_DEP_1)
	v_cmp_gt_u32_e32 vcc_lo, s28, v2
	v_mov_b32_e32 v3, 0
	s_and_saveexec_b32 s10, vcc_lo
	s_cbranch_execz .LBB17_322
; %bb.321:                              ;   in Loop: Header=BB17_320 Depth=2
	ds_load_u8 v3, v2
.LBB17_322:                             ;   in Loop: Header=BB17_320 Depth=2
	s_or_b32 exec_lo, exec_lo, s10
	s_and_saveexec_b32 s10, vcc_lo
	s_cbranch_execz .LBB17_319
; %bb.323:                              ;   in Loop: Header=BB17_320 Depth=2
	s_waitcnt lgkmcnt(0)
	v_bfe_i32 v4, v3, 0, 8
	s_delay_alu instid0(VALU_DEP_1) | instskip(NEXT) | instid1(VALU_DEP_1)
	v_add_nc_u32_e32 v4, 0x80, v4
	v_and_b32_e32 v4, v4, v23
	s_delay_alu instid0(VALU_DEP_1)
	v_cmp_eq_u32_e32 vcc_lo, v4, v24
	s_and_b32 exec_lo, exec_lo, vcc_lo
	s_cbranch_execz .LBB17_319
; %bb.324:                              ;   in Loop: Header=BB17_320 Depth=2
	v_lshlrev_b16 v3, 8, v3
	s_delay_alu instid0(VALU_DEP_1)
	v_or_b32_e32 v3, 1, v3
	ds_store_b16 v22, v3 offset:3072
	s_branch .LBB17_319
.LBB17_325:                             ;   in Loop: Header=BB17_6 Depth=1
	s_mov_b32 s28, -1
	s_mov_b32 s10, 0
                                        ; implicit-def: $sgpr29
                                        ; implicit-def: $vgpr25
	s_mov_b32 s75, s28
	s_cbranch_execnz .LBB17_328
	s_branch .LBB17_338
.LBB17_326:                             ;   in Loop: Header=BB17_6 Depth=1
	s_set_inst_prefetch_distance 0x2
	s_or_b32 exec_lo, exec_lo, s78
	v_lshrrev_b16 v25, 8, v3
	s_and_b32 s10, s79, exec_lo
.LBB17_327:                             ;   in Loop: Header=BB17_6 Depth=1
	s_or_b32 exec_lo, exec_lo, s29
	s_mov_b32 s28, 0
	s_mov_b32 s29, -1
	s_mov_b32 s75, s28
	s_branch .LBB17_338
.LBB17_328:                             ;   in Loop: Header=BB17_6 Depth=1
	s_mov_b32 s10, 0
                                        ; implicit-def: $vgpr25
	s_and_saveexec_b32 s28, s9
	s_cbranch_execz .LBB17_337
; %bb.329:                              ;   in Loop: Header=BB17_6 Depth=1
	v_dual_mov_b32 v2, v14 :: v_dual_mov_b32 v3, v0
	s_mov_b32 s29, 0
                                        ; implicit-def: $sgpr75
	s_set_inst_prefetch_distance 0x1
	s_branch .LBB17_331
	.p2align	6
.LBB17_330:                             ;   in Loop: Header=BB17_331 Depth=2
	s_or_b32 exec_lo, exec_lo, s10
	s_waitcnt vmcnt(0) lgkmcnt(0)
	s_barrier
	buffer_gl0_inv
	ds_load_u16 v4, v22 offset:3072
	v_add_nc_u32_e32 v3, s33, v3
	v_add_nc_u32_e32 v2, s35, v2
	s_waitcnt lgkmcnt(0)
	s_barrier
	buffer_gl0_inv
	v_cmp_le_u32_e32 vcc_lo, s61, v3
	v_and_b32_e32 v25, 0xff, v4
	s_delay_alu instid0(VALU_DEP_1) | instskip(NEXT) | instid1(VALU_DEP_1)
	v_cmp_ne_u16_e64 s10, 0, v25
	s_or_b32 s78, vcc_lo, s10
	s_delay_alu instid0(SALU_CYCLE_1) | instskip(NEXT) | instid1(SALU_CYCLE_1)
	s_and_b32 s78, exec_lo, s78
	s_or_b32 s29, s78, s29
	s_and_not1_b32 s75, s75, exec_lo
	s_and_b32 s10, s10, exec_lo
	s_delay_alu instid0(SALU_CYCLE_1)
	s_or_b32 s75, s75, s10
	s_and_not1_b32 exec_lo, exec_lo, s29
	s_cbranch_execz .LBB17_336
.LBB17_331:                             ;   Parent Loop BB17_6 Depth=1
                                        ; =>  This Inner Loop Header: Depth=2
	s_delay_alu instid0(VALU_DEP_1)
	v_cmp_gt_u32_e32 vcc_lo, s36, v3
	v_mov_b32_e32 v4, 0
	s_and_saveexec_b32 s10, vcc_lo
	s_cbranch_execz .LBB17_333
; %bb.332:                              ;   in Loop: Header=BB17_331 Depth=2
	global_load_u8 v4, v2, s[30:31]
.LBB17_333:                             ;   in Loop: Header=BB17_331 Depth=2
	s_or_b32 exec_lo, exec_lo, s10
	s_and_saveexec_b32 s10, vcc_lo
	s_cbranch_execz .LBB17_330
; %bb.334:                              ;   in Loop: Header=BB17_331 Depth=2
	s_waitcnt vmcnt(0)
	v_bfe_i32 v25, v4, 0, 8
	s_delay_alu instid0(VALU_DEP_1) | instskip(NEXT) | instid1(VALU_DEP_1)
	v_add_nc_u32_e32 v25, 0x80, v25
	v_and_b32_e32 v25, v25, v23
	s_delay_alu instid0(VALU_DEP_1)
	v_cmp_eq_u32_e32 vcc_lo, v25, v24
	s_and_b32 exec_lo, exec_lo, vcc_lo
	s_cbranch_execz .LBB17_330
; %bb.335:                              ;   in Loop: Header=BB17_331 Depth=2
	v_lshlrev_b16 v4, 8, v4
	s_delay_alu instid0(VALU_DEP_1)
	v_or_b32_e32 v4, 1, v4
	ds_store_b16 v22, v4 offset:3072
	s_branch .LBB17_330
.LBB17_336:                             ;   in Loop: Header=BB17_6 Depth=1
	s_set_inst_prefetch_distance 0x2
	s_or_b32 exec_lo, exec_lo, s29
	v_lshrrev_b16 v25, 8, v4
	s_and_b32 s10, s75, exec_lo
.LBB17_337:                             ;   in Loop: Header=BB17_6 Depth=1
	s_or_b32 exec_lo, exec_lo, s28
	s_mov_b32 s29, 0
	s_mov_b32 s28, -1
	s_mov_b32 s75, 0
.LBB17_338:                             ;   in Loop: Header=BB17_6 Depth=1
	s_or_not1_b32 s10, s10, exec_lo
.LBB17_339:                             ;   in Loop: Header=BB17_6 Depth=1
	s_or_b32 exec_lo, exec_lo, s76
	s_mov_b32 s78, 0
                                        ; implicit-def: $vgpr27
	s_and_saveexec_b32 s76, s10
	s_cbranch_execz .LBB17_392
; %bb.340:                              ;   in Loop: Header=BB17_6 Depth=1
	v_dual_mov_b32 v2, 1 :: v_dual_mov_b32 v27, 1
	s_xor_b32 s78, s77, -1
	s_mov_b32 s77, 0
	s_and_saveexec_b32 s10, s78
	s_cbranch_execz .LBB17_350
; %bb.341:                              ;   in Loop: Header=BB17_6 Depth=1
	s_mov_b32 s78, exec_lo
                                        ; implicit-def: $sgpr79
                                        ; implicit-def: $sgpr77
	v_cmpx_ge_u32_e64 s16, v1
	s_xor_b32 s78, exec_lo, s78
	s_cbranch_execz .LBB17_347
; %bb.342:                              ;   in Loop: Header=BB17_6 Depth=1
	ds_load_b32 v2, v22 offset:4096
	s_waitcnt lgkmcnt(0)
	v_cmp_ne_u32_e32 vcc_lo, 0, v2
	s_cbranch_vccnz .LBB17_346
; %bb.343:                              ;   in Loop: Header=BB17_6 Depth=1
	s_and_saveexec_b32 s77, s5
	s_cbranch_execz .LBB17_345
; %bb.344:                              ;   in Loop: Header=BB17_6 Depth=1
	v_mov_b32_e32 v2, s16
	ds_store_b32 v22, v2 offset:4100
.LBB17_345:                             ;   in Loop: Header=BB17_6 Depth=1
	s_or_b32 exec_lo, exec_lo, s77
	s_waitcnt lgkmcnt(0)
	s_barrier
	buffer_gl0_inv
.LBB17_346:                             ;   in Loop: Header=BB17_6 Depth=1
	s_lshl_b32 s17, 1, s17
	v_or_b32_e32 v23, s13, v23
	v_and_or_b32 v24, v24, s14, s17
	s_mov_b32 s77, 0
	s_mov_b32 s79, 5
.LBB17_347:                             ;   in Loop: Header=BB17_6 Depth=1
	s_or_saveexec_b32 s17, s78
	v_mov_b32_e32 v27, s79
	s_xor_b32 exec_lo, exec_lo, s17
; %bb.348:                              ;   in Loop: Header=BB17_6 Depth=1
	v_subrev_nc_u32_e32 v1, s16, v1
	v_mov_b32_e32 v27, 0
	s_or_b32 s77, s77, exec_lo
; %bb.349:                              ;   in Loop: Header=BB17_6 Depth=1
	s_or_b32 exec_lo, exec_lo, s17
	s_delay_alu instid0(VALU_DEP_2)
	v_mov_b32_e32 v2, v1
	s_and_b32 s77, s77, exec_lo
.LBB17_350:                             ;   in Loop: Header=BB17_6 Depth=1
	s_or_b32 exec_lo, exec_lo, s10
	s_mov_b32 s17, -1
                                        ; implicit-def: $sgpr10
                                        ; implicit-def: $sgpr78
                                        ; implicit-def: $sgpr79
	s_and_saveexec_b32 s16, s77
	s_cbranch_execz .LBB17_391
; %bb.351:                              ;   in Loop: Header=BB17_6 Depth=1
	v_cmp_eq_u32_e32 vcc_lo, 1, v2
	s_cmp_eq_u32 s12, 1
	s_mov_b32 s80, -1
	s_cselect_b32 s10, -1, 0
                                        ; implicit-def: $sgpr78
                                        ; implicit-def: $sgpr79
	s_delay_alu instid0(SALU_CYCLE_1) | instskip(NEXT) | instid1(SALU_CYCLE_1)
	s_and_b32 s17, s10, vcc_lo
                                        ; implicit-def: $sgpr10
	s_and_saveexec_b32 s77, s17
	s_cbranch_execz .LBB17_378
; %bb.352:                              ;   in Loop: Header=BB17_6 Depth=1
	ds_load_b32 v1, v22 offset:4096
	s_waitcnt lgkmcnt(0)
	s_barrier
	buffer_gl0_inv
	v_readfirstlane_b32 s78, v1
	s_and_saveexec_b32 s10, s6
	s_cbranch_execz .LBB17_354
; %bb.353:                              ;   in Loop: Header=BB17_6 Depth=1
	ds_store_b8 v0, v15 offset:3072
.LBB17_354:                             ;   in Loop: Header=BB17_6 Depth=1
	s_or_b32 exec_lo, exec_lo, s10
	v_and_b32_e32 v24, s14, v24
	v_or_b32_e32 v23, s13, v23
	s_cmp_eq_u32 s78, 0
	s_waitcnt lgkmcnt(0)
	s_barrier
	buffer_gl0_inv
	s_cbranch_scc1 .LBB17_363
; %bb.355:                              ;   in Loop: Header=BB17_6 Depth=1
	s_add_i32 s10, s78, s53
                                        ; implicit-def: $vgpr25
	s_delay_alu instid0(SALU_CYCLE_1) | instskip(NEXT) | instid1(SALU_CYCLE_1)
	s_mul_hi_u32 s79, s10, s59
	s_mul_i32 s79, s79, s33
	s_delay_alu instid0(SALU_CYCLE_1) | instskip(NEXT) | instid1(SALU_CYCLE_1)
	s_sub_i32 s79, s10, s79
	s_sub_i32 s80, s79, s33
	s_cmp_ge_u32 s79, s33
	s_cselect_b32 s79, s80, s79
	s_delay_alu instid0(SALU_CYCLE_1)
	s_sub_i32 s80, s79, s33
	s_cmp_ge_u32 s79, s33
	s_cselect_b32 s79, s80, s79
	s_mov_b32 s80, 0
	s_sub_i32 s81, s10, s79
	s_mov_b32 s79, exec_lo
	v_cmpx_gt_u32_e64 s81, v0
	s_cbranch_execz .LBB17_365
; %bb.356:                              ;   in Loop: Header=BB17_6 Depth=1
	v_mov_b32_e32 v1, v0
                                        ; implicit-def: $sgpr82
	s_set_inst_prefetch_distance 0x1
	s_branch .LBB17_358
	.p2align	6
.LBB17_357:                             ;   in Loop: Header=BB17_358 Depth=2
	s_or_b32 exec_lo, exec_lo, s10
	s_waitcnt lgkmcnt(0)
	s_barrier
	buffer_gl0_inv
	ds_load_u16 v3, v22 offset:3072
	v_add_nc_u32_e32 v1, s33, v1
	s_waitcnt lgkmcnt(0)
	s_barrier
	buffer_gl0_inv
	v_cmp_le_u32_e32 vcc_lo, s81, v1
	v_and_b32_e32 v4, 0xff, v3
	s_delay_alu instid0(VALU_DEP_1) | instskip(NEXT) | instid1(VALU_DEP_1)
	v_cmp_ne_u16_e64 s10, 0, v4
	s_or_b32 s83, vcc_lo, s10
	s_delay_alu instid0(SALU_CYCLE_1) | instskip(NEXT) | instid1(SALU_CYCLE_1)
	s_and_b32 s83, exec_lo, s83
	s_or_b32 s80, s83, s80
	s_and_not1_b32 s82, s82, exec_lo
	s_and_b32 s10, s10, exec_lo
	s_delay_alu instid0(SALU_CYCLE_1)
	s_or_b32 s82, s82, s10
	s_and_not1_b32 exec_lo, exec_lo, s80
	s_cbranch_execz .LBB17_364
.LBB17_358:                             ;   Parent Loop BB17_6 Depth=1
                                        ; =>  This Inner Loop Header: Depth=2
	s_delay_alu instid0(VALU_DEP_1)
	v_cmp_gt_u32_e32 vcc_lo, s78, v1
	v_mov_b32_e32 v3, 0
	s_and_saveexec_b32 s10, vcc_lo
	s_cbranch_execz .LBB17_360
; %bb.359:                              ;   in Loop: Header=BB17_358 Depth=2
	ds_load_u8 v3, v1
.LBB17_360:                             ;   in Loop: Header=BB17_358 Depth=2
	s_or_b32 exec_lo, exec_lo, s10
	s_and_saveexec_b32 s10, vcc_lo
	s_cbranch_execz .LBB17_357
; %bb.361:                              ;   in Loop: Header=BB17_358 Depth=2
	s_waitcnt lgkmcnt(0)
	v_bfe_i32 v4, v3, 0, 8
	s_delay_alu instid0(VALU_DEP_1) | instskip(NEXT) | instid1(VALU_DEP_1)
	v_add_nc_u32_e32 v4, 0x80, v4
	v_and_b32_e32 v4, v4, v23
	s_delay_alu instid0(VALU_DEP_1)
	v_cmp_eq_u32_e32 vcc_lo, v4, v24
	s_and_b32 exec_lo, exec_lo, vcc_lo
	s_cbranch_execz .LBB17_357
; %bb.362:                              ;   in Loop: Header=BB17_358 Depth=2
	v_lshlrev_b16 v3, 8, v3
	s_delay_alu instid0(VALU_DEP_1)
	v_or_b32_e32 v3, 1, v3
	ds_store_b16 v22, v3 offset:3072
	s_branch .LBB17_357
.LBB17_363:                             ;   in Loop: Header=BB17_6 Depth=1
	s_mov_b32 s10, -1
	s_mov_b32 s80, 0
                                        ; implicit-def: $sgpr78
                                        ; implicit-def: $vgpr25
	s_branch .LBB17_366
.LBB17_364:                             ;   in Loop: Header=BB17_6 Depth=1
	s_set_inst_prefetch_distance 0x2
	s_or_b32 exec_lo, exec_lo, s80
	v_lshrrev_b16 v25, 8, v3
	s_and_b32 s80, s82, exec_lo
.LBB17_365:                             ;   in Loop: Header=BB17_6 Depth=1
	s_or_b32 exec_lo, exec_lo, s79
	s_mov_b32 s10, 0
	s_mov_b32 s78, -1
.LBB17_366:                             ;   in Loop: Header=BB17_6 Depth=1
	s_and_b32 vcc_lo, exec_lo, s10
	s_mov_b32 s79, s10
	s_cbranch_vccz .LBB17_377
; %bb.367:                              ;   in Loop: Header=BB17_6 Depth=1
	s_mov_b32 s80, 0
                                        ; implicit-def: $vgpr25
	s_and_saveexec_b32 s78, s9
	s_cbranch_execz .LBB17_376
; %bb.368:                              ;   in Loop: Header=BB17_6 Depth=1
	v_mov_b32_e32 v1, v14
	v_mov_b32_e32 v3, v0
	s_mov_b32 s79, 0
                                        ; implicit-def: $sgpr80
	s_set_inst_prefetch_distance 0x1
	s_branch .LBB17_370
	.p2align	6
.LBB17_369:                             ;   in Loop: Header=BB17_370 Depth=2
	s_or_b32 exec_lo, exec_lo, s10
	s_waitcnt vmcnt(0) lgkmcnt(0)
	s_barrier
	buffer_gl0_inv
	ds_load_u16 v4, v22 offset:3072
	v_add_nc_u32_e32 v3, s33, v3
	v_add_nc_u32_e32 v1, s35, v1
	s_waitcnt lgkmcnt(0)
	s_barrier
	buffer_gl0_inv
	v_cmp_le_u32_e32 vcc_lo, s61, v3
	v_and_b32_e32 v25, 0xff, v4
	s_delay_alu instid0(VALU_DEP_1) | instskip(NEXT) | instid1(VALU_DEP_1)
	v_cmp_ne_u16_e64 s10, 0, v25
	s_or_b32 s81, vcc_lo, s10
	s_delay_alu instid0(SALU_CYCLE_1) | instskip(NEXT) | instid1(SALU_CYCLE_1)
	s_and_b32 s81, exec_lo, s81
	s_or_b32 s79, s81, s79
	s_and_not1_b32 s80, s80, exec_lo
	s_and_b32 s10, s10, exec_lo
	s_delay_alu instid0(SALU_CYCLE_1)
	s_or_b32 s80, s80, s10
	s_and_not1_b32 exec_lo, exec_lo, s79
	s_cbranch_execz .LBB17_375
.LBB17_370:                             ;   Parent Loop BB17_6 Depth=1
                                        ; =>  This Inner Loop Header: Depth=2
	s_delay_alu instid0(VALU_DEP_1)
	v_cmp_gt_u32_e32 vcc_lo, s36, v3
	v_mov_b32_e32 v4, 0
	s_and_saveexec_b32 s10, vcc_lo
	s_cbranch_execz .LBB17_372
; %bb.371:                              ;   in Loop: Header=BB17_370 Depth=2
	global_load_u8 v4, v1, s[30:31]
.LBB17_372:                             ;   in Loop: Header=BB17_370 Depth=2
	s_or_b32 exec_lo, exec_lo, s10
	s_and_saveexec_b32 s10, vcc_lo
	s_cbranch_execz .LBB17_369
; %bb.373:                              ;   in Loop: Header=BB17_370 Depth=2
	s_waitcnt vmcnt(0)
	v_bfe_i32 v25, v4, 0, 8
	s_delay_alu instid0(VALU_DEP_1) | instskip(NEXT) | instid1(VALU_DEP_1)
	v_add_nc_u32_e32 v25, 0x80, v25
	v_and_b32_e32 v25, v25, v23
	s_delay_alu instid0(VALU_DEP_1)
	v_cmp_eq_u32_e32 vcc_lo, v25, v24
	s_and_b32 exec_lo, exec_lo, vcc_lo
	s_cbranch_execz .LBB17_369
; %bb.374:                              ;   in Loop: Header=BB17_370 Depth=2
	v_lshlrev_b16 v4, 8, v4
	s_delay_alu instid0(VALU_DEP_1)
	v_or_b32_e32 v4, 1, v4
	ds_store_b16 v22, v4 offset:3072
	s_branch .LBB17_369
.LBB17_375:                             ;   in Loop: Header=BB17_6 Depth=1
	s_set_inst_prefetch_distance 0x2
	s_or_b32 exec_lo, exec_lo, s79
	v_lshrrev_b16 v25, 8, v4
	s_and_b32 s80, s80, exec_lo
.LBB17_376:                             ;   in Loop: Header=BB17_6 Depth=1
	s_or_b32 exec_lo, exec_lo, s78
	s_mov_b32 s78, 0
	s_mov_b32 s10, -1
	s_mov_b32 s79, 0
.LBB17_377:                             ;   in Loop: Header=BB17_6 Depth=1
	s_or_not1_b32 s80, s80, exec_lo
.LBB17_378:                             ;   in Loop: Header=BB17_6 Depth=1
	s_or_b32 exec_lo, exec_lo, s77
	s_mov_b32 s81, 0
                                        ; implicit-def: $vgpr27
                                        ; implicit-def: $vgpr1
	s_and_saveexec_b32 s77, s80
	s_cbranch_execz .LBB17_390
; %bb.379:                              ;   in Loop: Header=BB17_6 Depth=1
	v_mov_b32_e32 v27, 1
	v_mov_b32_e32 v1, 1
	s_xor_b32 s80, s17, -1
	s_delay_alu instid0(SALU_CYCLE_1)
	s_and_saveexec_b32 s17, s80
	s_cbranch_execz .LBB17_389
; %bb.380:                              ;   in Loop: Header=BB17_6 Depth=1
	s_mov_b32 s80, exec_lo
                                        ; implicit-def: $sgpr81
	v_cmpx_ge_u32_e64 s12, v2
	s_xor_b32 s80, exec_lo, s80
	s_cbranch_execz .LBB17_386
; %bb.381:                              ;   in Loop: Header=BB17_6 Depth=1
	ds_load_b32 v1, v22 offset:4096
	s_waitcnt lgkmcnt(0)
	v_cmp_ne_u32_e32 vcc_lo, 0, v1
	s_cbranch_vccnz .LBB17_385
; %bb.382:                              ;   in Loop: Header=BB17_6 Depth=1
	s_and_saveexec_b32 s81, s5
	s_cbranch_execz .LBB17_384
; %bb.383:                              ;   in Loop: Header=BB17_6 Depth=1
	v_mov_b32_e32 v1, s12
	ds_store_b32 v22, v1 offset:4100
.LBB17_384:                             ;   in Loop: Header=BB17_6 Depth=1
	s_or_b32 exec_lo, exec_lo, s81
	s_waitcnt lgkmcnt(0)
	s_barrier
	buffer_gl0_inv
.LBB17_385:                             ;   in Loop: Header=BB17_6 Depth=1
	v_and_b32_e32 v24, s14, v24
	v_or_b32_e32 v23, s13, v23
	s_mov_b32 s81, 5
.LBB17_386:                             ;   in Loop: Header=BB17_6 Depth=1
	s_or_saveexec_b32 s13, s80
	v_mov_b32_e32 v27, s81
	s_xor_b32 exec_lo, exec_lo, s13
; %bb.387:                              ;   in Loop: Header=BB17_6 Depth=1
	v_subrev_nc_u32_e32 v2, s12, v2
	v_mov_b32_e32 v27, 5
; %bb.388:                              ;   in Loop: Header=BB17_6 Depth=1
	s_or_b32 exec_lo, exec_lo, s13
	s_delay_alu instid0(VALU_DEP_2)
	v_mov_b32_e32 v1, v2
.LBB17_389:                             ;   in Loop: Header=BB17_6 Depth=1
	s_or_b32 exec_lo, exec_lo, s17
	s_delay_alu instid0(SALU_CYCLE_1)
	s_mov_b32 s81, exec_lo
.LBB17_390:                             ;   in Loop: Header=BB17_6 Depth=1
	s_or_b32 exec_lo, exec_lo, s77
	s_delay_alu instid0(VALU_DEP_1)
	v_mov_b32_e32 v2, v1
	s_or_not1_b32 s17, s81, exec_lo
.LBB17_391:                             ;   in Loop: Header=BB17_6 Depth=1
	s_or_b32 exec_lo, exec_lo, s16
	s_delay_alu instid0(SALU_CYCLE_1)
	s_and_not1_b32 s12, s28, exec_lo
	s_and_b32 s10, s10, exec_lo
	s_and_not1_b32 s13, s75, exec_lo
	s_or_b32 s28, s12, s10
	s_and_not1_b32 s10, s29, exec_lo
	s_and_b32 s12, s78, exec_lo
	s_and_b32 s14, s79, exec_lo
	v_mov_b32_e32 v1, v2
	s_or_b32 s29, s10, s12
	s_or_b32 s75, s13, s14
	s_and_b32 s78, s17, exec_lo
.LBB17_392:                             ;   in Loop: Header=BB17_6 Depth=1
	s_or_b32 exec_lo, exec_lo, s76
	s_delay_alu instid0(SALU_CYCLE_1)
	s_and_b32 s76, s28, exec_lo
	s_and_b32 s29, s29, exec_lo
	;; [unrolled: 1-line block ×3, first 2 shown]
	s_or_not1_b32 s10, s78, exec_lo
.LBB17_393:                             ;   in Loop: Header=BB17_6 Depth=1
	s_or_b32 exec_lo, exec_lo, s18
	s_delay_alu instid0(SALU_CYCLE_1)
	s_and_not1_b32 s12, s22, exec_lo
	s_and_b32 s13, s76, exec_lo
	s_and_not1_b32 s14, s26, exec_lo
	s_or_b32 s22, s12, s13
	s_and_not1_b32 s12, s25, exec_lo
	s_and_b32 s13, s29, exec_lo
	s_and_b32 s16, s28, exec_lo
	v_mov_b32_e32 v4, v1
	s_or_b32 s25, s12, s13
	s_or_b32 s26, s14, s16
	s_and_b32 s29, s10, exec_lo
.LBB17_394:                             ;   in Loop: Header=BB17_6 Depth=1
	s_or_b32 exec_lo, exec_lo, s27
	s_delay_alu instid0(SALU_CYCLE_1)
	s_and_b32 s27, s22, exec_lo
	s_and_b32 s25, s25, exec_lo
	s_and_b32 s22, s26, exec_lo
	s_or_not1_b32 s26, s29, exec_lo
.LBB17_395:                             ;   in Loop: Header=BB17_6 Depth=1
	s_or_b32 exec_lo, exec_lo, s19
	s_mov_b32 s10, s20
	s_mov_b32 s12, s11
	s_and_saveexec_b32 s13, s26
; %bb.396:                              ;   in Loop: Header=BB17_6 Depth=1
	v_cmp_eq_u32_e32 vcc_lo, 5, v27
	v_cmp_ne_u32_e64 s10, 5, v27
	s_and_not1_b32 s12, s11, exec_lo
	s_and_not1_b32 s14, s20, exec_lo
	;; [unrolled: 1-line block ×3, first 2 shown]
	s_and_b32 s16, vcc_lo, exec_lo
	s_and_b32 s10, s10, exec_lo
	s_and_not1_b32 s25, s25, exec_lo
	s_and_not1_b32 s22, s22, exec_lo
	s_or_b32 s12, s12, s10
	s_or_b32 s10, s14, s16
; %bb.397:                              ;   in Loop: Header=BB17_6 Depth=1
	s_or_b32 exec_lo, exec_lo, s13
	s_delay_alu instid0(SALU_CYCLE_1)
	s_and_not1_b32 s13, s23, exec_lo
	s_and_b32 s14, s27, exec_lo
	v_dual_mov_b32 v1, v24 :: v_dual_mov_b32 v2, v23
	s_or_b32 s23, s13, s14
	s_and_not1_b32 s13, s24, exec_lo
	s_and_b32 s14, s25, exec_lo
	v_mov_b32_e32 v3, v25
	s_and_not1_b32 s15, s15, exec_lo
	s_and_b32 s16, s22, exec_lo
	s_or_b32 s24, s13, s14
	s_and_not1_b32 s11, s11, exec_lo
	s_and_b32 s12, s12, exec_lo
	s_and_not1_b32 s13, s20, exec_lo
	s_and_b32 s10, s10, exec_lo
	s_or_b32 s15, s15, s16
	s_or_b32 s11, s11, s12
	;; [unrolled: 1-line block ×3, first 2 shown]
.LBB17_398:                             ;   in Loop: Header=BB17_6 Depth=1
	s_or_b32 exec_lo, exec_lo, s21
	s_mov_b32 s22, s15
	s_mov_b32 s21, s15
	s_and_saveexec_b32 s10, s20
.LBB17_399:                             ;   in Loop: Header=BB17_6 Depth=1
	v_mov_b32_e32 v27, 0
	s_and_not1_b32 s15, s15, exec_lo
	s_and_not1_b32 s23, s23, exec_lo
	;; [unrolled: 1-line block ×5, first 2 shown]
	s_or_b32 s11, s11, exec_lo
.LBB17_400:                             ;   in Loop: Header=BB17_6 Depth=1
	s_or_b32 exec_lo, exec_lo, s10
	s_delay_alu instid0(SALU_CYCLE_1)
	s_and_not1_b32 s10, s74, exec_lo
	s_and_b32 s13, s15, exec_lo
	s_and_not1_b32 s14, s71, exec_lo
	s_or_b32 s74, s10, s13
	s_and_not1_b32 s10, s73, exec_lo
	s_and_b32 s13, s23, exec_lo
	s_and_b32 s15, s24, exec_lo
	s_or_b32 s73, s10, s13
	s_or_b32 s71, s14, s15
	s_and_not1_b32 s10, s72, exec_lo
	s_and_b32 s13, s22, exec_lo
	s_and_not1_b32 s14, s70, exec_lo
	s_and_b32 s15, s21, exec_lo
	s_mov_b32 s12, -1
	s_or_b32 s72, s10, s13
	s_or_b32 s70, s14, s15
                                        ; implicit-def: $vgpr23
                                        ; implicit-def: $vgpr24
                                        ; implicit-def: $vgpr26
                                        ; implicit-def: $vgpr25
	s_and_saveexec_b32 s10, s11
	s_delay_alu instid0(SALU_CYCLE_1)
	s_xor_b32 s10, exec_lo, s10
	s_cbranch_execz .LBB17_5
; %bb.401:                              ;   in Loop: Header=BB17_6 Depth=1
	s_mov_b32 s11, -1
	s_mov_b32 s13, exec_lo
	v_cmpx_eq_u32_e32 0, v27
	s_cbranch_execz .LBB17_4
; %bb.402:                              ;   in Loop: Header=BB17_6 Depth=1
	s_xor_b32 s64, s64, 1
	s_add_i32 s14, s68, -2
	s_cmp_eq_u32 s68, 0
	s_mov_b32 s68, s14
	s_cselect_b32 s11, -1, 0
	s_xor_b32 s12, exec_lo, -1
	s_or_not1_b32 s11, s11, exec_lo
	s_branch .LBB17_4
.LBB17_403:
	s_or_b32 exec_lo, exec_lo, s47
	s_xor_b32 s7, s69, -1
	s_xor_b32 s12, s66, -1
	;; [unrolled: 1-line block ×5, first 2 shown]
	s_mov_b32 s9, 0
	s_and_saveexec_b32 s10, s8
	s_delay_alu instid0(SALU_CYCLE_1)
	s_xor_b32 s8, exec_lo, s10
	s_cbranch_execz .LBB17_460
; %bb.404:
	s_mov_b32 s10, 0
	s_and_saveexec_b32 s9, s11
	s_delay_alu instid0(SALU_CYCLE_1)
	s_xor_b32 s9, exec_lo, s9
	s_cbranch_execz .LBB17_458
; %bb.405:
	;; [unrolled: 6-line block ×4, first 2 shown]
	s_and_saveexec_b32 s7, s6
	s_delay_alu instid0(SALU_CYCLE_1)
	s_xor_b32 s6, exec_lo, s7
; %bb.408:
	v_xor_b32_e32 v3, 0xffffff80, v1
; %bb.409:
	s_or_b32 exec_lo, exec_lo, s6
	s_and_saveexec_b32 s6, s5
	s_cbranch_execz .LBB17_411
; %bb.410:
	v_mov_b32_e32 v1, 0
	ds_store_b32 v1, v1 offset:4108
.LBB17_411:
	s_or_b32 exec_lo, exec_lo, s6
	v_mov_b32_e32 v9, 0
	s_waitcnt lgkmcnt(0)
	s_barrier
	buffer_gl0_inv
	s_and_saveexec_b32 s5, s4
	s_cbranch_execz .LBB17_413
; %bb.412:
	global_load_u8 v9, v[5:6], off
.LBB17_413:
	s_or_b32 exec_lo, exec_lo, s5
	s_clause 0x1
	s_load_b32 s5, s[0:1], 0x1c8
	s_load_b32 s12, s[0:1], 0x2a8
	v_add_nc_u32_e32 v1, s33, v0
	s_add_i32 s13, s36, 31
	s_mul_i32 s46, s46, s44
	s_and_not1_b32 s13, s13, 31
	s_mul_i32 s0, s45, s44
	v_mul_lo_u32 v4, s34, v1
	s_mov_b32 s1, 0
	s_add_u32 s6, s42, s46
	s_addc_u32 s7, s43, 0
	s_lshl_b64 s[14:15], s[0:1], 3
	s_mov_b32 s0, -1
	s_add_u32 s14, s40, s14
	s_addc_u32 s15, s41, s15
	s_mov_b32 s16, 0
	s_mov_b32 s17, exec_lo
	v_cmpx_gt_u32_e64 s13, v0
	s_cbranch_execz .LBB17_429
; %bb.414:
	v_bfe_i32 v8, v3, 0, 8
	v_mul_lo_u32 v7, s34, v1
	v_dual_mov_b32 v2, 0 :: v_dual_mov_b32 v1, v0
                                        ; implicit-def: $sgpr18
                                        ; implicit-def: $vgpr13
	s_delay_alu instid0(VALU_DEP_3)
	v_add_nc_u32_e32 v8, 0x80, v8
	s_branch .LBB17_416
.LBB17_415:                             ;   in Loop: Header=BB17_416 Depth=1
	s_or_b32 exec_lo, exec_lo, s19
	s_xor_b32 s19, s20, -1
	s_and_b32 s0, exec_lo, s0
	v_mov_b32_e32 v9, v12
	s_or_b32 s16, s0, s16
	v_mov_b32_e32 v1, v10
	s_and_not1_b32 s0, s18, exec_lo
	s_and_b32 s18, s19, exec_lo
	s_delay_alu instid0(SALU_CYCLE_1)
	s_or_b32 s18, s0, s18
	s_and_not1_b32 exec_lo, exec_lo, s16
	s_cbranch_execz .LBB17_428
.LBB17_416:                             ; =>This Inner Loop Header: Depth=1
	s_delay_alu instid0(VALU_DEP_2) | instskip(SKIP_2) | instid1(VALU_DEP_2)
	v_add_nc_u32_e32 v10, s33, v1
	v_mov_b32_e32 v12, 0
	s_mov_b32 s0, exec_lo
	v_cmpx_gt_u32_e64 s36, v10
	s_cbranch_execz .LBB17_418
; %bb.417:                              ;   in Loop: Header=BB17_416 Depth=1
	global_load_u8 v12, v7, s[30:31]
.LBB17_418:                             ;   in Loop: Header=BB17_416 Depth=1
	s_or_b32 exec_lo, exec_lo, s0
	s_waitcnt vmcnt(0)
	v_bfe_i32 v14, v9, 0, 8
	s_delay_alu instid0(VALU_DEP_1) | instskip(NEXT) | instid1(VALU_DEP_1)
	v_add_nc_u32_e32 v14, 0x80, v14
	v_cmp_gt_u32_e32 vcc_lo, v14, v8
	v_cndmask_b32_e64 v15, 0, 1, vcc_lo
	v_cmp_lt_u32_e32 vcc_lo, v14, v8
	v_cndmask_b32_e64 v14, 0, 1, vcc_lo
	v_cmp_gt_u32_e32 vcc_lo, s36, v1
	s_delay_alu instid0(VALU_DEP_2) | instskip(NEXT) | instid1(VALU_DEP_1)
	v_cndmask_b32_e64 v14, v14, v15, s3
	v_and_b32_e32 v14, 1, v14
	s_delay_alu instid0(VALU_DEP_1) | instskip(NEXT) | instid1(VALU_DEP_1)
	v_cmp_eq_u32_e64 s0, 1, v14
	s_and_b32 s19, vcc_lo, s0
	s_delay_alu instid0(SALU_CYCLE_1) | instskip(NEXT) | instid1(VALU_DEP_1)
	v_cndmask_b32_e64 v14, 0, 1, s19
	v_cmp_ne_u32_e32 vcc_lo, 0, v14
	s_cmp_lg_u32 vcc_lo, 0
	s_cselect_b32 s0, -1, 0
	s_delay_alu instid0(SALU_CYCLE_1) | instskip(NEXT) | instid1(SALU_CYCLE_1)
	s_and_b32 s0, s2, s0
	s_and_saveexec_b32 s20, s0
	s_cbranch_execz .LBB17_422
; %bb.419:                              ;   in Loop: Header=BB17_416 Depth=1
	s_mov_b32 s23, exec_lo
	s_bcnt1_i32_b32 s21, vcc_lo
	s_waitcnt lgkmcnt(0)
	v_mbcnt_lo_u32_b32 v13, s23, 0
	s_mov_b32 s22, exec_lo
                                        ; implicit-def: $vgpr14
	s_delay_alu instid0(VALU_DEP_1)
	v_cmpx_eq_u32_e32 0, v13
	s_cbranch_execz .LBB17_421
; %bb.420:                              ;   in Loop: Header=BB17_416 Depth=1
	s_bcnt1_i32_b32 s0, s23
	s_delay_alu instid0(SALU_CYCLE_1) | instskip(NEXT) | instid1(SALU_CYCLE_1)
	s_mul_i32 s0, s21, s0
	v_mov_b32_e32 v14, s0
	ds_add_rtn_u32 v14, v2, v14 offset:4108
.LBB17_421:                             ;   in Loop: Header=BB17_416 Depth=1
	s_or_b32 exec_lo, exec_lo, s22
	s_waitcnt lgkmcnt(0)
	v_readfirstlane_b32 s0, v14
	s_delay_alu instid0(VALU_DEP_1)
	v_mad_u32_u24 v13, s21, v13, s0
.LBB17_422:                             ;   in Loop: Header=BB17_416 Depth=1
	s_or_b32 exec_lo, exec_lo, s20
	s_waitcnt lgkmcnt(0)
	ds_bpermute_b32 v13, v2, v13
	s_mov_b32 s0, -1
	s_mov_b32 s22, -1
                                        ; implicit-def: $sgpr20
	s_and_saveexec_b32 s21, s19
	s_cbranch_execz .LBB17_426
; %bb.423:                              ;   in Loop: Header=BB17_416 Depth=1
	v_and_b32_e32 v14, vcc_lo, v11
	s_mov_b32 s19, 0
	s_mov_b32 s20, exec_lo
	s_waitcnt lgkmcnt(0)
	s_delay_alu instid0(VALU_DEP_1) | instskip(NEXT) | instid1(VALU_DEP_1)
	v_bcnt_u32_b32 v14, v14, v13
	v_cmpx_gt_u32_e64 s37, v14
	s_cbranch_execz .LBB17_425
; %bb.424:                              ;   in Loop: Header=BB17_416 Depth=1
	v_mul_lo_u32 v15, v14, s12
	v_mov_b32_e32 v16, v2
	v_mul_lo_u32 v17, v14, s5
	s_mov_b32 s19, exec_lo
	s_delay_alu instid0(VALU_DEP_2) | instskip(NEXT) | instid1(VALU_DEP_1)
	v_lshlrev_b64 v[15:16], 3, v[15:16]
	v_add_co_u32 v14, vcc_lo, s14, v15
	s_delay_alu instid0(VALU_DEP_2)
	v_add_co_ci_u32_e32 v15, vcc_lo, s15, v16, vcc_lo
	global_store_b8 v17, v9, s[6:7]
	global_store_b64 v[14:15], v[1:2], off
.LBB17_425:                             ;   in Loop: Header=BB17_416 Depth=1
	s_or_b32 exec_lo, exec_lo, s20
	s_mov_b32 s20, -1
	s_or_not1_b32 s22, s19, exec_lo
.LBB17_426:                             ;   in Loop: Header=BB17_416 Depth=1
	s_or_b32 exec_lo, exec_lo, s21
	s_and_saveexec_b32 s19, s22
	s_cbranch_execz .LBB17_415
; %bb.427:                              ;   in Loop: Header=BB17_416 Depth=1
	v_cmp_le_u32_e32 vcc_lo, s13, v10
	v_add_nc_u32_e32 v7, s35, v7
	s_and_not1_b32 s20, s20, exec_lo
	s_or_not1_b32 s0, vcc_lo, exec_lo
	s_branch .LBB17_415
.LBB17_428:
	s_or_b32 exec_lo, exec_lo, s16
	s_delay_alu instid0(SALU_CYCLE_1)
	s_mov_b32 s16, exec_lo
	s_or_not1_b32 s0, s18, exec_lo
.LBB17_429:
	s_or_b32 exec_lo, exec_lo, s17
	s_and_saveexec_b32 s3, s0
	s_cbranch_execz .LBB17_452
; %bb.430:
	v_mov_b32_e32 v1, 0
	v_mov_b32_e32 v7, 0
	s_waitcnt vmcnt(0) lgkmcnt(0)
	s_waitcnt_vscnt null, 0x0
	s_barrier
	buffer_gl0_inv
	s_and_saveexec_b32 s0, s4
	s_cbranch_execz .LBB17_432
; %bb.431:
	global_load_u8 v7, v[5:6], off
.LBB17_432:
	s_or_b32 exec_lo, exec_lo, s0
	v_and_b32_e32 v2, 0xff, v3
	s_mov_b32 s4, 0
                                        ; implicit-def: $sgpr1
                                        ; implicit-def: $sgpr17
                                        ; implicit-def: $sgpr18
                                        ; implicit-def: $vgpr5
	s_branch .LBB17_435
.LBB17_433:                             ;   in Loop: Header=BB17_435 Depth=1
	s_or_b32 exec_lo, exec_lo, s21
	v_mov_b32_e32 v0, v6
	s_and_not1_b32 s0, s18, exec_lo
	s_and_b32 s18, s23, exec_lo
	s_and_not1_b32 s17, s17, exec_lo
	s_and_b32 s20, s20, exec_lo
	s_or_b32 s18, s0, s18
	s_or_b32 s17, s17, s20
.LBB17_434:                             ;   in Loop: Header=BB17_435 Depth=1
	s_or_b32 exec_lo, exec_lo, s19
	s_xor_b32 s0, s18, -1
	s_and_b32 s19, exec_lo, s17
	s_delay_alu instid0(SALU_CYCLE_1) | instskip(SKIP_2) | instid1(SALU_CYCLE_1)
	s_or_b32 s4, s19, s4
	s_and_not1_b32 s1, s1, exec_lo
	s_and_b32 s0, s0, exec_lo
	s_or_b32 s1, s1, s0
	s_and_not1_b32 exec_lo, exec_lo, s4
	s_cbranch_execz .LBB17_450
.LBB17_435:                             ; =>This Inner Loop Header: Depth=1
	s_or_b32 s18, s18, exec_lo
	s_or_b32 s17, s17, exec_lo
	s_mov_b32 s19, exec_lo
	v_cmpx_gt_u32_e64 s13, v0
	s_cbranch_execz .LBB17_434
; %bb.436:                              ;   in Loop: Header=BB17_435 Depth=1
	v_add_nc_u32_e32 v6, s33, v0
	v_mov_b32_e32 v8, 0
	s_mov_b32 s0, exec_lo
	s_delay_alu instid0(VALU_DEP_2)
	v_cmpx_gt_u32_e64 s36, v6
	s_cbranch_execz .LBB17_438
; %bb.437:                              ;   in Loop: Header=BB17_435 Depth=1
	global_load_u8 v8, v4, s[30:31]
.LBB17_438:                             ;   in Loop: Header=BB17_435 Depth=1
	s_or_b32 exec_lo, exec_lo, s0
	s_waitcnt vmcnt(0)
	v_and_b32_e32 v9, 0xff, v7
	v_cmp_gt_u32_e32 vcc_lo, s36, v0
	s_delay_alu instid0(VALU_DEP_2) | instskip(NEXT) | instid1(VALU_DEP_1)
	v_cmp_eq_u16_e64 s0, v9, v2
	s_and_b32 s21, vcc_lo, s0
	s_delay_alu instid0(SALU_CYCLE_1) | instskip(NEXT) | instid1(VALU_DEP_1)
	v_cndmask_b32_e64 v9, 0, 1, s21
	v_cmp_ne_u32_e32 vcc_lo, 0, v9
	s_cmp_lg_u32 vcc_lo, 0
	s_cselect_b32 s0, -1, 0
	s_delay_alu instid0(SALU_CYCLE_1) | instskip(NEXT) | instid1(SALU_CYCLE_1)
	s_and_b32 s0, s2, s0
	s_and_saveexec_b32 s20, s0
	s_cbranch_execz .LBB17_442
; %bb.439:                              ;   in Loop: Header=BB17_435 Depth=1
	s_mov_b32 s24, exec_lo
	s_bcnt1_i32_b32 s22, vcc_lo
	v_mbcnt_lo_u32_b32 v5, s24, 0
	s_mov_b32 s23, exec_lo
                                        ; implicit-def: $vgpr9
	s_delay_alu instid0(VALU_DEP_1)
	v_cmpx_eq_u32_e32 0, v5
	s_cbranch_execz .LBB17_441
; %bb.440:                              ;   in Loop: Header=BB17_435 Depth=1
	s_bcnt1_i32_b32 s0, s24
	s_delay_alu instid0(SALU_CYCLE_1) | instskip(NEXT) | instid1(SALU_CYCLE_1)
	s_mul_i32 s0, s22, s0
	v_mov_b32_e32 v9, s0
	ds_add_rtn_u32 v9, v1, v9 offset:4108
.LBB17_441:                             ;   in Loop: Header=BB17_435 Depth=1
	s_or_b32 exec_lo, exec_lo, s23
	s_waitcnt lgkmcnt(0)
	v_readfirstlane_b32 s0, v9
	s_delay_alu instid0(VALU_DEP_1)
	v_mad_u32_u24 v5, s22, v5, s0
.LBB17_442:                             ;   in Loop: Header=BB17_435 Depth=1
	s_or_b32 exec_lo, exec_lo, s20
	ds_bpermute_b32 v5, v1, v5
	s_cmp_eq_u32 vcc_lo, 0
	s_mov_b32 s20, -1
	s_cselect_b32 s22, -1, 0
	s_mov_b32 s23, -1
	s_waitcnt lgkmcnt(0)
	v_cmp_gt_u32_e64 s0, s37, v5
	s_delay_alu instid0(VALU_DEP_1) | instskip(SKIP_3) | instid1(SALU_CYCLE_1)
	s_or_b32 s0, s22, s0
	s_mov_b32 s22, -1
	v_cndmask_b32_e64 v7, v7, v8, s0
	s_and_b32 s24, s21, s0
	s_and_saveexec_b32 s21, s24
	s_cbranch_execz .LBB17_448
; %bb.443:                              ;   in Loop: Header=BB17_435 Depth=1
	v_and_b32_e32 v7, vcc_lo, v11
	v_sub_nc_u32_e32 v9, s37, v5
	s_mov_b32 s24, -1
	s_mov_b32 s23, exec_lo
	s_delay_alu instid0(VALU_DEP_2) | instskip(NEXT) | instid1(VALU_DEP_1)
	v_bcnt_u32_b32 v7, v7, 0
	v_cmp_le_u32_e64 s22, v9, v7
	v_cmpx_gt_u32_e64 v9, v7
	s_cbranch_execz .LBB17_447
; %bb.444:                              ;   in Loop: Header=BB17_435 Depth=1
	v_add_nc_u32_e32 v7, v5, v7
	s_delay_alu instid0(VALU_DEP_3) | instskip(SKIP_1) | instid1(VALU_DEP_1)
	s_mov_b32 s25, s22
	s_mov_b32 s24, exec_lo
	v_cmpx_gt_u32_e64 s37, v7
	s_cbranch_execz .LBB17_446
; %bb.445:                              ;   in Loop: Header=BB17_435 Depth=1
	v_mul_lo_u32 v9, v7, s12
	v_mov_b32_e32 v10, v1
	v_mul_lo_u32 v7, v7, s5
	s_or_b32 s25, s22, exec_lo
	s_delay_alu instid0(VALU_DEP_2)
	v_lshlrev_b64 v[9:10], 3, v[9:10]
	global_store_b8 v7, v3, s[6:7]
	v_add_co_u32 v9, vcc_lo, s14, v9
	v_add_co_ci_u32_e32 v10, vcc_lo, s15, v10, vcc_lo
	global_store_b64 v[9:10], v[0:1], off
.LBB17_446:                             ;   in Loop: Header=BB17_435 Depth=1
	s_or_b32 exec_lo, exec_lo, s24
	s_delay_alu instid0(SALU_CYCLE_1)
	s_and_not1_b32 s22, s22, exec_lo
	s_and_b32 s25, s25, exec_lo
	s_xor_b32 s24, exec_lo, -1
	s_or_b32 s22, s22, s25
.LBB17_447:                             ;   in Loop: Header=BB17_435 Depth=1
	s_or_b32 exec_lo, exec_lo, s23
	v_mov_b32_e32 v7, v8
	s_or_not1_b32 s23, s24, exec_lo
	s_or_b32 s0, s0, exec_lo
	s_or_not1_b32 s22, s22, exec_lo
.LBB17_448:                             ;   in Loop: Header=BB17_435 Depth=1
	s_or_b32 exec_lo, exec_lo, s21
	s_and_saveexec_b32 s21, s22
	s_cbranch_execz .LBB17_433
; %bb.449:                              ;   in Loop: Header=BB17_435 Depth=1
	v_add_nc_u32_e32 v4, s35, v4
	s_xor_b32 s0, s0, -1
	s_or_b32 s23, s23, exec_lo
	s_or_not1_b32 s20, s0, exec_lo
	s_branch .LBB17_433
.LBB17_450:
	s_or_b32 exec_lo, exec_lo, s4
	s_mov_b32 s0, 0
	s_and_saveexec_b32 s2, s1
	s_delay_alu instid0(SALU_CYCLE_1)
	s_xor_b32 s1, exec_lo, s2
	s_cbranch_execnz .LBB17_482
.LBB17_451:
	s_or_b32 exec_lo, exec_lo, s1
	s_delay_alu instid0(SALU_CYCLE_1)
	s_and_b32 s1, s0, exec_lo
	s_and_not1_b32 s16, s16, exec_lo
.LBB17_452:
	s_or_b32 exec_lo, exec_lo, s3
	s_and_saveexec_b32 s0, s16
	s_delay_alu instid0(SALU_CYCLE_1)
	s_xor_b32 s0, exec_lo, s0
	s_cbranch_execnz .LBB17_478
.LBB17_453:
	s_or_b32 exec_lo, exec_lo, s0
	s_waitcnt lgkmcnt(0)
	s_and_b32 s12, s1, exec_lo
.LBB17_454:
	s_and_not1_saveexec_b32 s0, s11
	s_cbranch_execnz .LBB17_474
.LBB17_455:
	s_or_b32 exec_lo, exec_lo, s0
	s_delay_alu instid0(SALU_CYCLE_1)
	s_and_b32 s11, s12, exec_lo
.LBB17_456:
	s_and_not1_saveexec_b32 s0, s10
	s_cbranch_execnz .LBB17_470
.LBB17_457:
	s_or_b32 exec_lo, exec_lo, s0
	s_delay_alu instid0(SALU_CYCLE_1)
	s_and_b32 s10, s11, exec_lo
.LBB17_458:
	s_and_not1_saveexec_b32 s0, s9
	s_cbranch_execnz .LBB17_466
.LBB17_459:
	s_or_b32 exec_lo, exec_lo, s0
	s_delay_alu instid0(SALU_CYCLE_1)
	s_and_b32 s9, s10, exec_lo
.LBB17_460:
	s_and_not1_saveexec_b32 s0, s8
	s_cbranch_execnz .LBB17_464
; %bb.461:
	s_or_b32 exec_lo, exec_lo, s0
	s_and_saveexec_b32 s0, s9
.LBB17_462:
	; divergent unreachable
.LBB17_463:
	s_nop 0
	s_sendmsg sendmsg(MSG_DEALLOC_VGPRS)
	s_endpgm
.LBB17_464:
	s_cbranch_execnz .LBB17_468
; %bb.465:
	s_or_b32 s9, s9, exec_lo
	s_or_b32 exec_lo, exec_lo, s0
	s_and_saveexec_b32 s0, s9
	s_cbranch_execnz .LBB17_462
	s_branch .LBB17_463
.LBB17_466:
	s_cbranch_execnz .LBB17_472
; %bb.467:
	s_or_b32 s10, s10, exec_lo
	s_branch .LBB17_459
.LBB17_468:
	s_trap 2
	s_sendmsg_rtn_b32 s0, sendmsg(MSG_RTN_GET_DOORBELL)
	s_mov_b32 ttmp2, m0
	s_waitcnt lgkmcnt(0)
	s_and_b32 s0, s0, 0x3ff
	s_delay_alu instid0(SALU_CYCLE_1) | instskip(NEXT) | instid1(SALU_CYCLE_1)
	s_bitset1_b32 s0, 10
	s_mov_b32 m0, s0
	s_sendmsg sendmsg(MSG_INTERRUPT)
	s_mov_b32 m0, ttmp2
.LBB17_469:                             ; =>This Inner Loop Header: Depth=1
	s_sethalt 5
	s_branch .LBB17_469
.LBB17_470:
	s_cbranch_execnz .LBB17_476
; %bb.471:
	s_or_b32 s11, s11, exec_lo
	s_branch .LBB17_457
.LBB17_472:
	s_trap 2
	s_sendmsg_rtn_b32 s0, sendmsg(MSG_RTN_GET_DOORBELL)
	s_mov_b32 ttmp2, m0
	s_waitcnt lgkmcnt(0)
	s_and_b32 s0, s0, 0x3ff
	s_delay_alu instid0(SALU_CYCLE_1) | instskip(NEXT) | instid1(SALU_CYCLE_1)
	s_bitset1_b32 s0, 10
	s_mov_b32 m0, s0
	s_sendmsg sendmsg(MSG_INTERRUPT)
	s_mov_b32 m0, ttmp2
.LBB17_473:                             ; =>This Inner Loop Header: Depth=1
	s_sethalt 5
	s_branch .LBB17_473
.LBB17_474:
	s_cbranch_execnz .LBB17_480
; %bb.475:
	s_or_b32 s12, s12, exec_lo
	s_branch .LBB17_455
.LBB17_476:
	s_trap 2
	s_sendmsg_rtn_b32 s0, sendmsg(MSG_RTN_GET_DOORBELL)
	s_mov_b32 ttmp2, m0
	s_waitcnt lgkmcnt(0)
	s_and_b32 s0, s0, 0x3ff
	s_delay_alu instid0(SALU_CYCLE_1) | instskip(NEXT) | instid1(SALU_CYCLE_1)
	s_bitset1_b32 s0, 10
	s_mov_b32 m0, s0
	s_sendmsg sendmsg(MSG_INTERRUPT)
	s_mov_b32 m0, ttmp2
.LBB17_477:                             ; =>This Inner Loop Header: Depth=1
	s_sethalt 5
	s_branch .LBB17_477
.LBB17_478:
	s_cbranch_execnz .LBB17_484
; %bb.479:
	s_or_b32 s1, s1, exec_lo
	s_branch .LBB17_453
.LBB17_480:
	s_trap 2
	s_sendmsg_rtn_b32 s0, sendmsg(MSG_RTN_GET_DOORBELL)
	s_mov_b32 ttmp2, m0
	s_waitcnt lgkmcnt(0)
	s_and_b32 s0, s0, 0x3ff
	s_delay_alu instid0(SALU_CYCLE_1) | instskip(NEXT) | instid1(SALU_CYCLE_1)
	s_bitset1_b32 s0, 10
	s_mov_b32 m0, s0
	s_sendmsg sendmsg(MSG_INTERRUPT)
	s_mov_b32 m0, ttmp2
.LBB17_481:                             ; =>This Inner Loop Header: Depth=1
	s_sethalt 5
	s_branch .LBB17_481
.LBB17_482:
	s_cbranch_execnz .LBB17_486
; %bb.483:
	s_mov_b32 s0, exec_lo
	s_branch .LBB17_451
.LBB17_484:
	s_trap 2
	s_sendmsg_rtn_b32 s0, sendmsg(MSG_RTN_GET_DOORBELL)
	s_mov_b32 ttmp2, m0
	s_waitcnt lgkmcnt(0)
	s_and_b32 s0, s0, 0x3ff
	s_delay_alu instid0(SALU_CYCLE_1) | instskip(NEXT) | instid1(SALU_CYCLE_1)
	s_bitset1_b32 s0, 10
	s_mov_b32 m0, s0
	s_sendmsg sendmsg(MSG_INTERRUPT)
	s_mov_b32 m0, ttmp2
.LBB17_485:                             ; =>This Inner Loop Header: Depth=1
	s_sethalt 5
	s_branch .LBB17_485
.LBB17_486:
	s_trap 2
	s_sendmsg_rtn_b32 s0, sendmsg(MSG_RTN_GET_DOORBELL)
	s_mov_b32 ttmp2, m0
	s_waitcnt lgkmcnt(0)
	s_and_b32 s0, s0, 0x3ff
	s_delay_alu instid0(SALU_CYCLE_1) | instskip(NEXT) | instid1(SALU_CYCLE_1)
	s_bitset1_b32 s0, 10
	s_mov_b32 m0, s0
	s_sendmsg sendmsg(MSG_INTERRUPT)
	s_mov_b32 m0, ttmp2
.LBB17_487:                             ; =>This Inner Loop Header: Depth=1
	s_sethalt 5
	s_branch .LBB17_487
	.section	.rodata,"a",@progbits
	.p2align	6, 0x0
	.amdhsa_kernel _ZN2at6native6sbtopk10gatherTopKIajLi1ELb0EEEvNS_4cuda6detail10TensorInfoIKT_T0_EES8_S8_bS8_S8_NS5_IS6_S8_EES8_NS5_IlS8_EES8_PS6_
		.amdhsa_group_segment_fixed_size 4112
		.amdhsa_private_segment_fixed_size 0
		.amdhsa_kernarg_size 952
		.amdhsa_user_sgpr_count 13
		.amdhsa_user_sgpr_dispatch_ptr 0
		.amdhsa_user_sgpr_queue_ptr 0
		.amdhsa_user_sgpr_kernarg_segment_ptr 1
		.amdhsa_user_sgpr_dispatch_id 0
		.amdhsa_user_sgpr_private_segment_size 0
		.amdhsa_wavefront_size32 1
		.amdhsa_uses_dynamic_stack 0
		.amdhsa_enable_private_segment 0
		.amdhsa_system_sgpr_workgroup_id_x 1
		.amdhsa_system_sgpr_workgroup_id_y 1
		.amdhsa_system_sgpr_workgroup_id_z 1
		.amdhsa_system_sgpr_workgroup_info 0
		.amdhsa_system_vgpr_workitem_id 0
		.amdhsa_next_free_vgpr 40
		.amdhsa_next_free_sgpr 88
		.amdhsa_reserve_vcc 1
		.amdhsa_float_round_mode_32 0
		.amdhsa_float_round_mode_16_64 0
		.amdhsa_float_denorm_mode_32 3
		.amdhsa_float_denorm_mode_16_64 3
		.amdhsa_dx10_clamp 1
		.amdhsa_ieee_mode 1
		.amdhsa_fp16_overflow 0
		.amdhsa_workgroup_processor_mode 1
		.amdhsa_memory_ordered 1
		.amdhsa_forward_progress 0
		.amdhsa_shared_vgpr_count 0
		.amdhsa_exception_fp_ieee_invalid_op 0
		.amdhsa_exception_fp_denorm_src 0
		.amdhsa_exception_fp_ieee_div_zero 0
		.amdhsa_exception_fp_ieee_overflow 0
		.amdhsa_exception_fp_ieee_underflow 0
		.amdhsa_exception_fp_ieee_inexact 0
		.amdhsa_exception_int_div_zero 0
	.end_amdhsa_kernel
	.section	.text._ZN2at6native6sbtopk10gatherTopKIajLi1ELb0EEEvNS_4cuda6detail10TensorInfoIKT_T0_EES8_S8_bS8_S8_NS5_IS6_S8_EES8_NS5_IlS8_EES8_PS6_,"axG",@progbits,_ZN2at6native6sbtopk10gatherTopKIajLi1ELb0EEEvNS_4cuda6detail10TensorInfoIKT_T0_EES8_S8_bS8_S8_NS5_IS6_S8_EES8_NS5_IlS8_EES8_PS6_,comdat
.Lfunc_end17:
	.size	_ZN2at6native6sbtopk10gatherTopKIajLi1ELb0EEEvNS_4cuda6detail10TensorInfoIKT_T0_EES8_S8_bS8_S8_NS5_IS6_S8_EES8_NS5_IlS8_EES8_PS6_, .Lfunc_end17-_ZN2at6native6sbtopk10gatherTopKIajLi1ELb0EEEvNS_4cuda6detail10TensorInfoIKT_T0_EES8_S8_bS8_S8_NS5_IS6_S8_EES8_NS5_IlS8_EES8_PS6_
                                        ; -- End function
	.section	.AMDGPU.csdata,"",@progbits
; Kernel info:
; codeLenInByte = 15252
; NumSgprs: 90
; NumVgprs: 40
; ScratchSize: 0
; MemoryBound: 0
; FloatMode: 240
; IeeeMode: 1
; LDSByteSize: 4112 bytes/workgroup (compile time only)
; SGPRBlocks: 11
; VGPRBlocks: 4
; NumSGPRsForWavesPerEU: 90
; NumVGPRsForWavesPerEU: 40
; Occupancy: 16
; WaveLimiterHint : 1
; COMPUTE_PGM_RSRC2:SCRATCH_EN: 0
; COMPUTE_PGM_RSRC2:USER_SGPR: 13
; COMPUTE_PGM_RSRC2:TRAP_HANDLER: 0
; COMPUTE_PGM_RSRC2:TGID_X_EN: 1
; COMPUTE_PGM_RSRC2:TGID_Y_EN: 1
; COMPUTE_PGM_RSRC2:TGID_Z_EN: 1
; COMPUTE_PGM_RSRC2:TIDIG_COMP_CNT: 0
	.section	.text._ZN2at6native6mbtopk23computeBlockDigitCountsIajjLi2EEEvNS_4cuda6detail10TensorInfoIKT_T0_EEjPjjS8_iijT1_PSB_Ps,"axG",@progbits,_ZN2at6native6mbtopk23computeBlockDigitCountsIajjLi2EEEvNS_4cuda6detail10TensorInfoIKT_T0_EEjPjjS8_iijT1_PSB_Ps,comdat
	.protected	_ZN2at6native6mbtopk23computeBlockDigitCountsIajjLi2EEEvNS_4cuda6detail10TensorInfoIKT_T0_EEjPjjS8_iijT1_PSB_Ps ; -- Begin function _ZN2at6native6mbtopk23computeBlockDigitCountsIajjLi2EEEvNS_4cuda6detail10TensorInfoIKT_T0_EEjPjjS8_iijT1_PSB_Ps
	.globl	_ZN2at6native6mbtopk23computeBlockDigitCountsIajjLi2EEEvNS_4cuda6detail10TensorInfoIKT_T0_EEjPjjS8_iijT1_PSB_Ps
	.p2align	8
	.type	_ZN2at6native6mbtopk23computeBlockDigitCountsIajjLi2EEEvNS_4cuda6detail10TensorInfoIKT_T0_EEjPjjS8_iijT1_PSB_Ps,@function
_ZN2at6native6mbtopk23computeBlockDigitCountsIajjLi2EEEvNS_4cuda6detail10TensorInfoIKT_T0_EEjPjjS8_iijT1_PSB_Ps: ; @_ZN2at6native6mbtopk23computeBlockDigitCountsIajjLi2EEEvNS_4cuda6detail10TensorInfoIKT_T0_EEjPjjS8_iijT1_PSB_Ps
; %bb.0:
	s_clause 0x2
	s_load_b64 s[2:3], s[0:1], 0xf8
	s_load_b128 s[8:11], s[0:1], 0xe8
	s_load_b64 s[4:5], s[0:1], 0x110
	s_waitcnt lgkmcnt(0)
	v_cvt_f32_u32_e32 v1, s2
	s_sub_i32 s7, 0, s2
	s_mul_i32 s5, s5, s15
	s_delay_alu instid0(SALU_CYCLE_1) | instskip(NEXT) | instid1(VALU_DEP_1)
	s_add_i32 s5, s5, s14
	v_rcp_iflag_f32_e32 v1, v1
	s_mul_i32 s14, s5, s4
	s_delay_alu instid0(SALU_CYCLE_1) | instskip(SKIP_3) | instid1(VALU_DEP_1)
	s_add_i32 s14, s14, s13
	s_mov_b32 s13, 0
	s_waitcnt_depctr 0xfff
	v_mul_f32_e32 v1, 0x4f7ffffe, v1
	v_cvt_u32_f32_e32 v1, v1
	s_delay_alu instid0(VALU_DEP_1) | instskip(NEXT) | instid1(VALU_DEP_1)
	v_readfirstlane_b32 s6, v1
	s_mul_i32 s7, s7, s6
	s_delay_alu instid0(SALU_CYCLE_1) | instskip(NEXT) | instid1(SALU_CYCLE_1)
	s_mul_hi_u32 s4, s6, s7
	s_add_i32 s6, s6, s4
	s_delay_alu instid0(SALU_CYCLE_1) | instskip(NEXT) | instid1(SALU_CYCLE_1)
	s_mul_hi_u32 s4, s14, s6
	s_mul_i32 s5, s4, s2
	s_add_i32 s6, s4, 1
	s_sub_i32 s5, s14, s5
	s_delay_alu instid0(SALU_CYCLE_1)
	s_sub_i32 s7, s5, s2
	s_cmp_ge_u32 s5, s2
	s_cselect_b32 s4, s6, s4
	s_cselect_b32 s5, s7, s5
	s_add_i32 s6, s4, 1
	s_cmp_ge_u32 s5, s2
	s_cselect_b32 s12, s6, s4
	s_delay_alu instid0(SALU_CYCLE_1)
	s_cmp_ge_u32 s12, s8
	s_cbranch_scc1 .LBB18_29
; %bb.1:
	s_clause 0x1
	s_load_b32 s16, s[0:1], 0xc
	s_load_b128 s[4:7], s[0:1], 0x100
	s_lshl_b64 s[18:19], s[12:13], 2
	v_cmp_gt_u32_e32 vcc_lo, 0x100, v0
	s_waitcnt lgkmcnt(0)
	v_cvt_f32_u32_e32 v1, s16
	s_add_u32 s4, s4, s18
	s_addc_u32 s5, s5, s19
	s_delay_alu instid0(VALU_DEP_1) | instskip(SKIP_2) | instid1(VALU_DEP_1)
	v_rcp_iflag_f32_e32 v1, v1
	s_waitcnt_depctr 0xfff
	v_mul_f32_e32 v1, 0x4f7ffffe, v1
	v_cvt_u32_f32_e32 v1, v1
	s_delay_alu instid0(VALU_DEP_1)
	v_readfirstlane_b32 s17, v1
	v_lshlrev_b32_e32 v1, 2, v0
	s_and_saveexec_b32 s8, vcc_lo
	s_cbranch_execz .LBB18_3
; %bb.2:
	v_mov_b32_e32 v2, 0
	ds_store_b32 v1, v2
.LBB18_3:
	s_or_b32 exec_lo, exec_lo, s8
	s_load_b32 s8, s[0:1], 0xd8
	s_mul_i32 s13, s12, s2
	s_waitcnt lgkmcnt(0)
	s_sub_i32 s15, s14, s13
	s_barrier
	s_mul_i32 s13, s11, s15
	s_add_i32 s15, s15, 1
	s_lshl_b32 s13, s13, 8
	buffer_gl0_inv
	s_sub_i32 s18, s8, s13
	s_delay_alu instid0(SALU_CYCLE_1) | instskip(SKIP_4) | instid1(VALU_DEP_1)
	s_add_u32 s18, s18, 0xff
	s_addc_u32 s19, 0, 0
	s_cmp_lt_u32 s15, s2
	v_alignbit_b32 v2, s19, s18, 8
	s_mov_b32 s15, 0
	v_readfirstlane_b32 s18, v2
	s_delay_alu instid0(VALU_DEP_1) | instskip(NEXT) | instid1(SALU_CYCLE_1)
	s_cselect_b32 s11, s11, s18
	s_cmp_lt_i32 s11, 1
	s_cbranch_scc1 .LBB18_25
; %bb.4:
	s_sub_i32 s2, 0, s16
	s_clause 0x1
	s_load_b64 s[18:19], s[0:1], 0x6c
	s_load_b64 s[20:21], s[0:1], 0x0
	s_mul_i32 s2, s2, s17
	s_load_b32 s1, s[4:5], 0x0
	s_mul_hi_u32 s2, s17, s2
	s_delay_alu instid0(SALU_CYCLE_1) | instskip(NEXT) | instid1(SALU_CYCLE_1)
	s_add_i32 s17, s17, s2
	s_mul_hi_u32 s2, s12, s17
	s_delay_alu instid0(SALU_CYCLE_1) | instskip(NEXT) | instid1(SALU_CYCLE_1)
	s_mul_i32 s17, s2, s16
	s_sub_i32 s0, s12, s17
	s_add_i32 s17, s2, 1
	s_sub_i32 s22, s0, s16
	s_cmp_ge_u32 s0, s16
	s_cselect_b32 s2, s17, s2
	s_cselect_b32 s0, s22, s0
	s_add_i32 s4, s2, 1
	s_cmp_ge_u32 s0, s16
	s_cselect_b32 s0, s4, s2
	s_delay_alu instid0(SALU_CYCLE_1) | instskip(SKIP_3) | instid1(SALU_CYCLE_1)
	s_mul_i32 s2, s0, s16
	s_waitcnt lgkmcnt(0)
	s_mul_i32 s0, s0, s18
	s_sub_i32 s2, s12, s2
	s_mul_i32 s2, s2, s19
	s_delay_alu instid0(SALU_CYCLE_1) | instskip(NEXT) | instid1(SALU_CYCLE_1)
	s_add_i32 s0, s0, s2
	s_add_u32 s4, s20, s0
	s_addc_u32 s5, s21, 0
	s_and_b32 s2, s10, 0xff
	s_cmp_lt_u32 s11, 4
	s_cbranch_scc1 .LBB18_19
; %bb.5:
	v_dual_mov_b32 v7, 1 :: v_dual_add_nc_u32 v6, s13, v0
	s_and_b32 s15, s11, 0x7ffffffc
	s_lshl_b32 s10, s9, 10
	s_mov_b32 s12, 0
	s_delay_alu instid0(VALU_DEP_1)
	v_add_nc_u32_e32 v2, 0x300, v6
	v_add_nc_u32_e32 v4, 0x200, v6
	;; [unrolled: 1-line block ×3, first 2 shown]
	v_mul_lo_u32 v6, s9, v6
	s_mov_b32 s16, 0
	v_mul_lo_u32 v3, s9, v2
	v_mul_lo_u32 v4, s9, v4
	;; [unrolled: 1-line block ×3, first 2 shown]
	s_branch .LBB18_7
.LBB18_6:                               ;   in Loop: Header=BB18_7 Depth=1
	s_or_b32 exec_lo, exec_lo, s17
	v_add_nc_u32_e32 v2, 0x400, v2
	s_add_i32 s16, s16, 4
	s_add_i32 s12, s12, s10
	s_cmp_eq_u32 s15, s16
	s_cbranch_scc1 .LBB18_19
.LBB18_7:                               ; =>This Inner Loop Header: Depth=1
	v_add_nc_u32_e32 v8, 0xfffffd00, v2
	s_mov_b32 s17, exec_lo
	s_delay_alu instid0(VALU_DEP_1)
	v_cmpx_gt_u32_e64 s8, v8
	s_cbranch_execz .LBB18_10
; %bb.8:                                ;   in Loop: Header=BB18_7 Depth=1
	v_add_nc_u32_e32 v8, s12, v6
	global_load_i8 v8, v8, s[4:5]
	s_waitcnt vmcnt(0)
	v_add_nc_u32_e32 v8, 0x80, v8
	s_delay_alu instid0(VALU_DEP_1) | instskip(NEXT) | instid1(VALU_DEP_1)
	v_xor_b32_e32 v9, s1, v8
	v_and_b32_e32 v9, s3, v9
	s_delay_alu instid0(VALU_DEP_1) | instskip(NEXT) | instid1(VALU_DEP_1)
	v_cmp_eq_u32_e64 s0, 0, v9
	s_and_b32 exec_lo, exec_lo, s0
	s_cbranch_execz .LBB18_10
; %bb.9:                                ;   in Loop: Header=BB18_7 Depth=1
	v_lshrrev_b32_e32 v8, s2, v8
	s_delay_alu instid0(VALU_DEP_1)
	v_lshlrev_b32_e32 v8, 2, v8
	ds_add_u32 v8, v7
.LBB18_10:                              ;   in Loop: Header=BB18_7 Depth=1
	s_or_b32 exec_lo, exec_lo, s17
	v_add_nc_u32_e32 v8, 0xfffffe00, v2
	s_mov_b32 s17, exec_lo
	s_delay_alu instid0(VALU_DEP_1)
	v_cmpx_gt_u32_e64 s8, v8
	s_cbranch_execz .LBB18_13
; %bb.11:                               ;   in Loop: Header=BB18_7 Depth=1
	v_add_nc_u32_e32 v8, s12, v5
	global_load_i8 v8, v8, s[4:5]
	s_waitcnt vmcnt(0)
	v_add_nc_u32_e32 v8, 0x80, v8
	s_delay_alu instid0(VALU_DEP_1) | instskip(NEXT) | instid1(VALU_DEP_1)
	v_xor_b32_e32 v9, s1, v8
	v_and_b32_e32 v9, s3, v9
	s_delay_alu instid0(VALU_DEP_1) | instskip(NEXT) | instid1(VALU_DEP_1)
	v_cmp_eq_u32_e64 s0, 0, v9
	s_and_b32 exec_lo, exec_lo, s0
	s_cbranch_execz .LBB18_13
; %bb.12:                               ;   in Loop: Header=BB18_7 Depth=1
	v_lshrrev_b32_e32 v8, s2, v8
	s_delay_alu instid0(VALU_DEP_1)
	v_lshlrev_b32_e32 v8, 2, v8
	ds_add_u32 v8, v7
.LBB18_13:                              ;   in Loop: Header=BB18_7 Depth=1
	s_or_b32 exec_lo, exec_lo, s17
	v_add_nc_u32_e32 v8, 0xffffff00, v2
	s_mov_b32 s17, exec_lo
	s_delay_alu instid0(VALU_DEP_1)
	v_cmpx_gt_u32_e64 s8, v8
	s_cbranch_execz .LBB18_16
; %bb.14:                               ;   in Loop: Header=BB18_7 Depth=1
	v_add_nc_u32_e32 v8, s12, v4
	global_load_i8 v8, v8, s[4:5]
	s_waitcnt vmcnt(0)
	v_add_nc_u32_e32 v8, 0x80, v8
	s_delay_alu instid0(VALU_DEP_1) | instskip(NEXT) | instid1(VALU_DEP_1)
	v_xor_b32_e32 v9, s1, v8
	v_and_b32_e32 v9, s3, v9
	s_delay_alu instid0(VALU_DEP_1) | instskip(NEXT) | instid1(VALU_DEP_1)
	v_cmp_eq_u32_e64 s0, 0, v9
	s_and_b32 exec_lo, exec_lo, s0
	s_cbranch_execz .LBB18_16
; %bb.15:                               ;   in Loop: Header=BB18_7 Depth=1
	v_lshrrev_b32_e32 v8, s2, v8
	s_delay_alu instid0(VALU_DEP_1)
	v_lshlrev_b32_e32 v8, 2, v8
	ds_add_u32 v8, v7
.LBB18_16:                              ;   in Loop: Header=BB18_7 Depth=1
	s_or_b32 exec_lo, exec_lo, s17
	s_delay_alu instid0(SALU_CYCLE_1)
	s_mov_b32 s17, exec_lo
	v_cmpx_gt_u32_e64 s8, v2
	s_cbranch_execz .LBB18_6
; %bb.17:                               ;   in Loop: Header=BB18_7 Depth=1
	v_add_nc_u32_e32 v8, s12, v3
	global_load_i8 v8, v8, s[4:5]
	s_waitcnt vmcnt(0)
	v_add_nc_u32_e32 v8, 0x80, v8
	s_delay_alu instid0(VALU_DEP_1) | instskip(NEXT) | instid1(VALU_DEP_1)
	v_xor_b32_e32 v9, s1, v8
	v_and_b32_e32 v9, s3, v9
	s_delay_alu instid0(VALU_DEP_1) | instskip(NEXT) | instid1(VALU_DEP_1)
	v_cmp_eq_u32_e64 s0, 0, v9
	s_and_b32 exec_lo, exec_lo, s0
	s_cbranch_execz .LBB18_6
; %bb.18:                               ;   in Loop: Header=BB18_7 Depth=1
	v_lshrrev_b32_e32 v8, s2, v8
	s_delay_alu instid0(VALU_DEP_1)
	v_lshlrev_b32_e32 v8, 2, v8
	ds_add_u32 v8, v7
	s_branch .LBB18_6
.LBB18_19:
	s_and_b32 s10, s11, 3
	s_delay_alu instid0(SALU_CYCLE_1)
	s_cmp_eq_u32 s10, 0
	s_cbranch_scc1 .LBB18_25
; %bb.20:
	s_lshl_b32 s0, s15, 8
	v_mov_b32_e32 v4, 1
	v_add3_u32 v2, s0, s13, v0
	s_delay_alu instid0(VALU_DEP_1)
	v_mul_lo_u32 v3, s9, v2
	s_lshl_b32 s9, s9, 8
	s_set_inst_prefetch_distance 0x1
	s_branch .LBB18_22
	.p2align	6
.LBB18_21:                              ;   in Loop: Header=BB18_22 Depth=1
	s_or_b32 exec_lo, exec_lo, s11
	v_add_nc_u32_e32 v3, s9, v3
	v_add_nc_u32_e32 v2, 0x100, v2
	s_add_i32 s10, s10, -1
	s_delay_alu instid0(SALU_CYCLE_1)
	s_cmp_lg_u32 s10, 0
	s_cbranch_scc0 .LBB18_25
.LBB18_22:                              ; =>This Inner Loop Header: Depth=1
	s_mov_b32 s11, exec_lo
	v_cmpx_gt_u32_e64 s8, v2
	s_cbranch_execz .LBB18_21
; %bb.23:                               ;   in Loop: Header=BB18_22 Depth=1
	global_load_i8 v5, v3, s[4:5]
	s_waitcnt vmcnt(0)
	v_add_nc_u32_e32 v5, 0x80, v5
	s_delay_alu instid0(VALU_DEP_1) | instskip(NEXT) | instid1(VALU_DEP_1)
	v_xor_b32_e32 v6, s1, v5
	v_and_b32_e32 v6, s3, v6
	s_delay_alu instid0(VALU_DEP_1) | instskip(NEXT) | instid1(VALU_DEP_1)
	v_cmp_eq_u32_e64 s0, 0, v6
	s_and_b32 exec_lo, exec_lo, s0
	s_cbranch_execz .LBB18_21
; %bb.24:                               ;   in Loop: Header=BB18_22 Depth=1
	v_lshrrev_b32_e32 v5, s2, v5
	s_delay_alu instid0(VALU_DEP_1)
	v_lshlrev_b32_e32 v5, 2, v5
	ds_add_u32 v5, v4
	s_branch .LBB18_21
.LBB18_25:
	s_set_inst_prefetch_distance 0x2
	v_mov_b32_e32 v2, 0
	s_waitcnt lgkmcnt(0)
	s_barrier
	buffer_gl0_inv
	s_and_saveexec_b32 s0, vcc_lo
	s_cbranch_execz .LBB18_27
; %bb.26:
	ds_load_b32 v2, v1
.LBB18_27:
	s_or_b32 exec_lo, exec_lo, s0
	s_and_saveexec_b32 s0, vcc_lo
	s_cbranch_execz .LBB18_29
; %bb.28:
	v_lshl_or_b32 v0, s14, 8, v0
	v_mov_b32_e32 v1, 0
	s_delay_alu instid0(VALU_DEP_1) | instskip(NEXT) | instid1(VALU_DEP_1)
	v_lshlrev_b64 v[0:1], 1, v[0:1]
	v_add_co_u32 v0, vcc_lo, s6, v0
	s_delay_alu instid0(VALU_DEP_2)
	v_add_co_ci_u32_e32 v1, vcc_lo, s7, v1, vcc_lo
	s_waitcnt lgkmcnt(0)
	global_store_b16 v[0:1], v2, off
.LBB18_29:
	s_nop 0
	s_sendmsg sendmsg(MSG_DEALLOC_VGPRS)
	s_endpgm
	.section	.rodata,"a",@progbits
	.p2align	6, 0x0
	.amdhsa_kernel _ZN2at6native6mbtopk23computeBlockDigitCountsIajjLi2EEEvNS_4cuda6detail10TensorInfoIKT_T0_EEjPjjS8_iijT1_PSB_Ps
		.amdhsa_group_segment_fixed_size 1024
		.amdhsa_private_segment_fixed_size 0
		.amdhsa_kernarg_size 528
		.amdhsa_user_sgpr_count 13
		.amdhsa_user_sgpr_dispatch_ptr 0
		.amdhsa_user_sgpr_queue_ptr 0
		.amdhsa_user_sgpr_kernarg_segment_ptr 1
		.amdhsa_user_sgpr_dispatch_id 0
		.amdhsa_user_sgpr_private_segment_size 0
		.amdhsa_wavefront_size32 1
		.amdhsa_uses_dynamic_stack 0
		.amdhsa_enable_private_segment 0
		.amdhsa_system_sgpr_workgroup_id_x 1
		.amdhsa_system_sgpr_workgroup_id_y 1
		.amdhsa_system_sgpr_workgroup_id_z 1
		.amdhsa_system_sgpr_workgroup_info 0
		.amdhsa_system_vgpr_workitem_id 0
		.amdhsa_next_free_vgpr 10
		.amdhsa_next_free_sgpr 23
		.amdhsa_reserve_vcc 1
		.amdhsa_float_round_mode_32 0
		.amdhsa_float_round_mode_16_64 0
		.amdhsa_float_denorm_mode_32 3
		.amdhsa_float_denorm_mode_16_64 3
		.amdhsa_dx10_clamp 1
		.amdhsa_ieee_mode 1
		.amdhsa_fp16_overflow 0
		.amdhsa_workgroup_processor_mode 1
		.amdhsa_memory_ordered 1
		.amdhsa_forward_progress 0
		.amdhsa_shared_vgpr_count 0
		.amdhsa_exception_fp_ieee_invalid_op 0
		.amdhsa_exception_fp_denorm_src 0
		.amdhsa_exception_fp_ieee_div_zero 0
		.amdhsa_exception_fp_ieee_overflow 0
		.amdhsa_exception_fp_ieee_underflow 0
		.amdhsa_exception_fp_ieee_inexact 0
		.amdhsa_exception_int_div_zero 0
	.end_amdhsa_kernel
	.section	.text._ZN2at6native6mbtopk23computeBlockDigitCountsIajjLi2EEEvNS_4cuda6detail10TensorInfoIKT_T0_EEjPjjS8_iijT1_PSB_Ps,"axG",@progbits,_ZN2at6native6mbtopk23computeBlockDigitCountsIajjLi2EEEvNS_4cuda6detail10TensorInfoIKT_T0_EEjPjjS8_iijT1_PSB_Ps,comdat
.Lfunc_end18:
	.size	_ZN2at6native6mbtopk23computeBlockDigitCountsIajjLi2EEEvNS_4cuda6detail10TensorInfoIKT_T0_EEjPjjS8_iijT1_PSB_Ps, .Lfunc_end18-_ZN2at6native6mbtopk23computeBlockDigitCountsIajjLi2EEEvNS_4cuda6detail10TensorInfoIKT_T0_EEjPjjS8_iijT1_PSB_Ps
                                        ; -- End function
	.section	.AMDGPU.csdata,"",@progbits
; Kernel info:
; codeLenInByte = 1376
; NumSgprs: 25
; NumVgprs: 10
; ScratchSize: 0
; MemoryBound: 0
; FloatMode: 240
; IeeeMode: 1
; LDSByteSize: 1024 bytes/workgroup (compile time only)
; SGPRBlocks: 3
; VGPRBlocks: 1
; NumSGPRsForWavesPerEU: 25
; NumVGPRsForWavesPerEU: 10
; Occupancy: 16
; WaveLimiterHint : 1
; COMPUTE_PGM_RSRC2:SCRATCH_EN: 0
; COMPUTE_PGM_RSRC2:USER_SGPR: 13
; COMPUTE_PGM_RSRC2:TRAP_HANDLER: 0
; COMPUTE_PGM_RSRC2:TGID_X_EN: 1
; COMPUTE_PGM_RSRC2:TGID_Y_EN: 1
; COMPUTE_PGM_RSRC2:TGID_Z_EN: 1
; COMPUTE_PGM_RSRC2:TIDIG_COMP_CNT: 0
	.section	.text._ZN2at6native6mbtopk10gatherTopKIajLi2EEEvNS_4cuda6detail10TensorInfoIKT_T0_EES8_S8_bjS8_NS5_IS6_S8_EES8_NS5_IlS8_EES8_jjPS6_PjSD_j,"axG",@progbits,_ZN2at6native6mbtopk10gatherTopKIajLi2EEEvNS_4cuda6detail10TensorInfoIKT_T0_EES8_S8_bjS8_NS5_IS6_S8_EES8_NS5_IlS8_EES8_jjPS6_PjSD_j,comdat
	.protected	_ZN2at6native6mbtopk10gatherTopKIajLi2EEEvNS_4cuda6detail10TensorInfoIKT_T0_EES8_S8_bjS8_NS5_IS6_S8_EES8_NS5_IlS8_EES8_jjPS6_PjSD_j ; -- Begin function _ZN2at6native6mbtopk10gatherTopKIajLi2EEEvNS_4cuda6detail10TensorInfoIKT_T0_EES8_S8_bjS8_NS5_IS6_S8_EES8_NS5_IlS8_EES8_jjPS6_PjSD_j
	.globl	_ZN2at6native6mbtopk10gatherTopKIajLi2EEEvNS_4cuda6detail10TensorInfoIKT_T0_EES8_S8_bjS8_NS5_IS6_S8_EES8_NS5_IlS8_EES8_jjPS6_PjSD_j
	.p2align	8
	.type	_ZN2at6native6mbtopk10gatherTopKIajLi2EEEvNS_4cuda6detail10TensorInfoIKT_T0_EES8_S8_bjS8_NS5_IS6_S8_EES8_NS5_IlS8_EES8_jjPS6_PjSD_j,@function
_ZN2at6native6mbtopk10gatherTopKIajLi2EEEvNS_4cuda6detail10TensorInfoIKT_T0_EES8_S8_bjS8_NS5_IS6_S8_EES8_NS5_IlS8_EES8_jjPS6_PjSD_j: ; @_ZN2at6native6mbtopk10gatherTopKIajLi2EEEvNS_4cuda6detail10TensorInfoIKT_T0_EES8_S8_bjS8_NS5_IS6_S8_EES8_NS5_IlS8_EES8_jjPS6_PjSD_j
; %bb.0:
	s_clause 0x1
	s_load_b64 s[2:3], s[0:1], 0x2d8
	s_load_b32 s4, s[0:1], 0x2d0
	s_waitcnt lgkmcnt(0)
	s_mul_i32 s3, s3, s15
	s_delay_alu instid0(SALU_CYCLE_1) | instskip(NEXT) | instid1(SALU_CYCLE_1)
	s_add_i32 s3, s3, s14
	s_mul_i32 s2, s3, s2
	s_delay_alu instid0(SALU_CYCLE_1) | instskip(NEXT) | instid1(SALU_CYCLE_1)
	s_add_i32 s2, s2, s13
	s_cmp_ge_u32 s2, s4
	s_cbranch_scc1 .LBB19_40
; %bb.1:
	s_clause 0x3
	s_load_b256 s[4:11], s[0:1], 0x2a8
	s_load_b64 s[16:17], s[0:1], 0x1d0
	s_load_b64 s[22:23], s[0:1], 0x23c
	;; [unrolled: 1-line block ×3, first 2 shown]
	s_waitcnt lgkmcnt(0)
	v_cvt_f32_u32_e32 v1, s6
	s_sub_i32 s7, 0, s6
	s_delay_alu instid0(VALU_DEP_1) | instskip(SKIP_2) | instid1(VALU_DEP_1)
	v_rcp_iflag_f32_e32 v1, v1
	s_waitcnt_depctr 0xfff
	v_mul_f32_e32 v1, 0x4f7ffffe, v1
	v_cvt_u32_f32_e32 v1, v1
	s_delay_alu instid0(VALU_DEP_1) | instskip(NEXT) | instid1(VALU_DEP_1)
	v_readfirstlane_b32 s3, v1
	s_mul_i32 s7, s7, s3
	s_delay_alu instid0(SALU_CYCLE_1) | instskip(NEXT) | instid1(SALU_CYCLE_1)
	s_mul_hi_u32 s7, s3, s7
	s_add_i32 s3, s3, s7
	s_delay_alu instid0(SALU_CYCLE_1) | instskip(NEXT) | instid1(SALU_CYCLE_1)
	s_mul_hi_u32 s3, s2, s3
	s_mul_i32 s7, s3, s6
	s_add_i32 s12, s3, 1
	s_sub_i32 s7, s2, s7
	s_delay_alu instid0(SALU_CYCLE_1)
	s_sub_i32 s13, s7, s6
	s_cmp_ge_u32 s7, s6
	s_cselect_b32 s3, s12, s3
	s_cselect_b32 s7, s13, s7
	s_add_i32 s12, s3, 1
	s_cmp_ge_u32 s7, s6
	s_cselect_b32 s7, s12, s3
	s_delay_alu instid0(SALU_CYCLE_1)
	v_mov_b32_e32 v1, s7
	global_load_u8 v6, v1, s[8:9]
	s_clause 0x5
	s_load_b32 s38, s[0:1], 0xc
	s_load_b32 s36, s[0:1], 0xfc
	;; [unrolled: 1-line block ×3, first 2 shown]
	s_load_b64 s[18:19], s[0:1], 0xf0
	s_load_b64 s[26:27], s[0:1], 0x6c
	;; [unrolled: 1-line block ×3, first 2 shown]
	s_mul_i32 s8, s7, s6
	s_mov_b32 s9, 0
	s_sub_i32 s41, s2, s8
	s_waitcnt lgkmcnt(0)
	v_cvt_f32_u32_e32 v1, s38
	v_cvt_f32_u32_e32 v2, s36
	v_cvt_f32_u32_e32 v3, s33
	s_sub_i32 s12, 0, s38
	s_delay_alu instid0(VALU_DEP_3) | instskip(NEXT) | instid1(VALU_DEP_2)
	v_rcp_iflag_f32_e32 v1, v1
	v_rcp_iflag_f32_e32 v2, v2
	s_delay_alu instid0(VALU_DEP_1) | instskip(SKIP_2) | instid1(VALU_DEP_1)
	v_rcp_iflag_f32_e32 v3, v3
	s_waitcnt_depctr 0xfff
	v_dual_mul_f32 v1, 0x4f7ffffe, v1 :: v_dual_mul_f32 v2, 0x4f7ffffe, v2
	v_cvt_u32_f32_e32 v1, v1
	s_delay_alu instid0(VALU_DEP_2) | instskip(NEXT) | instid1(VALU_DEP_2)
	v_cvt_u32_f32_e32 v2, v2
	v_readfirstlane_b32 s3, v1
	v_mul_f32_e32 v1, 0x4f7ffffe, v3
	s_delay_alu instid0(VALU_DEP_2) | instskip(NEXT) | instid1(VALU_DEP_1)
	s_mul_i32 s12, s12, s3
	v_cvt_u32_f32_e32 v1, v1
	s_mul_hi_u32 s2, s3, s12
	v_readfirstlane_b32 s12, v2
	s_add_i32 s3, s3, s2
	s_sub_i32 s2, 0, s36
	v_readfirstlane_b32 s13, v1
	s_mul_hi_u32 s40, s7, s3
	s_sub_i32 s3, 0, s33
	s_mul_i32 s2, s2, s12
	s_delay_alu instid0(VALU_DEP_1)
	s_mul_i32 s3, s3, s13
	s_mul_hi_u32 s2, s12, s2
	s_mul_hi_u32 s14, s13, s3
	s_add_i32 s12, s12, s2
	v_cmp_ne_u32_e64 s2, 0, v0
	v_cmp_eq_u32_e64 s3, 0, v0
	s_add_i32 s13, s13, s14
	s_mul_hi_u32 s39, s7, s12
	s_mul_hi_u32 s37, s7, s13
	s_delay_alu instid0(VALU_DEP_1)
	s_and_saveexec_b32 s42, s3
	s_cbranch_execz .LBB19_17
; %bb.2:
	s_load_b64 s[28:29], s[0:1], 0x2c8
	s_lshl_b64 s[30:31], s[8:9], 2
	s_mov_b32 s8, 0
	s_add_u32 s12, s10, s30
	s_addc_u32 s13, s11, s31
	s_mov_b32 s43, 0
	s_waitcnt lgkmcnt(0)
	s_add_u32 s14, s28, s30
	s_addc_u32 s15, s29, s31
	s_cmp_lt_u32 s6, 4
	s_cbranch_scc1 .LBB19_14
; %bb.3:
	s_mov_b32 s44, 0
.LBB19_4:                               ; =>This Inner Loop Header: Depth=1
	s_add_u32 s12, s10, s30
	s_addc_u32 s13, s11, s31
	s_add_u32 s34, s28, s30
	s_load_b128 s[12:15], s[12:13], 0x0
	s_addc_u32 s35, s29, s31
	s_cmp_ge_u32 s44, s41
	s_cbranch_scc0 .LBB19_11
; %bb.5:                                ;   in Loop: Header=BB19_4 Depth=1
	s_add_i32 s45, s44, 1
	s_delay_alu instid0(SALU_CYCLE_1)
	s_cmp_ge_u32 s45, s41
	s_cbranch_scc0 .LBB19_12
.LBB19_6:                               ;   in Loop: Header=BB19_4 Depth=1
	s_add_i32 s45, s45, 1
	s_delay_alu instid0(SALU_CYCLE_1)
	s_cmp_ge_u32 s45, s41
	s_cbranch_scc0 .LBB19_13
.LBB19_7:                               ;   in Loop: Header=BB19_4 Depth=1
	s_add_i32 s45, s45, 1
	s_delay_alu instid0(SALU_CYCLE_1)
	s_cmp_ge_u32 s45, s41
	s_cbranch_scc1 .LBB19_9
.LBB19_8:                               ;   in Loop: Header=BB19_4 Depth=1
	s_load_b32 s34, s[34:35], 0xc
	s_waitcnt lgkmcnt(0)
	s_add_i32 s9, s9, s15
	s_add_i32 s8, s34, s8
.LBB19_9:                               ;   in Loop: Header=BB19_4 Depth=1
	s_waitcnt lgkmcnt(0)
	s_add_i32 s12, s12, s43
	s_delay_alu instid0(SALU_CYCLE_1) | instskip(NEXT) | instid1(SALU_CYCLE_1)
	s_add_i32 s12, s12, s13
	s_add_i32 s12, s12, s14
	s_delay_alu instid0(SALU_CYCLE_1)
	s_add_i32 s43, s12, s15
	s_add_u32 s10, s10, 16
	s_addc_u32 s11, s11, 0
	s_add_u32 s28, s28, 16
	s_addc_u32 s29, s29, 0
	s_add_i32 s35, s45, 4
	s_add_u32 s14, s28, s30
	s_addc_u32 s15, s29, s31
	s_add_u32 s12, s10, s30
	s_addc_u32 s13, s11, s31
	s_add_i32 s34, s45, 1
	s_cmp_ge_u32 s35, s6
	s_cbranch_scc1 .LBB19_15
; %bb.10:                               ;   in Loop: Header=BB19_4 Depth=1
	s_mov_b32 s44, s34
	s_branch .LBB19_4
.LBB19_11:                              ;   in Loop: Header=BB19_4 Depth=1
	s_load_b32 s45, s[34:35], 0x0
	s_waitcnt lgkmcnt(0)
	s_add_i32 s9, s12, s9
	s_add_i32 s8, s45, s8
	;; [unrolled: 1-line block ×3, first 2 shown]
	s_delay_alu instid0(SALU_CYCLE_1)
	s_cmp_ge_u32 s45, s41
	s_cbranch_scc1 .LBB19_6
.LBB19_12:                              ;   in Loop: Header=BB19_4 Depth=1
	s_load_b32 s46, s[34:35], 0x4
	s_waitcnt lgkmcnt(0)
	s_add_i32 s9, s9, s13
	s_add_i32 s8, s46, s8
	;; [unrolled: 1-line block ×3, first 2 shown]
	s_delay_alu instid0(SALU_CYCLE_1)
	s_cmp_ge_u32 s45, s41
	s_cbranch_scc1 .LBB19_7
.LBB19_13:                              ;   in Loop: Header=BB19_4 Depth=1
	s_load_b32 s46, s[34:35], 0x8
	s_waitcnt lgkmcnt(0)
	s_add_i32 s9, s9, s14
	s_add_i32 s8, s46, s8
	;; [unrolled: 1-line block ×3, first 2 shown]
	s_delay_alu instid0(SALU_CYCLE_1)
	s_cmp_ge_u32 s45, s41
	s_cbranch_scc0 .LBB19_8
	s_branch .LBB19_9
.LBB19_14:
	s_mov_b32 s10, 0
	s_delay_alu instid0(SALU_CYCLE_1)
	s_cmp_ge_u32 s10, s6
	s_cbranch_scc0 .LBB19_38
	s_branch .LBB19_16
.LBB19_15:
	s_add_i32 s10, s44, 4
	s_delay_alu instid0(SALU_CYCLE_1)
	s_cmp_ge_u32 s10, s6
	s_cbranch_scc0 .LBB19_38
.LBB19_16:
	v_dual_mov_b32 v1, s8 :: v_dual_mov_b32 v2, s43
	v_dual_mov_b32 v3, s9 :: v_dual_mov_b32 v4, 0
	ds_store_b96 v4, v[1:3] offset:1056
.LBB19_17:
	s_or_b32 exec_lo, exec_lo, s42
	s_load_b128 s[8:11], s[0:1], 0xd8
	s_waitcnt lgkmcnt(0)
	s_mul_i32 s11, s5, s41
	s_add_i32 s41, s41, 1
	s_lshl_b32 s28, s11, 8
	s_mov_b32 s15, 0
	s_waitcnt vmcnt(0)
	s_barrier
	buffer_gl0_inv
	s_sub_i32 s11, s8, s28
	s_delay_alu instid0(SALU_CYCLE_1) | instskip(SKIP_3) | instid1(VALU_DEP_1)
	s_add_u32 s11, s11, 0xff
	s_addc_u32 s12, 0, 0
	s_cmp_lt_u32 s41, s6
	v_alignbit_b32 v1, s12, s11, 8
	v_readfirstlane_b32 s11, v1
	s_delay_alu instid0(VALU_DEP_1) | instskip(NEXT) | instid1(SALU_CYCLE_1)
	s_cselect_b32 s5, s5, s11
	s_cmp_eq_u32 s5, 0
	s_cbranch_scc1 .LBB19_40
; %bb.18:
	s_mul_i32 s6, s40, s38
	s_add_i32 s11, s40, 1
	s_sub_i32 s6, s7, s6
	v_mov_b32_e32 v5, 0
	s_sub_i32 s12, s6, s38
	s_cmp_ge_u32 s6, s38
	v_bfe_i32 v4, v6, 0, 8
	s_cselect_b32 s11, s11, s40
	s_cselect_b32 s6, s12, s6
	s_add_i32 s12, s11, 1
	s_cmp_ge_u32 s6, s38
	s_mul_i32 s6, s39, s36
	s_cselect_b32 s11, s12, s11
	s_sub_i32 s6, s7, s6
	s_mul_i32 s12, s11, s38
	s_mul_i32 s11, s11, s26
	s_sub_i32 s12, s7, s12
	s_add_i32 s13, s39, 1
	s_mul_i32 s12, s12, s27
	s_sub_i32 s14, s6, s36
	s_add_i32 s12, s11, s12
	s_cmp_ge_u32 s6, s36
	s_mul_i32 s11, s37, s33
	s_cselect_b32 s13, s13, s39
	s_cselect_b32 s6, s14, s6
	s_add_i32 s14, s13, 1
	s_cmp_ge_u32 s6, s36
	ds_load_b96 v[1:3], v5 offset:1056
	s_cselect_b32 s6, s14, s13
	s_sub_i32 s11, s7, s11
	s_mul_i32 s13, s6, s36
	s_mul_i32 s6, s6, s24
	s_sub_i32 s13, s7, s13
	s_add_i32 s14, s37, 1
	s_mul_i32 s13, s13, s25
	s_sub_i32 s24, s11, s33
	s_add_i32 s13, s6, s13
	s_cmp_ge_u32 s11, s33
	v_lshrrev_b32_e32 v8, 5, v0
	s_cselect_b32 s6, s14, s37
	s_cselect_b32 s11, s24, s11
	s_add_i32 s14, s6, 1
	s_cmp_ge_u32 s11, s33
	s_clause 0x1
	s_load_b32 s24, s[0:1], 0xe8
	s_load_b32 s11, s[0:1], 0x1c8
	s_cselect_b32 s6, s14, s6
	v_add_nc_u32_e32 v9, -1, v0
	s_mul_i32 s0, s6, s33
	s_mul_i32 s1, s6, s22
	s_sub_i32 s0, s7, s0
	v_add_nc_u32_e32 v7, 0x80, v4
	s_mul_i32 s0, s0, s23
	s_waitcnt lgkmcnt(0)
	v_add_nc_u32_e32 v1, v1, v2
	s_add_i32 s14, s1, s0
	s_add_u32 s6, s20, s12
	s_addc_u32 s7, s21, 0
	s_add_u32 s12, s18, s13
	v_add_lshl_u32 v2, v8, v0, 2
	v_lshlrev_b32_e32 v8, 3, v0
	v_lshrrev_b32_e32 v10, 2, v0
	v_add_nc_u32_e32 v4, s28, v0
	s_addc_u32 s13, s19, 0
	s_lshl_b64 s[0:1], s[14:15], 3
	v_lshrrev_b32_e32 v11, 5, v9
	s_add_u32 s14, s16, s0
	v_cmp_gt_u32_e64 s0, 32, v0
	v_mbcnt_lo_u32_b32 v0, -1, 0
	v_add_lshl_u32 v8, v10, v8, 2
	v_mul_lo_u32 v10, s24, v4
	s_addc_u32 s15, s17, s1
	v_add_lshl_u32 v9, v11, v9, 2
	v_and_b32_e32 v6, 0xff, v6
	v_and_b32_e32 v11, 15, v0
	v_bfe_i32 v12, v0, 4, 1
	v_add_nc_u32_e32 v13, -1, v0
	s_bitcmp1_b32 s10, 0
                                        ; implicit-def: $vgpr14
	s_cselect_b32 s1, -1, 0
	s_lshl_b32 s10, s24, 8
	s_branch .LBB19_21
.LBB19_19:                              ;   in Loop: Header=BB19_21 Depth=1
	s_or_b32 exec_lo, exec_lo, s16
	v_add_nc_u32_e32 v1, v17, v1
.LBB19_20:                              ;   in Loop: Header=BB19_21 Depth=1
	v_add_nc_u32_e32 v3, v16, v3
	v_add_nc_u32_e32 v10, s10, v10
	;; [unrolled: 1-line block ×3, first 2 shown]
	s_add_i32 s5, s5, -1
	s_delay_alu instid0(SALU_CYCLE_1)
	s_cmp_lg_u32 s5, 0
	s_cbranch_scc0 .LBB19_40
.LBB19_21:                              ; =>This Inner Loop Header: Depth=1
	v_mov_b32_e32 v17, 0
	v_mov_b32_e32 v15, 0
	s_mov_b32 s16, exec_lo
	v_cmpx_gt_u32_e64 s8, v4
	s_cbranch_execz .LBB19_23
; %bb.22:                               ;   in Loop: Header=BB19_21 Depth=1
	global_load_u8 v14, v10, s[6:7]
	s_waitcnt vmcnt(0)
	v_bfe_i32 v15, v14, 0, 8
	s_delay_alu instid0(VALU_DEP_1) | instskip(NEXT) | instid1(VALU_DEP_1)
	v_add_nc_u32_e32 v15, 0x80, v15
	v_cmp_gt_u32_e32 vcc_lo, v15, v7
	v_cndmask_b32_e64 v16, 0, 1, vcc_lo
	v_cmp_lt_u32_e32 vcc_lo, v15, v7
	v_cndmask_b32_e64 v15, 0, 1, vcc_lo
	v_cmp_eq_u16_e32 vcc_lo, v14, v6
	s_delay_alu instid0(VALU_DEP_2) | instskip(NEXT) | instid1(VALU_DEP_1)
	v_cndmask_b32_e64 v15, v15, v16, s1
	v_and_b32_e32 v17, 1, v15
	v_cndmask_b32_e64 v15, 0, 1, vcc_lo
.LBB19_23:                              ;   in Loop: Header=BB19_21 Depth=1
	s_or_b32 exec_lo, exec_lo, s16
	ds_store_b32 v2, v17
	s_waitcnt lgkmcnt(0)
	s_waitcnt_vscnt null, 0x0
	s_barrier
	buffer_gl0_inv
	s_and_saveexec_b32 s16, s0
	s_cbranch_execz .LBB19_25
; %bb.24:                               ;   in Loop: Header=BB19_21 Depth=1
	ds_load_2addr_b32 v[18:19], v8 offset1:1
	ds_load_2addr_b32 v[20:21], v8 offset0:2 offset1:3
	ds_load_2addr_b32 v[22:23], v8 offset0:4 offset1:5
	;; [unrolled: 1-line block ×3, first 2 shown]
	v_cmp_ne_u32_e32 vcc_lo, 0, v11
	; wave barrier
	s_waitcnt lgkmcnt(3)
	v_add_nc_u32_e32 v16, v19, v18
	s_waitcnt lgkmcnt(2)
	s_delay_alu instid0(VALU_DEP_1) | instskip(SKIP_1) | instid1(VALU_DEP_1)
	v_add3_u32 v16, v16, v20, v21
	s_waitcnt lgkmcnt(1)
	v_add3_u32 v16, v16, v22, v23
	s_waitcnt lgkmcnt(0)
	s_delay_alu instid0(VALU_DEP_1) | instskip(NEXT) | instid1(VALU_DEP_1)
	v_add3_u32 v16, v16, v24, v25
	v_mov_b32_dpp v19, v16 row_shr:1 row_mask:0xf bank_mask:0xf
	s_delay_alu instid0(VALU_DEP_1) | instskip(SKIP_1) | instid1(VALU_DEP_2)
	v_cndmask_b32_e32 v19, 0, v19, vcc_lo
	v_cmp_lt_u32_e32 vcc_lo, 1, v11
	v_add_nc_u32_e32 v16, v19, v16
	s_delay_alu instid0(VALU_DEP_1) | instskip(NEXT) | instid1(VALU_DEP_1)
	v_mov_b32_dpp v19, v16 row_shr:2 row_mask:0xf bank_mask:0xf
	v_cndmask_b32_e32 v19, 0, v19, vcc_lo
	v_cmp_lt_u32_e32 vcc_lo, 3, v11
	s_delay_alu instid0(VALU_DEP_2) | instskip(NEXT) | instid1(VALU_DEP_1)
	v_add_nc_u32_e32 v16, v16, v19
	v_mov_b32_dpp v19, v16 row_shr:4 row_mask:0xf bank_mask:0xf
	s_delay_alu instid0(VALU_DEP_1) | instskip(SKIP_1) | instid1(VALU_DEP_2)
	v_cndmask_b32_e32 v19, 0, v19, vcc_lo
	v_cmp_lt_u32_e32 vcc_lo, 7, v11
	v_add_nc_u32_e32 v16, v16, v19
	s_delay_alu instid0(VALU_DEP_1) | instskip(NEXT) | instid1(VALU_DEP_1)
	v_mov_b32_dpp v19, v16 row_shr:8 row_mask:0xf bank_mask:0xf
	v_cndmask_b32_e32 v19, 0, v19, vcc_lo
	v_cmp_gt_i32_e32 vcc_lo, 0, v13
	v_cndmask_b32_e32 v20, v13, v0, vcc_lo
	s_delay_alu instid0(VALU_DEP_1) | instskip(NEXT) | instid1(VALU_DEP_4)
	v_lshlrev_b32_e32 v20, 2, v20
	v_add_nc_u32_e32 v16, v16, v19
	ds_swizzle_b32 v19, v16 offset:swizzle(BROADCAST,32,15)
	s_waitcnt lgkmcnt(0)
	v_and_b32_e32 v19, v12, v19
	s_delay_alu instid0(VALU_DEP_1) | instskip(SKIP_3) | instid1(VALU_DEP_1)
	v_add_nc_u32_e32 v16, v16, v19
	ds_bpermute_b32 v16, v20, v16
	s_waitcnt lgkmcnt(0)
	v_add_nc_u32_e32 v16, v16, v18
	v_cndmask_b32_e64 v16, v16, v17, s3
	ds_store_b32 v8, v16
	; wave barrier
	ds_load_2addr_b32 v[18:19], v8 offset0:1 offset1:2
	ds_load_2addr_b32 v[20:21], v8 offset0:3 offset1:4
	;; [unrolled: 1-line block ×3, first 2 shown]
	ds_load_b32 v24, v8 offset:28
	s_waitcnt lgkmcnt(3)
	v_add_nc_u32_e32 v16, v18, v16
	s_delay_alu instid0(VALU_DEP_1) | instskip(SKIP_1) | instid1(VALU_DEP_1)
	v_add_nc_u32_e32 v18, v19, v16
	s_waitcnt lgkmcnt(2)
	v_add_nc_u32_e32 v19, v20, v18
	s_delay_alu instid0(VALU_DEP_1) | instskip(SKIP_1) | instid1(VALU_DEP_1)
	v_add_nc_u32_e32 v20, v21, v19
	;; [unrolled: 4-line block ×3, first 2 shown]
	s_waitcnt lgkmcnt(0)
	v_add_nc_u32_e32 v23, v24, v22
	ds_store_2addr_b32 v8, v16, v18 offset0:1 offset1:2
	ds_store_2addr_b32 v8, v19, v20 offset0:3 offset1:4
	;; [unrolled: 1-line block ×3, first 2 shown]
	ds_store_b32 v8, v23 offset:28
.LBB19_25:                              ;   in Loop: Header=BB19_21 Depth=1
	s_or_b32 exec_lo, exec_lo, s16
	v_mov_b32_e32 v18, 0
	s_waitcnt lgkmcnt(0)
	s_barrier
	buffer_gl0_inv
	s_and_saveexec_b32 s16, s2
	s_cbranch_execz .LBB19_27
; %bb.26:                               ;   in Loop: Header=BB19_21 Depth=1
	ds_load_b32 v18, v9
.LBB19_27:                              ;   in Loop: Header=BB19_21 Depth=1
	s_or_b32 exec_lo, exec_lo, s16
	ds_load_b32 v16, v5 offset:1048
	s_mov_b32 s16, exec_lo
	s_waitcnt lgkmcnt(0)
	s_barrier
	buffer_gl0_inv
	v_cmpx_ne_u32_e32 0, v17
	s_cbranch_execz .LBB19_29
; %bb.28:                               ;   in Loop: Header=BB19_21 Depth=1
	v_dual_mov_b32 v18, v5 :: v_dual_add_nc_u32 v19, v18, v3
	s_delay_alu instid0(VALU_DEP_1) | instskip(SKIP_1) | instid1(VALU_DEP_2)
	v_mul_lo_u32 v17, v19, s4
	v_mul_lo_u32 v19, v19, s11
	v_lshlrev_b64 v[17:18], 3, v[17:18]
	s_delay_alu instid0(VALU_DEP_1) | instskip(NEXT) | instid1(VALU_DEP_2)
	v_add_co_u32 v17, vcc_lo, s14, v17
	v_add_co_ci_u32_e32 v18, vcc_lo, s15, v18, vcc_lo
	global_store_b8 v19, v14, s[12:13]
	global_store_b64 v[17:18], v[4:5], off
.LBB19_29:                              ;   in Loop: Header=BB19_21 Depth=1
	s_or_b32 exec_lo, exec_lo, s16
	v_cmp_le_u32_e32 vcc_lo, s9, v1
	s_cbranch_vccnz .LBB19_20
; %bb.30:                               ;   in Loop: Header=BB19_21 Depth=1
	ds_store_b32 v2, v15
	s_waitcnt lgkmcnt(0)
	s_waitcnt_vscnt null, 0x0
	s_barrier
	buffer_gl0_inv
	s_and_saveexec_b32 s16, s0
	s_cbranch_execz .LBB19_32
; %bb.31:                               ;   in Loop: Header=BB19_21 Depth=1
	ds_load_2addr_b32 v[17:18], v8 offset1:1
	ds_load_2addr_b32 v[19:20], v8 offset0:2 offset1:3
	ds_load_2addr_b32 v[21:22], v8 offset0:4 offset1:5
	;; [unrolled: 1-line block ×3, first 2 shown]
	v_cmp_ne_u32_e32 vcc_lo, 0, v11
	; wave barrier
	s_waitcnt lgkmcnt(3)
	v_add_nc_u32_e32 v18, v18, v17
	s_waitcnt lgkmcnt(2)
	s_delay_alu instid0(VALU_DEP_1) | instskip(SKIP_1) | instid1(VALU_DEP_1)
	v_add3_u32 v18, v18, v19, v20
	s_waitcnt lgkmcnt(1)
	v_add3_u32 v18, v18, v21, v22
	s_waitcnt lgkmcnt(0)
	s_delay_alu instid0(VALU_DEP_1) | instskip(NEXT) | instid1(VALU_DEP_1)
	v_add3_u32 v18, v18, v23, v24
	v_mov_b32_dpp v19, v18 row_shr:1 row_mask:0xf bank_mask:0xf
	s_delay_alu instid0(VALU_DEP_1) | instskip(SKIP_1) | instid1(VALU_DEP_2)
	v_cndmask_b32_e32 v19, 0, v19, vcc_lo
	v_cmp_lt_u32_e32 vcc_lo, 1, v11
	v_add_nc_u32_e32 v18, v19, v18
	s_delay_alu instid0(VALU_DEP_1) | instskip(NEXT) | instid1(VALU_DEP_1)
	v_mov_b32_dpp v19, v18 row_shr:2 row_mask:0xf bank_mask:0xf
	v_cndmask_b32_e32 v19, 0, v19, vcc_lo
	v_cmp_lt_u32_e32 vcc_lo, 3, v11
	s_delay_alu instid0(VALU_DEP_2) | instskip(NEXT) | instid1(VALU_DEP_1)
	v_add_nc_u32_e32 v18, v18, v19
	v_mov_b32_dpp v19, v18 row_shr:4 row_mask:0xf bank_mask:0xf
	s_delay_alu instid0(VALU_DEP_1) | instskip(SKIP_1) | instid1(VALU_DEP_2)
	v_cndmask_b32_e32 v19, 0, v19, vcc_lo
	v_cmp_lt_u32_e32 vcc_lo, 7, v11
	v_add_nc_u32_e32 v18, v18, v19
	s_delay_alu instid0(VALU_DEP_1) | instskip(NEXT) | instid1(VALU_DEP_1)
	v_mov_b32_dpp v19, v18 row_shr:8 row_mask:0xf bank_mask:0xf
	v_cndmask_b32_e32 v19, 0, v19, vcc_lo
	v_cmp_gt_i32_e32 vcc_lo, 0, v13
	v_cndmask_b32_e32 v20, v13, v0, vcc_lo
	s_delay_alu instid0(VALU_DEP_1) | instskip(NEXT) | instid1(VALU_DEP_4)
	v_lshlrev_b32_e32 v20, 2, v20
	v_add_nc_u32_e32 v18, v18, v19
	ds_swizzle_b32 v19, v18 offset:swizzle(BROADCAST,32,15)
	s_waitcnt lgkmcnt(0)
	v_and_b32_e32 v19, v12, v19
	s_delay_alu instid0(VALU_DEP_1) | instskip(SKIP_3) | instid1(VALU_DEP_1)
	v_add_nc_u32_e32 v18, v18, v19
	ds_bpermute_b32 v18, v20, v18
	s_waitcnt lgkmcnt(0)
	v_add_nc_u32_e32 v17, v18, v17
	v_cndmask_b32_e64 v23, v17, v15, s3
	ds_store_b32 v8, v23
	; wave barrier
	ds_load_2addr_b32 v[17:18], v8 offset0:1 offset1:2
	ds_load_2addr_b32 v[19:20], v8 offset0:3 offset1:4
	;; [unrolled: 1-line block ×3, first 2 shown]
	ds_load_b32 v24, v8 offset:28
	s_waitcnt lgkmcnt(3)
	v_add_nc_u32_e32 v17, v17, v23
	s_delay_alu instid0(VALU_DEP_1) | instskip(SKIP_1) | instid1(VALU_DEP_1)
	v_add_nc_u32_e32 v18, v18, v17
	s_waitcnt lgkmcnt(2)
	v_add_nc_u32_e32 v19, v19, v18
	s_delay_alu instid0(VALU_DEP_1) | instskip(SKIP_1) | instid1(VALU_DEP_1)
	v_add_nc_u32_e32 v20, v20, v19
	;; [unrolled: 4-line block ×3, first 2 shown]
	s_waitcnt lgkmcnt(0)
	v_add_nc_u32_e32 v23, v24, v22
	ds_store_2addr_b32 v8, v17, v18 offset0:1 offset1:2
	ds_store_2addr_b32 v8, v19, v20 offset0:3 offset1:4
	;; [unrolled: 1-line block ×3, first 2 shown]
	ds_store_b32 v8, v23 offset:28
.LBB19_32:                              ;   in Loop: Header=BB19_21 Depth=1
	s_or_b32 exec_lo, exec_lo, s16
	v_mov_b32_e32 v18, 0
	s_waitcnt lgkmcnt(0)
	s_barrier
	buffer_gl0_inv
	s_and_saveexec_b32 s16, s2
	s_cbranch_execz .LBB19_34
; %bb.33:                               ;   in Loop: Header=BB19_21 Depth=1
	ds_load_b32 v18, v9
.LBB19_34:                              ;   in Loop: Header=BB19_21 Depth=1
	s_or_b32 exec_lo, exec_lo, s16
	ds_load_b32 v17, v5 offset:1048
	s_mov_b32 s16, exec_lo
	s_waitcnt lgkmcnt(0)
	s_barrier
	buffer_gl0_inv
	v_cmpx_ne_u32_e32 0, v15
	s_cbranch_execz .LBB19_19
; %bb.35:                               ;   in Loop: Header=BB19_21 Depth=1
	v_add_nc_u32_e32 v15, v18, v1
	s_delay_alu instid0(VALU_DEP_1)
	v_cmp_gt_u32_e32 vcc_lo, s9, v15
	s_and_b32 exec_lo, exec_lo, vcc_lo
	s_cbranch_execz .LBB19_19
; %bb.36:                               ;   in Loop: Header=BB19_21 Depth=1
	v_mul_lo_u32 v18, v15, s4
	v_mov_b32_e32 v19, v5
	v_mul_lo_u32 v15, v15, s11
	s_delay_alu instid0(VALU_DEP_2) | instskip(NEXT) | instid1(VALU_DEP_1)
	v_lshlrev_b64 v[18:19], 3, v[18:19]
	v_add_co_u32 v18, vcc_lo, s14, v18
	s_delay_alu instid0(VALU_DEP_2)
	v_add_co_ci_u32_e32 v19, vcc_lo, s15, v19, vcc_lo
	global_store_b8 v15, v14, s[12:13]
	global_store_b64 v[18:19], v[4:5], off
	s_branch .LBB19_19
	.p2align	6
.LBB19_37:                              ;   in Loop: Header=BB19_38 Depth=1
	s_add_u32 s12, s12, 4
	s_addc_u32 s13, s13, 0
	s_waitcnt lgkmcnt(0)
	s_add_i32 s43, s11, s43
	s_add_u32 s14, s14, 4
	s_addc_u32 s15, s15, 0
	s_add_i32 s10, s10, 1
	s_delay_alu instid0(SALU_CYCLE_1)
	s_cmp_lt_u32 s10, s6
	s_cbranch_scc0 .LBB19_16
.LBB19_38:                              ; =>This Inner Loop Header: Depth=1
	s_load_b32 s11, s[12:13], 0x0
	s_cmp_ge_u32 s10, s41
	s_cbranch_scc1 .LBB19_37
; %bb.39:                               ;   in Loop: Header=BB19_38 Depth=1
	s_load_b32 s28, s[14:15], 0x0
	s_waitcnt lgkmcnt(0)
	s_add_i32 s9, s11, s9
	s_add_i32 s8, s28, s8
	s_branch .LBB19_37
.LBB19_40:
	s_nop 0
	s_sendmsg sendmsg(MSG_DEALLOC_VGPRS)
	s_endpgm
	.section	.rodata,"a",@progbits
	.p2align	6, 0x0
	.amdhsa_kernel _ZN2at6native6mbtopk10gatherTopKIajLi2EEEvNS_4cuda6detail10TensorInfoIKT_T0_EES8_S8_bjS8_NS5_IS6_S8_EES8_NS5_IlS8_EES8_jjPS6_PjSD_j
		.amdhsa_group_segment_fixed_size 1068
		.amdhsa_private_segment_fixed_size 0
		.amdhsa_kernarg_size 984
		.amdhsa_user_sgpr_count 13
		.amdhsa_user_sgpr_dispatch_ptr 0
		.amdhsa_user_sgpr_queue_ptr 0
		.amdhsa_user_sgpr_kernarg_segment_ptr 1
		.amdhsa_user_sgpr_dispatch_id 0
		.amdhsa_user_sgpr_private_segment_size 0
		.amdhsa_wavefront_size32 1
		.amdhsa_uses_dynamic_stack 0
		.amdhsa_enable_private_segment 0
		.amdhsa_system_sgpr_workgroup_id_x 1
		.amdhsa_system_sgpr_workgroup_id_y 1
		.amdhsa_system_sgpr_workgroup_id_z 1
		.amdhsa_system_sgpr_workgroup_info 0
		.amdhsa_system_vgpr_workitem_id 0
		.amdhsa_next_free_vgpr 26
		.amdhsa_next_free_sgpr 47
		.amdhsa_reserve_vcc 1
		.amdhsa_float_round_mode_32 0
		.amdhsa_float_round_mode_16_64 0
		.amdhsa_float_denorm_mode_32 3
		.amdhsa_float_denorm_mode_16_64 3
		.amdhsa_dx10_clamp 1
		.amdhsa_ieee_mode 1
		.amdhsa_fp16_overflow 0
		.amdhsa_workgroup_processor_mode 1
		.amdhsa_memory_ordered 1
		.amdhsa_forward_progress 0
		.amdhsa_shared_vgpr_count 0
		.amdhsa_exception_fp_ieee_invalid_op 0
		.amdhsa_exception_fp_denorm_src 0
		.amdhsa_exception_fp_ieee_div_zero 0
		.amdhsa_exception_fp_ieee_overflow 0
		.amdhsa_exception_fp_ieee_underflow 0
		.amdhsa_exception_fp_ieee_inexact 0
		.amdhsa_exception_int_div_zero 0
	.end_amdhsa_kernel
	.section	.text._ZN2at6native6mbtopk10gatherTopKIajLi2EEEvNS_4cuda6detail10TensorInfoIKT_T0_EES8_S8_bjS8_NS5_IS6_S8_EES8_NS5_IlS8_EES8_jjPS6_PjSD_j,"axG",@progbits,_ZN2at6native6mbtopk10gatherTopKIajLi2EEEvNS_4cuda6detail10TensorInfoIKT_T0_EES8_S8_bjS8_NS5_IS6_S8_EES8_NS5_IlS8_EES8_jjPS6_PjSD_j,comdat
.Lfunc_end19:
	.size	_ZN2at6native6mbtopk10gatherTopKIajLi2EEEvNS_4cuda6detail10TensorInfoIKT_T0_EES8_S8_bjS8_NS5_IS6_S8_EES8_NS5_IlS8_EES8_jjPS6_PjSD_j, .Lfunc_end19-_ZN2at6native6mbtopk10gatherTopKIajLi2EEEvNS_4cuda6detail10TensorInfoIKT_T0_EES8_S8_bjS8_NS5_IS6_S8_EES8_NS5_IlS8_EES8_jjPS6_PjSD_j
                                        ; -- End function
	.section	.AMDGPU.csdata,"",@progbits
; Kernel info:
; codeLenInByte = 2748
; NumSgprs: 49
; NumVgprs: 26
; ScratchSize: 0
; MemoryBound: 0
; FloatMode: 240
; IeeeMode: 1
; LDSByteSize: 1068 bytes/workgroup (compile time only)
; SGPRBlocks: 6
; VGPRBlocks: 3
; NumSGPRsForWavesPerEU: 49
; NumVGPRsForWavesPerEU: 26
; Occupancy: 16
; WaveLimiterHint : 1
; COMPUTE_PGM_RSRC2:SCRATCH_EN: 0
; COMPUTE_PGM_RSRC2:USER_SGPR: 13
; COMPUTE_PGM_RSRC2:TRAP_HANDLER: 0
; COMPUTE_PGM_RSRC2:TGID_X_EN: 1
; COMPUTE_PGM_RSRC2:TGID_Y_EN: 1
; COMPUTE_PGM_RSRC2:TGID_Z_EN: 1
; COMPUTE_PGM_RSRC2:TIDIG_COMP_CNT: 0
	.section	.text._ZN2at6native6sbtopk10gatherTopKIajLi2ELb0EEEvNS_4cuda6detail10TensorInfoIKT_T0_EES8_S8_bS8_S8_NS5_IS6_S8_EES8_NS5_IlS8_EES8_PS6_,"axG",@progbits,_ZN2at6native6sbtopk10gatherTopKIajLi2ELb0EEEvNS_4cuda6detail10TensorInfoIKT_T0_EES8_S8_bS8_S8_NS5_IS6_S8_EES8_NS5_IlS8_EES8_PS6_,comdat
	.protected	_ZN2at6native6sbtopk10gatherTopKIajLi2ELb0EEEvNS_4cuda6detail10TensorInfoIKT_T0_EES8_S8_bS8_S8_NS5_IS6_S8_EES8_NS5_IlS8_EES8_PS6_ ; -- Begin function _ZN2at6native6sbtopk10gatherTopKIajLi2ELb0EEEvNS_4cuda6detail10TensorInfoIKT_T0_EES8_S8_bS8_S8_NS5_IS6_S8_EES8_NS5_IlS8_EES8_PS6_
	.globl	_ZN2at6native6sbtopk10gatherTopKIajLi2ELb0EEEvNS_4cuda6detail10TensorInfoIKT_T0_EES8_S8_bS8_S8_NS5_IS6_S8_EES8_NS5_IlS8_EES8_PS6_
	.p2align	8
	.type	_ZN2at6native6sbtopk10gatherTopKIajLi2ELb0EEEvNS_4cuda6detail10TensorInfoIKT_T0_EES8_S8_bS8_S8_NS5_IS6_S8_EES8_NS5_IlS8_EES8_PS6_,@function
_ZN2at6native6sbtopk10gatherTopKIajLi2ELb0EEEvNS_4cuda6detail10TensorInfoIKT_T0_EES8_S8_bS8_S8_NS5_IS6_S8_EES8_NS5_IlS8_EES8_PS6_: ; @_ZN2at6native6sbtopk10gatherTopKIajLi2ELb0EEEvNS_4cuda6detail10TensorInfoIKT_T0_EES8_S8_bS8_S8_NS5_IS6_S8_EES8_NS5_IlS8_EES8_PS6_
; %bb.0:
	s_clause 0x1
	s_load_b64 s[4:5], s[0:1], 0x2b8
	s_load_b128 s[36:39], s[0:1], 0xd8
	s_add_u32 s6, s0, 0x2b8
	s_addc_u32 s7, s1, 0
	s_waitcnt lgkmcnt(0)
	s_mul_i32 s2, s5, s15
	s_delay_alu instid0(SALU_CYCLE_1) | instskip(NEXT) | instid1(SALU_CYCLE_1)
	s_add_i32 s2, s2, s14
	s_mul_i32 s48, s2, s4
	s_delay_alu instid0(SALU_CYCLE_1) | instskip(NEXT) | instid1(SALU_CYCLE_1)
	s_add_i32 s48, s48, s13
	s_cmp_ge_u32 s48, s39
	s_cbranch_scc1 .LBB20_463
; %bb.1:
	s_clause 0x9
	s_load_b32 s10, s[0:1], 0xc
	s_load_b32 s50, s[0:1], 0xfc
	;; [unrolled: 1-line block ×3, first 2 shown]
	s_load_b64 s[34:35], s[0:1], 0xf0
	s_load_b64 s[44:45], s[0:1], 0x23c
	;; [unrolled: 1-line block ×4, first 2 shown]
	s_load_b32 s40, s[0:1], 0xe8
	s_load_b64 s[8:9], s[0:1], 0x6c
	s_load_b64 s[2:3], s[0:1], 0x0
	v_cmp_eq_u32_e64 s5, 0, v0
	s_mov_b32 s53, 0
	s_waitcnt lgkmcnt(0)
	v_cvt_f32_u32_e32 v1, s10
	v_cvt_f32_u32_e32 v2, s50
	;; [unrolled: 1-line block ×3, first 2 shown]
	s_sub_i32 s11, 0, s10
	s_sub_i32 s16, 0, s50
	v_rcp_iflag_f32_e32 v1, v1
	v_rcp_iflag_f32_e32 v2, v2
	;; [unrolled: 1-line block ×3, first 2 shown]
	s_sub_i32 s17, 0, s49
	s_waitcnt_depctr 0xfff
	v_dual_mul_f32 v1, 0x4f7ffffe, v1 :: v_dual_mul_f32 v2, 0x4f7ffffe, v2
	v_mul_f32_e32 v3, 0x4f7ffffe, v3
	s_delay_alu instid0(VALU_DEP_2) | instskip(NEXT) | instid1(VALU_DEP_3)
	v_cvt_u32_f32_e32 v1, v1
	v_cvt_u32_f32_e32 v2, v2
	s_delay_alu instid0(VALU_DEP_3) | instskip(NEXT) | instid1(VALU_DEP_3)
	v_cvt_u32_f32_e32 v3, v3
	v_readfirstlane_b32 s12, v1
	s_delay_alu instid0(VALU_DEP_3) | instskip(NEXT) | instid1(VALU_DEP_3)
	v_readfirstlane_b32 s14, v2
	v_readfirstlane_b32 s15, v3
	s_delay_alu instid0(VALU_DEP_3) | instskip(NEXT) | instid1(VALU_DEP_2)
	s_mul_i32 s11, s11, s12
	s_mul_i32 s16, s16, s14
	s_delay_alu instid0(VALU_DEP_1)
	s_mul_i32 s17, s17, s15
	s_mul_hi_u32 s11, s12, s11
	s_mul_hi_u32 s16, s14, s16
	;; [unrolled: 1-line block ×3, first 2 shown]
	s_add_i32 s12, s12, s11
	s_add_i32 s14, s14, s16
	;; [unrolled: 1-line block ×3, first 2 shown]
	s_mul_hi_u32 s11, s48, s12
	s_mul_hi_u32 s52, s48, s14
	;; [unrolled: 1-line block ×3, first 2 shown]
	s_and_saveexec_b32 s12, s5
	s_cbranch_execz .LBB20_3
; %bb.2:
	v_dual_mov_b32 v1, 0 :: v_dual_mov_b32 v2, s36
	s_delay_alu instid0(VALU_DEP_1)
	v_mov_b32_e32 v3, v1
	ds_store_b96 v1, v[1:3] offset:4096
.LBB20_3:
	s_or_b32 exec_lo, exec_lo, s12
	s_mul_i32 s12, s11, s10
	s_add_i32 s14, s11, 1
	s_sub_i32 s12, s48, s12
	s_waitcnt lgkmcnt(0)
	s_sub_i32 s15, s12, s10
	s_cmp_ge_u32 s12, s10
	s_barrier
	s_cselect_b32 s11, s14, s11
	buffer_gl0_inv
	s_load_b32 s14, s[6:7], 0xc
	s_cselect_b32 s12, s15, s12
	s_add_i32 s15, s11, 1
	s_cmp_ge_u32 s12, s10
	v_mbcnt_lo_u32_b32 v12, -1, 0
	s_cselect_b32 s11, s15, s11
	v_cmp_gt_u32_e32 vcc_lo, 32, v0
	s_mul_i32 s10, s11, s10
	s_mul_i32 s8, s11, s8
	s_sub_i32 s10, s48, s10
	v_mul_lo_u32 v14, v0, s40
	s_mul_i32 s10, s10, s9
	v_dual_mov_b32 v26, s37 :: v_dual_lshlrev_b32 v13, 2, v0
	s_add_i32 s8, s8, s10
	v_lshrrev_b32_e32 v3, 3, v0
	s_add_u32 s30, s2, s8
	s_addc_u32 s31, s3, 0
	s_bitcmp1_b32 s38, 0
	v_cmp_gt_i32_e64 s2, 4, v12
	s_cselect_b32 s3, -1, 0
	s_waitcnt lgkmcnt(0)
	s_and_b32 s33, s14, 0xffff
	s_xor_b32 s54, s3, -1
	s_lshl_b32 s55, s33, 2
	s_bfe_u32 s8, s14, 0xb0005
	v_cvt_f32_u32_e32 v1, s55
	s_and_b32 s56, vcc_lo, s2
	s_cmpk_gt_u32 s36, 0xc00
	v_cvt_f32_u32_e32 v2, s33
	s_cselect_b32 s57, -1, 0
	v_rcp_iflag_f32_e32 v1, v1
	s_cmp_gt_u32 s33, 31
	v_add_co_u32 v5, s11, s30, v14
	s_cselect_b32 s58, -1, 0
	s_add_i32 s59, s33, -1
	v_rcp_iflag_f32_e32 v2, v2
	s_add_i32 s9, s59, s36
	s_cmp_lt_u32 s13, s4
	s_waitcnt_depctr 0xfff
	v_dual_mov_b32 v22, 0 :: v_dual_mul_f32 v1, 0x4f7ffffe, v1
	s_cselect_b32 s2, 12, 18
	v_add_co_ci_u32_e64 v6, null, s31, 0, s11
	s_add_u32 s38, s6, s2
	s_delay_alu instid0(VALU_DEP_2)
	v_cvt_u32_f32_e32 v1, v1
	s_addc_u32 s39, s7, 0
	s_add_i32 s2, s8, -1
	s_bfe_u32 s60, s33, 0x30005
	s_cmp_gt_u32 s2, 6
	v_readfirstlane_b32 s2, v1
	s_cselect_b32 s61, -1, 0
	s_and_b32 s62, s8, 0x7f8
	s_cmp_lg_u32 s60, 0
	v_dual_mul_f32 v1, 0x4f7ffffe, v2 :: v_dual_mov_b32 v24, 0
	s_cselect_b32 s63, -1, 0
	s_sub_i32 s4, 0, s55
	v_dual_mov_b32 v15, 0 :: v_dual_and_b32 v16, 0x7c, v3
	s_mul_i32 s4, s4, s2
	v_cvt_u32_f32_e32 v1, v1
	s_mul_hi_u32 s4, s2, s4
	v_or_b32_e32 v3, 3, v13
	s_add_i32 s64, s2, s4
	v_mad_u64_u32 v[9:10], null, s40, v13, s[40:41]
	s_mul_hi_u32 s2, s36, s64
	v_readfirstlane_b32 s7, v1
	s_mul_i32 s2, s2, s55
	v_lshlrev_b64 v[1:2], v12, -1
	s_sub_i32 s2, s36, s2
	v_or_b32_e32 v2, 2, v13
	s_sub_i32 s6, s2, s55
	s_cmp_ge_u32 s2, s55
	v_mul_lo_u32 v18, s40, v3
	s_cselect_b32 s2, s6, s2
	v_not_b32_e32 v11, v1
	s_sub_i32 s6, s2, s55
	s_cmp_ge_u32 s2, s55
	v_mul_lo_u32 v10, s40, v2
	s_cselect_b32 s10, s6, s2
	s_sub_i32 s2, 0, s33
	s_sub_i32 s66, s36, s10
	s_mul_i32 s2, s2, s7
	v_add_nc_u32_e32 v17, s66, v0
	s_mul_hi_u32 s8, s7, s2
	v_cmp_gt_u32_e64 s4, s36, v0
	s_add_i32 s65, s7, s8
	v_cmp_gt_u32_e64 s6, 2, v0
	s_mul_hi_u32 s7, s9, s65
	v_mul_lo_u32 v1, v17, s40
	s_mul_i32 s7, s7, s33
	v_cmp_eq_u32_e64 s2, 0, v12
	s_sub_i32 s7, s9, s7
	v_lshlrev_b32_e32 v19, 2, v14
	s_sub_i32 s8, s7, s33
	s_cmp_ge_u32 s7, s33
	v_lshl_or_b32 v21, v12, 2, 0xc00
	s_cselect_b32 s8, s8, s7
	v_cmp_gt_u32_e64 s7, s66, v13
	s_sub_i32 s11, s8, s33
	s_cmp_ge_u32 s8, s33
	v_mov_b32_e32 v25, 0
	s_cselect_b32 s11, s11, s8
	v_cmp_gt_u32_e64 s8, s36, v17
	s_sub_i32 s67, s9, s11
	v_add_co_u32 v7, s9, s30, v1
	v_add3_u32 v1, s33, s36, v0
	v_add_co_ci_u32_e64 v8, null, s31, 0, s9
	v_cmp_gt_u32_e64 s9, s67, v0
	v_mov_b32_e32 v23, 0
	s_delay_alu instid0(VALU_DEP_4)
	v_subrev_nc_u32_e32 v1, s10, v1
	s_mul_i32 s41, s40, s33
	s_mov_b32 s74, 6
	s_lshl_b32 s69, s41, 2
	s_mov_b32 s70, 0
	v_mul_lo_u32 v20, s40, v1
                                        ; implicit-def: $sgpr68
                                        ; implicit-def: $sgpr73
                                        ; implicit-def: $sgpr72
                                        ; implicit-def: $sgpr75
                                        ; implicit-def: $sgpr71
                                        ; implicit-def: $sgpr76
                                        ; implicit-def: $sgpr78
                                        ; implicit-def: $sgpr77
                                        ; implicit-def: $sgpr79
                                        ; implicit-def: $sgpr80
	s_branch .LBB20_6
.LBB20_4:                               ;   in Loop: Header=BB20_6 Depth=1
	s_or_b32 exec_lo, exec_lo, s13
	v_dual_mov_b32 v23, v2 :: v_dual_mov_b32 v24, v1
	v_dual_mov_b32 v26, v4 :: v_dual_mov_b32 v25, v3
	s_and_not1_b32 s13, s80, exec_lo
	s_and_b32 s12, s12, exec_lo
	s_and_not1_b32 s79, s79, exec_lo
	s_or_b32 s80, s13, s12
	s_and_not1_b32 s77, s77, exec_lo
	s_and_not1_b32 s78, s78, exec_lo
	;; [unrolled: 1-line block ×3, first 2 shown]
	s_or_not1_b32 s12, s11, exec_lo
.LBB20_5:                               ;   in Loop: Header=BB20_6 Depth=1
	s_or_b32 exec_lo, exec_lo, s10
	s_delay_alu instid0(SALU_CYCLE_1) | instskip(NEXT) | instid1(SALU_CYCLE_1)
	s_and_b32 s10, exec_lo, s12
	s_or_b32 s53, s10, s53
	s_and_not1_b32 s10, s71, exec_lo
	s_and_b32 s11, s80, exec_lo
	s_and_not1_b32 s12, s75, exec_lo
	s_or_b32 s71, s10, s11
	s_and_b32 s10, s79, exec_lo
	s_and_not1_b32 s11, s72, exec_lo
	s_and_b32 s13, s77, exec_lo
	s_or_b32 s75, s12, s10
	s_or_b32 s72, s11, s13
	s_and_not1_b32 s10, s73, exec_lo
	s_and_b32 s11, s78, exec_lo
	s_and_not1_b32 s12, s68, exec_lo
	s_and_b32 s13, s76, exec_lo
	s_or_b32 s73, s10, s11
	s_or_b32 s68, s12, s13
	s_and_not1_b32 exec_lo, exec_lo, s53
	s_cbranch_execz .LBB20_403
.LBB20_6:                               ; =>This Loop Header: Depth=1
                                        ;     Child Loop BB20_11 Depth 2
                                        ;     Child Loop BB20_26 Depth 2
	;; [unrolled: 1-line block ×24, first 2 shown]
	ds_load_b64 v[1:2], v22 offset:4096
	s_waitcnt lgkmcnt(0)
	v_readfirstlane_b32 s81, v1
	s_delay_alu instid0(VALU_DEP_1)
	s_cmp_lg_u32 s81, 0
	s_cbranch_scc1 .LBB20_33
; %bb.7:                                ;   in Loop: Header=BB20_6 Depth=1
	s_and_b32 vcc_lo, exec_lo, s57
	s_cbranch_vccz .LBB20_19
; %bb.8:                                ;   in Loop: Header=BB20_6 Depth=1
	v_cmp_gt_u32_e32 vcc_lo, 0xc01, v2
	s_mov_b32 s81, 0
	s_mov_b32 s10, 0
	s_cbranch_vccz .LBB20_20
; %bb.9:                                ;   in Loop: Header=BB20_6 Depth=1
	global_load_u16 v1, v22, s[38:39]
	global_load_u8 v4, v[5:6], off
	v_mov_b32_e32 v27, v0
	s_mov_b32 s12, 0
	s_waitcnt vmcnt(1)
	v_add_nc_u32_e32 v2, v0, v1
	v_mul_lo_u32 v3, s40, v1
	s_delay_alu instid0(VALU_DEP_2)
	v_mul_lo_u32 v2, s40, v2
	s_branch .LBB20_11
.LBB20_10:                              ;   in Loop: Header=BB20_11 Depth=2
	s_or_b32 exec_lo, exec_lo, s11
	v_add_nc_u32_e32 v2, v2, v3
	v_mov_b32_e32 v4, v28
	s_and_not1_b32 exec_lo, exec_lo, s12
	s_cbranch_execz .LBB20_84
.LBB20_11:                              ;   Parent Loop BB20_6 Depth=1
                                        ; =>  This Inner Loop Header: Depth=2
	v_dual_mov_b32 v28, 0 :: v_dual_add_nc_u32 v27, v27, v1
	s_waitcnt lgkmcnt(0)
	v_mov_b32_e32 v29, 0
	s_mov_b32 s11, exec_lo
	s_delay_alu instid0(VALU_DEP_2)
	v_cmp_le_u32_e32 vcc_lo, s36, v27
	v_cmpx_gt_u32_e64 s36, v27
	s_cbranch_execz .LBB20_13
; %bb.12:                               ;   in Loop: Header=BB20_11 Depth=2
	global_load_u8 v28, v2, s[30:31]
.LBB20_13:                              ;   in Loop: Header=BB20_11 Depth=2
	s_or_b32 exec_lo, exec_lo, s11
	s_waitcnt vmcnt(0)
	v_bfe_i32 v30, v4, 0, 8
	s_delay_alu instid0(VALU_DEP_1) | instskip(NEXT) | instid1(VALU_DEP_1)
	v_add_nc_u32_e32 v30, 0x80, v30
	v_and_b32_e32 v30, v30, v23
	s_delay_alu instid0(VALU_DEP_1) | instskip(NEXT) | instid1(VALU_DEP_1)
	v_cmp_eq_u32_e64 s10, v30, v24
	s_cmp_lg_u32 s10, 0
	s_cselect_b32 s11, -1, 0
	s_delay_alu instid0(SALU_CYCLE_1) | instskip(NEXT) | instid1(SALU_CYCLE_1)
	s_and_b32 s11, s2, s11
	s_and_saveexec_b32 s13, s11
	s_cbranch_execz .LBB20_17
; %bb.14:                               ;   in Loop: Header=BB20_11 Depth=2
	s_mov_b32 s16, exec_lo
	s_bcnt1_i32_b32 s14, s10
	v_mbcnt_lo_u32_b32 v29, s16, 0
	s_mov_b32 s15, exec_lo
                                        ; implicit-def: $vgpr30
	s_delay_alu instid0(VALU_DEP_1)
	v_cmpx_eq_u32_e32 0, v29
	s_cbranch_execz .LBB20_16
; %bb.15:                               ;   in Loop: Header=BB20_11 Depth=2
	s_bcnt1_i32_b32 s11, s16
	s_delay_alu instid0(SALU_CYCLE_1) | instskip(NEXT) | instid1(SALU_CYCLE_1)
	s_mul_i32 s11, s14, s11
	v_mov_b32_e32 v30, s11
	ds_add_rtn_u32 v30, v22, v30 offset:4104
.LBB20_16:                              ;   in Loop: Header=BB20_11 Depth=2
	s_or_b32 exec_lo, exec_lo, s15
	s_waitcnt lgkmcnt(0)
	v_readfirstlane_b32 s11, v30
	s_delay_alu instid0(VALU_DEP_1)
	v_mad_u32_u24 v29, s14, v29, s11
.LBB20_17:                              ;   in Loop: Header=BB20_11 Depth=2
	s_or_b32 exec_lo, exec_lo, s13
	ds_bpermute_b32 v29, v22, v29
	s_and_b32 s11, exec_lo, vcc_lo
	s_delay_alu instid0(SALU_CYCLE_1)
	s_or_b32 s12, s11, s12
	s_and_saveexec_b32 s11, s10
	s_cbranch_execz .LBB20_10
; %bb.18:                               ;   in Loop: Header=BB20_11 Depth=2
	v_and_b32_e32 v30, s10, v11
	s_waitcnt lgkmcnt(0)
	s_delay_alu instid0(VALU_DEP_1)
	v_bcnt_u32_b32 v29, v30, v29
	ds_store_b8 v29, v4
	s_branch .LBB20_10
.LBB20_19:                              ;   in Loop: Header=BB20_6 Depth=1
	s_mov_b32 s81, -1
	s_mov_b32 s10, 0
.LBB20_20:                              ;   in Loop: Header=BB20_6 Depth=1
	s_and_b32 vcc_lo, exec_lo, s81
	s_cbranch_vccz .LBB20_31
.LBB20_21:                              ;   in Loop: Header=BB20_6 Depth=1
	v_mov_b32_e32 v1, 0
	s_and_saveexec_b32 s10, s4
	s_cbranch_execz .LBB20_23
; %bb.22:                               ;   in Loop: Header=BB20_6 Depth=1
	global_load_u8 v1, v[5:6], off
.LBB20_23:                              ;   in Loop: Header=BB20_6 Depth=1
	s_or_b32 exec_lo, exec_lo, s10
	s_and_saveexec_b32 s11, s4
	s_cbranch_execz .LBB20_28
; %bb.24:                               ;   in Loop: Header=BB20_6 Depth=1
	global_load_u16 v2, v22, s[38:39]
	v_mov_b32_e32 v27, v0
	s_mov_b32 s12, 0
	s_waitcnt vmcnt(0)
	v_add_nc_u32_e32 v3, v0, v2
	v_mul_lo_u32 v4, s40, v2
	s_delay_alu instid0(VALU_DEP_2)
	v_mul_lo_u32 v3, s40, v3
	s_branch .LBB20_26
	.p2align	6
.LBB20_25:                              ;   in Loop: Header=BB20_26 Depth=2
	s_or_b32 exec_lo, exec_lo, s13
	ds_store_b8 v27, v1
	v_add_nc_u32_e32 v3, v3, v4
	s_waitcnt vmcnt(0)
	v_mov_b32_e32 v1, v29
	v_mov_b32_e32 v27, v28
	s_and_b32 s10, exec_lo, vcc_lo
	s_delay_alu instid0(SALU_CYCLE_1) | instskip(NEXT) | instid1(SALU_CYCLE_1)
	s_or_b32 s12, s10, s12
	s_and_not1_b32 exec_lo, exec_lo, s12
	s_cbranch_execz .LBB20_28
.LBB20_26:                              ;   Parent Loop BB20_6 Depth=1
                                        ; =>  This Inner Loop Header: Depth=2
	v_dual_mov_b32 v29, 0 :: v_dual_add_nc_u32 v28, v27, v2
	s_mov_b32 s13, exec_lo
	s_delay_alu instid0(VALU_DEP_1)
	v_cmp_le_u32_e32 vcc_lo, s36, v28
	v_cmpx_gt_u32_e64 s36, v28
	s_cbranch_execz .LBB20_25
; %bb.27:                               ;   in Loop: Header=BB20_26 Depth=2
	global_load_u8 v29, v3, s[30:31]
	s_branch .LBB20_25
.LBB20_28:                              ;   in Loop: Header=BB20_6 Depth=1
	s_or_b32 exec_lo, exec_lo, s11
	s_waitcnt vmcnt(0) lgkmcnt(0)
	s_barrier
	buffer_gl0_inv
	s_and_saveexec_b32 s10, s5
	s_cbranch_execz .LBB20_30
; %bb.29:                               ;   in Loop: Header=BB20_6 Depth=1
	v_mov_b32_e32 v1, s36
	ds_store_b32 v22, v1 offset:4096
.LBB20_30:                              ;   in Loop: Header=BB20_6 Depth=1
	s_or_b32 exec_lo, exec_lo, s10
	s_mov_b32 s10, -1
	s_waitcnt lgkmcnt(0)
	s_barrier
                                        ; implicit-def: $sgpr81
.LBB20_31:                              ;   in Loop: Header=BB20_6 Depth=1
	s_and_b32 vcc_lo, exec_lo, s10
	s_cbranch_vccz .LBB20_33
; %bb.32:                               ;   in Loop: Header=BB20_6 Depth=1
	buffer_gl0_inv
	ds_load_b32 v1, v22 offset:4096
	s_waitcnt lgkmcnt(0)
	v_readfirstlane_b32 s81, v1
.LBB20_33:                              ;   in Loop: Header=BB20_6 Depth=1
	s_delay_alu instid0(VALU_DEP_1)
	s_cmp_lt_i32 s81, 1
	s_cbranch_scc0 .LBB20_37
; %bb.34:                               ;   in Loop: Header=BB20_6 Depth=1
	v_dual_mov_b32 v1, 0 :: v_dual_mov_b32 v2, 0
	v_dual_mov_b32 v3, 0 :: v_dual_mov_b32 v4, 0
	s_mov_b32 s83, 0
	s_and_saveexec_b32 s82, s7
	s_cbranch_execnz .LBB20_38
; %bb.35:                               ;   in Loop: Header=BB20_6 Depth=1
	s_or_b32 exec_lo, exec_lo, s82
	v_mov_b32_e32 v30, 0
	s_and_saveexec_b32 s10, s8
	s_cbranch_execnz .LBB20_41
.LBB20_36:                              ;   in Loop: Header=BB20_6 Depth=1
	s_or_b32 exec_lo, exec_lo, s10
	s_and_saveexec_b32 s14, s8
	s_cbranch_execnz .LBB20_42
	s_branch .LBB20_47
.LBB20_37:                              ;   in Loop: Header=BB20_6 Depth=1
                                        ; implicit-def: $vgpr4
	s_cbranch_execnz .LBB20_48
	s_branch .LBB20_57
.LBB20_38:                              ;   in Loop: Header=BB20_6 Depth=1
	v_mov_b32_e32 v27, v13
	s_and_b32 s84, s74, 0xfe
	s_mov_b32 s85, 0
	s_mov_b32 s86, 0
	;; [unrolled: 1-line block ×5, first 2 shown]
.LBB20_39:                              ;   Parent Loop BB20_6 Depth=1
                                        ; =>  This Inner Loop Header: Depth=2
	v_add_nc_u32_e32 v1, s85, v19
	v_add_nc_u32_e32 v2, s85, v9
	;; [unrolled: 1-line block ×5, first 2 shown]
	s_clause 0x3
	global_load_i8 v1, v1, s[30:31]
	global_load_i8 v2, v2, s[30:31]
	;; [unrolled: 1-line block ×4, first 2 shown]
	s_add_i32 s85, s85, s69
	v_cmp_le_u32_e32 vcc_lo, s66, v27
	s_waitcnt vmcnt(3)
	v_add_nc_u32_e32 v1, 0x80, v1
	s_waitcnt vmcnt(2)
	v_add_nc_u32_e32 v2, 0x80, v2
	;; [unrolled: 2-line block ×4, first 2 shown]
	v_and_b32_e32 v28, v1, v23
	v_bfe_u32 v1, v1, s84, 2
	v_and_b32_e32 v29, v2, v23
	v_bfe_u32 v2, v2, s84, 2
	;; [unrolled: 2-line block ×3, first 2 shown]
	v_cmp_eq_u32_e64 s10, v28, v24
	v_cmp_eq_u32_e64 s14, 0, v1
	v_and_b32_e32 v31, v4, v23
	v_bfe_u32 v4, v4, s84, 2
	v_cmp_eq_u32_e64 s11, v29, v24
	v_cmp_eq_u32_e64 s15, 0, v2
	;; [unrolled: 1-line block ×4, first 2 shown]
	s_and_b32 s14, s10, s14
	v_cmp_eq_u32_e64 s13, v31, v24
	v_cmp_eq_u32_e64 s17, 0, v4
	;; [unrolled: 1-line block ×5, first 2 shown]
	v_cndmask_b32_e64 v1, 0, 1, s14
	s_and_b32 s14, s11, s15
	v_cmp_eq_u32_e64 s19, 1, v2
	v_cmp_eq_u32_e64 s23, 2, v2
	v_cmp_eq_u32_e64 s27, 3, v2
	v_cndmask_b32_e64 v2, 0, 1, s14
	s_and_b32 s14, s12, s16
	v_cmp_eq_u32_e64 s20, 1, v3
	v_cmp_eq_u32_e64 s24, 2, v3
	v_cmp_eq_u32_e64 s28, 3, v3
	;; [unrolled: 5-line block ×3, first 2 shown]
	v_cndmask_b32_e64 v4, 0, 1, s14
	s_and_b32 s14, s10, s18
	s_delay_alu instid0(SALU_CYCLE_1) | instskip(SKIP_1) | instid1(SALU_CYCLE_1)
	v_cndmask_b32_e64 v28, 0, 1, s14
	s_and_b32 s14, s11, s19
	v_cndmask_b32_e64 v29, 0, 1, s14
	s_and_b32 s14, s12, s20
	s_delay_alu instid0(SALU_CYCLE_1) | instskip(SKIP_1) | instid1(VALU_DEP_2)
	v_cndmask_b32_e64 v30, 0, 1, s14
	s_and_b32 s14, s13, s21
	v_cmp_ne_u32_e64 s15, 0, v29
	v_cndmask_b32_e64 v31, 0, 1, s14
	s_and_b32 s14, s10, s22
	s_and_b32 s10, s10, s26
	v_cndmask_b32_e64 v32, 0, 1, s14
	s_and_b32 s14, s11, s23
	v_cndmask_b32_e64 v36, 0, 1, s10
	s_and_b32 s10, s11, s27
	v_cndmask_b32_e64 v33, 0, 1, s14
	s_and_b32 s14, s12, s24
	v_cndmask_b32_e64 v37, 0, 1, s10
	s_and_b32 s10, s12, s28
	v_cndmask_b32_e64 v34, 0, 1, s14
	s_and_b32 s14, s13, s25
	v_cndmask_b32_e64 v38, 0, 1, s10
	s_and_b32 s10, s13, s29
	v_cndmask_b32_e64 v35, 0, 1, s14
	v_cndmask_b32_e64 v39, 0, 1, s10
	v_cmp_ne_u32_e64 s10, 0, v1
	v_cmp_ne_u32_e64 s14, 0, v28
	;; [unrolled: 1-line block ×11, first 2 shown]
	s_bcnt1_i32_b32 s10, s10
	s_bcnt1_i32_b32 s14, s14
	;; [unrolled: 1-line block ×4, first 2 shown]
	v_cmp_ne_u32_e64 s13, 0, v4
	v_cmp_ne_u32_e64 s17, 0, v31
	;; [unrolled: 1-line block ×4, first 2 shown]
	s_bcnt1_i32_b32 s11, s11
	s_bcnt1_i32_b32 s15, s15
	s_bcnt1_i32_b32 s19, s19
	s_bcnt1_i32_b32 s23, s23
	s_add_i32 s10, s10, s89
	s_add_i32 s14, s14, s88
	s_add_i32 s18, s18, s87
	s_add_i32 s22, s22, s86
	s_bcnt1_i32_b32 s12, s12
	s_bcnt1_i32_b32 s16, s16
	s_bcnt1_i32_b32 s20, s20
	s_bcnt1_i32_b32 s24, s24
	s_add_i32 s10, s10, s11
	s_add_i32 s11, s14, s15
	s_add_i32 s14, s18, s19
	s_add_i32 s15, s22, s23
	;; [unrolled: 8-line block ×3, first 2 shown]
	s_add_i32 s89, s10, s13
	s_add_i32 s88, s11, s17
	;; [unrolled: 1-line block ×4, first 2 shown]
	v_mov_b32_e32 v3, s87
	v_dual_mov_b32 v1, s89 :: v_dual_mov_b32 v2, s88
	v_mov_b32_e32 v4, s86
	s_or_b32 s83, vcc_lo, s83
	s_delay_alu instid0(SALU_CYCLE_1)
	s_and_not1_b32 exec_lo, exec_lo, s83
	s_cbranch_execnz .LBB20_39
; %bb.40:                               ;   in Loop: Header=BB20_6 Depth=1
	s_or_b32 exec_lo, exec_lo, s83
	s_delay_alu instid0(SALU_CYCLE_1)
	s_or_b32 exec_lo, exec_lo, s82
	v_mov_b32_e32 v30, 0
	s_and_saveexec_b32 s10, s8
	s_cbranch_execz .LBB20_36
.LBB20_41:                              ;   in Loop: Header=BB20_6 Depth=1
	global_load_u8 v30, v[7:8], off
	s_or_b32 exec_lo, exec_lo, s10
	s_and_saveexec_b32 s14, s8
	s_cbranch_execz .LBB20_47
.LBB20_42:                              ;   in Loop: Header=BB20_6 Depth=1
	v_dual_mov_b32 v27, v20 :: v_dual_mov_b32 v28, v17
	s_and_b32 s16, s74, 0xfe
	s_mov_b32 s15, 0
	s_branch .LBB20_44
.LBB20_43:                              ;   in Loop: Header=BB20_44 Depth=2
	s_or_b32 exec_lo, exec_lo, s11
	s_waitcnt vmcnt(0)
	v_bfe_i32 v30, v30, 0, 8
	s_and_b32 s11, exec_lo, vcc_lo
	v_add_nc_u32_e32 v27, s41, v27
	s_or_b32 s15, s11, s15
	s_delay_alu instid0(VALU_DEP_2) | instskip(NEXT) | instid1(VALU_DEP_1)
	v_add_nc_u32_e32 v30, 0x80, v30
	v_and_b32_e32 v31, v30, v23
	v_bfe_u32 v30, v30, s16, 2
	s_delay_alu instid0(VALU_DEP_2) | instskip(NEXT) | instid1(VALU_DEP_2)
	v_cmp_eq_u32_e32 vcc_lo, v31, v24
	v_cmp_eq_u32_e64 s10, 0, v30
	v_cmp_eq_u32_e64 s11, 1, v30
	;; [unrolled: 1-line block ×4, first 2 shown]
	s_delay_alu instid0(VALU_DEP_4) | instskip(NEXT) | instid1(SALU_CYCLE_1)
	s_and_b32 s10, vcc_lo, s10
	v_cndmask_b32_e64 v30, 0, 1, s10
	s_and_b32 s10, vcc_lo, s11
	s_delay_alu instid0(SALU_CYCLE_1) | instskip(SKIP_1) | instid1(SALU_CYCLE_1)
	v_cndmask_b32_e64 v31, 0, 1, s10
	s_and_b32 s10, vcc_lo, s12
	v_cndmask_b32_e64 v32, 0, 1, s10
	s_and_b32 s10, vcc_lo, s13
	v_cmp_ne_u32_e32 vcc_lo, 0, v30
	v_mov_b32_e32 v30, v29
	v_cndmask_b32_e64 v33, 0, 1, s10
	v_cmp_ne_u32_e64 s10, 0, v31
	v_cmp_ne_u32_e64 s11, 0, v32
	s_bcnt1_i32_b32 s13, vcc_lo
	s_delay_alu instid0(VALU_DEP_3) | instskip(NEXT) | instid1(VALU_DEP_3)
	v_cmp_ne_u32_e64 s12, 0, v33
	s_bcnt1_i32_b32 s10, s10
	s_delay_alu instid0(VALU_DEP_2)
	s_bcnt1_i32_b32 s11, s11
	v_add_nc_u32_e32 v1, s13, v1
	v_add_nc_u32_e32 v2, s10, v2
	s_bcnt1_i32_b32 s12, s12
	v_add_nc_u32_e32 v3, s11, v3
	v_add_nc_u32_e32 v4, s12, v4
	s_and_not1_b32 exec_lo, exec_lo, s15
	s_cbranch_execz .LBB20_46
.LBB20_44:                              ;   Parent Loop BB20_6 Depth=1
                                        ; =>  This Inner Loop Header: Depth=2
	s_delay_alu instid0(VALU_DEP_1) | instskip(SKIP_1) | instid1(VALU_DEP_1)
	v_dual_mov_b32 v29, 0 :: v_dual_add_nc_u32 v28, s33, v28
	s_mov_b32 s11, exec_lo
	v_cmp_le_u32_e32 vcc_lo, s36, v28
	v_cmpx_gt_u32_e64 s36, v28
	s_cbranch_execz .LBB20_43
; %bb.45:                               ;   in Loop: Header=BB20_44 Depth=2
	global_load_u8 v29, v27, s[30:31]
	s_branch .LBB20_43
.LBB20_46:                              ;   in Loop: Header=BB20_6 Depth=1
	s_or_b32 exec_lo, exec_lo, s15
.LBB20_47:                              ;   in Loop: Header=BB20_6 Depth=1
	s_delay_alu instid0(SALU_CYCLE_1)
	s_or_b32 exec_lo, exec_lo, s14
	s_branch .LBB20_57
.LBB20_48:                              ;   in Loop: Header=BB20_6 Depth=1
	s_mul_hi_u32 s10, s81, s64
	v_dual_mov_b32 v1, 0 :: v_dual_mov_b32 v2, 0
	s_mul_i32 s10, s10, s55
	v_dual_mov_b32 v3, 0 :: v_dual_mov_b32 v4, 0
	s_sub_i32 s10, s81, s10
	s_mov_b32 s84, 0
	s_sub_i32 s11, s10, s55
	s_cmp_ge_u32 s10, s55
	s_mov_b32 s83, exec_lo
	s_cselect_b32 s10, s11, s10
	s_delay_alu instid0(SALU_CYCLE_1) | instskip(SKIP_2) | instid1(SALU_CYCLE_1)
	s_sub_i32 s11, s10, s55
	s_cmp_ge_u32 s10, s55
	s_cselect_b32 s10, s11, s10
	s_sub_i32 s82, s81, s10
	s_delay_alu instid0(SALU_CYCLE_1)
	v_cmpx_gt_u32_e64 s82, v13
	s_cbranch_execz .LBB20_52
; %bb.49:                               ;   in Loop: Header=BB20_6 Depth=1
	v_mov_b32_e32 v27, v13
	s_and_b32 s85, s74, 0xfe
	s_mov_b32 s86, 0
	s_mov_b32 s87, 0
	;; [unrolled: 1-line block ×4, first 2 shown]
.LBB20_50:                              ;   Parent Loop BB20_6 Depth=1
                                        ; =>  This Inner Loop Header: Depth=2
	ds_load_b32 v1, v27
	s_waitcnt lgkmcnt(0)
	v_bfe_i32 v2, v1, 0, 8
	v_bfe_i32 v3, v1, 8, 8
	;; [unrolled: 1-line block ×3, first 2 shown]
	v_ashrrev_i32_e32 v1, 24, v1
	s_delay_alu instid0(VALU_DEP_4) | instskip(NEXT) | instid1(VALU_DEP_4)
	v_add_nc_u32_e32 v2, 0x80, v2
	v_add_nc_u32_e32 v3, 0x80, v3
	s_delay_alu instid0(VALU_DEP_4) | instskip(NEXT) | instid1(VALU_DEP_4)
	v_add_nc_u32_e32 v4, 0x80, v4
	v_add_nc_u32_e32 v1, 0x80, v1
	s_delay_alu instid0(VALU_DEP_4)
	v_and_b32_e32 v28, v2, v23
	v_bfe_u32 v2, v2, s85, 2
	v_and_b32_e32 v29, v3, v23
	v_bfe_u32 v3, v3, s85, 2
	s_waitcnt vmcnt(0)
	v_and_b32_e32 v30, v4, v23
	v_bfe_u32 v4, v4, s85, 2
	v_cmp_eq_u32_e64 s10, v28, v24
	v_cmp_eq_u32_e64 s14, 0, v2
	v_and_b32_e32 v31, v1, v23
	v_bfe_u32 v1, v1, s85, 2
	v_cmp_eq_u32_e64 s11, v29, v24
	v_cmp_eq_u32_e64 s15, 0, v3
	;; [unrolled: 1-line block ×4, first 2 shown]
	s_and_b32 s14, s10, s14
	v_cmp_eq_u32_e64 s13, v31, v24
	v_cmp_eq_u32_e64 s17, 0, v1
	;; [unrolled: 1-line block ×5, first 2 shown]
	v_cndmask_b32_e64 v1, 0, 1, s14
	s_and_b32 s14, s11, s15
	v_cmp_eq_u32_e64 s18, 1, v2
	v_cmp_eq_u32_e64 s22, 2, v2
	v_cmp_eq_u32_e64 s26, 3, v2
	v_cndmask_b32_e64 v2, 0, 1, s14
	s_and_b32 s14, s12, s16
	v_cmp_eq_u32_e64 s19, 1, v3
	v_cmp_eq_u32_e64 s23, 2, v3
	v_cmp_eq_u32_e64 s27, 3, v3
	;; [unrolled: 5-line block ×3, first 2 shown]
	v_cndmask_b32_e64 v4, 0, 1, s14
	s_and_b32 s14, s10, s18
	s_delay_alu instid0(SALU_CYCLE_1) | instskip(SKIP_1) | instid1(SALU_CYCLE_1)
	v_cndmask_b32_e64 v28, 0, 1, s14
	s_and_b32 s14, s11, s19
	v_cndmask_b32_e64 v29, 0, 1, s14
	s_and_b32 s14, s12, s20
	s_delay_alu instid0(SALU_CYCLE_1) | instskip(SKIP_1) | instid1(VALU_DEP_2)
	v_cndmask_b32_e64 v30, 0, 1, s14
	s_and_b32 s14, s13, s21
	v_cmp_ne_u32_e64 s15, 0, v29
	v_cndmask_b32_e64 v31, 0, 1, s14
	s_and_b32 s14, s10, s22
	s_and_b32 s10, s10, s26
	v_cndmask_b32_e64 v32, 0, 1, s14
	s_and_b32 s14, s11, s23
	v_cndmask_b32_e64 v36, 0, 1, s10
	;; [unrolled: 2-line block ×7, first 2 shown]
	v_cndmask_b32_e64 v39, 0, 1, s10
	v_cmp_ne_u32_e64 s10, 0, v1
	v_cmp_ne_u32_e64 s14, 0, v28
	;; [unrolled: 1-line block ×6, first 2 shown]
	s_bcnt1_i32_b32 s10, s10
	s_bcnt1_i32_b32 s14, s14
	v_cmp_ne_u32_e64 s17, 0, v31
	v_cmp_ne_u32_e64 s19, 0, v33
	;; [unrolled: 1-line block ×3, first 2 shown]
	s_bcnt1_i32_b32 s11, s11
	s_bcnt1_i32_b32 s15, s15
	s_add_i32 s10, s10, s89
	s_add_i32 s14, s14, s88
	v_cmp_ne_u32_e64 s12, 0, v3
	v_cmp_ne_u32_e64 s20, 0, v34
	;; [unrolled: 1-line block ×3, first 2 shown]
	s_bcnt1_i32_b32 s16, s16
	s_add_i32 s10, s10, s11
	s_add_i32 s11, s14, s15
	s_bcnt1_i32_b32 s18, s18
	s_bcnt1_i32_b32 s22, s22
	v_cmp_ne_u32_e64 s13, 0, v4
	v_cmp_ne_u32_e64 s21, 0, v35
	;; [unrolled: 1-line block ×3, first 2 shown]
	s_bcnt1_i32_b32 s17, s17
	s_add_i32 s11, s11, s16
	s_bcnt1_i32_b32 s19, s19
	s_bcnt1_i32_b32 s23, s23
	s_add_i32 s18, s18, s87
	s_add_i32 s22, s22, s86
	;; [unrolled: 1-line block ×3, first 2 shown]
	s_delay_alu instid0(SALU_CYCLE_1)
	v_dual_mov_b32 v2, s88 :: v_dual_add_nc_u32 v27, s55, v27
	s_bcnt1_i32_b32 s12, s12
	s_bcnt1_i32_b32 s20, s20
	;; [unrolled: 1-line block ×3, first 2 shown]
	s_add_i32 s14, s18, s19
	s_add_i32 s15, s22, s23
	s_bcnt1_i32_b32 s13, s13
	s_bcnt1_i32_b32 s21, s21
	;; [unrolled: 1-line block ×3, first 2 shown]
	s_add_i32 s10, s10, s12
	s_add_i32 s12, s14, s20
	;; [unrolled: 1-line block ×3, first 2 shown]
	v_cmp_le_u32_e32 vcc_lo, s82, v27
	s_add_i32 s89, s10, s13
	s_add_i32 s87, s12, s21
	;; [unrolled: 1-line block ×3, first 2 shown]
	v_mov_b32_e32 v1, s89
	v_dual_mov_b32 v3, s87 :: v_dual_mov_b32 v4, s86
	s_or_b32 s84, vcc_lo, s84
	s_delay_alu instid0(SALU_CYCLE_1)
	s_and_not1_b32 exec_lo, exec_lo, s84
	s_cbranch_execnz .LBB20_50
; %bb.51:                               ;   in Loop: Header=BB20_6 Depth=1
	s_or_b32 exec_lo, exec_lo, s84
.LBB20_52:                              ;   in Loop: Header=BB20_6 Depth=1
	s_delay_alu instid0(SALU_CYCLE_1) | instskip(SKIP_2) | instid1(VALU_DEP_1)
	s_or_b32 exec_lo, exec_lo, s83
	v_add_nc_u32_e32 v27, s82, v0
	s_mov_b32 s15, exec_lo
	v_cmpx_gt_u32_e64 s81, v27
	s_cbranch_execz .LBB20_56
; %bb.53:                               ;   in Loop: Header=BB20_6 Depth=1
	s_and_b32 s17, s74, 0xfe
	s_mov_b32 s16, 0
.LBB20_54:                              ;   Parent Loop BB20_6 Depth=1
                                        ; =>  This Inner Loop Header: Depth=2
	ds_load_i8 v28, v27
	v_add_nc_u32_e32 v27, s33, v27
	s_delay_alu instid0(VALU_DEP_1) | instskip(SKIP_2) | instid1(VALU_DEP_1)
	v_cmp_le_u32_e32 vcc_lo, s81, v27
	s_waitcnt lgkmcnt(0)
	v_add_nc_u32_e32 v28, 0x80, v28
	v_and_b32_e32 v29, v28, v23
	v_bfe_u32 v28, v28, s17, 2
	s_delay_alu instid0(VALU_DEP_2) | instskip(NEXT) | instid1(VALU_DEP_2)
	v_cmp_eq_u32_e64 s10, v29, v24
	v_cmp_eq_u32_e64 s11, 0, v28
	;; [unrolled: 1-line block ×5, first 2 shown]
	s_delay_alu instid0(VALU_DEP_4) | instskip(NEXT) | instid1(SALU_CYCLE_1)
	s_and_b32 s11, s10, s11
	v_cndmask_b32_e64 v28, 0, 1, s11
	s_and_b32 s11, s10, s12
	s_delay_alu instid0(SALU_CYCLE_1)
	v_cndmask_b32_e64 v29, 0, 1, s11
	s_and_b32 s11, s10, s13
	s_and_b32 s10, s10, s14
	s_waitcnt vmcnt(0)
	v_cndmask_b32_e64 v30, 0, 1, s11
	v_cndmask_b32_e64 v31, 0, 1, s10
	v_cmp_ne_u32_e64 s10, 0, v28
	v_cmp_ne_u32_e64 s11, 0, v29
	s_delay_alu instid0(VALU_DEP_4) | instskip(NEXT) | instid1(VALU_DEP_4)
	v_cmp_ne_u32_e64 s12, 0, v30
	v_cmp_ne_u32_e64 s13, 0, v31
	s_delay_alu instid0(VALU_DEP_4) | instskip(NEXT) | instid1(VALU_DEP_3)
	s_bcnt1_i32_b32 s10, s10
	s_bcnt1_i32_b32 s11, s11
	v_add_nc_u32_e32 v1, s10, v1
	s_bcnt1_i32_b32 s12, s12
	s_bcnt1_i32_b32 s13, s13
	v_add_nc_u32_e32 v2, s11, v2
	v_add_nc_u32_e32 v3, s12, v3
	;; [unrolled: 1-line block ×3, first 2 shown]
	s_or_b32 s16, vcc_lo, s16
	s_delay_alu instid0(SALU_CYCLE_1)
	s_and_not1_b32 exec_lo, exec_lo, s16
	s_cbranch_execnz .LBB20_54
; %bb.55:                               ;   in Loop: Header=BB20_6 Depth=1
	s_or_b32 exec_lo, exec_lo, s16
.LBB20_56:                              ;   in Loop: Header=BB20_6 Depth=1
	s_delay_alu instid0(SALU_CYCLE_1)
	s_or_b32 exec_lo, exec_lo, s15
.LBB20_57:                              ;   in Loop: Header=BB20_6 Depth=1
	s_lshl_b32 s10, s70, 7
	s_and_saveexec_b32 s11, s2
	s_cbranch_execz .LBB20_59
; %bb.58:                               ;   in Loop: Header=BB20_6 Depth=1
	v_or_b32_e32 v27, s10, v16
	s_delay_alu instid0(VALU_DEP_1)
	v_lshlrev_b32_e32 v27, 2, v27
	ds_store_b128 v27, v[1:4] offset:3072
.LBB20_59:                              ;   in Loop: Header=BB20_6 Depth=1
	s_or_b32 exec_lo, exec_lo, s11
	s_waitcnt vmcnt(0) lgkmcnt(0)
	s_barrier
	buffer_gl0_inv
	s_and_saveexec_b32 s11, s56
	s_cbranch_execz .LBB20_69
; %bb.60:                               ;   in Loop: Header=BB20_6 Depth=1
	v_mov_b32_e32 v1, 0
	s_and_not1_b32 vcc_lo, exec_lo, s58
	s_cbranch_vccnz .LBB20_68
; %bb.61:                               ;   in Loop: Header=BB20_6 Depth=1
	v_mov_b32_e32 v1, 0
	s_and_not1_b32 vcc_lo, exec_lo, s61
	s_mov_b32 s12, 0
	s_cbranch_vccnz .LBB20_65
; %bb.62:                               ;   in Loop: Header=BB20_6 Depth=1
	v_lshl_add_u32 v2, s70, 9, v21
	v_mov_b32_e32 v1, 0
	.p2align	6
.LBB20_63:                              ;   Parent Loop BB20_6 Depth=1
                                        ; =>  This Inner Loop Header: Depth=2
	ds_load_2addr_b32 v[3:4], v2 offset1:4
	ds_load_2addr_b32 v[27:28], v2 offset0:8 offset1:12
	ds_load_2addr_b32 v[29:30], v2 offset0:16 offset1:20
	ds_load_2addr_b32 v[31:32], v2 offset0:24 offset1:28
	v_add_nc_u32_e32 v2, 0x80, v2
	s_add_i32 s12, s12, 8
	s_delay_alu instid0(SALU_CYCLE_1) | instskip(SKIP_3) | instid1(VALU_DEP_1)
	s_cmp_eq_u32 s62, s12
	s_waitcnt lgkmcnt(3)
	v_add3_u32 v1, v3, v1, v4
	s_waitcnt lgkmcnt(2)
	v_add3_u32 v1, v27, v1, v28
	s_waitcnt lgkmcnt(1)
	s_delay_alu instid0(VALU_DEP_1) | instskip(SKIP_1) | instid1(VALU_DEP_1)
	v_add3_u32 v1, v29, v1, v30
	s_waitcnt lgkmcnt(0)
	v_add3_u32 v1, v31, v1, v32
	s_cbranch_scc0 .LBB20_63
; %bb.64:                               ;   in Loop: Header=BB20_6 Depth=1
	s_mov_b32 s12, s62
.LBB20_65:                              ;   in Loop: Header=BB20_6 Depth=1
	s_and_not1_b32 vcc_lo, exec_lo, s63
	s_cbranch_vccnz .LBB20_68
; %bb.66:                               ;   in Loop: Header=BB20_6 Depth=1
	s_lshl_b32 s13, s70, 9
	s_lshl_b32 s12, s12, 4
	s_delay_alu instid0(SALU_CYCLE_1)
	v_add3_u32 v2, s13, s12, v21
	s_mov_b32 s12, s60
.LBB20_67:                              ;   Parent Loop BB20_6 Depth=1
                                        ; =>  This Inner Loop Header: Depth=2
	ds_load_b32 v3, v2
	v_add_nc_u32_e32 v2, 16, v2
	s_add_i32 s12, s12, -1
	s_delay_alu instid0(SALU_CYCLE_1)
	s_cmp_lg_u32 s12, 0
	s_waitcnt lgkmcnt(0)
	v_add_nc_u32_e32 v1, v3, v1
	s_cbranch_scc1 .LBB20_67
.LBB20_68:                              ;   in Loop: Header=BB20_6 Depth=1
	v_add_lshl_u32 v2, s10, v12, 2
	ds_store_b32 v2, v1 offset:3072
.LBB20_69:                              ;   in Loop: Header=BB20_6 Depth=1
	s_or_b32 exec_lo, exec_lo, s11
	s_lshl_b32 s10, s10, 2
	s_waitcnt lgkmcnt(0)
	v_mov_b32_e32 v1, s10
	s_barrier
	buffer_gl0_inv
	s_and_b32 s17, s74, 0xfe
	v_cmp_eq_u32_e64 s10, 1, v26
	ds_load_b128 v[1:4], v1 offset:3072
	s_lshl_b32 s13, 3, s17
	s_and_not1_b32 vcc_lo, exec_lo, s54
	s_not_b32 s14, s13
	s_waitcnt lgkmcnt(0)
	v_readfirstlane_b32 s12, v1
	v_readfirstlane_b32 s16, v2
	;; [unrolled: 1-line block ×4, first 2 shown]
	s_cbranch_vccnz .LBB20_82
; %bb.70:                               ;   in Loop: Header=BB20_6 Depth=1
	s_cmp_eq_u32 s12, 1
	v_dual_mov_b32 v1, v24 :: v_dual_mov_b32 v2, v23
	v_mov_b32_e32 v3, v25
	s_cselect_b32 s11, -1, 0
	s_mov_b32 s26, -1
	s_and_b32 s25, s11, s10
                                        ; implicit-def: $sgpr15
                                        ; implicit-def: $sgpr22
                                        ; implicit-def: $sgpr21
	s_delay_alu instid0(SALU_CYCLE_1)
	s_and_saveexec_b32 s20, s25
	s_cbranch_execz .LBB20_101
; %bb.71:                               ;   in Loop: Header=BB20_6 Depth=1
	ds_load_b32 v1, v22 offset:4096
	s_waitcnt lgkmcnt(0)
	s_barrier
	buffer_gl0_inv
	v_readfirstlane_b32 s15, v1
	s_and_saveexec_b32 s11, s6
	s_cbranch_execz .LBB20_73
; %bb.72:                               ;   in Loop: Header=BB20_6 Depth=1
	ds_store_b8 v0, v15 offset:3072
.LBB20_73:                              ;   in Loop: Header=BB20_6 Depth=1
	s_or_b32 exec_lo, exec_lo, s11
	v_and_b32_e32 v1, s14, v24
	v_or_b32_e32 v2, s13, v23
	s_cmp_eq_u32 s15, 0
	s_waitcnt lgkmcnt(0)
	s_barrier
	buffer_gl0_inv
	s_cbranch_scc1 .LBB20_87
; %bb.74:                               ;   in Loop: Header=BB20_6 Depth=1
	s_add_i32 s11, s15, s59
                                        ; implicit-def: $vgpr3
	s_delay_alu instid0(SALU_CYCLE_1) | instskip(NEXT) | instid1(SALU_CYCLE_1)
	s_mul_hi_u32 s21, s11, s65
	s_mul_i32 s21, s21, s33
	s_delay_alu instid0(SALU_CYCLE_1) | instskip(NEXT) | instid1(SALU_CYCLE_1)
	s_sub_i32 s21, s11, s21
	s_sub_i32 s22, s21, s33
	s_cmp_ge_u32 s21, s33
	s_cselect_b32 s21, s22, s21
	s_delay_alu instid0(SALU_CYCLE_1) | instskip(SKIP_2) | instid1(SALU_CYCLE_1)
	s_sub_i32 s22, s21, s33
	s_cmp_ge_u32 s21, s33
	s_cselect_b32 s21, s22, s21
	s_sub_i32 s22, s11, s21
	s_mov_b32 s11, 0
	s_mov_b32 s21, exec_lo
	v_cmpx_gt_u32_e64 s22, v0
	s_cbranch_execz .LBB20_89
; %bb.75:                               ;   in Loop: Header=BB20_6 Depth=1
	v_mov_b32_e32 v3, v0
	s_mov_b32 s23, 0
                                        ; implicit-def: $sgpr24
	s_set_inst_prefetch_distance 0x1
	s_branch .LBB20_77
	.p2align	6
.LBB20_76:                              ;   in Loop: Header=BB20_77 Depth=2
	s_or_b32 exec_lo, exec_lo, s11
	s_waitcnt lgkmcnt(0)
	s_barrier
	buffer_gl0_inv
	ds_load_u16 v4, v22 offset:3072
	v_add_nc_u32_e32 v3, s33, v3
	s_waitcnt lgkmcnt(0)
	s_barrier
	buffer_gl0_inv
	v_cmp_le_u32_e32 vcc_lo, s22, v3
	v_and_b32_e32 v27, 0xff, v4
	s_delay_alu instid0(VALU_DEP_1) | instskip(NEXT) | instid1(VALU_DEP_1)
	v_cmp_ne_u16_e64 s11, 0, v27
	s_or_b32 s26, vcc_lo, s11
	s_delay_alu instid0(SALU_CYCLE_1) | instskip(NEXT) | instid1(SALU_CYCLE_1)
	s_and_b32 s26, exec_lo, s26
	s_or_b32 s23, s26, s23
	s_and_not1_b32 s24, s24, exec_lo
	s_and_b32 s11, s11, exec_lo
	s_delay_alu instid0(SALU_CYCLE_1)
	s_or_b32 s24, s24, s11
	s_and_not1_b32 exec_lo, exec_lo, s23
	s_cbranch_execz .LBB20_88
.LBB20_77:                              ;   Parent Loop BB20_6 Depth=1
                                        ; =>  This Inner Loop Header: Depth=2
	s_delay_alu instid0(VALU_DEP_1)
	v_cmp_gt_u32_e32 vcc_lo, s15, v3
	v_mov_b32_e32 v4, 0
	s_and_saveexec_b32 s11, vcc_lo
	s_cbranch_execz .LBB20_79
; %bb.78:                               ;   in Loop: Header=BB20_77 Depth=2
	ds_load_u8 v4, v3
.LBB20_79:                              ;   in Loop: Header=BB20_77 Depth=2
	s_or_b32 exec_lo, exec_lo, s11
	s_and_saveexec_b32 s11, vcc_lo
	s_cbranch_execz .LBB20_76
; %bb.80:                               ;   in Loop: Header=BB20_77 Depth=2
	s_waitcnt lgkmcnt(0)
	v_bfe_i32 v27, v4, 0, 8
	s_delay_alu instid0(VALU_DEP_1) | instskip(NEXT) | instid1(VALU_DEP_1)
	v_add_nc_u32_e32 v27, 0x80, v27
	v_and_b32_e32 v27, v27, v2
	s_delay_alu instid0(VALU_DEP_1)
	v_cmp_eq_u32_e32 vcc_lo, v27, v1
	s_and_b32 exec_lo, exec_lo, vcc_lo
	s_cbranch_execz .LBB20_76
; %bb.81:                               ;   in Loop: Header=BB20_77 Depth=2
	v_lshlrev_b16 v4, 8, v4
	s_delay_alu instid0(VALU_DEP_1)
	v_or_b32_e32 v4, 1, v4
	ds_store_b16 v22, v4 offset:3072
	s_branch .LBB20_76
.LBB20_82:                              ;   in Loop: Header=BB20_6 Depth=1
	s_mov_b32 s20, 0
	s_mov_b32 s11, 0
                                        ; implicit-def: $sgpr21
                                        ; implicit-def: $sgpr22
                                        ; implicit-def: $sgpr15
                                        ; implicit-def: $vgpr27
                                        ; implicit-def: $vgpr4
                                        ; implicit-def: $vgpr1
                                        ; implicit-def: $vgpr2
                                        ; implicit-def: $vgpr3
	s_cbranch_execnz .LBB20_237
.LBB20_83:                              ;   in Loop: Header=BB20_6 Depth=1
	s_mov_b32 s23, s15
	s_mov_b32 s24, s15
	s_and_saveexec_b32 s10, s20
	s_cbranch_execnz .LBB20_399
	s_branch .LBB20_400
.LBB20_84:                              ;   in Loop: Header=BB20_6 Depth=1
	s_or_b32 exec_lo, exec_lo, s12
	s_waitcnt lgkmcnt(0)
	s_barrier
	buffer_gl0_inv
	s_and_saveexec_b32 s10, s5
	s_cbranch_execz .LBB20_86
; %bb.85:                               ;   in Loop: Header=BB20_6 Depth=1
	ds_load_b32 v1, v22 offset:4104
	s_waitcnt lgkmcnt(0)
	ds_store_b32 v22, v1 offset:4096
.LBB20_86:                              ;   in Loop: Header=BB20_6 Depth=1
	s_or_b32 exec_lo, exec_lo, s10
	s_waitcnt lgkmcnt(0)
	s_mov_b32 s10, -1
	s_barrier
	s_and_b32 vcc_lo, exec_lo, s81
	s_cbranch_vccnz .LBB20_21
	s_branch .LBB20_31
.LBB20_87:                              ;   in Loop: Header=BB20_6 Depth=1
	s_mov_b32 s15, -1
	s_mov_b32 s11, 0
                                        ; implicit-def: $sgpr21
                                        ; implicit-def: $vgpr3
	s_mov_b32 s22, s15
	s_cbranch_execnz .LBB20_90
	s_branch .LBB20_100
.LBB20_88:                              ;   in Loop: Header=BB20_6 Depth=1
	s_set_inst_prefetch_distance 0x2
	s_or_b32 exec_lo, exec_lo, s23
	v_lshrrev_b16 v3, 8, v4
	s_and_b32 s11, s24, exec_lo
.LBB20_89:                              ;   in Loop: Header=BB20_6 Depth=1
	s_or_b32 exec_lo, exec_lo, s21
	s_mov_b32 s21, -1
	s_mov_b32 s15, 0
	s_delay_alu instid0(SALU_CYCLE_1)
	s_mov_b32 s22, s15
	s_branch .LBB20_100
.LBB20_90:                              ;   in Loop: Header=BB20_6 Depth=1
	s_mov_b32 s11, 0
                                        ; implicit-def: $vgpr3
	s_and_saveexec_b32 s15, s9
	s_cbranch_execz .LBB20_99
; %bb.91:                               ;   in Loop: Header=BB20_6 Depth=1
	v_dual_mov_b32 v3, v14 :: v_dual_mov_b32 v4, v0
	s_mov_b32 s21, 0
                                        ; implicit-def: $sgpr22
	s_set_inst_prefetch_distance 0x1
	s_branch .LBB20_93
	.p2align	6
.LBB20_92:                              ;   in Loop: Header=BB20_93 Depth=2
	s_or_b32 exec_lo, exec_lo, s11
	s_waitcnt vmcnt(0) lgkmcnt(0)
	s_barrier
	buffer_gl0_inv
	ds_load_u16 v27, v22 offset:3072
	v_add_nc_u32_e32 v4, s33, v4
	v_add_nc_u32_e32 v3, s41, v3
	s_waitcnt lgkmcnt(0)
	s_barrier
	buffer_gl0_inv
	v_cmp_le_u32_e32 vcc_lo, s67, v4
	v_and_b32_e32 v28, 0xff, v27
	s_delay_alu instid0(VALU_DEP_1) | instskip(NEXT) | instid1(VALU_DEP_1)
	v_cmp_ne_u16_e64 s11, 0, v28
	s_or_b32 s23, vcc_lo, s11
	s_delay_alu instid0(SALU_CYCLE_1) | instskip(NEXT) | instid1(SALU_CYCLE_1)
	s_and_b32 s23, exec_lo, s23
	s_or_b32 s21, s23, s21
	s_and_not1_b32 s22, s22, exec_lo
	s_and_b32 s11, s11, exec_lo
	s_delay_alu instid0(SALU_CYCLE_1)
	s_or_b32 s22, s22, s11
	s_and_not1_b32 exec_lo, exec_lo, s21
	s_cbranch_execz .LBB20_98
.LBB20_93:                              ;   Parent Loop BB20_6 Depth=1
                                        ; =>  This Inner Loop Header: Depth=2
	s_delay_alu instid0(VALU_DEP_1)
	v_cmp_gt_u32_e32 vcc_lo, s36, v4
	v_mov_b32_e32 v27, 0
	s_and_saveexec_b32 s11, vcc_lo
	s_cbranch_execz .LBB20_95
; %bb.94:                               ;   in Loop: Header=BB20_93 Depth=2
	global_load_u8 v27, v3, s[30:31]
.LBB20_95:                              ;   in Loop: Header=BB20_93 Depth=2
	s_or_b32 exec_lo, exec_lo, s11
	s_and_saveexec_b32 s11, vcc_lo
	s_cbranch_execz .LBB20_92
; %bb.96:                               ;   in Loop: Header=BB20_93 Depth=2
	s_waitcnt vmcnt(0)
	v_bfe_i32 v28, v27, 0, 8
	s_delay_alu instid0(VALU_DEP_1) | instskip(NEXT) | instid1(VALU_DEP_1)
	v_add_nc_u32_e32 v28, 0x80, v28
	v_and_b32_e32 v28, v28, v2
	s_delay_alu instid0(VALU_DEP_1)
	v_cmp_eq_u32_e32 vcc_lo, v28, v1
	s_and_b32 exec_lo, exec_lo, vcc_lo
	s_cbranch_execz .LBB20_92
; %bb.97:                               ;   in Loop: Header=BB20_93 Depth=2
	v_lshlrev_b16 v27, 8, v27
	s_delay_alu instid0(VALU_DEP_1)
	v_or_b32_e32 v27, 1, v27
	ds_store_b16 v22, v27 offset:3072
	s_branch .LBB20_92
.LBB20_98:                              ;   in Loop: Header=BB20_6 Depth=1
	s_set_inst_prefetch_distance 0x2
	s_or_b32 exec_lo, exec_lo, s21
	v_lshrrev_b16 v3, 8, v27
	s_and_b32 s11, s22, exec_lo
.LBB20_99:                              ;   in Loop: Header=BB20_6 Depth=1
	s_or_b32 exec_lo, exec_lo, s15
	s_mov_b32 s22, -1
	s_mov_b32 s15, 0
	s_mov_b32 s21, 0
.LBB20_100:                             ;   in Loop: Header=BB20_6 Depth=1
	s_or_not1_b32 s26, s11, exec_lo
.LBB20_101:                             ;   in Loop: Header=BB20_6 Depth=1
	s_or_b32 exec_lo, exec_lo, s20
	s_mov_b32 s23, 0
	s_mov_b32 s20, 0
	;; [unrolled: 1-line block ×3, first 2 shown]
                                        ; implicit-def: $vgpr27
                                        ; implicit-def: $vgpr4
	s_and_saveexec_b32 s24, s26
	s_cbranch_execz .LBB20_236
; %bb.102:                              ;   in Loop: Header=BB20_6 Depth=1
	v_dual_mov_b32 v4, 1 :: v_dual_mov_b32 v27, 1
	s_xor_b32 s25, s25, -1
	s_delay_alu instid0(SALU_CYCLE_1)
	s_and_saveexec_b32 s11, s25
	s_cbranch_execz .LBB20_112
; %bb.103:                              ;   in Loop: Header=BB20_6 Depth=1
	s_mov_b32 s25, exec_lo
                                        ; implicit-def: $sgpr26
                                        ; implicit-def: $sgpr20
	v_cmpx_ge_u32_e64 s12, v26
	s_xor_b32 s25, exec_lo, s25
	s_cbranch_execz .LBB20_109
; %bb.104:                              ;   in Loop: Header=BB20_6 Depth=1
	ds_load_b32 v4, v22 offset:4096
	s_waitcnt lgkmcnt(0)
	v_cmp_ne_u32_e32 vcc_lo, 0, v4
	s_cbranch_vccnz .LBB20_108
; %bb.105:                              ;   in Loop: Header=BB20_6 Depth=1
	s_and_saveexec_b32 s20, s5
	s_cbranch_execz .LBB20_107
; %bb.106:                              ;   in Loop: Header=BB20_6 Depth=1
	v_mov_b32_e32 v4, s12
	ds_store_b32 v22, v4 offset:4100
.LBB20_107:                             ;   in Loop: Header=BB20_6 Depth=1
	s_or_b32 exec_lo, exec_lo, s20
	s_waitcnt lgkmcnt(0)
	s_barrier
	buffer_gl0_inv
.LBB20_108:                             ;   in Loop: Header=BB20_6 Depth=1
	v_and_b32_e32 v1, s14, v1
	v_or_b32_e32 v2, s13, v2
	s_mov_b32 s20, 0
	s_mov_b32 s26, 8
.LBB20_109:                             ;   in Loop: Header=BB20_6 Depth=1
	s_or_saveexec_b32 s25, s25
	v_dual_mov_b32 v27, s26 :: v_dual_mov_b32 v4, v26
	s_xor_b32 exec_lo, exec_lo, s25
; %bb.110:                              ;   in Loop: Header=BB20_6 Depth=1
	v_subrev_nc_u32_e32 v4, s12, v26
	v_mov_b32_e32 v27, 0
	s_or_b32 s20, s20, exec_lo
; %bb.111:                              ;   in Loop: Header=BB20_6 Depth=1
	s_or_b32 exec_lo, exec_lo, s25
	s_delay_alu instid0(SALU_CYCLE_1)
	s_and_b32 s20, s20, exec_lo
.LBB20_112:                             ;   in Loop: Header=BB20_6 Depth=1
	s_or_b32 exec_lo, exec_lo, s11
	s_mov_b32 s11, -1
                                        ; implicit-def: $sgpr25
                                        ; implicit-def: $sgpr27
                                        ; implicit-def: $sgpr28
	s_and_saveexec_b32 s26, s20
	s_delay_alu instid0(SALU_CYCLE_1)
	s_xor_b32 s20, exec_lo, s26
	s_cbranch_execz .LBB20_233
; %bb.113:                              ;   in Loop: Header=BB20_6 Depth=1
	v_cmp_eq_u32_e32 vcc_lo, 1, v4
	s_cmp_eq_u32 s16, 1
                                        ; implicit-def: $sgpr25
                                        ; implicit-def: $sgpr27
                                        ; implicit-def: $sgpr26
	s_cselect_b32 s11, -1, 0
	s_delay_alu instid0(SALU_CYCLE_1)
	s_and_b32 s29, s11, vcc_lo
	s_mov_b32 s11, -1
	s_and_saveexec_b32 s28, s29
	s_cbranch_execz .LBB20_139
; %bb.114:                              ;   in Loop: Header=BB20_6 Depth=1
	ds_load_b32 v3, v22 offset:4096
	s_waitcnt lgkmcnt(0)
	s_barrier
	buffer_gl0_inv
	v_readfirstlane_b32 s25, v3
	s_and_saveexec_b32 s11, s6
	s_cbranch_execz .LBB20_116
; %bb.115:                              ;   in Loop: Header=BB20_6 Depth=1
	ds_store_b8 v0, v15 offset:3072
.LBB20_116:                             ;   in Loop: Header=BB20_6 Depth=1
	s_or_b32 exec_lo, exec_lo, s11
	s_lshl_b32 s11, 1, s17
	v_or_b32_e32 v2, s13, v2
	v_and_or_b32 v1, v1, s14, s11
	s_cmp_eq_u32 s25, 0
	s_waitcnt lgkmcnt(0)
	s_barrier
	buffer_gl0_inv
	s_cbranch_scc1 .LBB20_125
; %bb.117:                              ;   in Loop: Header=BB20_6 Depth=1
	s_add_i32 s11, s25, s59
                                        ; implicit-def: $vgpr3
	s_delay_alu instid0(SALU_CYCLE_1) | instskip(NEXT) | instid1(SALU_CYCLE_1)
	s_mul_hi_u32 s26, s11, s65
	s_mul_i32 s26, s26, s33
	s_delay_alu instid0(SALU_CYCLE_1) | instskip(NEXT) | instid1(SALU_CYCLE_1)
	s_sub_i32 s26, s11, s26
	s_sub_i32 s27, s26, s33
	s_cmp_ge_u32 s26, s33
	s_cselect_b32 s26, s27, s26
	s_delay_alu instid0(SALU_CYCLE_1) | instskip(SKIP_2) | instid1(SALU_CYCLE_1)
	s_sub_i32 s27, s26, s33
	s_cmp_ge_u32 s26, s33
	s_cselect_b32 s26, s27, s26
	s_sub_i32 s27, s11, s26
	s_mov_b32 s11, 0
	s_mov_b32 s26, exec_lo
	v_cmpx_gt_u32_e64 s27, v0
	s_cbranch_execz .LBB20_127
; %bb.118:                              ;   in Loop: Header=BB20_6 Depth=1
	v_mov_b32_e32 v3, v0
	s_mov_b32 s81, 0
                                        ; implicit-def: $sgpr82
	s_set_inst_prefetch_distance 0x1
	s_branch .LBB20_120
	.p2align	6
.LBB20_119:                             ;   in Loop: Header=BB20_120 Depth=2
	s_or_b32 exec_lo, exec_lo, s11
	s_waitcnt lgkmcnt(0)
	s_barrier
	buffer_gl0_inv
	ds_load_u16 v27, v22 offset:3072
	v_add_nc_u32_e32 v3, s33, v3
	s_waitcnt lgkmcnt(0)
	s_barrier
	buffer_gl0_inv
	v_cmp_le_u32_e32 vcc_lo, s27, v3
	v_and_b32_e32 v28, 0xff, v27
	s_delay_alu instid0(VALU_DEP_1) | instskip(NEXT) | instid1(VALU_DEP_1)
	v_cmp_ne_u16_e64 s11, 0, v28
	s_or_b32 s83, vcc_lo, s11
	s_delay_alu instid0(SALU_CYCLE_1) | instskip(NEXT) | instid1(SALU_CYCLE_1)
	s_and_b32 s83, exec_lo, s83
	s_or_b32 s81, s83, s81
	s_and_not1_b32 s82, s82, exec_lo
	s_and_b32 s11, s11, exec_lo
	s_delay_alu instid0(SALU_CYCLE_1)
	s_or_b32 s82, s82, s11
	s_and_not1_b32 exec_lo, exec_lo, s81
	s_cbranch_execz .LBB20_126
.LBB20_120:                             ;   Parent Loop BB20_6 Depth=1
                                        ; =>  This Inner Loop Header: Depth=2
	s_delay_alu instid0(VALU_DEP_1)
	v_cmp_gt_u32_e32 vcc_lo, s25, v3
	v_mov_b32_e32 v27, 0
	s_and_saveexec_b32 s11, vcc_lo
	s_cbranch_execz .LBB20_122
; %bb.121:                              ;   in Loop: Header=BB20_120 Depth=2
	ds_load_u8 v27, v3
.LBB20_122:                             ;   in Loop: Header=BB20_120 Depth=2
	s_or_b32 exec_lo, exec_lo, s11
	s_and_saveexec_b32 s11, vcc_lo
	s_cbranch_execz .LBB20_119
; %bb.123:                              ;   in Loop: Header=BB20_120 Depth=2
	s_waitcnt lgkmcnt(0)
	v_bfe_i32 v28, v27, 0, 8
	s_delay_alu instid0(VALU_DEP_1) | instskip(NEXT) | instid1(VALU_DEP_1)
	v_add_nc_u32_e32 v28, 0x80, v28
	v_and_b32_e32 v28, v28, v2
	s_delay_alu instid0(VALU_DEP_1)
	v_cmp_eq_u32_e32 vcc_lo, v28, v1
	s_and_b32 exec_lo, exec_lo, vcc_lo
	s_cbranch_execz .LBB20_119
; %bb.124:                              ;   in Loop: Header=BB20_120 Depth=2
	v_lshlrev_b16 v27, 8, v27
	s_delay_alu instid0(VALU_DEP_1)
	v_or_b32_e32 v27, 1, v27
	ds_store_b16 v22, v27 offset:3072
	s_branch .LBB20_119
.LBB20_125:                             ;   in Loop: Header=BB20_6 Depth=1
	s_mov_b32 s25, -1
	s_mov_b32 s11, 0
                                        ; implicit-def: $sgpr26
                                        ; implicit-def: $vgpr3
	s_mov_b32 s27, s25
	s_cbranch_execnz .LBB20_128
	s_branch .LBB20_138
.LBB20_126:                             ;   in Loop: Header=BB20_6 Depth=1
	s_set_inst_prefetch_distance 0x2
	s_or_b32 exec_lo, exec_lo, s81
	v_lshrrev_b16 v3, 8, v27
	s_and_b32 s11, s82, exec_lo
.LBB20_127:                             ;   in Loop: Header=BB20_6 Depth=1
	s_or_b32 exec_lo, exec_lo, s26
	s_mov_b32 s26, -1
	s_mov_b32 s25, 0
	s_delay_alu instid0(SALU_CYCLE_1)
	s_mov_b32 s27, s25
	s_branch .LBB20_138
.LBB20_128:                             ;   in Loop: Header=BB20_6 Depth=1
	s_mov_b32 s11, 0
                                        ; implicit-def: $vgpr3
	s_and_saveexec_b32 s25, s9
	s_cbranch_execz .LBB20_137
; %bb.129:                              ;   in Loop: Header=BB20_6 Depth=1
	v_mov_b32_e32 v3, v14
	v_mov_b32_e32 v27, v0
	s_mov_b32 s26, 0
                                        ; implicit-def: $sgpr27
	s_set_inst_prefetch_distance 0x1
	s_branch .LBB20_131
	.p2align	6
.LBB20_130:                             ;   in Loop: Header=BB20_131 Depth=2
	s_or_b32 exec_lo, exec_lo, s11
	s_waitcnt vmcnt(0) lgkmcnt(0)
	s_barrier
	buffer_gl0_inv
	ds_load_u16 v28, v22 offset:3072
	v_add_nc_u32_e32 v27, s33, v27
	v_add_nc_u32_e32 v3, s41, v3
	s_waitcnt lgkmcnt(0)
	s_barrier
	buffer_gl0_inv
	v_cmp_le_u32_e32 vcc_lo, s67, v27
	v_and_b32_e32 v29, 0xff, v28
	s_delay_alu instid0(VALU_DEP_1) | instskip(NEXT) | instid1(VALU_DEP_1)
	v_cmp_ne_u16_e64 s11, 0, v29
	s_or_b32 s81, vcc_lo, s11
	s_delay_alu instid0(SALU_CYCLE_1) | instskip(NEXT) | instid1(SALU_CYCLE_1)
	s_and_b32 s81, exec_lo, s81
	s_or_b32 s26, s81, s26
	s_and_not1_b32 s27, s27, exec_lo
	s_and_b32 s11, s11, exec_lo
	s_delay_alu instid0(SALU_CYCLE_1)
	s_or_b32 s27, s27, s11
	s_and_not1_b32 exec_lo, exec_lo, s26
	s_cbranch_execz .LBB20_136
.LBB20_131:                             ;   Parent Loop BB20_6 Depth=1
                                        ; =>  This Inner Loop Header: Depth=2
	s_delay_alu instid0(VALU_DEP_1)
	v_cmp_gt_u32_e32 vcc_lo, s36, v27
	v_mov_b32_e32 v28, 0
	s_and_saveexec_b32 s11, vcc_lo
	s_cbranch_execz .LBB20_133
; %bb.132:                              ;   in Loop: Header=BB20_131 Depth=2
	global_load_u8 v28, v3, s[30:31]
.LBB20_133:                             ;   in Loop: Header=BB20_131 Depth=2
	s_or_b32 exec_lo, exec_lo, s11
	s_and_saveexec_b32 s11, vcc_lo
	s_cbranch_execz .LBB20_130
; %bb.134:                              ;   in Loop: Header=BB20_131 Depth=2
	s_waitcnt vmcnt(0)
	v_bfe_i32 v29, v28, 0, 8
	s_delay_alu instid0(VALU_DEP_1) | instskip(NEXT) | instid1(VALU_DEP_1)
	v_add_nc_u32_e32 v29, 0x80, v29
	v_and_b32_e32 v29, v29, v2
	s_delay_alu instid0(VALU_DEP_1)
	v_cmp_eq_u32_e32 vcc_lo, v29, v1
	s_and_b32 exec_lo, exec_lo, vcc_lo
	s_cbranch_execz .LBB20_130
; %bb.135:                              ;   in Loop: Header=BB20_131 Depth=2
	v_lshlrev_b16 v28, 8, v28
	s_delay_alu instid0(VALU_DEP_1)
	v_or_b32_e32 v28, 1, v28
	ds_store_b16 v22, v28 offset:3072
	s_branch .LBB20_130
.LBB20_136:                             ;   in Loop: Header=BB20_6 Depth=1
	s_set_inst_prefetch_distance 0x2
	s_or_b32 exec_lo, exec_lo, s26
	v_lshrrev_b16 v3, 8, v28
	s_and_b32 s11, s27, exec_lo
.LBB20_137:                             ;   in Loop: Header=BB20_6 Depth=1
	s_or_b32 exec_lo, exec_lo, s25
	s_mov_b32 s27, -1
	s_mov_b32 s25, 0
	s_mov_b32 s26, 0
.LBB20_138:                             ;   in Loop: Header=BB20_6 Depth=1
	s_or_not1_b32 s11, s11, exec_lo
.LBB20_139:                             ;   in Loop: Header=BB20_6 Depth=1
	s_or_b32 exec_lo, exec_lo, s28
	s_mov_b32 s81, 0
                                        ; implicit-def: $vgpr27
	s_and_saveexec_b32 s28, s11
	s_cbranch_execz .LBB20_232
; %bb.140:                              ;   in Loop: Header=BB20_6 Depth=1
	v_dual_mov_b32 v28, 1 :: v_dual_mov_b32 v27, 1
	s_xor_b32 s29, s29, -1
	s_mov_b32 s82, 0
	s_and_saveexec_b32 s11, s29
	s_cbranch_execz .LBB20_150
; %bb.141:                              ;   in Loop: Header=BB20_6 Depth=1
	s_mov_b32 s81, exec_lo
                                        ; implicit-def: $sgpr82
                                        ; implicit-def: $sgpr29
	v_cmpx_ge_u32_e64 s16, v4
	s_xor_b32 s81, exec_lo, s81
	s_cbranch_execz .LBB20_147
; %bb.142:                              ;   in Loop: Header=BB20_6 Depth=1
	ds_load_b32 v27, v22 offset:4096
	s_waitcnt lgkmcnt(0)
	v_cmp_ne_u32_e32 vcc_lo, 0, v27
	s_cbranch_vccnz .LBB20_146
; %bb.143:                              ;   in Loop: Header=BB20_6 Depth=1
	s_and_saveexec_b32 s29, s5
	s_cbranch_execz .LBB20_145
; %bb.144:                              ;   in Loop: Header=BB20_6 Depth=1
	v_mov_b32_e32 v27, s16
	ds_store_b32 v22, v27 offset:4100
.LBB20_145:                             ;   in Loop: Header=BB20_6 Depth=1
	s_or_b32 exec_lo, exec_lo, s29
	s_waitcnt lgkmcnt(0)
	s_barrier
	buffer_gl0_inv
.LBB20_146:                             ;   in Loop: Header=BB20_6 Depth=1
	s_lshl_b32 s29, 1, s17
	v_or_b32_e32 v2, s13, v2
	v_and_or_b32 v1, v1, s14, s29
	s_mov_b32 s29, 0
	s_mov_b32 s82, 8
.LBB20_147:                             ;   in Loop: Header=BB20_6 Depth=1
	s_or_saveexec_b32 s81, s81
	v_mov_b32_e32 v27, s82
	s_xor_b32 exec_lo, exec_lo, s81
; %bb.148:                              ;   in Loop: Header=BB20_6 Depth=1
	v_subrev_nc_u32_e32 v4, s16, v4
	v_mov_b32_e32 v27, 0
	s_or_b32 s29, s29, exec_lo
; %bb.149:                              ;   in Loop: Header=BB20_6 Depth=1
	s_or_b32 exec_lo, exec_lo, s81
	s_delay_alu instid0(VALU_DEP_2)
	v_mov_b32_e32 v28, v4
	s_and_b32 s82, s29, exec_lo
.LBB20_150:                             ;   in Loop: Header=BB20_6 Depth=1
	s_or_b32 exec_lo, exec_lo, s11
	s_mov_b32 s11, -1
                                        ; implicit-def: $sgpr81
                                        ; implicit-def: $sgpr83
                                        ; implicit-def: $sgpr84
	s_and_saveexec_b32 s29, s82
	s_cbranch_execz .LBB20_231
; %bb.151:                              ;   in Loop: Header=BB20_6 Depth=1
	v_cmp_eq_u32_e32 vcc_lo, 1, v28
	s_cmp_eq_u32 s18, 1
                                        ; implicit-def: $sgpr81
                                        ; implicit-def: $sgpr83
                                        ; implicit-def: $sgpr82
	s_cselect_b32 s11, -1, 0
	s_delay_alu instid0(SALU_CYCLE_1)
	s_and_b32 s85, s11, vcc_lo
	s_mov_b32 s11, -1
	s_and_saveexec_b32 s84, s85
	s_cbranch_execz .LBB20_177
; %bb.152:                              ;   in Loop: Header=BB20_6 Depth=1
	ds_load_b32 v3, v22 offset:4096
	s_waitcnt lgkmcnt(0)
	s_barrier
	buffer_gl0_inv
	v_readfirstlane_b32 s81, v3
	s_and_saveexec_b32 s11, s6
	s_cbranch_execz .LBB20_154
; %bb.153:                              ;   in Loop: Header=BB20_6 Depth=1
	ds_store_b8 v0, v15 offset:3072
.LBB20_154:                             ;   in Loop: Header=BB20_6 Depth=1
	s_or_b32 exec_lo, exec_lo, s11
	s_lshl_b32 s11, 2, s17
	v_or_b32_e32 v2, s13, v2
	v_and_or_b32 v1, v1, s14, s11
	s_cmp_eq_u32 s81, 0
	s_waitcnt lgkmcnt(0)
	s_barrier
	buffer_gl0_inv
	s_cbranch_scc1 .LBB20_163
; %bb.155:                              ;   in Loop: Header=BB20_6 Depth=1
	s_add_i32 s11, s81, s59
                                        ; implicit-def: $vgpr3
	s_delay_alu instid0(SALU_CYCLE_1) | instskip(NEXT) | instid1(SALU_CYCLE_1)
	s_mul_hi_u32 s82, s11, s65
	s_mul_i32 s82, s82, s33
	s_delay_alu instid0(SALU_CYCLE_1) | instskip(NEXT) | instid1(SALU_CYCLE_1)
	s_sub_i32 s82, s11, s82
	s_sub_i32 s83, s82, s33
	s_cmp_ge_u32 s82, s33
	s_cselect_b32 s82, s83, s82
	s_delay_alu instid0(SALU_CYCLE_1) | instskip(SKIP_2) | instid1(SALU_CYCLE_1)
	s_sub_i32 s83, s82, s33
	s_cmp_ge_u32 s82, s33
	s_cselect_b32 s82, s83, s82
	s_sub_i32 s83, s11, s82
	s_mov_b32 s11, 0
	s_mov_b32 s82, exec_lo
	v_cmpx_gt_u32_e64 s83, v0
	s_cbranch_execz .LBB20_165
; %bb.156:                              ;   in Loop: Header=BB20_6 Depth=1
	v_mov_b32_e32 v3, v0
	s_mov_b32 s86, 0
                                        ; implicit-def: $sgpr87
	s_set_inst_prefetch_distance 0x1
	s_branch .LBB20_158
	.p2align	6
.LBB20_157:                             ;   in Loop: Header=BB20_158 Depth=2
	s_or_b32 exec_lo, exec_lo, s11
	s_waitcnt lgkmcnt(0)
	s_barrier
	buffer_gl0_inv
	ds_load_u16 v4, v22 offset:3072
	v_add_nc_u32_e32 v3, s33, v3
	s_waitcnt lgkmcnt(0)
	s_barrier
	buffer_gl0_inv
	v_cmp_le_u32_e32 vcc_lo, s83, v3
	v_and_b32_e32 v27, 0xff, v4
	s_delay_alu instid0(VALU_DEP_1) | instskip(NEXT) | instid1(VALU_DEP_1)
	v_cmp_ne_u16_e64 s11, 0, v27
	s_or_b32 s88, vcc_lo, s11
	s_delay_alu instid0(SALU_CYCLE_1) | instskip(NEXT) | instid1(SALU_CYCLE_1)
	s_and_b32 s88, exec_lo, s88
	s_or_b32 s86, s88, s86
	s_and_not1_b32 s87, s87, exec_lo
	s_and_b32 s11, s11, exec_lo
	s_delay_alu instid0(SALU_CYCLE_1)
	s_or_b32 s87, s87, s11
	s_and_not1_b32 exec_lo, exec_lo, s86
	s_cbranch_execz .LBB20_164
.LBB20_158:                             ;   Parent Loop BB20_6 Depth=1
                                        ; =>  This Inner Loop Header: Depth=2
	s_delay_alu instid0(VALU_DEP_1)
	v_cmp_gt_u32_e32 vcc_lo, s81, v3
	v_mov_b32_e32 v4, 0
	s_and_saveexec_b32 s11, vcc_lo
	s_cbranch_execz .LBB20_160
; %bb.159:                              ;   in Loop: Header=BB20_158 Depth=2
	ds_load_u8 v4, v3
.LBB20_160:                             ;   in Loop: Header=BB20_158 Depth=2
	s_or_b32 exec_lo, exec_lo, s11
	s_and_saveexec_b32 s11, vcc_lo
	s_cbranch_execz .LBB20_157
; %bb.161:                              ;   in Loop: Header=BB20_158 Depth=2
	s_waitcnt lgkmcnt(0)
	v_bfe_i32 v27, v4, 0, 8
	s_delay_alu instid0(VALU_DEP_1) | instskip(NEXT) | instid1(VALU_DEP_1)
	v_add_nc_u32_e32 v27, 0x80, v27
	v_and_b32_e32 v27, v27, v2
	s_delay_alu instid0(VALU_DEP_1)
	v_cmp_eq_u32_e32 vcc_lo, v27, v1
	s_and_b32 exec_lo, exec_lo, vcc_lo
	s_cbranch_execz .LBB20_157
; %bb.162:                              ;   in Loop: Header=BB20_158 Depth=2
	v_lshlrev_b16 v4, 8, v4
	s_delay_alu instid0(VALU_DEP_1)
	v_or_b32_e32 v4, 1, v4
	ds_store_b16 v22, v4 offset:3072
	s_branch .LBB20_157
.LBB20_163:                             ;   in Loop: Header=BB20_6 Depth=1
	s_mov_b32 s81, -1
	s_mov_b32 s11, 0
                                        ; implicit-def: $sgpr82
                                        ; implicit-def: $vgpr3
	s_mov_b32 s83, s81
	s_cbranch_execnz .LBB20_166
	s_branch .LBB20_176
.LBB20_164:                             ;   in Loop: Header=BB20_6 Depth=1
	s_set_inst_prefetch_distance 0x2
	s_or_b32 exec_lo, exec_lo, s86
	v_lshrrev_b16 v3, 8, v4
	s_and_b32 s11, s87, exec_lo
.LBB20_165:                             ;   in Loop: Header=BB20_6 Depth=1
	s_or_b32 exec_lo, exec_lo, s82
	s_mov_b32 s82, -1
	s_mov_b32 s81, 0
	s_delay_alu instid0(SALU_CYCLE_1)
	s_mov_b32 s83, s81
	s_branch .LBB20_176
.LBB20_166:                             ;   in Loop: Header=BB20_6 Depth=1
	s_mov_b32 s11, 0
                                        ; implicit-def: $vgpr3
	s_and_saveexec_b32 s81, s9
	s_cbranch_execz .LBB20_175
; %bb.167:                              ;   in Loop: Header=BB20_6 Depth=1
	v_dual_mov_b32 v3, v14 :: v_dual_mov_b32 v4, v0
	s_mov_b32 s82, 0
                                        ; implicit-def: $sgpr83
	s_set_inst_prefetch_distance 0x1
	s_branch .LBB20_169
	.p2align	6
.LBB20_168:                             ;   in Loop: Header=BB20_169 Depth=2
	s_or_b32 exec_lo, exec_lo, s11
	s_waitcnt vmcnt(0) lgkmcnt(0)
	s_barrier
	buffer_gl0_inv
	ds_load_u16 v27, v22 offset:3072
	v_add_nc_u32_e32 v4, s33, v4
	v_add_nc_u32_e32 v3, s41, v3
	s_waitcnt lgkmcnt(0)
	s_barrier
	buffer_gl0_inv
	v_cmp_le_u32_e32 vcc_lo, s67, v4
	v_and_b32_e32 v29, 0xff, v27
	s_delay_alu instid0(VALU_DEP_1) | instskip(NEXT) | instid1(VALU_DEP_1)
	v_cmp_ne_u16_e64 s11, 0, v29
	s_or_b32 s86, vcc_lo, s11
	s_delay_alu instid0(SALU_CYCLE_1) | instskip(NEXT) | instid1(SALU_CYCLE_1)
	s_and_b32 s86, exec_lo, s86
	s_or_b32 s82, s86, s82
	s_and_not1_b32 s83, s83, exec_lo
	s_and_b32 s11, s11, exec_lo
	s_delay_alu instid0(SALU_CYCLE_1)
	s_or_b32 s83, s83, s11
	s_and_not1_b32 exec_lo, exec_lo, s82
	s_cbranch_execz .LBB20_174
.LBB20_169:                             ;   Parent Loop BB20_6 Depth=1
                                        ; =>  This Inner Loop Header: Depth=2
	s_delay_alu instid0(VALU_DEP_1)
	v_cmp_gt_u32_e32 vcc_lo, s36, v4
	v_mov_b32_e32 v27, 0
	s_and_saveexec_b32 s11, vcc_lo
	s_cbranch_execz .LBB20_171
; %bb.170:                              ;   in Loop: Header=BB20_169 Depth=2
	global_load_u8 v27, v3, s[30:31]
.LBB20_171:                             ;   in Loop: Header=BB20_169 Depth=2
	s_or_b32 exec_lo, exec_lo, s11
	s_and_saveexec_b32 s11, vcc_lo
	s_cbranch_execz .LBB20_168
; %bb.172:                              ;   in Loop: Header=BB20_169 Depth=2
	s_waitcnt vmcnt(0)
	v_bfe_i32 v29, v27, 0, 8
	s_delay_alu instid0(VALU_DEP_1) | instskip(NEXT) | instid1(VALU_DEP_1)
	v_add_nc_u32_e32 v29, 0x80, v29
	v_and_b32_e32 v29, v29, v2
	s_delay_alu instid0(VALU_DEP_1)
	v_cmp_eq_u32_e32 vcc_lo, v29, v1
	s_and_b32 exec_lo, exec_lo, vcc_lo
	s_cbranch_execz .LBB20_168
; %bb.173:                              ;   in Loop: Header=BB20_169 Depth=2
	v_lshlrev_b16 v27, 8, v27
	s_delay_alu instid0(VALU_DEP_1)
	v_or_b32_e32 v27, 1, v27
	ds_store_b16 v22, v27 offset:3072
	s_branch .LBB20_168
.LBB20_174:                             ;   in Loop: Header=BB20_6 Depth=1
	s_set_inst_prefetch_distance 0x2
	s_or_b32 exec_lo, exec_lo, s82
	v_lshrrev_b16 v3, 8, v27
	s_and_b32 s11, s83, exec_lo
.LBB20_175:                             ;   in Loop: Header=BB20_6 Depth=1
	s_or_b32 exec_lo, exec_lo, s81
	s_mov_b32 s83, -1
	s_mov_b32 s81, 0
	s_mov_b32 s82, 0
.LBB20_176:                             ;   in Loop: Header=BB20_6 Depth=1
	s_or_not1_b32 s11, s11, exec_lo
.LBB20_177:                             ;   in Loop: Header=BB20_6 Depth=1
	s_or_b32 exec_lo, exec_lo, s84
	s_mov_b32 s86, 0
                                        ; implicit-def: $vgpr27
	s_and_saveexec_b32 s84, s11
	s_cbranch_execz .LBB20_230
; %bb.178:                              ;   in Loop: Header=BB20_6 Depth=1
	v_dual_mov_b32 v4, 1 :: v_dual_mov_b32 v27, 1
	s_xor_b32 s85, s85, -1
	s_mov_b32 s87, 0
	s_and_saveexec_b32 s11, s85
	s_cbranch_execz .LBB20_188
; %bb.179:                              ;   in Loop: Header=BB20_6 Depth=1
	s_mov_b32 s86, exec_lo
                                        ; implicit-def: $sgpr87
                                        ; implicit-def: $sgpr85
	v_cmpx_ge_u32_e64 s18, v28
	s_xor_b32 s86, exec_lo, s86
	s_cbranch_execz .LBB20_185
; %bb.180:                              ;   in Loop: Header=BB20_6 Depth=1
	ds_load_b32 v4, v22 offset:4096
	s_waitcnt lgkmcnt(0)
	v_cmp_ne_u32_e32 vcc_lo, 0, v4
	s_cbranch_vccnz .LBB20_184
; %bb.181:                              ;   in Loop: Header=BB20_6 Depth=1
	s_and_saveexec_b32 s85, s5
	s_cbranch_execz .LBB20_183
; %bb.182:                              ;   in Loop: Header=BB20_6 Depth=1
	v_mov_b32_e32 v4, s18
	ds_store_b32 v22, v4 offset:4100
.LBB20_183:                             ;   in Loop: Header=BB20_6 Depth=1
	s_or_b32 exec_lo, exec_lo, s85
	s_waitcnt lgkmcnt(0)
	s_barrier
	buffer_gl0_inv
.LBB20_184:                             ;   in Loop: Header=BB20_6 Depth=1
	s_lshl_b32 s85, 2, s17
	v_or_b32_e32 v2, s13, v2
	v_and_or_b32 v1, v1, s14, s85
	s_mov_b32 s85, 0
	s_mov_b32 s87, 8
.LBB20_185:                             ;   in Loop: Header=BB20_6 Depth=1
	s_or_saveexec_b32 s86, s86
	v_mov_b32_e32 v27, s87
	s_xor_b32 exec_lo, exec_lo, s86
; %bb.186:                              ;   in Loop: Header=BB20_6 Depth=1
	v_subrev_nc_u32_e32 v28, s18, v28
	v_mov_b32_e32 v27, 0
	s_or_b32 s85, s85, exec_lo
; %bb.187:                              ;   in Loop: Header=BB20_6 Depth=1
	s_or_b32 exec_lo, exec_lo, s86
	s_delay_alu instid0(VALU_DEP_2)
	v_mov_b32_e32 v4, v28
	s_and_b32 s87, s85, exec_lo
.LBB20_188:                             ;   in Loop: Header=BB20_6 Depth=1
	s_or_b32 exec_lo, exec_lo, s11
	s_mov_b32 s86, -1
                                        ; implicit-def: $sgpr11
                                        ; implicit-def: $sgpr89
                                        ; implicit-def: $sgpr88
	s_and_saveexec_b32 s85, s87
	s_cbranch_execz .LBB20_229
; %bb.189:                              ;   in Loop: Header=BB20_6 Depth=1
	v_cmp_eq_u32_e32 vcc_lo, 1, v4
	s_cmp_eq_u32 s19, 1
	s_mov_b32 s90, -1
	s_cselect_b32 s11, -1, 0
                                        ; implicit-def: $sgpr89
                                        ; implicit-def: $sgpr88
	s_delay_alu instid0(SALU_CYCLE_1) | instskip(NEXT) | instid1(SALU_CYCLE_1)
	s_and_b32 s86, s11, vcc_lo
                                        ; implicit-def: $sgpr11
	s_and_saveexec_b32 s87, s86
	s_cbranch_execz .LBB20_216
; %bb.190:                              ;   in Loop: Header=BB20_6 Depth=1
	ds_load_b32 v3, v22 offset:4096
	s_waitcnt lgkmcnt(0)
	s_barrier
	buffer_gl0_inv
	v_readfirstlane_b32 s88, v3
	s_and_saveexec_b32 s11, s6
	s_cbranch_execz .LBB20_192
; %bb.191:                              ;   in Loop: Header=BB20_6 Depth=1
	ds_store_b8 v0, v15 offset:3072
.LBB20_192:                             ;   in Loop: Header=BB20_6 Depth=1
	s_or_b32 exec_lo, exec_lo, s11
	v_or_b32_e32 v1, s13, v1
	v_or_b32_e32 v2, s13, v2
	s_cmp_eq_u32 s88, 0
	s_waitcnt lgkmcnt(0)
	s_barrier
	buffer_gl0_inv
	s_cbranch_scc1 .LBB20_201
; %bb.193:                              ;   in Loop: Header=BB20_6 Depth=1
	s_add_i32 s11, s88, s59
                                        ; implicit-def: $vgpr3
	s_delay_alu instid0(SALU_CYCLE_1) | instskip(NEXT) | instid1(SALU_CYCLE_1)
	s_mul_hi_u32 s89, s11, s65
	s_mul_i32 s89, s89, s33
	s_delay_alu instid0(SALU_CYCLE_1) | instskip(NEXT) | instid1(SALU_CYCLE_1)
	s_sub_i32 s89, s11, s89
	s_sub_i32 s90, s89, s33
	s_cmp_ge_u32 s89, s33
	s_cselect_b32 s89, s90, s89
	s_delay_alu instid0(SALU_CYCLE_1)
	s_sub_i32 s90, s89, s33
	s_cmp_ge_u32 s89, s33
	s_cselect_b32 s89, s90, s89
	s_mov_b32 s90, 0
	s_sub_i32 s91, s11, s89
	s_mov_b32 s89, exec_lo
	v_cmpx_gt_u32_e64 s91, v0
	s_cbranch_execz .LBB20_203
; %bb.194:                              ;   in Loop: Header=BB20_6 Depth=1
	v_mov_b32_e32 v3, v0
                                        ; implicit-def: $sgpr92
	s_set_inst_prefetch_distance 0x1
	s_branch .LBB20_196
	.p2align	6
.LBB20_195:                             ;   in Loop: Header=BB20_196 Depth=2
	s_or_b32 exec_lo, exec_lo, s11
	s_waitcnt lgkmcnt(0)
	s_barrier
	buffer_gl0_inv
	ds_load_u16 v27, v22 offset:3072
	v_add_nc_u32_e32 v3, s33, v3
	s_waitcnt lgkmcnt(0)
	s_barrier
	buffer_gl0_inv
	v_cmp_le_u32_e32 vcc_lo, s91, v3
	v_and_b32_e32 v28, 0xff, v27
	s_delay_alu instid0(VALU_DEP_1) | instskip(NEXT) | instid1(VALU_DEP_1)
	v_cmp_ne_u16_e64 s11, 0, v28
	s_or_b32 s93, vcc_lo, s11
	s_delay_alu instid0(SALU_CYCLE_1) | instskip(NEXT) | instid1(SALU_CYCLE_1)
	s_and_b32 s93, exec_lo, s93
	s_or_b32 s90, s93, s90
	s_and_not1_b32 s92, s92, exec_lo
	s_and_b32 s11, s11, exec_lo
	s_delay_alu instid0(SALU_CYCLE_1)
	s_or_b32 s92, s92, s11
	s_and_not1_b32 exec_lo, exec_lo, s90
	s_cbranch_execz .LBB20_202
.LBB20_196:                             ;   Parent Loop BB20_6 Depth=1
                                        ; =>  This Inner Loop Header: Depth=2
	s_delay_alu instid0(VALU_DEP_1)
	v_cmp_gt_u32_e32 vcc_lo, s88, v3
	v_mov_b32_e32 v27, 0
	s_and_saveexec_b32 s11, vcc_lo
	s_cbranch_execz .LBB20_198
; %bb.197:                              ;   in Loop: Header=BB20_196 Depth=2
	ds_load_u8 v27, v3
.LBB20_198:                             ;   in Loop: Header=BB20_196 Depth=2
	s_or_b32 exec_lo, exec_lo, s11
	s_and_saveexec_b32 s11, vcc_lo
	s_cbranch_execz .LBB20_195
; %bb.199:                              ;   in Loop: Header=BB20_196 Depth=2
	s_waitcnt lgkmcnt(0)
	v_bfe_i32 v28, v27, 0, 8
	s_delay_alu instid0(VALU_DEP_1) | instskip(NEXT) | instid1(VALU_DEP_1)
	v_add_nc_u32_e32 v28, 0x80, v28
	v_and_b32_e32 v28, v28, v2
	s_delay_alu instid0(VALU_DEP_1)
	v_cmp_eq_u32_e32 vcc_lo, v28, v1
	s_and_b32 exec_lo, exec_lo, vcc_lo
	s_cbranch_execz .LBB20_195
; %bb.200:                              ;   in Loop: Header=BB20_196 Depth=2
	v_lshlrev_b16 v27, 8, v27
	s_delay_alu instid0(VALU_DEP_1)
	v_or_b32_e32 v27, 1, v27
	ds_store_b16 v22, v27 offset:3072
	s_branch .LBB20_195
.LBB20_201:                             ;   in Loop: Header=BB20_6 Depth=1
	s_mov_b32 s11, -1
	s_mov_b32 s90, 0
                                        ; implicit-def: $sgpr88
                                        ; implicit-def: $vgpr3
	s_branch .LBB20_204
.LBB20_202:                             ;   in Loop: Header=BB20_6 Depth=1
	s_set_inst_prefetch_distance 0x2
	s_or_b32 exec_lo, exec_lo, s90
	v_lshrrev_b16 v3, 8, v27
	s_and_b32 s90, s92, exec_lo
.LBB20_203:                             ;   in Loop: Header=BB20_6 Depth=1
	s_or_b32 exec_lo, exec_lo, s89
	s_mov_b32 s88, -1
	s_mov_b32 s11, 0
.LBB20_204:                             ;   in Loop: Header=BB20_6 Depth=1
	s_delay_alu instid0(SALU_CYCLE_1)
	s_and_b32 vcc_lo, exec_lo, s11
	s_mov_b32 s89, s11
	s_cbranch_vccz .LBB20_215
; %bb.205:                              ;   in Loop: Header=BB20_6 Depth=1
	s_mov_b32 s90, 0
                                        ; implicit-def: $vgpr3
	s_and_saveexec_b32 s88, s9
	s_cbranch_execz .LBB20_214
; %bb.206:                              ;   in Loop: Header=BB20_6 Depth=1
	v_mov_b32_e32 v3, v14
	v_mov_b32_e32 v27, v0
	s_mov_b32 s89, 0
                                        ; implicit-def: $sgpr90
	s_set_inst_prefetch_distance 0x1
	s_branch .LBB20_208
	.p2align	6
.LBB20_207:                             ;   in Loop: Header=BB20_208 Depth=2
	s_or_b32 exec_lo, exec_lo, s11
	s_waitcnt vmcnt(0) lgkmcnt(0)
	s_barrier
	buffer_gl0_inv
	ds_load_u16 v28, v22 offset:3072
	v_add_nc_u32_e32 v27, s33, v27
	v_add_nc_u32_e32 v3, s41, v3
	s_waitcnt lgkmcnt(0)
	s_barrier
	buffer_gl0_inv
	v_cmp_le_u32_e32 vcc_lo, s67, v27
	v_and_b32_e32 v29, 0xff, v28
	s_delay_alu instid0(VALU_DEP_1) | instskip(NEXT) | instid1(VALU_DEP_1)
	v_cmp_ne_u16_e64 s11, 0, v29
	s_or_b32 s91, vcc_lo, s11
	s_delay_alu instid0(SALU_CYCLE_1) | instskip(NEXT) | instid1(SALU_CYCLE_1)
	s_and_b32 s91, exec_lo, s91
	s_or_b32 s89, s91, s89
	s_and_not1_b32 s90, s90, exec_lo
	s_and_b32 s11, s11, exec_lo
	s_delay_alu instid0(SALU_CYCLE_1)
	s_or_b32 s90, s90, s11
	s_and_not1_b32 exec_lo, exec_lo, s89
	s_cbranch_execz .LBB20_213
.LBB20_208:                             ;   Parent Loop BB20_6 Depth=1
                                        ; =>  This Inner Loop Header: Depth=2
	s_delay_alu instid0(VALU_DEP_1)
	v_cmp_gt_u32_e32 vcc_lo, s36, v27
	v_mov_b32_e32 v28, 0
	s_and_saveexec_b32 s11, vcc_lo
	s_cbranch_execz .LBB20_210
; %bb.209:                              ;   in Loop: Header=BB20_208 Depth=2
	global_load_u8 v28, v3, s[30:31]
.LBB20_210:                             ;   in Loop: Header=BB20_208 Depth=2
	s_or_b32 exec_lo, exec_lo, s11
	s_and_saveexec_b32 s11, vcc_lo
	s_cbranch_execz .LBB20_207
; %bb.211:                              ;   in Loop: Header=BB20_208 Depth=2
	s_waitcnt vmcnt(0)
	v_bfe_i32 v29, v28, 0, 8
	s_delay_alu instid0(VALU_DEP_1) | instskip(NEXT) | instid1(VALU_DEP_1)
	v_add_nc_u32_e32 v29, 0x80, v29
	v_and_b32_e32 v29, v29, v2
	s_delay_alu instid0(VALU_DEP_1)
	v_cmp_eq_u32_e32 vcc_lo, v29, v1
	s_and_b32 exec_lo, exec_lo, vcc_lo
	s_cbranch_execz .LBB20_207
; %bb.212:                              ;   in Loop: Header=BB20_208 Depth=2
	v_lshlrev_b16 v28, 8, v28
	s_delay_alu instid0(VALU_DEP_1)
	v_or_b32_e32 v28, 1, v28
	ds_store_b16 v22, v28 offset:3072
	s_branch .LBB20_207
.LBB20_213:                             ;   in Loop: Header=BB20_6 Depth=1
	s_set_inst_prefetch_distance 0x2
	s_or_b32 exec_lo, exec_lo, s89
	v_lshrrev_b16 v3, 8, v28
	s_and_b32 s90, s90, exec_lo
.LBB20_214:                             ;   in Loop: Header=BB20_6 Depth=1
	s_or_b32 exec_lo, exec_lo, s88
	s_mov_b32 s89, -1
	s_mov_b32 s11, 0
	s_mov_b32 s88, 0
.LBB20_215:                             ;   in Loop: Header=BB20_6 Depth=1
	s_or_not1_b32 s90, s90, exec_lo
.LBB20_216:                             ;   in Loop: Header=BB20_6 Depth=1
	s_or_b32 exec_lo, exec_lo, s87
	s_mov_b32 s91, 0
                                        ; implicit-def: $vgpr27
                                        ; implicit-def: $vgpr28
	s_and_saveexec_b32 s87, s90
	s_cbranch_execz .LBB20_228
; %bb.217:                              ;   in Loop: Header=BB20_6 Depth=1
	v_dual_mov_b32 v27, 1 :: v_dual_mov_b32 v28, 1
	s_xor_b32 s90, s86, -1
	s_delay_alu instid0(SALU_CYCLE_1)
	s_and_saveexec_b32 s86, s90
	s_cbranch_execz .LBB20_227
; %bb.218:                              ;   in Loop: Header=BB20_6 Depth=1
	s_mov_b32 s90, exec_lo
                                        ; implicit-def: $sgpr91
	v_cmpx_ge_u32_e64 s19, v4
	s_xor_b32 s90, exec_lo, s90
	s_cbranch_execz .LBB20_224
; %bb.219:                              ;   in Loop: Header=BB20_6 Depth=1
	ds_load_b32 v27, v22 offset:4096
	s_waitcnt lgkmcnt(0)
	v_cmp_ne_u32_e32 vcc_lo, 0, v27
	s_cbranch_vccnz .LBB20_223
; %bb.220:                              ;   in Loop: Header=BB20_6 Depth=1
	s_and_saveexec_b32 s91, s5
	s_cbranch_execz .LBB20_222
; %bb.221:                              ;   in Loop: Header=BB20_6 Depth=1
	v_mov_b32_e32 v27, s19
	ds_store_b32 v22, v27 offset:4100
.LBB20_222:                             ;   in Loop: Header=BB20_6 Depth=1
	s_or_b32 exec_lo, exec_lo, s91
	s_waitcnt lgkmcnt(0)
	s_barrier
	buffer_gl0_inv
.LBB20_223:                             ;   in Loop: Header=BB20_6 Depth=1
	v_or_b32_e32 v1, s13, v1
	v_or_b32_e32 v2, s13, v2
	s_mov_b32 s91, 8
.LBB20_224:                             ;   in Loop: Header=BB20_6 Depth=1
	s_or_saveexec_b32 s90, s90
	v_mov_b32_e32 v27, s91
	s_xor_b32 exec_lo, exec_lo, s90
; %bb.225:                              ;   in Loop: Header=BB20_6 Depth=1
	v_subrev_nc_u32_e32 v4, s19, v4
	v_mov_b32_e32 v27, 8
; %bb.226:                              ;   in Loop: Header=BB20_6 Depth=1
	s_or_b32 exec_lo, exec_lo, s90
	s_delay_alu instid0(VALU_DEP_2)
	v_mov_b32_e32 v28, v4
.LBB20_227:                             ;   in Loop: Header=BB20_6 Depth=1
	s_or_b32 exec_lo, exec_lo, s86
	s_delay_alu instid0(SALU_CYCLE_1)
	s_mov_b32 s91, exec_lo
.LBB20_228:                             ;   in Loop: Header=BB20_6 Depth=1
	s_or_b32 exec_lo, exec_lo, s87
	s_delay_alu instid0(VALU_DEP_1)
	v_mov_b32_e32 v4, v28
	s_or_not1_b32 s86, s91, exec_lo
.LBB20_229:                             ;   in Loop: Header=BB20_6 Depth=1
	s_or_b32 exec_lo, exec_lo, s85
	s_delay_alu instid0(SALU_CYCLE_1)
	s_and_not1_b32 s81, s81, exec_lo
	s_and_b32 s11, s11, exec_lo
	v_mov_b32_e32 v28, v4
	s_or_b32 s81, s81, s11
	s_and_not1_b32 s11, s83, exec_lo
	s_and_b32 s83, s89, exec_lo
	s_and_not1_b32 s82, s82, exec_lo
	s_and_b32 s85, s88, exec_lo
	s_or_b32 s83, s11, s83
	s_or_b32 s82, s82, s85
	s_and_b32 s86, s86, exec_lo
.LBB20_230:                             ;   in Loop: Header=BB20_6 Depth=1
	s_or_b32 exec_lo, exec_lo, s84
	s_delay_alu instid0(SALU_CYCLE_1)
	s_and_b32 s84, s81, exec_lo
	s_and_b32 s83, s83, exec_lo
	;; [unrolled: 1-line block ×3, first 2 shown]
	s_or_not1_b32 s11, s86, exec_lo
.LBB20_231:                             ;   in Loop: Header=BB20_6 Depth=1
	s_or_b32 exec_lo, exec_lo, s29
	s_delay_alu instid0(SALU_CYCLE_1)
	s_and_not1_b32 s25, s25, exec_lo
	s_and_b32 s29, s84, exec_lo
	v_mov_b32_e32 v4, v28
	s_or_b32 s25, s25, s29
	s_and_not1_b32 s27, s27, exec_lo
	s_and_b32 s29, s83, exec_lo
	s_and_not1_b32 s26, s26, exec_lo
	s_and_b32 s81, s81, exec_lo
	s_or_b32 s27, s27, s29
	s_or_b32 s26, s26, s81
	s_and_b32 s81, s11, exec_lo
.LBB20_232:                             ;   in Loop: Header=BB20_6 Depth=1
	s_or_b32 exec_lo, exec_lo, s28
	s_delay_alu instid0(SALU_CYCLE_1)
	s_and_b32 s28, s25, exec_lo
	s_and_b32 s27, s27, exec_lo
	;; [unrolled: 1-line block ×3, first 2 shown]
	s_or_not1_b32 s11, s81, exec_lo
.LBB20_233:                             ;   in Loop: Header=BB20_6 Depth=1
	s_or_b32 exec_lo, exec_lo, s20
	s_mov_b32 s20, 0
	s_mov_b32 s26, 0
	s_and_saveexec_b32 s29, s11
	s_delay_alu instid0(SALU_CYCLE_1)
	s_xor_b32 s29, exec_lo, s29
; %bb.234:                              ;   in Loop: Header=BB20_6 Depth=1
	v_cmp_ne_u32_e32 vcc_lo, 8, v27
	v_cmp_eq_u32_e64 s11, 8, v27
	s_and_not1_b32 s28, s28, exec_lo
	s_and_not1_b32 s27, s27, exec_lo
	;; [unrolled: 1-line block ×3, first 2 shown]
	s_and_b32 s26, vcc_lo, exec_lo
	s_and_b32 s20, s11, exec_lo
; %bb.235:                              ;   in Loop: Header=BB20_6 Depth=1
	s_or_b32 exec_lo, exec_lo, s29
	s_delay_alu instid0(SALU_CYCLE_1)
	s_and_not1_b32 s11, s15, exec_lo
	s_and_b32 s15, s28, exec_lo
	s_and_not1_b32 s21, s21, exec_lo
	s_or_b32 s15, s11, s15
	s_and_not1_b32 s11, s22, exec_lo
	s_and_b32 s22, s27, exec_lo
	s_and_b32 s25, s25, exec_lo
	s_or_b32 s22, s11, s22
	s_or_b32 s21, s21, s25
	s_and_b32 s11, s26, exec_lo
	s_and_b32 s20, s20, exec_lo
.LBB20_236:                             ;   in Loop: Header=BB20_6 Depth=1
	s_or_b32 exec_lo, exec_lo, s24
	s_delay_alu instid0(SALU_CYCLE_1)
	s_and_b32 vcc_lo, exec_lo, s23
	s_cbranch_vccz .LBB20_83
.LBB20_237:                             ;   in Loop: Header=BB20_6 Depth=1
	s_cmp_eq_u32 s19, 1
                                        ; implicit-def: $sgpr23
                                        ; implicit-def: $sgpr24
	s_cselect_b32 s15, -1, 0
	s_delay_alu instid0(SALU_CYCLE_1)
	s_and_b32 s22, s15, s10
	s_mov_b32 s10, -1
                                        ; implicit-def: $sgpr15
	s_and_saveexec_b32 s21, s22
	s_cbranch_execz .LBB20_263
; %bb.238:                              ;   in Loop: Header=BB20_6 Depth=1
	ds_load_b32 v1, v22 offset:4096
	s_waitcnt lgkmcnt(0)
	s_barrier
	buffer_gl0_inv
	v_readfirstlane_b32 s15, v1
	s_and_saveexec_b32 s10, s6
	s_cbranch_execz .LBB20_240
; %bb.239:                              ;   in Loop: Header=BB20_6 Depth=1
	ds_store_b8 v0, v15 offset:3072
.LBB20_240:                             ;   in Loop: Header=BB20_6 Depth=1
	s_or_b32 exec_lo, exec_lo, s10
	v_or_b32_e32 v24, s13, v24
	v_or_b32_e32 v23, s13, v23
	s_cmp_eq_u32 s15, 0
	s_waitcnt lgkmcnt(0)
	s_barrier
	buffer_gl0_inv
	s_cbranch_scc1 .LBB20_249
; %bb.241:                              ;   in Loop: Header=BB20_6 Depth=1
	s_add_i32 s10, s15, s59
                                        ; implicit-def: $vgpr25
	s_delay_alu instid0(SALU_CYCLE_1) | instskip(NEXT) | instid1(SALU_CYCLE_1)
	s_mul_hi_u32 s23, s10, s65
	s_mul_i32 s23, s23, s33
	s_delay_alu instid0(SALU_CYCLE_1) | instskip(NEXT) | instid1(SALU_CYCLE_1)
	s_sub_i32 s23, s10, s23
	s_sub_i32 s24, s23, s33
	s_cmp_ge_u32 s23, s33
	s_cselect_b32 s23, s24, s23
	s_delay_alu instid0(SALU_CYCLE_1) | instskip(SKIP_2) | instid1(SALU_CYCLE_1)
	s_sub_i32 s24, s23, s33
	s_cmp_ge_u32 s23, s33
	s_cselect_b32 s23, s24, s23
	s_sub_i32 s24, s10, s23
	s_mov_b32 s10, 0
	s_mov_b32 s23, exec_lo
	v_cmpx_gt_u32_e64 s24, v0
	s_cbranch_execz .LBB20_251
; %bb.242:                              ;   in Loop: Header=BB20_6 Depth=1
	v_mov_b32_e32 v1, v0
	s_mov_b32 s25, 0
                                        ; implicit-def: $sgpr26
	s_set_inst_prefetch_distance 0x1
	s_branch .LBB20_244
	.p2align	6
.LBB20_243:                             ;   in Loop: Header=BB20_244 Depth=2
	s_or_b32 exec_lo, exec_lo, s10
	s_waitcnt lgkmcnt(0)
	s_barrier
	buffer_gl0_inv
	ds_load_u16 v2, v22 offset:3072
	v_add_nc_u32_e32 v1, s33, v1
	s_waitcnt lgkmcnt(0)
	s_barrier
	buffer_gl0_inv
	v_cmp_le_u32_e32 vcc_lo, s24, v1
	v_and_b32_e32 v3, 0xff, v2
	s_delay_alu instid0(VALU_DEP_1) | instskip(NEXT) | instid1(VALU_DEP_1)
	v_cmp_ne_u16_e64 s10, 0, v3
	s_or_b32 s27, vcc_lo, s10
	s_delay_alu instid0(SALU_CYCLE_1) | instskip(NEXT) | instid1(SALU_CYCLE_1)
	s_and_b32 s27, exec_lo, s27
	s_or_b32 s25, s27, s25
	s_and_not1_b32 s26, s26, exec_lo
	s_and_b32 s10, s10, exec_lo
	s_delay_alu instid0(SALU_CYCLE_1)
	s_or_b32 s26, s26, s10
	s_and_not1_b32 exec_lo, exec_lo, s25
	s_cbranch_execz .LBB20_250
.LBB20_244:                             ;   Parent Loop BB20_6 Depth=1
                                        ; =>  This Inner Loop Header: Depth=2
	s_delay_alu instid0(VALU_DEP_1)
	v_cmp_gt_u32_e32 vcc_lo, s15, v1
	v_mov_b32_e32 v2, 0
	s_and_saveexec_b32 s10, vcc_lo
	s_cbranch_execz .LBB20_246
; %bb.245:                              ;   in Loop: Header=BB20_244 Depth=2
	ds_load_u8 v2, v1
.LBB20_246:                             ;   in Loop: Header=BB20_244 Depth=2
	s_or_b32 exec_lo, exec_lo, s10
	s_and_saveexec_b32 s10, vcc_lo
	s_cbranch_execz .LBB20_243
; %bb.247:                              ;   in Loop: Header=BB20_244 Depth=2
	s_waitcnt lgkmcnt(0)
	v_bfe_i32 v3, v2, 0, 8
	s_delay_alu instid0(VALU_DEP_1) | instskip(NEXT) | instid1(VALU_DEP_1)
	v_add_nc_u32_e32 v3, 0x80, v3
	v_and_b32_e32 v3, v3, v23
	s_delay_alu instid0(VALU_DEP_1)
	v_cmp_eq_u32_e32 vcc_lo, v3, v24
	s_and_b32 exec_lo, exec_lo, vcc_lo
	s_cbranch_execz .LBB20_243
; %bb.248:                              ;   in Loop: Header=BB20_244 Depth=2
	v_lshlrev_b16 v2, 8, v2
	s_delay_alu instid0(VALU_DEP_1)
	v_or_b32_e32 v2, 1, v2
	ds_store_b16 v22, v2 offset:3072
	s_branch .LBB20_243
.LBB20_249:                             ;   in Loop: Header=BB20_6 Depth=1
	s_mov_b32 s23, -1
	s_mov_b32 s10, 0
                                        ; implicit-def: $sgpr24
                                        ; implicit-def: $vgpr25
	s_mov_b32 s15, s23
	s_cbranch_execnz .LBB20_252
	s_branch .LBB20_262
.LBB20_250:                             ;   in Loop: Header=BB20_6 Depth=1
	s_set_inst_prefetch_distance 0x2
	s_or_b32 exec_lo, exec_lo, s25
	v_lshrrev_b16 v25, 8, v2
	s_and_b32 s10, s26, exec_lo
.LBB20_251:                             ;   in Loop: Header=BB20_6 Depth=1
	s_or_b32 exec_lo, exec_lo, s23
	s_mov_b32 s23, 0
	s_mov_b32 s24, -1
	s_mov_b32 s15, s23
	s_branch .LBB20_262
.LBB20_252:                             ;   in Loop: Header=BB20_6 Depth=1
	s_mov_b32 s10, 0
                                        ; implicit-def: $vgpr25
	s_and_saveexec_b32 s15, s9
	s_cbranch_execz .LBB20_261
; %bb.253:                              ;   in Loop: Header=BB20_6 Depth=1
	v_dual_mov_b32 v1, v14 :: v_dual_mov_b32 v2, v0
	s_mov_b32 s23, 0
                                        ; implicit-def: $sgpr24
	s_set_inst_prefetch_distance 0x1
	s_branch .LBB20_255
	.p2align	6
.LBB20_254:                             ;   in Loop: Header=BB20_255 Depth=2
	s_or_b32 exec_lo, exec_lo, s10
	s_waitcnt vmcnt(0) lgkmcnt(0)
	s_barrier
	buffer_gl0_inv
	ds_load_u16 v3, v22 offset:3072
	v_add_nc_u32_e32 v2, s33, v2
	v_add_nc_u32_e32 v1, s41, v1
	s_waitcnt lgkmcnt(0)
	s_barrier
	buffer_gl0_inv
	v_cmp_le_u32_e32 vcc_lo, s67, v2
	v_and_b32_e32 v4, 0xff, v3
	s_delay_alu instid0(VALU_DEP_1) | instskip(NEXT) | instid1(VALU_DEP_1)
	v_cmp_ne_u16_e64 s10, 0, v4
	s_or_b32 s25, vcc_lo, s10
	s_delay_alu instid0(SALU_CYCLE_1) | instskip(NEXT) | instid1(SALU_CYCLE_1)
	s_and_b32 s25, exec_lo, s25
	s_or_b32 s23, s25, s23
	s_and_not1_b32 s24, s24, exec_lo
	s_and_b32 s10, s10, exec_lo
	s_delay_alu instid0(SALU_CYCLE_1)
	s_or_b32 s24, s24, s10
	s_and_not1_b32 exec_lo, exec_lo, s23
	s_cbranch_execz .LBB20_260
.LBB20_255:                             ;   Parent Loop BB20_6 Depth=1
                                        ; =>  This Inner Loop Header: Depth=2
	s_delay_alu instid0(VALU_DEP_1)
	v_cmp_gt_u32_e32 vcc_lo, s36, v2
	v_mov_b32_e32 v3, 0
	s_and_saveexec_b32 s10, vcc_lo
	s_cbranch_execz .LBB20_257
; %bb.256:                              ;   in Loop: Header=BB20_255 Depth=2
	global_load_u8 v3, v1, s[30:31]
.LBB20_257:                             ;   in Loop: Header=BB20_255 Depth=2
	s_or_b32 exec_lo, exec_lo, s10
	s_and_saveexec_b32 s10, vcc_lo
	s_cbranch_execz .LBB20_254
; %bb.258:                              ;   in Loop: Header=BB20_255 Depth=2
	s_waitcnt vmcnt(0)
	v_bfe_i32 v4, v3, 0, 8
	s_delay_alu instid0(VALU_DEP_1) | instskip(NEXT) | instid1(VALU_DEP_1)
	v_add_nc_u32_e32 v4, 0x80, v4
	v_and_b32_e32 v4, v4, v23
	s_delay_alu instid0(VALU_DEP_1)
	v_cmp_eq_u32_e32 vcc_lo, v4, v24
	s_and_b32 exec_lo, exec_lo, vcc_lo
	s_cbranch_execz .LBB20_254
; %bb.259:                              ;   in Loop: Header=BB20_255 Depth=2
	v_lshlrev_b16 v3, 8, v3
	s_delay_alu instid0(VALU_DEP_1)
	v_or_b32_e32 v3, 1, v3
	ds_store_b16 v22, v3 offset:3072
	s_branch .LBB20_254
.LBB20_260:                             ;   in Loop: Header=BB20_6 Depth=1
	s_set_inst_prefetch_distance 0x2
	s_or_b32 exec_lo, exec_lo, s23
	v_lshrrev_b16 v25, 8, v3
	s_and_b32 s10, s24, exec_lo
.LBB20_261:                             ;   in Loop: Header=BB20_6 Depth=1
	s_or_b32 exec_lo, exec_lo, s15
	s_mov_b32 s24, 0
	s_mov_b32 s23, -1
	s_mov_b32 s15, 0
.LBB20_262:                             ;   in Loop: Header=BB20_6 Depth=1
	s_or_not1_b32 s10, s10, exec_lo
.LBB20_263:                             ;   in Loop: Header=BB20_6 Depth=1
	s_or_b32 exec_lo, exec_lo, s21
                                        ; implicit-def: $vgpr27
                                        ; implicit-def: $vgpr4
                                        ; implicit-def: $vgpr1
                                        ; implicit-def: $vgpr2
                                        ; implicit-def: $vgpr3
	s_and_saveexec_b32 s21, s10
	s_cbranch_execz .LBB20_398
; %bb.264:                              ;   in Loop: Header=BB20_6 Depth=1
	v_dual_mov_b32 v4, 1 :: v_dual_mov_b32 v27, 1
	s_xor_b32 s22, s22, -1
	s_mov_b32 s28, 0
	s_and_saveexec_b32 s10, s22
	s_cbranch_execz .LBB20_274
; %bb.265:                              ;   in Loop: Header=BB20_6 Depth=1
	s_mov_b32 s25, exec_lo
                                        ; implicit-def: $sgpr26
                                        ; implicit-def: $sgpr22
	v_cmpx_ge_u32_e64 s19, v26
	s_xor_b32 s25, exec_lo, s25
	s_cbranch_execz .LBB20_271
; %bb.266:                              ;   in Loop: Header=BB20_6 Depth=1
	ds_load_b32 v1, v22 offset:4096
	s_waitcnt lgkmcnt(0)
	v_cmp_ne_u32_e32 vcc_lo, 0, v1
	s_cbranch_vccnz .LBB20_270
; %bb.267:                              ;   in Loop: Header=BB20_6 Depth=1
	s_and_saveexec_b32 s22, s5
	s_cbranch_execz .LBB20_269
; %bb.268:                              ;   in Loop: Header=BB20_6 Depth=1
	v_mov_b32_e32 v1, s19
	ds_store_b32 v22, v1 offset:4100
.LBB20_269:                             ;   in Loop: Header=BB20_6 Depth=1
	s_or_b32 exec_lo, exec_lo, s22
	s_waitcnt lgkmcnt(0)
	s_barrier
	buffer_gl0_inv
.LBB20_270:                             ;   in Loop: Header=BB20_6 Depth=1
	v_or_b32_e32 v24, s13, v24
	v_or_b32_e32 v23, s13, v23
	s_mov_b32 s22, 0
	s_mov_b32 s26, 5
.LBB20_271:                             ;   in Loop: Header=BB20_6 Depth=1
	s_or_saveexec_b32 s25, s25
	v_mov_b32_e32 v27, s26
	s_xor_b32 exec_lo, exec_lo, s25
; %bb.272:                              ;   in Loop: Header=BB20_6 Depth=1
	v_subrev_nc_u32_e32 v26, s19, v26
	v_mov_b32_e32 v27, 0
	s_or_b32 s22, s22, exec_lo
; %bb.273:                              ;   in Loop: Header=BB20_6 Depth=1
	s_or_b32 exec_lo, exec_lo, s25
	s_delay_alu instid0(VALU_DEP_2)
	v_mov_b32_e32 v4, v26
	s_and_b32 s28, s22, exec_lo
.LBB20_274:                             ;   in Loop: Header=BB20_6 Depth=1
	s_or_b32 exec_lo, exec_lo, s10
	s_mov_b32 s26, -1
                                        ; implicit-def: $sgpr22
                                        ; implicit-def: $sgpr25
                                        ; implicit-def: $sgpr27
	s_and_saveexec_b32 s10, s28
	s_delay_alu instid0(SALU_CYCLE_1)
	s_xor_b32 s19, exec_lo, s10
	s_cbranch_execz .LBB20_395
; %bb.275:                              ;   in Loop: Header=BB20_6 Depth=1
	v_cmp_eq_u32_e32 vcc_lo, 1, v4
	s_cmp_eq_u32 s18, 1
                                        ; implicit-def: $sgpr22
                                        ; implicit-def: $sgpr25
                                        ; implicit-def: $sgpr26
	s_cselect_b32 s10, -1, 0
	s_delay_alu instid0(SALU_CYCLE_1)
	s_and_b32 s28, s10, vcc_lo
	s_mov_b32 s10, -1
	s_and_saveexec_b32 s27, s28
	s_cbranch_execz .LBB20_301
; %bb.276:                              ;   in Loop: Header=BB20_6 Depth=1
	ds_load_b32 v1, v22 offset:4096
	s_waitcnt lgkmcnt(0)
	s_barrier
	buffer_gl0_inv
	v_readfirstlane_b32 s22, v1
	s_and_saveexec_b32 s10, s6
	s_cbranch_execz .LBB20_278
; %bb.277:                              ;   in Loop: Header=BB20_6 Depth=1
	ds_store_b8 v0, v15 offset:3072
.LBB20_278:                             ;   in Loop: Header=BB20_6 Depth=1
	s_or_b32 exec_lo, exec_lo, s10
	s_lshl_b32 s10, 2, s17
	v_or_b32_e32 v23, s13, v23
	v_and_or_b32 v24, v24, s14, s10
	s_cmp_eq_u32 s22, 0
	s_waitcnt lgkmcnt(0)
	s_barrier
	buffer_gl0_inv
	s_cbranch_scc1 .LBB20_287
; %bb.279:                              ;   in Loop: Header=BB20_6 Depth=1
	s_add_i32 s10, s22, s59
                                        ; implicit-def: $vgpr25
	s_delay_alu instid0(SALU_CYCLE_1) | instskip(NEXT) | instid1(SALU_CYCLE_1)
	s_mul_hi_u32 s25, s10, s65
	s_mul_i32 s25, s25, s33
	s_delay_alu instid0(SALU_CYCLE_1) | instskip(NEXT) | instid1(SALU_CYCLE_1)
	s_sub_i32 s25, s10, s25
	s_sub_i32 s26, s25, s33
	s_cmp_ge_u32 s25, s33
	s_cselect_b32 s25, s26, s25
	s_delay_alu instid0(SALU_CYCLE_1) | instskip(SKIP_2) | instid1(SALU_CYCLE_1)
	s_sub_i32 s26, s25, s33
	s_cmp_ge_u32 s25, s33
	s_cselect_b32 s25, s26, s25
	s_sub_i32 s26, s10, s25
	s_mov_b32 s10, 0
	s_mov_b32 s25, exec_lo
	v_cmpx_gt_u32_e64 s26, v0
	s_cbranch_execz .LBB20_289
; %bb.280:                              ;   in Loop: Header=BB20_6 Depth=1
	v_mov_b32_e32 v1, v0
	s_mov_b32 s29, 0
                                        ; implicit-def: $sgpr81
	s_set_inst_prefetch_distance 0x1
	s_branch .LBB20_282
	.p2align	6
.LBB20_281:                             ;   in Loop: Header=BB20_282 Depth=2
	s_or_b32 exec_lo, exec_lo, s10
	s_waitcnt lgkmcnt(0)
	s_barrier
	buffer_gl0_inv
	ds_load_u16 v2, v22 offset:3072
	v_add_nc_u32_e32 v1, s33, v1
	s_waitcnt lgkmcnt(0)
	s_barrier
	buffer_gl0_inv
	v_cmp_le_u32_e32 vcc_lo, s26, v1
	v_and_b32_e32 v3, 0xff, v2
	s_delay_alu instid0(VALU_DEP_1) | instskip(NEXT) | instid1(VALU_DEP_1)
	v_cmp_ne_u16_e64 s10, 0, v3
	s_or_b32 s82, vcc_lo, s10
	s_delay_alu instid0(SALU_CYCLE_1) | instskip(NEXT) | instid1(SALU_CYCLE_1)
	s_and_b32 s82, exec_lo, s82
	s_or_b32 s29, s82, s29
	s_and_not1_b32 s81, s81, exec_lo
	s_and_b32 s10, s10, exec_lo
	s_delay_alu instid0(SALU_CYCLE_1)
	s_or_b32 s81, s81, s10
	s_and_not1_b32 exec_lo, exec_lo, s29
	s_cbranch_execz .LBB20_288
.LBB20_282:                             ;   Parent Loop BB20_6 Depth=1
                                        ; =>  This Inner Loop Header: Depth=2
	s_delay_alu instid0(VALU_DEP_1)
	v_cmp_gt_u32_e32 vcc_lo, s22, v1
	v_mov_b32_e32 v2, 0
	s_and_saveexec_b32 s10, vcc_lo
	s_cbranch_execz .LBB20_284
; %bb.283:                              ;   in Loop: Header=BB20_282 Depth=2
	ds_load_u8 v2, v1
.LBB20_284:                             ;   in Loop: Header=BB20_282 Depth=2
	s_or_b32 exec_lo, exec_lo, s10
	s_and_saveexec_b32 s10, vcc_lo
	s_cbranch_execz .LBB20_281
; %bb.285:                              ;   in Loop: Header=BB20_282 Depth=2
	s_waitcnt lgkmcnt(0)
	v_bfe_i32 v3, v2, 0, 8
	s_delay_alu instid0(VALU_DEP_1) | instskip(NEXT) | instid1(VALU_DEP_1)
	v_add_nc_u32_e32 v3, 0x80, v3
	v_and_b32_e32 v3, v3, v23
	s_delay_alu instid0(VALU_DEP_1)
	v_cmp_eq_u32_e32 vcc_lo, v3, v24
	s_and_b32 exec_lo, exec_lo, vcc_lo
	s_cbranch_execz .LBB20_281
; %bb.286:                              ;   in Loop: Header=BB20_282 Depth=2
	v_lshlrev_b16 v2, 8, v2
	s_delay_alu instid0(VALU_DEP_1)
	v_or_b32_e32 v2, 1, v2
	ds_store_b16 v22, v2 offset:3072
	s_branch .LBB20_281
.LBB20_287:                             ;   in Loop: Header=BB20_6 Depth=1
	s_mov_b32 s22, -1
	s_mov_b32 s10, 0
                                        ; implicit-def: $sgpr25
                                        ; implicit-def: $vgpr25
	s_mov_b32 s26, s22
	s_cbranch_execnz .LBB20_290
	s_branch .LBB20_300
.LBB20_288:                             ;   in Loop: Header=BB20_6 Depth=1
	s_set_inst_prefetch_distance 0x2
	s_or_b32 exec_lo, exec_lo, s29
	v_lshrrev_b16 v25, 8, v2
	s_and_b32 s10, s81, exec_lo
.LBB20_289:                             ;   in Loop: Header=BB20_6 Depth=1
	s_or_b32 exec_lo, exec_lo, s25
	s_mov_b32 s22, 0
	s_mov_b32 s25, -1
	s_mov_b32 s26, s22
	s_branch .LBB20_300
.LBB20_290:                             ;   in Loop: Header=BB20_6 Depth=1
	s_mov_b32 s10, 0
                                        ; implicit-def: $vgpr25
	s_and_saveexec_b32 s22, s9
	s_cbranch_execz .LBB20_299
; %bb.291:                              ;   in Loop: Header=BB20_6 Depth=1
	v_dual_mov_b32 v1, v14 :: v_dual_mov_b32 v2, v0
	s_mov_b32 s25, 0
                                        ; implicit-def: $sgpr26
	s_set_inst_prefetch_distance 0x1
	s_branch .LBB20_293
	.p2align	6
.LBB20_292:                             ;   in Loop: Header=BB20_293 Depth=2
	s_or_b32 exec_lo, exec_lo, s10
	s_waitcnt vmcnt(0) lgkmcnt(0)
	s_barrier
	buffer_gl0_inv
	ds_load_u16 v3, v22 offset:3072
	v_add_nc_u32_e32 v2, s33, v2
	v_add_nc_u32_e32 v1, s41, v1
	s_waitcnt lgkmcnt(0)
	s_barrier
	buffer_gl0_inv
	v_cmp_le_u32_e32 vcc_lo, s67, v2
	v_and_b32_e32 v25, 0xff, v3
	s_delay_alu instid0(VALU_DEP_1) | instskip(NEXT) | instid1(VALU_DEP_1)
	v_cmp_ne_u16_e64 s10, 0, v25
	s_or_b32 s29, vcc_lo, s10
	s_delay_alu instid0(SALU_CYCLE_1) | instskip(NEXT) | instid1(SALU_CYCLE_1)
	s_and_b32 s29, exec_lo, s29
	s_or_b32 s25, s29, s25
	s_and_not1_b32 s26, s26, exec_lo
	s_and_b32 s10, s10, exec_lo
	s_delay_alu instid0(SALU_CYCLE_1)
	s_or_b32 s26, s26, s10
	s_and_not1_b32 exec_lo, exec_lo, s25
	s_cbranch_execz .LBB20_298
.LBB20_293:                             ;   Parent Loop BB20_6 Depth=1
                                        ; =>  This Inner Loop Header: Depth=2
	s_delay_alu instid0(VALU_DEP_1)
	v_cmp_gt_u32_e32 vcc_lo, s36, v2
	v_mov_b32_e32 v3, 0
	s_and_saveexec_b32 s10, vcc_lo
	s_cbranch_execz .LBB20_295
; %bb.294:                              ;   in Loop: Header=BB20_293 Depth=2
	global_load_u8 v3, v1, s[30:31]
.LBB20_295:                             ;   in Loop: Header=BB20_293 Depth=2
	s_or_b32 exec_lo, exec_lo, s10
	s_and_saveexec_b32 s10, vcc_lo
	s_cbranch_execz .LBB20_292
; %bb.296:                              ;   in Loop: Header=BB20_293 Depth=2
	s_waitcnt vmcnt(0)
	v_bfe_i32 v25, v3, 0, 8
	s_delay_alu instid0(VALU_DEP_1) | instskip(NEXT) | instid1(VALU_DEP_1)
	v_add_nc_u32_e32 v25, 0x80, v25
	v_and_b32_e32 v25, v25, v23
	s_delay_alu instid0(VALU_DEP_1)
	v_cmp_eq_u32_e32 vcc_lo, v25, v24
	s_and_b32 exec_lo, exec_lo, vcc_lo
	s_cbranch_execz .LBB20_292
; %bb.297:                              ;   in Loop: Header=BB20_293 Depth=2
	v_lshlrev_b16 v3, 8, v3
	s_delay_alu instid0(VALU_DEP_1)
	v_or_b32_e32 v3, 1, v3
	ds_store_b16 v22, v3 offset:3072
	s_branch .LBB20_292
.LBB20_298:                             ;   in Loop: Header=BB20_6 Depth=1
	s_set_inst_prefetch_distance 0x2
	s_or_b32 exec_lo, exec_lo, s25
	v_lshrrev_b16 v25, 8, v3
	s_and_b32 s10, s26, exec_lo
.LBB20_299:                             ;   in Loop: Header=BB20_6 Depth=1
	s_or_b32 exec_lo, exec_lo, s22
	s_mov_b32 s25, 0
	s_mov_b32 s22, -1
	s_mov_b32 s26, 0
.LBB20_300:                             ;   in Loop: Header=BB20_6 Depth=1
	s_or_not1_b32 s10, s10, exec_lo
.LBB20_301:                             ;   in Loop: Header=BB20_6 Depth=1
	s_or_b32 exec_lo, exec_lo, s27
	s_mov_b32 s29, 0
                                        ; implicit-def: $vgpr27
	s_and_saveexec_b32 s27, s10
	s_cbranch_execz .LBB20_394
; %bb.302:                              ;   in Loop: Header=BB20_6 Depth=1
	v_mov_b32_e32 v1, 1
	v_mov_b32_e32 v27, 1
	s_xor_b32 s28, s28, -1
	s_mov_b32 s81, 0
	s_and_saveexec_b32 s10, s28
	s_cbranch_execz .LBB20_312
; %bb.303:                              ;   in Loop: Header=BB20_6 Depth=1
	s_mov_b32 s29, exec_lo
                                        ; implicit-def: $sgpr81
                                        ; implicit-def: $sgpr28
	v_cmpx_ge_u32_e64 s18, v4
	s_xor_b32 s29, exec_lo, s29
	s_cbranch_execz .LBB20_309
; %bb.304:                              ;   in Loop: Header=BB20_6 Depth=1
	ds_load_b32 v1, v22 offset:4096
	s_waitcnt lgkmcnt(0)
	v_cmp_ne_u32_e32 vcc_lo, 0, v1
	s_cbranch_vccnz .LBB20_308
; %bb.305:                              ;   in Loop: Header=BB20_6 Depth=1
	s_and_saveexec_b32 s28, s5
	s_cbranch_execz .LBB20_307
; %bb.306:                              ;   in Loop: Header=BB20_6 Depth=1
	v_mov_b32_e32 v1, s18
	ds_store_b32 v22, v1 offset:4100
.LBB20_307:                             ;   in Loop: Header=BB20_6 Depth=1
	s_or_b32 exec_lo, exec_lo, s28
	s_waitcnt lgkmcnt(0)
	s_barrier
	buffer_gl0_inv
.LBB20_308:                             ;   in Loop: Header=BB20_6 Depth=1
	s_lshl_b32 s28, 2, s17
	v_or_b32_e32 v23, s13, v23
	v_and_or_b32 v24, v24, s14, s28
	s_mov_b32 s28, 0
	s_mov_b32 s81, 5
.LBB20_309:                             ;   in Loop: Header=BB20_6 Depth=1
	s_or_saveexec_b32 s29, s29
	v_mov_b32_e32 v27, s81
	s_xor_b32 exec_lo, exec_lo, s29
; %bb.310:                              ;   in Loop: Header=BB20_6 Depth=1
	v_subrev_nc_u32_e32 v4, s18, v4
	v_mov_b32_e32 v27, 0
	s_or_b32 s28, s28, exec_lo
; %bb.311:                              ;   in Loop: Header=BB20_6 Depth=1
	s_or_b32 exec_lo, exec_lo, s29
	s_delay_alu instid0(VALU_DEP_2)
	v_mov_b32_e32 v1, v4
	s_and_b32 s81, s28, exec_lo
.LBB20_312:                             ;   in Loop: Header=BB20_6 Depth=1
	s_or_b32 exec_lo, exec_lo, s10
	s_mov_b32 s10, -1
                                        ; implicit-def: $sgpr28
                                        ; implicit-def: $sgpr29
                                        ; implicit-def: $sgpr82
	s_and_saveexec_b32 s18, s81
	s_cbranch_execz .LBB20_393
; %bb.313:                              ;   in Loop: Header=BB20_6 Depth=1
	v_cmp_eq_u32_e32 vcc_lo, 1, v1
	s_cmp_eq_u32 s16, 1
                                        ; implicit-def: $sgpr28
                                        ; implicit-def: $sgpr29
                                        ; implicit-def: $sgpr81
	s_cselect_b32 s10, -1, 0
	s_delay_alu instid0(SALU_CYCLE_1)
	s_and_b32 s83, s10, vcc_lo
	s_mov_b32 s10, -1
	s_and_saveexec_b32 s82, s83
	s_cbranch_execz .LBB20_339
; %bb.314:                              ;   in Loop: Header=BB20_6 Depth=1
	ds_load_b32 v2, v22 offset:4096
	s_waitcnt lgkmcnt(0)
	s_barrier
	buffer_gl0_inv
	v_readfirstlane_b32 s28, v2
	s_and_saveexec_b32 s10, s6
	s_cbranch_execz .LBB20_316
; %bb.315:                              ;   in Loop: Header=BB20_6 Depth=1
	ds_store_b8 v0, v15 offset:3072
.LBB20_316:                             ;   in Loop: Header=BB20_6 Depth=1
	s_or_b32 exec_lo, exec_lo, s10
	s_lshl_b32 s10, 1, s17
	v_or_b32_e32 v23, s13, v23
	v_and_or_b32 v24, v24, s14, s10
	s_cmp_eq_u32 s28, 0
	s_waitcnt lgkmcnt(0)
	s_barrier
	buffer_gl0_inv
	s_cbranch_scc1 .LBB20_325
; %bb.317:                              ;   in Loop: Header=BB20_6 Depth=1
	s_add_i32 s10, s28, s59
                                        ; implicit-def: $vgpr25
	s_delay_alu instid0(SALU_CYCLE_1) | instskip(NEXT) | instid1(SALU_CYCLE_1)
	s_mul_hi_u32 s29, s10, s65
	s_mul_i32 s29, s29, s33
	s_delay_alu instid0(SALU_CYCLE_1) | instskip(NEXT) | instid1(SALU_CYCLE_1)
	s_sub_i32 s29, s10, s29
	s_sub_i32 s81, s29, s33
	s_cmp_ge_u32 s29, s33
	s_cselect_b32 s29, s81, s29
	s_delay_alu instid0(SALU_CYCLE_1) | instskip(SKIP_2) | instid1(SALU_CYCLE_1)
	s_sub_i32 s81, s29, s33
	s_cmp_ge_u32 s29, s33
	s_cselect_b32 s29, s81, s29
	s_sub_i32 s81, s10, s29
	s_mov_b32 s10, 0
	s_mov_b32 s29, exec_lo
	v_cmpx_gt_u32_e64 s81, v0
	s_cbranch_execz .LBB20_327
; %bb.318:                              ;   in Loop: Header=BB20_6 Depth=1
	v_mov_b32_e32 v2, v0
	s_mov_b32 s84, 0
                                        ; implicit-def: $sgpr85
	s_set_inst_prefetch_distance 0x1
	s_branch .LBB20_320
	.p2align	6
.LBB20_319:                             ;   in Loop: Header=BB20_320 Depth=2
	s_or_b32 exec_lo, exec_lo, s10
	s_waitcnt lgkmcnt(0)
	s_barrier
	buffer_gl0_inv
	ds_load_u16 v3, v22 offset:3072
	v_add_nc_u32_e32 v2, s33, v2
	s_waitcnt lgkmcnt(0)
	s_barrier
	buffer_gl0_inv
	v_cmp_le_u32_e32 vcc_lo, s81, v2
	v_and_b32_e32 v4, 0xff, v3
	s_delay_alu instid0(VALU_DEP_1) | instskip(NEXT) | instid1(VALU_DEP_1)
	v_cmp_ne_u16_e64 s10, 0, v4
	s_or_b32 s86, vcc_lo, s10
	s_delay_alu instid0(SALU_CYCLE_1) | instskip(NEXT) | instid1(SALU_CYCLE_1)
	s_and_b32 s86, exec_lo, s86
	s_or_b32 s84, s86, s84
	s_and_not1_b32 s85, s85, exec_lo
	s_and_b32 s10, s10, exec_lo
	s_delay_alu instid0(SALU_CYCLE_1)
	s_or_b32 s85, s85, s10
	s_and_not1_b32 exec_lo, exec_lo, s84
	s_cbranch_execz .LBB20_326
.LBB20_320:                             ;   Parent Loop BB20_6 Depth=1
                                        ; =>  This Inner Loop Header: Depth=2
	s_delay_alu instid0(VALU_DEP_1)
	v_cmp_gt_u32_e32 vcc_lo, s28, v2
	v_mov_b32_e32 v3, 0
	s_and_saveexec_b32 s10, vcc_lo
	s_cbranch_execz .LBB20_322
; %bb.321:                              ;   in Loop: Header=BB20_320 Depth=2
	ds_load_u8 v3, v2
.LBB20_322:                             ;   in Loop: Header=BB20_320 Depth=2
	s_or_b32 exec_lo, exec_lo, s10
	s_and_saveexec_b32 s10, vcc_lo
	s_cbranch_execz .LBB20_319
; %bb.323:                              ;   in Loop: Header=BB20_320 Depth=2
	s_waitcnt lgkmcnt(0)
	v_bfe_i32 v4, v3, 0, 8
	s_delay_alu instid0(VALU_DEP_1) | instskip(NEXT) | instid1(VALU_DEP_1)
	v_add_nc_u32_e32 v4, 0x80, v4
	v_and_b32_e32 v4, v4, v23
	s_delay_alu instid0(VALU_DEP_1)
	v_cmp_eq_u32_e32 vcc_lo, v4, v24
	s_and_b32 exec_lo, exec_lo, vcc_lo
	s_cbranch_execz .LBB20_319
; %bb.324:                              ;   in Loop: Header=BB20_320 Depth=2
	v_lshlrev_b16 v3, 8, v3
	s_delay_alu instid0(VALU_DEP_1)
	v_or_b32_e32 v3, 1, v3
	ds_store_b16 v22, v3 offset:3072
	s_branch .LBB20_319
.LBB20_325:                             ;   in Loop: Header=BB20_6 Depth=1
	s_mov_b32 s28, -1
	s_mov_b32 s10, 0
                                        ; implicit-def: $sgpr29
                                        ; implicit-def: $vgpr25
	s_mov_b32 s81, s28
	s_cbranch_execnz .LBB20_328
	s_branch .LBB20_338
.LBB20_326:                             ;   in Loop: Header=BB20_6 Depth=1
	s_set_inst_prefetch_distance 0x2
	s_or_b32 exec_lo, exec_lo, s84
	v_lshrrev_b16 v25, 8, v3
	s_and_b32 s10, s85, exec_lo
.LBB20_327:                             ;   in Loop: Header=BB20_6 Depth=1
	s_or_b32 exec_lo, exec_lo, s29
	s_mov_b32 s28, 0
	s_mov_b32 s29, -1
	s_mov_b32 s81, s28
	s_branch .LBB20_338
.LBB20_328:                             ;   in Loop: Header=BB20_6 Depth=1
	s_mov_b32 s10, 0
                                        ; implicit-def: $vgpr25
	s_and_saveexec_b32 s28, s9
	s_cbranch_execz .LBB20_337
; %bb.329:                              ;   in Loop: Header=BB20_6 Depth=1
	v_dual_mov_b32 v2, v14 :: v_dual_mov_b32 v3, v0
	s_mov_b32 s29, 0
                                        ; implicit-def: $sgpr81
	s_set_inst_prefetch_distance 0x1
	s_branch .LBB20_331
	.p2align	6
.LBB20_330:                             ;   in Loop: Header=BB20_331 Depth=2
	s_or_b32 exec_lo, exec_lo, s10
	s_waitcnt vmcnt(0) lgkmcnt(0)
	s_barrier
	buffer_gl0_inv
	ds_load_u16 v4, v22 offset:3072
	v_add_nc_u32_e32 v3, s33, v3
	v_add_nc_u32_e32 v2, s41, v2
	s_waitcnt lgkmcnt(0)
	s_barrier
	buffer_gl0_inv
	v_cmp_le_u32_e32 vcc_lo, s67, v3
	v_and_b32_e32 v25, 0xff, v4
	s_delay_alu instid0(VALU_DEP_1) | instskip(NEXT) | instid1(VALU_DEP_1)
	v_cmp_ne_u16_e64 s10, 0, v25
	s_or_b32 s84, vcc_lo, s10
	s_delay_alu instid0(SALU_CYCLE_1) | instskip(NEXT) | instid1(SALU_CYCLE_1)
	s_and_b32 s84, exec_lo, s84
	s_or_b32 s29, s84, s29
	s_and_not1_b32 s81, s81, exec_lo
	s_and_b32 s10, s10, exec_lo
	s_delay_alu instid0(SALU_CYCLE_1)
	s_or_b32 s81, s81, s10
	s_and_not1_b32 exec_lo, exec_lo, s29
	s_cbranch_execz .LBB20_336
.LBB20_331:                             ;   Parent Loop BB20_6 Depth=1
                                        ; =>  This Inner Loop Header: Depth=2
	s_delay_alu instid0(VALU_DEP_1)
	v_cmp_gt_u32_e32 vcc_lo, s36, v3
	v_mov_b32_e32 v4, 0
	s_and_saveexec_b32 s10, vcc_lo
	s_cbranch_execz .LBB20_333
; %bb.332:                              ;   in Loop: Header=BB20_331 Depth=2
	global_load_u8 v4, v2, s[30:31]
.LBB20_333:                             ;   in Loop: Header=BB20_331 Depth=2
	s_or_b32 exec_lo, exec_lo, s10
	s_and_saveexec_b32 s10, vcc_lo
	s_cbranch_execz .LBB20_330
; %bb.334:                              ;   in Loop: Header=BB20_331 Depth=2
	s_waitcnt vmcnt(0)
	v_bfe_i32 v25, v4, 0, 8
	s_delay_alu instid0(VALU_DEP_1) | instskip(NEXT) | instid1(VALU_DEP_1)
	v_add_nc_u32_e32 v25, 0x80, v25
	v_and_b32_e32 v25, v25, v23
	s_delay_alu instid0(VALU_DEP_1)
	v_cmp_eq_u32_e32 vcc_lo, v25, v24
	s_and_b32 exec_lo, exec_lo, vcc_lo
	s_cbranch_execz .LBB20_330
; %bb.335:                              ;   in Loop: Header=BB20_331 Depth=2
	v_lshlrev_b16 v4, 8, v4
	s_delay_alu instid0(VALU_DEP_1)
	v_or_b32_e32 v4, 1, v4
	ds_store_b16 v22, v4 offset:3072
	s_branch .LBB20_330
.LBB20_336:                             ;   in Loop: Header=BB20_6 Depth=1
	s_set_inst_prefetch_distance 0x2
	s_or_b32 exec_lo, exec_lo, s29
	v_lshrrev_b16 v25, 8, v4
	s_and_b32 s10, s81, exec_lo
.LBB20_337:                             ;   in Loop: Header=BB20_6 Depth=1
	s_or_b32 exec_lo, exec_lo, s28
	s_mov_b32 s29, 0
	s_mov_b32 s28, -1
	s_mov_b32 s81, 0
.LBB20_338:                             ;   in Loop: Header=BB20_6 Depth=1
	s_or_not1_b32 s10, s10, exec_lo
.LBB20_339:                             ;   in Loop: Header=BB20_6 Depth=1
	s_or_b32 exec_lo, exec_lo, s82
	s_mov_b32 s84, 0
                                        ; implicit-def: $vgpr27
	s_and_saveexec_b32 s82, s10
	s_cbranch_execz .LBB20_392
; %bb.340:                              ;   in Loop: Header=BB20_6 Depth=1
	v_dual_mov_b32 v2, 1 :: v_dual_mov_b32 v27, 1
	s_xor_b32 s84, s83, -1
	s_mov_b32 s83, 0
	s_and_saveexec_b32 s10, s84
	s_cbranch_execz .LBB20_350
; %bb.341:                              ;   in Loop: Header=BB20_6 Depth=1
	s_mov_b32 s84, exec_lo
                                        ; implicit-def: $sgpr85
                                        ; implicit-def: $sgpr83
	v_cmpx_ge_u32_e64 s16, v1
	s_xor_b32 s84, exec_lo, s84
	s_cbranch_execz .LBB20_347
; %bb.342:                              ;   in Loop: Header=BB20_6 Depth=1
	ds_load_b32 v2, v22 offset:4096
	s_waitcnt lgkmcnt(0)
	v_cmp_ne_u32_e32 vcc_lo, 0, v2
	s_cbranch_vccnz .LBB20_346
; %bb.343:                              ;   in Loop: Header=BB20_6 Depth=1
	s_and_saveexec_b32 s83, s5
	s_cbranch_execz .LBB20_345
; %bb.344:                              ;   in Loop: Header=BB20_6 Depth=1
	v_mov_b32_e32 v2, s16
	ds_store_b32 v22, v2 offset:4100
.LBB20_345:                             ;   in Loop: Header=BB20_6 Depth=1
	s_or_b32 exec_lo, exec_lo, s83
	s_waitcnt lgkmcnt(0)
	s_barrier
	buffer_gl0_inv
.LBB20_346:                             ;   in Loop: Header=BB20_6 Depth=1
	s_lshl_b32 s17, 1, s17
	v_or_b32_e32 v23, s13, v23
	v_and_or_b32 v24, v24, s14, s17
	s_mov_b32 s83, 0
	s_mov_b32 s85, 5
.LBB20_347:                             ;   in Loop: Header=BB20_6 Depth=1
	s_or_saveexec_b32 s17, s84
	v_mov_b32_e32 v27, s85
	s_xor_b32 exec_lo, exec_lo, s17
; %bb.348:                              ;   in Loop: Header=BB20_6 Depth=1
	v_subrev_nc_u32_e32 v1, s16, v1
	v_mov_b32_e32 v27, 0
	s_or_b32 s83, s83, exec_lo
; %bb.349:                              ;   in Loop: Header=BB20_6 Depth=1
	s_or_b32 exec_lo, exec_lo, s17
	s_delay_alu instid0(VALU_DEP_2)
	v_mov_b32_e32 v2, v1
	s_and_b32 s83, s83, exec_lo
.LBB20_350:                             ;   in Loop: Header=BB20_6 Depth=1
	s_or_b32 exec_lo, exec_lo, s10
	s_mov_b32 s17, -1
                                        ; implicit-def: $sgpr10
                                        ; implicit-def: $sgpr84
                                        ; implicit-def: $sgpr85
	s_and_saveexec_b32 s16, s83
	s_cbranch_execz .LBB20_391
; %bb.351:                              ;   in Loop: Header=BB20_6 Depth=1
	v_cmp_eq_u32_e32 vcc_lo, 1, v2
	s_cmp_eq_u32 s12, 1
	s_mov_b32 s86, -1
	s_cselect_b32 s10, -1, 0
                                        ; implicit-def: $sgpr84
                                        ; implicit-def: $sgpr85
	s_delay_alu instid0(SALU_CYCLE_1) | instskip(NEXT) | instid1(SALU_CYCLE_1)
	s_and_b32 s17, s10, vcc_lo
                                        ; implicit-def: $sgpr10
	s_and_saveexec_b32 s83, s17
	s_cbranch_execz .LBB20_378
; %bb.352:                              ;   in Loop: Header=BB20_6 Depth=1
	ds_load_b32 v1, v22 offset:4096
	s_waitcnt lgkmcnt(0)
	s_barrier
	buffer_gl0_inv
	v_readfirstlane_b32 s84, v1
	s_and_saveexec_b32 s10, s6
	s_cbranch_execz .LBB20_354
; %bb.353:                              ;   in Loop: Header=BB20_6 Depth=1
	ds_store_b8 v0, v15 offset:3072
.LBB20_354:                             ;   in Loop: Header=BB20_6 Depth=1
	s_or_b32 exec_lo, exec_lo, s10
	v_and_b32_e32 v24, s14, v24
	v_or_b32_e32 v23, s13, v23
	s_cmp_eq_u32 s84, 0
	s_waitcnt lgkmcnt(0)
	s_barrier
	buffer_gl0_inv
	s_cbranch_scc1 .LBB20_363
; %bb.355:                              ;   in Loop: Header=BB20_6 Depth=1
	s_add_i32 s10, s84, s59
                                        ; implicit-def: $vgpr25
	s_delay_alu instid0(SALU_CYCLE_1) | instskip(NEXT) | instid1(SALU_CYCLE_1)
	s_mul_hi_u32 s85, s10, s65
	s_mul_i32 s85, s85, s33
	s_delay_alu instid0(SALU_CYCLE_1) | instskip(NEXT) | instid1(SALU_CYCLE_1)
	s_sub_i32 s85, s10, s85
	s_sub_i32 s86, s85, s33
	s_cmp_ge_u32 s85, s33
	s_cselect_b32 s85, s86, s85
	s_delay_alu instid0(SALU_CYCLE_1)
	s_sub_i32 s86, s85, s33
	s_cmp_ge_u32 s85, s33
	s_cselect_b32 s85, s86, s85
	s_mov_b32 s86, 0
	s_sub_i32 s87, s10, s85
	s_mov_b32 s85, exec_lo
	v_cmpx_gt_u32_e64 s87, v0
	s_cbranch_execz .LBB20_365
; %bb.356:                              ;   in Loop: Header=BB20_6 Depth=1
	v_mov_b32_e32 v1, v0
                                        ; implicit-def: $sgpr88
	s_set_inst_prefetch_distance 0x1
	s_branch .LBB20_358
	.p2align	6
.LBB20_357:                             ;   in Loop: Header=BB20_358 Depth=2
	s_or_b32 exec_lo, exec_lo, s10
	s_waitcnt lgkmcnt(0)
	s_barrier
	buffer_gl0_inv
	ds_load_u16 v3, v22 offset:3072
	v_add_nc_u32_e32 v1, s33, v1
	s_waitcnt lgkmcnt(0)
	s_barrier
	buffer_gl0_inv
	v_cmp_le_u32_e32 vcc_lo, s87, v1
	v_and_b32_e32 v4, 0xff, v3
	s_delay_alu instid0(VALU_DEP_1) | instskip(NEXT) | instid1(VALU_DEP_1)
	v_cmp_ne_u16_e64 s10, 0, v4
	s_or_b32 s89, vcc_lo, s10
	s_delay_alu instid0(SALU_CYCLE_1) | instskip(NEXT) | instid1(SALU_CYCLE_1)
	s_and_b32 s89, exec_lo, s89
	s_or_b32 s86, s89, s86
	s_and_not1_b32 s88, s88, exec_lo
	s_and_b32 s10, s10, exec_lo
	s_delay_alu instid0(SALU_CYCLE_1)
	s_or_b32 s88, s88, s10
	s_and_not1_b32 exec_lo, exec_lo, s86
	s_cbranch_execz .LBB20_364
.LBB20_358:                             ;   Parent Loop BB20_6 Depth=1
                                        ; =>  This Inner Loop Header: Depth=2
	s_delay_alu instid0(VALU_DEP_1)
	v_cmp_gt_u32_e32 vcc_lo, s84, v1
	v_mov_b32_e32 v3, 0
	s_and_saveexec_b32 s10, vcc_lo
	s_cbranch_execz .LBB20_360
; %bb.359:                              ;   in Loop: Header=BB20_358 Depth=2
	ds_load_u8 v3, v1
.LBB20_360:                             ;   in Loop: Header=BB20_358 Depth=2
	s_or_b32 exec_lo, exec_lo, s10
	s_and_saveexec_b32 s10, vcc_lo
	s_cbranch_execz .LBB20_357
; %bb.361:                              ;   in Loop: Header=BB20_358 Depth=2
	s_waitcnt lgkmcnt(0)
	v_bfe_i32 v4, v3, 0, 8
	s_delay_alu instid0(VALU_DEP_1) | instskip(NEXT) | instid1(VALU_DEP_1)
	v_add_nc_u32_e32 v4, 0x80, v4
	v_and_b32_e32 v4, v4, v23
	s_delay_alu instid0(VALU_DEP_1)
	v_cmp_eq_u32_e32 vcc_lo, v4, v24
	s_and_b32 exec_lo, exec_lo, vcc_lo
	s_cbranch_execz .LBB20_357
; %bb.362:                              ;   in Loop: Header=BB20_358 Depth=2
	v_lshlrev_b16 v3, 8, v3
	s_delay_alu instid0(VALU_DEP_1)
	v_or_b32_e32 v3, 1, v3
	ds_store_b16 v22, v3 offset:3072
	s_branch .LBB20_357
.LBB20_363:                             ;   in Loop: Header=BB20_6 Depth=1
	s_mov_b32 s10, -1
	s_mov_b32 s86, 0
                                        ; implicit-def: $sgpr84
                                        ; implicit-def: $vgpr25
	s_branch .LBB20_366
.LBB20_364:                             ;   in Loop: Header=BB20_6 Depth=1
	s_set_inst_prefetch_distance 0x2
	s_or_b32 exec_lo, exec_lo, s86
	v_lshrrev_b16 v25, 8, v3
	s_and_b32 s86, s88, exec_lo
.LBB20_365:                             ;   in Loop: Header=BB20_6 Depth=1
	s_or_b32 exec_lo, exec_lo, s85
	s_mov_b32 s10, 0
	s_mov_b32 s84, -1
.LBB20_366:                             ;   in Loop: Header=BB20_6 Depth=1
	s_and_b32 vcc_lo, exec_lo, s10
	s_mov_b32 s85, s10
	s_cbranch_vccz .LBB20_377
; %bb.367:                              ;   in Loop: Header=BB20_6 Depth=1
	s_mov_b32 s86, 0
                                        ; implicit-def: $vgpr25
	s_and_saveexec_b32 s84, s9
	s_cbranch_execz .LBB20_376
; %bb.368:                              ;   in Loop: Header=BB20_6 Depth=1
	v_mov_b32_e32 v1, v14
	v_mov_b32_e32 v3, v0
	s_mov_b32 s85, 0
                                        ; implicit-def: $sgpr86
	s_set_inst_prefetch_distance 0x1
	s_branch .LBB20_370
	.p2align	6
.LBB20_369:                             ;   in Loop: Header=BB20_370 Depth=2
	s_or_b32 exec_lo, exec_lo, s10
	s_waitcnt vmcnt(0) lgkmcnt(0)
	s_barrier
	buffer_gl0_inv
	ds_load_u16 v4, v22 offset:3072
	v_add_nc_u32_e32 v3, s33, v3
	v_add_nc_u32_e32 v1, s41, v1
	s_waitcnt lgkmcnt(0)
	s_barrier
	buffer_gl0_inv
	v_cmp_le_u32_e32 vcc_lo, s67, v3
	v_and_b32_e32 v25, 0xff, v4
	s_delay_alu instid0(VALU_DEP_1) | instskip(NEXT) | instid1(VALU_DEP_1)
	v_cmp_ne_u16_e64 s10, 0, v25
	s_or_b32 s87, vcc_lo, s10
	s_delay_alu instid0(SALU_CYCLE_1) | instskip(NEXT) | instid1(SALU_CYCLE_1)
	s_and_b32 s87, exec_lo, s87
	s_or_b32 s85, s87, s85
	s_and_not1_b32 s86, s86, exec_lo
	s_and_b32 s10, s10, exec_lo
	s_delay_alu instid0(SALU_CYCLE_1)
	s_or_b32 s86, s86, s10
	s_and_not1_b32 exec_lo, exec_lo, s85
	s_cbranch_execz .LBB20_375
.LBB20_370:                             ;   Parent Loop BB20_6 Depth=1
                                        ; =>  This Inner Loop Header: Depth=2
	s_delay_alu instid0(VALU_DEP_1)
	v_cmp_gt_u32_e32 vcc_lo, s36, v3
	v_mov_b32_e32 v4, 0
	s_and_saveexec_b32 s10, vcc_lo
	s_cbranch_execz .LBB20_372
; %bb.371:                              ;   in Loop: Header=BB20_370 Depth=2
	global_load_u8 v4, v1, s[30:31]
.LBB20_372:                             ;   in Loop: Header=BB20_370 Depth=2
	s_or_b32 exec_lo, exec_lo, s10
	s_and_saveexec_b32 s10, vcc_lo
	s_cbranch_execz .LBB20_369
; %bb.373:                              ;   in Loop: Header=BB20_370 Depth=2
	s_waitcnt vmcnt(0)
	v_bfe_i32 v25, v4, 0, 8
	s_delay_alu instid0(VALU_DEP_1) | instskip(NEXT) | instid1(VALU_DEP_1)
	v_add_nc_u32_e32 v25, 0x80, v25
	v_and_b32_e32 v25, v25, v23
	s_delay_alu instid0(VALU_DEP_1)
	v_cmp_eq_u32_e32 vcc_lo, v25, v24
	s_and_b32 exec_lo, exec_lo, vcc_lo
	s_cbranch_execz .LBB20_369
; %bb.374:                              ;   in Loop: Header=BB20_370 Depth=2
	v_lshlrev_b16 v4, 8, v4
	s_delay_alu instid0(VALU_DEP_1)
	v_or_b32_e32 v4, 1, v4
	ds_store_b16 v22, v4 offset:3072
	s_branch .LBB20_369
.LBB20_375:                             ;   in Loop: Header=BB20_6 Depth=1
	s_set_inst_prefetch_distance 0x2
	s_or_b32 exec_lo, exec_lo, s85
	v_lshrrev_b16 v25, 8, v4
	s_and_b32 s86, s86, exec_lo
.LBB20_376:                             ;   in Loop: Header=BB20_6 Depth=1
	s_or_b32 exec_lo, exec_lo, s84
	s_mov_b32 s84, 0
	s_mov_b32 s10, -1
	s_mov_b32 s85, 0
.LBB20_377:                             ;   in Loop: Header=BB20_6 Depth=1
	s_or_not1_b32 s86, s86, exec_lo
.LBB20_378:                             ;   in Loop: Header=BB20_6 Depth=1
	s_or_b32 exec_lo, exec_lo, s83
	s_mov_b32 s87, 0
                                        ; implicit-def: $vgpr27
                                        ; implicit-def: $vgpr1
	s_and_saveexec_b32 s83, s86
	s_cbranch_execz .LBB20_390
; %bb.379:                              ;   in Loop: Header=BB20_6 Depth=1
	v_mov_b32_e32 v27, 1
	v_mov_b32_e32 v1, 1
	s_xor_b32 s86, s17, -1
	s_delay_alu instid0(SALU_CYCLE_1)
	s_and_saveexec_b32 s17, s86
	s_cbranch_execz .LBB20_389
; %bb.380:                              ;   in Loop: Header=BB20_6 Depth=1
	s_mov_b32 s86, exec_lo
                                        ; implicit-def: $sgpr87
	v_cmpx_ge_u32_e64 s12, v2
	s_xor_b32 s86, exec_lo, s86
	s_cbranch_execz .LBB20_386
; %bb.381:                              ;   in Loop: Header=BB20_6 Depth=1
	ds_load_b32 v1, v22 offset:4096
	s_waitcnt lgkmcnt(0)
	v_cmp_ne_u32_e32 vcc_lo, 0, v1
	s_cbranch_vccnz .LBB20_385
; %bb.382:                              ;   in Loop: Header=BB20_6 Depth=1
	s_and_saveexec_b32 s87, s5
	s_cbranch_execz .LBB20_384
; %bb.383:                              ;   in Loop: Header=BB20_6 Depth=1
	v_mov_b32_e32 v1, s12
	ds_store_b32 v22, v1 offset:4100
.LBB20_384:                             ;   in Loop: Header=BB20_6 Depth=1
	s_or_b32 exec_lo, exec_lo, s87
	s_waitcnt lgkmcnt(0)
	s_barrier
	buffer_gl0_inv
.LBB20_385:                             ;   in Loop: Header=BB20_6 Depth=1
	v_and_b32_e32 v24, s14, v24
	v_or_b32_e32 v23, s13, v23
	s_mov_b32 s87, 5
.LBB20_386:                             ;   in Loop: Header=BB20_6 Depth=1
	s_or_saveexec_b32 s13, s86
	v_mov_b32_e32 v27, s87
	s_xor_b32 exec_lo, exec_lo, s13
; %bb.387:                              ;   in Loop: Header=BB20_6 Depth=1
	v_subrev_nc_u32_e32 v2, s12, v2
	v_mov_b32_e32 v27, 5
; %bb.388:                              ;   in Loop: Header=BB20_6 Depth=1
	s_or_b32 exec_lo, exec_lo, s13
	s_delay_alu instid0(VALU_DEP_2)
	v_mov_b32_e32 v1, v2
.LBB20_389:                             ;   in Loop: Header=BB20_6 Depth=1
	s_or_b32 exec_lo, exec_lo, s17
	s_delay_alu instid0(SALU_CYCLE_1)
	s_mov_b32 s87, exec_lo
.LBB20_390:                             ;   in Loop: Header=BB20_6 Depth=1
	s_or_b32 exec_lo, exec_lo, s83
	s_delay_alu instid0(VALU_DEP_1)
	v_mov_b32_e32 v2, v1
	s_or_not1_b32 s17, s87, exec_lo
.LBB20_391:                             ;   in Loop: Header=BB20_6 Depth=1
	s_or_b32 exec_lo, exec_lo, s16
	s_delay_alu instid0(SALU_CYCLE_1)
	s_and_not1_b32 s12, s28, exec_lo
	s_and_b32 s10, s10, exec_lo
	s_and_not1_b32 s13, s81, exec_lo
	s_or_b32 s28, s12, s10
	s_and_not1_b32 s10, s29, exec_lo
	s_and_b32 s12, s84, exec_lo
	s_and_b32 s14, s85, exec_lo
	v_mov_b32_e32 v1, v2
	s_or_b32 s29, s10, s12
	s_or_b32 s81, s13, s14
	s_and_b32 s84, s17, exec_lo
.LBB20_392:                             ;   in Loop: Header=BB20_6 Depth=1
	s_or_b32 exec_lo, exec_lo, s82
	s_delay_alu instid0(SALU_CYCLE_1)
	s_and_b32 s82, s28, exec_lo
	s_and_b32 s29, s29, exec_lo
	;; [unrolled: 1-line block ×3, first 2 shown]
	s_or_not1_b32 s10, s84, exec_lo
.LBB20_393:                             ;   in Loop: Header=BB20_6 Depth=1
	s_or_b32 exec_lo, exec_lo, s18
	s_delay_alu instid0(SALU_CYCLE_1)
	s_and_not1_b32 s12, s22, exec_lo
	s_and_b32 s13, s82, exec_lo
	s_and_not1_b32 s14, s26, exec_lo
	s_or_b32 s22, s12, s13
	s_and_not1_b32 s12, s25, exec_lo
	s_and_b32 s13, s29, exec_lo
	s_and_b32 s16, s28, exec_lo
	v_mov_b32_e32 v4, v1
	s_or_b32 s25, s12, s13
	s_or_b32 s26, s14, s16
	s_and_b32 s29, s10, exec_lo
.LBB20_394:                             ;   in Loop: Header=BB20_6 Depth=1
	s_or_b32 exec_lo, exec_lo, s27
	s_delay_alu instid0(SALU_CYCLE_1)
	s_and_b32 s27, s22, exec_lo
	s_and_b32 s25, s25, exec_lo
	;; [unrolled: 1-line block ×3, first 2 shown]
	s_or_not1_b32 s26, s29, exec_lo
.LBB20_395:                             ;   in Loop: Header=BB20_6 Depth=1
	s_or_b32 exec_lo, exec_lo, s19
	s_mov_b32 s10, s20
	s_mov_b32 s12, s11
	s_and_saveexec_b32 s13, s26
; %bb.396:                              ;   in Loop: Header=BB20_6 Depth=1
	v_cmp_eq_u32_e32 vcc_lo, 5, v27
	v_cmp_ne_u32_e64 s10, 5, v27
	s_and_not1_b32 s12, s11, exec_lo
	s_and_not1_b32 s14, s20, exec_lo
	;; [unrolled: 1-line block ×3, first 2 shown]
	s_and_b32 s16, vcc_lo, exec_lo
	s_and_b32 s10, s10, exec_lo
	s_and_not1_b32 s25, s25, exec_lo
	s_and_not1_b32 s22, s22, exec_lo
	s_or_b32 s12, s12, s10
	s_or_b32 s10, s14, s16
; %bb.397:                              ;   in Loop: Header=BB20_6 Depth=1
	s_or_b32 exec_lo, exec_lo, s13
	s_delay_alu instid0(SALU_CYCLE_1)
	s_and_not1_b32 s13, s23, exec_lo
	s_and_b32 s14, s27, exec_lo
	v_dual_mov_b32 v1, v24 :: v_dual_mov_b32 v2, v23
	s_or_b32 s23, s13, s14
	s_and_not1_b32 s13, s24, exec_lo
	s_and_b32 s14, s25, exec_lo
	v_mov_b32_e32 v3, v25
	s_and_not1_b32 s15, s15, exec_lo
	s_and_b32 s16, s22, exec_lo
	s_or_b32 s24, s13, s14
	s_and_not1_b32 s11, s11, exec_lo
	s_and_b32 s12, s12, exec_lo
	s_and_not1_b32 s13, s20, exec_lo
	s_and_b32 s10, s10, exec_lo
	s_or_b32 s15, s15, s16
	s_or_b32 s11, s11, s12
	;; [unrolled: 1-line block ×3, first 2 shown]
.LBB20_398:                             ;   in Loop: Header=BB20_6 Depth=1
	s_or_b32 exec_lo, exec_lo, s21
	s_mov_b32 s22, s15
	s_mov_b32 s21, s15
	s_and_saveexec_b32 s10, s20
.LBB20_399:                             ;   in Loop: Header=BB20_6 Depth=1
	v_mov_b32_e32 v27, 0
	s_and_not1_b32 s15, s15, exec_lo
	s_and_not1_b32 s23, s23, exec_lo
	;; [unrolled: 1-line block ×5, first 2 shown]
	s_or_b32 s11, s11, exec_lo
.LBB20_400:                             ;   in Loop: Header=BB20_6 Depth=1
	s_or_b32 exec_lo, exec_lo, s10
	s_delay_alu instid0(SALU_CYCLE_1)
	s_and_not1_b32 s10, s80, exec_lo
	s_and_b32 s13, s15, exec_lo
	s_and_not1_b32 s14, s77, exec_lo
	s_or_b32 s80, s10, s13
	s_and_not1_b32 s10, s79, exec_lo
	s_and_b32 s13, s23, exec_lo
	s_and_b32 s15, s24, exec_lo
	s_or_b32 s79, s10, s13
	s_or_b32 s77, s14, s15
	s_and_not1_b32 s10, s78, exec_lo
	s_and_b32 s13, s22, exec_lo
	s_and_not1_b32 s14, s76, exec_lo
	s_and_b32 s15, s21, exec_lo
	s_mov_b32 s12, -1
	s_or_b32 s78, s10, s13
	s_or_b32 s76, s14, s15
                                        ; implicit-def: $vgpr23
                                        ; implicit-def: $vgpr24
                                        ; implicit-def: $vgpr26
                                        ; implicit-def: $vgpr25
	s_and_saveexec_b32 s10, s11
	s_delay_alu instid0(SALU_CYCLE_1)
	s_xor_b32 s10, exec_lo, s10
	s_cbranch_execz .LBB20_5
; %bb.401:                              ;   in Loop: Header=BB20_6 Depth=1
	s_mov_b32 s11, -1
	s_mov_b32 s13, exec_lo
	v_cmpx_eq_u32_e32 0, v27
	s_cbranch_execz .LBB20_4
; %bb.402:                              ;   in Loop: Header=BB20_6 Depth=1
	s_xor_b32 s70, s70, 1
	s_add_i32 s14, s74, -2
	s_cmp_eq_u32 s74, 0
	s_mov_b32 s74, s14
	s_cselect_b32 s11, -1, 0
	s_xor_b32 s12, exec_lo, -1
	s_or_not1_b32 s11, s11, exec_lo
	s_branch .LBB20_4
.LBB20_403:
	s_or_b32 exec_lo, exec_lo, s53
	s_xor_b32 s7, s75, -1
	s_xor_b32 s12, s72, -1
	;; [unrolled: 1-line block ×5, first 2 shown]
	s_mov_b32 s9, 0
	s_and_saveexec_b32 s10, s8
	s_delay_alu instid0(SALU_CYCLE_1)
	s_xor_b32 s8, exec_lo, s10
	s_cbranch_execz .LBB20_460
; %bb.404:
	s_mov_b32 s10, 0
	s_and_saveexec_b32 s9, s11
	s_delay_alu instid0(SALU_CYCLE_1)
	s_xor_b32 s9, exec_lo, s9
	s_cbranch_execz .LBB20_458
; %bb.405:
	s_mov_b32 s11, 0
	s_and_saveexec_b32 s10, s12
	s_delay_alu instid0(SALU_CYCLE_1)
	s_xor_b32 s10, exec_lo, s10
	s_cbranch_execz .LBB20_456
; %bb.406:
	s_mov_b32 s12, 0
	s_and_saveexec_b32 s11, s7
	s_delay_alu instid0(SALU_CYCLE_1)
	s_xor_b32 s11, exec_lo, s11
	s_cbranch_execz .LBB20_454
; %bb.407:
	s_and_saveexec_b32 s7, s6
	s_delay_alu instid0(SALU_CYCLE_1)
	s_xor_b32 s6, exec_lo, s7
; %bb.408:
	v_xor_b32_e32 v3, 0xffffff80, v1
; %bb.409:
	s_or_b32 exec_lo, exec_lo, s6
	s_and_saveexec_b32 s6, s5
	s_cbranch_execz .LBB20_411
; %bb.410:
	v_mov_b32_e32 v1, 0
	ds_store_b32 v1, v1 offset:4108
.LBB20_411:
	s_or_b32 exec_lo, exec_lo, s6
	v_mov_b32_e32 v7, 0
	s_waitcnt lgkmcnt(0)
	s_barrier
	buffer_gl0_inv
	s_and_saveexec_b32 s5, s4
	s_cbranch_execz .LBB20_413
; %bb.412:
	global_load_u8 v7, v[5:6], off
.LBB20_413:
	s_or_b32 exec_lo, exec_lo, s5
	s_mul_i32 s6, s52, s50
	s_add_i32 s5, s36, 31
	s_sub_i32 s6, s48, s6
	s_and_not1_b32 s5, s5, 31
	s_add_i32 s7, s52, 1
	s_sub_i32 s12, s6, s50
	s_cmp_ge_u32 s6, s50
	v_add_nc_u32_e32 v1, s33, v0
	s_cselect_b32 s7, s7, s52
	s_cselect_b32 s6, s12, s6
	s_add_i32 s12, s7, 1
	s_cmp_ge_u32 s6, s50
	s_mul_i32 s6, s51, s49
	s_cselect_b32 s7, s12, s7
	s_sub_i32 s6, s48, s6
	s_mul_i32 s12, s7, s50
	s_mul_i32 s7, s7, s46
	s_sub_i32 s12, s48, s12
	s_add_i32 s13, s51, 1
	s_mul_i32 s12, s12, s47
	s_sub_i32 s14, s6, s49
	s_add_i32 s7, s7, s12
	s_cmp_ge_u32 s6, s49
	v_mul_lo_u32 v4, s40, v1
	s_cselect_b32 s15, s13, s51
	s_clause 0x1
	s_load_b32 s12, s[0:1], 0x1c8
	s_load_b32 s13, s[0:1], 0x2a8
	s_cselect_b32 s6, s14, s6
	s_add_i32 s14, s15, 1
	s_cmp_ge_u32 s6, s49
	s_mov_b32 s1, 0
	s_cselect_b32 s0, s14, s15
	s_mov_b32 s16, 0
	s_mul_i32 s6, s0, s49
	s_mul_i32 s0, s0, s44
	s_sub_i32 s6, s48, s6
	s_mov_b32 s17, exec_lo
	s_mul_i32 s6, s6, s45
	s_delay_alu instid0(SALU_CYCLE_1)
	s_add_i32 s0, s0, s6
	s_add_u32 s6, s34, s7
	s_addc_u32 s7, s35, 0
	s_lshl_b64 s[14:15], s[0:1], 3
	s_mov_b32 s0, -1
	s_add_u32 s14, s42, s14
	s_addc_u32 s15, s43, s15
	v_cmpx_gt_u32_e64 s5, v0
	s_cbranch_execz .LBB20_429
; %bb.414:
	v_bfe_i32 v9, v3, 0, 8
	v_mul_lo_u32 v8, s40, v1
	v_dual_mov_b32 v2, 0 :: v_dual_mov_b32 v1, v0
                                        ; implicit-def: $sgpr18
                                        ; implicit-def: $vgpr13
	s_delay_alu instid0(VALU_DEP_3)
	v_add_nc_u32_e32 v9, 0x80, v9
	s_branch .LBB20_416
.LBB20_415:                             ;   in Loop: Header=BB20_416 Depth=1
	s_or_b32 exec_lo, exec_lo, s19
	s_xor_b32 s19, s20, -1
	s_and_b32 s0, exec_lo, s0
	v_mov_b32_e32 v7, v12
	s_or_b32 s16, s0, s16
	v_mov_b32_e32 v1, v10
	s_and_not1_b32 s0, s18, exec_lo
	s_and_b32 s18, s19, exec_lo
	s_delay_alu instid0(SALU_CYCLE_1)
	s_or_b32 s18, s0, s18
	s_and_not1_b32 exec_lo, exec_lo, s16
	s_cbranch_execz .LBB20_428
.LBB20_416:                             ; =>This Inner Loop Header: Depth=1
	s_delay_alu instid0(VALU_DEP_2) | instskip(SKIP_2) | instid1(VALU_DEP_2)
	v_add_nc_u32_e32 v10, s33, v1
	v_mov_b32_e32 v12, 0
	s_mov_b32 s0, exec_lo
	v_cmpx_gt_u32_e64 s36, v10
	s_cbranch_execz .LBB20_418
; %bb.417:                              ;   in Loop: Header=BB20_416 Depth=1
	global_load_u8 v12, v8, s[30:31]
.LBB20_418:                             ;   in Loop: Header=BB20_416 Depth=1
	s_or_b32 exec_lo, exec_lo, s0
	s_waitcnt vmcnt(0)
	v_bfe_i32 v14, v7, 0, 8
	s_delay_alu instid0(VALU_DEP_1) | instskip(NEXT) | instid1(VALU_DEP_1)
	v_add_nc_u32_e32 v14, 0x80, v14
	v_cmp_gt_u32_e32 vcc_lo, v14, v9
	v_cndmask_b32_e64 v15, 0, 1, vcc_lo
	v_cmp_lt_u32_e32 vcc_lo, v14, v9
	v_cndmask_b32_e64 v14, 0, 1, vcc_lo
	v_cmp_gt_u32_e32 vcc_lo, s36, v1
	s_delay_alu instid0(VALU_DEP_2) | instskip(NEXT) | instid1(VALU_DEP_1)
	v_cndmask_b32_e64 v14, v14, v15, s3
	v_and_b32_e32 v14, 1, v14
	s_delay_alu instid0(VALU_DEP_1) | instskip(NEXT) | instid1(VALU_DEP_1)
	v_cmp_eq_u32_e64 s0, 1, v14
	s_and_b32 s19, vcc_lo, s0
	s_delay_alu instid0(SALU_CYCLE_1) | instskip(NEXT) | instid1(VALU_DEP_1)
	v_cndmask_b32_e64 v14, 0, 1, s19
	v_cmp_ne_u32_e32 vcc_lo, 0, v14
	s_cmp_lg_u32 vcc_lo, 0
	s_cselect_b32 s0, -1, 0
	s_delay_alu instid0(SALU_CYCLE_1) | instskip(NEXT) | instid1(SALU_CYCLE_1)
	s_and_b32 s0, s2, s0
	s_and_saveexec_b32 s20, s0
	s_cbranch_execz .LBB20_422
; %bb.419:                              ;   in Loop: Header=BB20_416 Depth=1
	s_mov_b32 s23, exec_lo
	s_bcnt1_i32_b32 s21, vcc_lo
	s_waitcnt lgkmcnt(0)
	v_mbcnt_lo_u32_b32 v13, s23, 0
	s_mov_b32 s22, exec_lo
                                        ; implicit-def: $vgpr14
	s_delay_alu instid0(VALU_DEP_1)
	v_cmpx_eq_u32_e32 0, v13
	s_cbranch_execz .LBB20_421
; %bb.420:                              ;   in Loop: Header=BB20_416 Depth=1
	s_bcnt1_i32_b32 s0, s23
	s_delay_alu instid0(SALU_CYCLE_1) | instskip(NEXT) | instid1(SALU_CYCLE_1)
	s_mul_i32 s0, s21, s0
	v_mov_b32_e32 v14, s0
	ds_add_rtn_u32 v14, v2, v14 offset:4108
.LBB20_421:                             ;   in Loop: Header=BB20_416 Depth=1
	s_or_b32 exec_lo, exec_lo, s22
	s_waitcnt lgkmcnt(0)
	v_readfirstlane_b32 s0, v14
	s_delay_alu instid0(VALU_DEP_1)
	v_mad_u32_u24 v13, s21, v13, s0
.LBB20_422:                             ;   in Loop: Header=BB20_416 Depth=1
	s_or_b32 exec_lo, exec_lo, s20
	s_waitcnt lgkmcnt(0)
	ds_bpermute_b32 v13, v2, v13
	s_mov_b32 s0, -1
	s_mov_b32 s22, -1
                                        ; implicit-def: $sgpr20
	s_and_saveexec_b32 s21, s19
	s_cbranch_execz .LBB20_426
; %bb.423:                              ;   in Loop: Header=BB20_416 Depth=1
	v_and_b32_e32 v14, vcc_lo, v11
	s_mov_b32 s19, 0
	s_mov_b32 s20, exec_lo
	s_waitcnt lgkmcnt(0)
	s_delay_alu instid0(VALU_DEP_1) | instskip(NEXT) | instid1(VALU_DEP_1)
	v_bcnt_u32_b32 v14, v14, v13
	v_cmpx_gt_u32_e64 s37, v14
	s_cbranch_execz .LBB20_425
; %bb.424:                              ;   in Loop: Header=BB20_416 Depth=1
	v_mul_lo_u32 v15, v14, s13
	v_mov_b32_e32 v16, v2
	v_mul_lo_u32 v17, v14, s12
	s_mov_b32 s19, exec_lo
	s_delay_alu instid0(VALU_DEP_2) | instskip(NEXT) | instid1(VALU_DEP_1)
	v_lshlrev_b64 v[15:16], 3, v[15:16]
	v_add_co_u32 v14, vcc_lo, s14, v15
	s_delay_alu instid0(VALU_DEP_2)
	v_add_co_ci_u32_e32 v15, vcc_lo, s15, v16, vcc_lo
	global_store_b8 v17, v7, s[6:7]
	global_store_b64 v[14:15], v[1:2], off
.LBB20_425:                             ;   in Loop: Header=BB20_416 Depth=1
	s_or_b32 exec_lo, exec_lo, s20
	s_mov_b32 s20, -1
	s_or_not1_b32 s22, s19, exec_lo
.LBB20_426:                             ;   in Loop: Header=BB20_416 Depth=1
	s_or_b32 exec_lo, exec_lo, s21
	s_and_saveexec_b32 s19, s22
	s_cbranch_execz .LBB20_415
; %bb.427:                              ;   in Loop: Header=BB20_416 Depth=1
	v_cmp_le_u32_e32 vcc_lo, s5, v10
	v_add_nc_u32_e32 v8, s41, v8
	s_and_not1_b32 s20, s20, exec_lo
	s_or_not1_b32 s0, vcc_lo, exec_lo
	s_branch .LBB20_415
.LBB20_428:
	s_or_b32 exec_lo, exec_lo, s16
	s_delay_alu instid0(SALU_CYCLE_1)
	s_mov_b32 s16, exec_lo
	s_or_not1_b32 s0, s18, exec_lo
.LBB20_429:
	s_or_b32 exec_lo, exec_lo, s17
	s_and_saveexec_b32 s3, s0
	s_cbranch_execz .LBB20_452
; %bb.430:
	v_mov_b32_e32 v1, 0
	s_waitcnt vmcnt(0)
	v_mov_b32_e32 v7, 0
	s_waitcnt lgkmcnt(0)
	s_waitcnt_vscnt null, 0x0
	s_barrier
	buffer_gl0_inv
	s_and_saveexec_b32 s0, s4
	s_cbranch_execz .LBB20_432
; %bb.431:
	global_load_u8 v7, v[5:6], off
.LBB20_432:
	s_or_b32 exec_lo, exec_lo, s0
	v_and_b32_e32 v2, 0xff, v3
	s_mov_b32 s4, 0
                                        ; implicit-def: $sgpr1
                                        ; implicit-def: $sgpr17
                                        ; implicit-def: $sgpr18
                                        ; implicit-def: $vgpr5
	s_branch .LBB20_435
.LBB20_433:                             ;   in Loop: Header=BB20_435 Depth=1
	s_or_b32 exec_lo, exec_lo, s21
	v_mov_b32_e32 v0, v6
	s_and_not1_b32 s0, s18, exec_lo
	s_and_b32 s18, s23, exec_lo
	s_and_not1_b32 s17, s17, exec_lo
	s_and_b32 s20, s20, exec_lo
	s_or_b32 s18, s0, s18
	s_or_b32 s17, s17, s20
.LBB20_434:                             ;   in Loop: Header=BB20_435 Depth=1
	s_or_b32 exec_lo, exec_lo, s19
	s_xor_b32 s0, s18, -1
	s_and_b32 s19, exec_lo, s17
	s_delay_alu instid0(SALU_CYCLE_1) | instskip(SKIP_2) | instid1(SALU_CYCLE_1)
	s_or_b32 s4, s19, s4
	s_and_not1_b32 s1, s1, exec_lo
	s_and_b32 s0, s0, exec_lo
	s_or_b32 s1, s1, s0
	s_and_not1_b32 exec_lo, exec_lo, s4
	s_cbranch_execz .LBB20_450
.LBB20_435:                             ; =>This Inner Loop Header: Depth=1
	s_or_b32 s18, s18, exec_lo
	s_or_b32 s17, s17, exec_lo
	s_mov_b32 s19, exec_lo
	v_cmpx_gt_u32_e64 s5, v0
	s_cbranch_execz .LBB20_434
; %bb.436:                              ;   in Loop: Header=BB20_435 Depth=1
	v_add_nc_u32_e32 v6, s33, v0
	v_mov_b32_e32 v8, 0
	s_mov_b32 s0, exec_lo
	s_delay_alu instid0(VALU_DEP_2)
	v_cmpx_gt_u32_e64 s36, v6
	s_cbranch_execz .LBB20_438
; %bb.437:                              ;   in Loop: Header=BB20_435 Depth=1
	global_load_u8 v8, v4, s[30:31]
.LBB20_438:                             ;   in Loop: Header=BB20_435 Depth=1
	s_or_b32 exec_lo, exec_lo, s0
	s_waitcnt vmcnt(0)
	v_and_b32_e32 v9, 0xff, v7
	v_cmp_gt_u32_e32 vcc_lo, s36, v0
	s_delay_alu instid0(VALU_DEP_2) | instskip(NEXT) | instid1(VALU_DEP_1)
	v_cmp_eq_u16_e64 s0, v9, v2
	s_and_b32 s21, vcc_lo, s0
	s_delay_alu instid0(SALU_CYCLE_1) | instskip(NEXT) | instid1(VALU_DEP_1)
	v_cndmask_b32_e64 v9, 0, 1, s21
	v_cmp_ne_u32_e32 vcc_lo, 0, v9
	s_cmp_lg_u32 vcc_lo, 0
	s_cselect_b32 s0, -1, 0
	s_delay_alu instid0(SALU_CYCLE_1) | instskip(NEXT) | instid1(SALU_CYCLE_1)
	s_and_b32 s0, s2, s0
	s_and_saveexec_b32 s20, s0
	s_cbranch_execz .LBB20_442
; %bb.439:                              ;   in Loop: Header=BB20_435 Depth=1
	s_mov_b32 s24, exec_lo
	s_bcnt1_i32_b32 s22, vcc_lo
	v_mbcnt_lo_u32_b32 v5, s24, 0
	s_mov_b32 s23, exec_lo
                                        ; implicit-def: $vgpr9
	s_delay_alu instid0(VALU_DEP_1)
	v_cmpx_eq_u32_e32 0, v5
	s_cbranch_execz .LBB20_441
; %bb.440:                              ;   in Loop: Header=BB20_435 Depth=1
	s_bcnt1_i32_b32 s0, s24
	s_delay_alu instid0(SALU_CYCLE_1) | instskip(NEXT) | instid1(SALU_CYCLE_1)
	s_mul_i32 s0, s22, s0
	v_mov_b32_e32 v9, s0
	ds_add_rtn_u32 v9, v1, v9 offset:4108
.LBB20_441:                             ;   in Loop: Header=BB20_435 Depth=1
	s_or_b32 exec_lo, exec_lo, s23
	s_waitcnt lgkmcnt(0)
	v_readfirstlane_b32 s0, v9
	s_delay_alu instid0(VALU_DEP_1)
	v_mad_u32_u24 v5, s22, v5, s0
.LBB20_442:                             ;   in Loop: Header=BB20_435 Depth=1
	s_or_b32 exec_lo, exec_lo, s20
	ds_bpermute_b32 v5, v1, v5
	s_cmp_eq_u32 vcc_lo, 0
	s_mov_b32 s20, -1
	s_cselect_b32 s22, -1, 0
	s_mov_b32 s23, -1
	s_waitcnt lgkmcnt(0)
	v_cmp_gt_u32_e64 s0, s37, v5
	s_delay_alu instid0(VALU_DEP_1) | instskip(SKIP_3) | instid1(SALU_CYCLE_1)
	s_or_b32 s0, s22, s0
	s_mov_b32 s22, -1
	v_cndmask_b32_e64 v7, v7, v8, s0
	s_and_b32 s24, s21, s0
	s_and_saveexec_b32 s21, s24
	s_cbranch_execz .LBB20_448
; %bb.443:                              ;   in Loop: Header=BB20_435 Depth=1
	v_and_b32_e32 v7, vcc_lo, v11
	v_sub_nc_u32_e32 v9, s37, v5
	s_mov_b32 s24, -1
	s_mov_b32 s23, exec_lo
	s_delay_alu instid0(VALU_DEP_2) | instskip(NEXT) | instid1(VALU_DEP_1)
	v_bcnt_u32_b32 v7, v7, 0
	v_cmp_le_u32_e64 s22, v9, v7
	v_cmpx_gt_u32_e64 v9, v7
	s_cbranch_execz .LBB20_447
; %bb.444:                              ;   in Loop: Header=BB20_435 Depth=1
	v_add_nc_u32_e32 v7, v5, v7
	s_delay_alu instid0(VALU_DEP_3) | instskip(SKIP_1) | instid1(VALU_DEP_1)
	s_mov_b32 s25, s22
	s_mov_b32 s24, exec_lo
	v_cmpx_gt_u32_e64 s37, v7
	s_cbranch_execz .LBB20_446
; %bb.445:                              ;   in Loop: Header=BB20_435 Depth=1
	v_mul_lo_u32 v9, v7, s13
	v_mov_b32_e32 v10, v1
	v_mul_lo_u32 v7, v7, s12
	s_or_b32 s25, s22, exec_lo
	s_delay_alu instid0(VALU_DEP_2)
	v_lshlrev_b64 v[9:10], 3, v[9:10]
	global_store_b8 v7, v3, s[6:7]
	v_add_co_u32 v9, vcc_lo, s14, v9
	v_add_co_ci_u32_e32 v10, vcc_lo, s15, v10, vcc_lo
	global_store_b64 v[9:10], v[0:1], off
.LBB20_446:                             ;   in Loop: Header=BB20_435 Depth=1
	s_or_b32 exec_lo, exec_lo, s24
	s_delay_alu instid0(SALU_CYCLE_1)
	s_and_not1_b32 s22, s22, exec_lo
	s_and_b32 s25, s25, exec_lo
	s_xor_b32 s24, exec_lo, -1
	s_or_b32 s22, s22, s25
.LBB20_447:                             ;   in Loop: Header=BB20_435 Depth=1
	s_or_b32 exec_lo, exec_lo, s23
	v_mov_b32_e32 v7, v8
	s_or_not1_b32 s23, s24, exec_lo
	s_or_b32 s0, s0, exec_lo
	s_or_not1_b32 s22, s22, exec_lo
.LBB20_448:                             ;   in Loop: Header=BB20_435 Depth=1
	s_or_b32 exec_lo, exec_lo, s21
	s_and_saveexec_b32 s21, s22
	s_cbranch_execz .LBB20_433
; %bb.449:                              ;   in Loop: Header=BB20_435 Depth=1
	v_add_nc_u32_e32 v4, s41, v4
	s_xor_b32 s0, s0, -1
	s_or_b32 s23, s23, exec_lo
	s_or_not1_b32 s20, s0, exec_lo
	s_branch .LBB20_433
.LBB20_450:
	s_or_b32 exec_lo, exec_lo, s4
	s_mov_b32 s0, 0
	s_and_saveexec_b32 s2, s1
	s_delay_alu instid0(SALU_CYCLE_1)
	s_xor_b32 s1, exec_lo, s2
	s_cbranch_execnz .LBB20_482
.LBB20_451:
	s_or_b32 exec_lo, exec_lo, s1
	s_delay_alu instid0(SALU_CYCLE_1)
	s_and_b32 s1, s0, exec_lo
	s_and_not1_b32 s16, s16, exec_lo
.LBB20_452:
	s_or_b32 exec_lo, exec_lo, s3
	s_and_saveexec_b32 s0, s16
	s_delay_alu instid0(SALU_CYCLE_1)
	s_xor_b32 s0, exec_lo, s0
	s_cbranch_execnz .LBB20_478
.LBB20_453:
	s_or_b32 exec_lo, exec_lo, s0
	s_waitcnt lgkmcnt(0)
	s_and_b32 s12, s1, exec_lo
.LBB20_454:
	s_and_not1_saveexec_b32 s0, s11
	s_cbranch_execnz .LBB20_474
.LBB20_455:
	s_or_b32 exec_lo, exec_lo, s0
	s_delay_alu instid0(SALU_CYCLE_1)
	s_and_b32 s11, s12, exec_lo
.LBB20_456:
	s_and_not1_saveexec_b32 s0, s10
	s_cbranch_execnz .LBB20_470
.LBB20_457:
	s_or_b32 exec_lo, exec_lo, s0
	s_delay_alu instid0(SALU_CYCLE_1)
	s_and_b32 s10, s11, exec_lo
.LBB20_458:
	s_and_not1_saveexec_b32 s0, s9
	s_cbranch_execnz .LBB20_466
.LBB20_459:
	s_or_b32 exec_lo, exec_lo, s0
	s_delay_alu instid0(SALU_CYCLE_1)
	s_and_b32 s9, s10, exec_lo
.LBB20_460:
	s_and_not1_saveexec_b32 s0, s8
	s_cbranch_execnz .LBB20_464
; %bb.461:
	s_or_b32 exec_lo, exec_lo, s0
	s_and_saveexec_b32 s0, s9
.LBB20_462:
	; divergent unreachable
.LBB20_463:
	s_nop 0
	s_sendmsg sendmsg(MSG_DEALLOC_VGPRS)
	s_endpgm
.LBB20_464:
	s_cbranch_execnz .LBB20_468
; %bb.465:
	s_or_b32 s9, s9, exec_lo
	s_or_b32 exec_lo, exec_lo, s0
	s_and_saveexec_b32 s0, s9
	s_cbranch_execnz .LBB20_462
	s_branch .LBB20_463
.LBB20_466:
	s_cbranch_execnz .LBB20_472
; %bb.467:
	s_or_b32 s10, s10, exec_lo
	s_branch .LBB20_459
.LBB20_468:
	s_trap 2
	s_sendmsg_rtn_b32 s0, sendmsg(MSG_RTN_GET_DOORBELL)
	s_mov_b32 ttmp2, m0
	s_waitcnt lgkmcnt(0)
	s_and_b32 s0, s0, 0x3ff
	s_delay_alu instid0(SALU_CYCLE_1) | instskip(NEXT) | instid1(SALU_CYCLE_1)
	s_bitset1_b32 s0, 10
	s_mov_b32 m0, s0
	s_sendmsg sendmsg(MSG_INTERRUPT)
	s_mov_b32 m0, ttmp2
.LBB20_469:                             ; =>This Inner Loop Header: Depth=1
	s_sethalt 5
	s_branch .LBB20_469
.LBB20_470:
	s_cbranch_execnz .LBB20_476
; %bb.471:
	s_or_b32 s11, s11, exec_lo
	s_branch .LBB20_457
.LBB20_472:
	s_trap 2
	s_sendmsg_rtn_b32 s0, sendmsg(MSG_RTN_GET_DOORBELL)
	s_mov_b32 ttmp2, m0
	s_waitcnt lgkmcnt(0)
	s_and_b32 s0, s0, 0x3ff
	s_delay_alu instid0(SALU_CYCLE_1) | instskip(NEXT) | instid1(SALU_CYCLE_1)
	s_bitset1_b32 s0, 10
	s_mov_b32 m0, s0
	s_sendmsg sendmsg(MSG_INTERRUPT)
	s_mov_b32 m0, ttmp2
.LBB20_473:                             ; =>This Inner Loop Header: Depth=1
	s_sethalt 5
	s_branch .LBB20_473
.LBB20_474:
	s_cbranch_execnz .LBB20_480
; %bb.475:
	s_or_b32 s12, s12, exec_lo
	s_branch .LBB20_455
.LBB20_476:
	s_trap 2
	s_sendmsg_rtn_b32 s0, sendmsg(MSG_RTN_GET_DOORBELL)
	s_mov_b32 ttmp2, m0
	s_waitcnt lgkmcnt(0)
	s_and_b32 s0, s0, 0x3ff
	s_delay_alu instid0(SALU_CYCLE_1) | instskip(NEXT) | instid1(SALU_CYCLE_1)
	s_bitset1_b32 s0, 10
	s_mov_b32 m0, s0
	s_sendmsg sendmsg(MSG_INTERRUPT)
	s_mov_b32 m0, ttmp2
.LBB20_477:                             ; =>This Inner Loop Header: Depth=1
	s_sethalt 5
	s_branch .LBB20_477
.LBB20_478:
	s_cbranch_execnz .LBB20_484
; %bb.479:
	s_or_b32 s1, s1, exec_lo
	s_branch .LBB20_453
.LBB20_480:
	s_trap 2
	s_sendmsg_rtn_b32 s0, sendmsg(MSG_RTN_GET_DOORBELL)
	s_mov_b32 ttmp2, m0
	s_waitcnt lgkmcnt(0)
	s_and_b32 s0, s0, 0x3ff
	s_delay_alu instid0(SALU_CYCLE_1) | instskip(NEXT) | instid1(SALU_CYCLE_1)
	s_bitset1_b32 s0, 10
	s_mov_b32 m0, s0
	s_sendmsg sendmsg(MSG_INTERRUPT)
	s_mov_b32 m0, ttmp2
.LBB20_481:                             ; =>This Inner Loop Header: Depth=1
	s_sethalt 5
	s_branch .LBB20_481
.LBB20_482:
	s_cbranch_execnz .LBB20_486
; %bb.483:
	s_mov_b32 s0, exec_lo
	s_branch .LBB20_451
.LBB20_484:
	s_trap 2
	s_sendmsg_rtn_b32 s0, sendmsg(MSG_RTN_GET_DOORBELL)
	s_mov_b32 ttmp2, m0
	s_waitcnt lgkmcnt(0)
	s_and_b32 s0, s0, 0x3ff
	s_delay_alu instid0(SALU_CYCLE_1) | instskip(NEXT) | instid1(SALU_CYCLE_1)
	s_bitset1_b32 s0, 10
	s_mov_b32 m0, s0
	s_sendmsg sendmsg(MSG_INTERRUPT)
	s_mov_b32 m0, ttmp2
.LBB20_485:                             ; =>This Inner Loop Header: Depth=1
	s_sethalt 5
	s_branch .LBB20_485
.LBB20_486:
	s_trap 2
	s_sendmsg_rtn_b32 s0, sendmsg(MSG_RTN_GET_DOORBELL)
	s_mov_b32 ttmp2, m0
	s_waitcnt lgkmcnt(0)
	s_and_b32 s0, s0, 0x3ff
	s_delay_alu instid0(SALU_CYCLE_1) | instskip(NEXT) | instid1(SALU_CYCLE_1)
	s_bitset1_b32 s0, 10
	s_mov_b32 m0, s0
	s_sendmsg sendmsg(MSG_INTERRUPT)
	s_mov_b32 m0, ttmp2
.LBB20_487:                             ; =>This Inner Loop Header: Depth=1
	s_sethalt 5
	s_branch .LBB20_487
	.section	.rodata,"a",@progbits
	.p2align	6, 0x0
	.amdhsa_kernel _ZN2at6native6sbtopk10gatherTopKIajLi2ELb0EEEvNS_4cuda6detail10TensorInfoIKT_T0_EES8_S8_bS8_S8_NS5_IS6_S8_EES8_NS5_IlS8_EES8_PS6_
		.amdhsa_group_segment_fixed_size 4112
		.amdhsa_private_segment_fixed_size 0
		.amdhsa_kernarg_size 952
		.amdhsa_user_sgpr_count 13
		.amdhsa_user_sgpr_dispatch_ptr 0
		.amdhsa_user_sgpr_queue_ptr 0
		.amdhsa_user_sgpr_kernarg_segment_ptr 1
		.amdhsa_user_sgpr_dispatch_id 0
		.amdhsa_user_sgpr_private_segment_size 0
		.amdhsa_wavefront_size32 1
		.amdhsa_uses_dynamic_stack 0
		.amdhsa_enable_private_segment 0
		.amdhsa_system_sgpr_workgroup_id_x 1
		.amdhsa_system_sgpr_workgroup_id_y 1
		.amdhsa_system_sgpr_workgroup_id_z 1
		.amdhsa_system_sgpr_workgroup_info 0
		.amdhsa_system_vgpr_workitem_id 0
		.amdhsa_next_free_vgpr 40
		.amdhsa_next_free_sgpr 94
		.amdhsa_reserve_vcc 1
		.amdhsa_float_round_mode_32 0
		.amdhsa_float_round_mode_16_64 0
		.amdhsa_float_denorm_mode_32 3
		.amdhsa_float_denorm_mode_16_64 3
		.amdhsa_dx10_clamp 1
		.amdhsa_ieee_mode 1
		.amdhsa_fp16_overflow 0
		.amdhsa_workgroup_processor_mode 1
		.amdhsa_memory_ordered 1
		.amdhsa_forward_progress 0
		.amdhsa_shared_vgpr_count 0
		.amdhsa_exception_fp_ieee_invalid_op 0
		.amdhsa_exception_fp_denorm_src 0
		.amdhsa_exception_fp_ieee_div_zero 0
		.amdhsa_exception_fp_ieee_overflow 0
		.amdhsa_exception_fp_ieee_underflow 0
		.amdhsa_exception_fp_ieee_inexact 0
		.amdhsa_exception_int_div_zero 0
	.end_amdhsa_kernel
	.section	.text._ZN2at6native6sbtopk10gatherTopKIajLi2ELb0EEEvNS_4cuda6detail10TensorInfoIKT_T0_EES8_S8_bS8_S8_NS5_IS6_S8_EES8_NS5_IlS8_EES8_PS6_,"axG",@progbits,_ZN2at6native6sbtopk10gatherTopKIajLi2ELb0EEEvNS_4cuda6detail10TensorInfoIKT_T0_EES8_S8_bS8_S8_NS5_IS6_S8_EES8_NS5_IlS8_EES8_PS6_,comdat
.Lfunc_end20:
	.size	_ZN2at6native6sbtopk10gatherTopKIajLi2ELb0EEEvNS_4cuda6detail10TensorInfoIKT_T0_EES8_S8_bS8_S8_NS5_IS6_S8_EES8_NS5_IlS8_EES8_PS6_, .Lfunc_end20-_ZN2at6native6sbtopk10gatherTopKIajLi2ELb0EEEvNS_4cuda6detail10TensorInfoIKT_T0_EES8_S8_bS8_S8_NS5_IS6_S8_EES8_NS5_IlS8_EES8_PS6_
                                        ; -- End function
	.section	.AMDGPU.csdata,"",@progbits
; Kernel info:
; codeLenInByte = 15600
; NumSgprs: 96
; NumVgprs: 40
; ScratchSize: 0
; MemoryBound: 0
; FloatMode: 240
; IeeeMode: 1
; LDSByteSize: 4112 bytes/workgroup (compile time only)
; SGPRBlocks: 11
; VGPRBlocks: 4
; NumSGPRsForWavesPerEU: 96
; NumVGPRsForWavesPerEU: 40
; Occupancy: 16
; WaveLimiterHint : 1
; COMPUTE_PGM_RSRC2:SCRATCH_EN: 0
; COMPUTE_PGM_RSRC2:USER_SGPR: 13
; COMPUTE_PGM_RSRC2:TRAP_HANDLER: 0
; COMPUTE_PGM_RSRC2:TGID_X_EN: 1
; COMPUTE_PGM_RSRC2:TGID_Y_EN: 1
; COMPUTE_PGM_RSRC2:TGID_Z_EN: 1
; COMPUTE_PGM_RSRC2:TIDIG_COMP_CNT: 0
	.section	.text._ZN2at6native6mbtopk23computeBlockDigitCountsIajjLi3EEEvNS_4cuda6detail10TensorInfoIKT_T0_EEjPjjS8_iijT1_PSB_Ps,"axG",@progbits,_ZN2at6native6mbtopk23computeBlockDigitCountsIajjLi3EEEvNS_4cuda6detail10TensorInfoIKT_T0_EEjPjjS8_iijT1_PSB_Ps,comdat
	.protected	_ZN2at6native6mbtopk23computeBlockDigitCountsIajjLi3EEEvNS_4cuda6detail10TensorInfoIKT_T0_EEjPjjS8_iijT1_PSB_Ps ; -- Begin function _ZN2at6native6mbtopk23computeBlockDigitCountsIajjLi3EEEvNS_4cuda6detail10TensorInfoIKT_T0_EEjPjjS8_iijT1_PSB_Ps
	.globl	_ZN2at6native6mbtopk23computeBlockDigitCountsIajjLi3EEEvNS_4cuda6detail10TensorInfoIKT_T0_EEjPjjS8_iijT1_PSB_Ps
	.p2align	8
	.type	_ZN2at6native6mbtopk23computeBlockDigitCountsIajjLi3EEEvNS_4cuda6detail10TensorInfoIKT_T0_EEjPjjS8_iijT1_PSB_Ps,@function
_ZN2at6native6mbtopk23computeBlockDigitCountsIajjLi3EEEvNS_4cuda6detail10TensorInfoIKT_T0_EEjPjjS8_iijT1_PSB_Ps: ; @_ZN2at6native6mbtopk23computeBlockDigitCountsIajjLi3EEEvNS_4cuda6detail10TensorInfoIKT_T0_EEjPjjS8_iijT1_PSB_Ps
; %bb.0:
	s_clause 0x2
	s_load_b64 s[2:3], s[0:1], 0xf8
	s_load_b128 s[8:11], s[0:1], 0xe8
	s_load_b64 s[4:5], s[0:1], 0x110
	s_waitcnt lgkmcnt(0)
	v_cvt_f32_u32_e32 v1, s2
	s_sub_i32 s7, 0, s2
	s_mul_i32 s5, s5, s15
	s_mov_b32 s15, 0
	s_add_i32 s5, s5, s14
	v_rcp_iflag_f32_e32 v1, v1
	s_mul_i32 s16, s5, s4
	s_delay_alu instid0(SALU_CYCLE_1) | instskip(SKIP_2) | instid1(VALU_DEP_1)
	s_add_i32 s16, s16, s13
	s_waitcnt_depctr 0xfff
	v_mul_f32_e32 v1, 0x4f7ffffe, v1
	v_cvt_u32_f32_e32 v1, v1
	s_delay_alu instid0(VALU_DEP_1) | instskip(NEXT) | instid1(VALU_DEP_1)
	v_readfirstlane_b32 s6, v1
	s_mul_i32 s7, s7, s6
	s_delay_alu instid0(SALU_CYCLE_1) | instskip(NEXT) | instid1(SALU_CYCLE_1)
	s_mul_hi_u32 s4, s6, s7
	s_add_i32 s6, s6, s4
	s_delay_alu instid0(SALU_CYCLE_1) | instskip(NEXT) | instid1(SALU_CYCLE_1)
	s_mul_hi_u32 s4, s16, s6
	s_mul_i32 s5, s4, s2
	s_add_i32 s6, s4, 1
	s_sub_i32 s5, s16, s5
	s_delay_alu instid0(SALU_CYCLE_1)
	s_sub_i32 s7, s5, s2
	s_cmp_ge_u32 s5, s2
	s_cselect_b32 s4, s6, s4
	s_cselect_b32 s5, s7, s5
	s_add_i32 s6, s4, 1
	s_cmp_ge_u32 s5, s2
	s_cselect_b32 s14, s6, s4
	s_delay_alu instid0(SALU_CYCLE_1)
	s_cmp_ge_u32 s14, s8
	s_cbranch_scc1 .LBB21_29
; %bb.1:
	s_clause 0x1
	s_load_b64 s[12:13], s[0:1], 0xc
	s_load_b128 s[4:7], s[0:1], 0x100
	s_lshl_b64 s[18:19], s[14:15], 2
	v_cmp_gt_u32_e32 vcc_lo, 0x100, v0
	s_waitcnt lgkmcnt(0)
	v_cvt_f32_u32_e32 v1, s13
	v_cvt_f32_u32_e32 v2, s12
	s_add_u32 s4, s4, s18
	s_addc_u32 s5, s5, s19
	s_sub_i32 s15, 0, s13
	v_rcp_iflag_f32_e32 v1, v1
	v_rcp_iflag_f32_e32 v2, v2
	s_waitcnt_depctr 0xfff
	v_mul_f32_e32 v1, 0x4f7ffffe, v1
	s_delay_alu instid0(VALU_DEP_1) | instskip(NEXT) | instid1(VALU_DEP_1)
	v_cvt_u32_f32_e32 v1, v1
	v_readfirstlane_b32 s8, v1
	v_mul_f32_e32 v1, 0x4f7ffffe, v2
	s_delay_alu instid0(VALU_DEP_2) | instskip(NEXT) | instid1(VALU_DEP_1)
	s_mul_i32 s15, s15, s8
	v_cvt_u32_f32_e32 v1, v1
	s_mul_hi_u32 s15, s8, s15
	s_delay_alu instid0(SALU_CYCLE_1) | instskip(NEXT) | instid1(VALU_DEP_1)
	s_add_i32 s8, s8, s15
	v_readfirstlane_b32 s19, v1
	s_mul_hi_u32 s8, s14, s8
	v_lshlrev_b32_e32 v1, 2, v0
	s_mul_i32 s15, s8, s13
	s_add_i32 s17, s8, 1
	s_sub_i32 s15, s14, s15
	s_delay_alu instid0(SALU_CYCLE_1)
	s_sub_i32 s18, s15, s13
	s_cmp_ge_u32 s15, s13
	s_cselect_b32 s8, s17, s8
	s_cselect_b32 s15, s18, s15
	s_add_i32 s17, s8, 1
	s_cmp_ge_u32 s15, s13
	s_cselect_b32 s18, s17, s8
	s_and_saveexec_b32 s8, vcc_lo
	s_cbranch_execz .LBB21_3
; %bb.2:
	v_mov_b32_e32 v2, 0
	ds_store_b32 v1, v2
.LBB21_3:
	s_or_b32 exec_lo, exec_lo, s8
	s_load_b32 s8, s[0:1], 0xd8
	s_mul_i32 s15, s14, s2
	s_waitcnt lgkmcnt(0)
	s_sub_i32 s17, s16, s15
	s_barrier
	s_mul_i32 s15, s11, s17
	s_add_i32 s17, s17, 1
	s_lshl_b32 s15, s15, 8
	buffer_gl0_inv
	s_sub_i32 s20, s8, s15
	s_delay_alu instid0(SALU_CYCLE_1) | instskip(SKIP_4) | instid1(VALU_DEP_1)
	s_add_u32 s20, s20, 0xff
	s_addc_u32 s21, 0, 0
	s_cmp_lt_u32 s17, s2
	v_alignbit_b32 v2, s21, s20, 8
	s_mov_b32 s17, 0
	v_readfirstlane_b32 s20, v2
	s_delay_alu instid0(VALU_DEP_1) | instskip(NEXT) | instid1(SALU_CYCLE_1)
	s_cselect_b32 s11, s11, s20
	s_cmp_lt_i32 s11, 1
	s_cbranch_scc1 .LBB21_25
; %bb.4:
	s_sub_i32 s2, 0, s12
	s_clause 0x1
	s_load_b128 s[20:23], s[0:1], 0x6c
	s_load_b64 s[24:25], s[0:1], 0x0
	s_mul_i32 s2, s2, s19
	s_mul_i32 s1, s18, s13
	s_mul_hi_u32 s2, s19, s2
	s_sub_i32 s13, s14, s1
	s_add_i32 s19, s19, s2
	s_load_b32 s1, s[4:5], 0x0
	s_mul_hi_u32 s0, s18, s19
	s_delay_alu instid0(SALU_CYCLE_1) | instskip(SKIP_2) | instid1(SALU_CYCLE_1)
	s_mul_i32 s2, s0, s12
	s_add_i32 s14, s0, 1
	s_sub_i32 s2, s18, s2
	s_sub_i32 s19, s2, s12
	s_cmp_ge_u32 s2, s12
	s_cselect_b32 s0, s14, s0
	s_cselect_b32 s2, s19, s2
	s_add_i32 s4, s0, 1
	s_cmp_ge_u32 s2, s12
	s_waitcnt lgkmcnt(0)
	s_mul_i32 s13, s13, s22
	s_cselect_b32 s0, s4, s0
	s_delay_alu instid0(SALU_CYCLE_1) | instskip(SKIP_2) | instid1(SALU_CYCLE_1)
	s_mul_i32 s2, s0, s12
	s_mul_i32 s0, s0, s20
	s_sub_i32 s2, s18, s2
	s_mul_i32 s2, s2, s21
	s_delay_alu instid0(SALU_CYCLE_1) | instskip(NEXT) | instid1(SALU_CYCLE_1)
	s_add_i32 s2, s2, s13
	s_add_i32 s2, s2, s0
	s_delay_alu instid0(SALU_CYCLE_1)
	s_add_u32 s4, s24, s2
	s_addc_u32 s5, s25, 0
	s_and_b32 s2, s10, 0xff
	s_cmp_lt_u32 s11, 4
	s_cbranch_scc1 .LBB21_19
; %bb.5:
	v_dual_mov_b32 v7, 1 :: v_dual_add_nc_u32 v6, s15, v0
	s_and_b32 s17, s11, 0x7ffffffc
	s_lshl_b32 s10, s9, 10
	s_mov_b32 s12, 0
	s_delay_alu instid0(VALU_DEP_1)
	v_add_nc_u32_e32 v2, 0x300, v6
	v_add_nc_u32_e32 v4, 0x200, v6
	;; [unrolled: 1-line block ×3, first 2 shown]
	v_mul_lo_u32 v6, s9, v6
	s_mov_b32 s13, 0
	v_mul_lo_u32 v3, s9, v2
	v_mul_lo_u32 v4, s9, v4
	;; [unrolled: 1-line block ×3, first 2 shown]
	s_branch .LBB21_7
.LBB21_6:                               ;   in Loop: Header=BB21_7 Depth=1
	s_or_b32 exec_lo, exec_lo, s14
	v_add_nc_u32_e32 v2, 0x400, v2
	s_add_i32 s13, s13, 4
	s_add_i32 s12, s12, s10
	s_cmp_eq_u32 s17, s13
	s_cbranch_scc1 .LBB21_19
.LBB21_7:                               ; =>This Inner Loop Header: Depth=1
	v_add_nc_u32_e32 v8, 0xfffffd00, v2
	s_mov_b32 s14, exec_lo
	s_delay_alu instid0(VALU_DEP_1)
	v_cmpx_gt_u32_e64 s8, v8
	s_cbranch_execz .LBB21_10
; %bb.8:                                ;   in Loop: Header=BB21_7 Depth=1
	v_add_nc_u32_e32 v8, s12, v6
	global_load_i8 v8, v8, s[4:5]
	s_waitcnt vmcnt(0)
	v_add_nc_u32_e32 v8, 0x80, v8
	s_delay_alu instid0(VALU_DEP_1) | instskip(NEXT) | instid1(VALU_DEP_1)
	v_xor_b32_e32 v9, s1, v8
	v_and_b32_e32 v9, s3, v9
	s_delay_alu instid0(VALU_DEP_1) | instskip(NEXT) | instid1(VALU_DEP_1)
	v_cmp_eq_u32_e64 s0, 0, v9
	s_and_b32 exec_lo, exec_lo, s0
	s_cbranch_execz .LBB21_10
; %bb.9:                                ;   in Loop: Header=BB21_7 Depth=1
	v_lshrrev_b32_e32 v8, s2, v8
	s_delay_alu instid0(VALU_DEP_1)
	v_lshlrev_b32_e32 v8, 2, v8
	ds_add_u32 v8, v7
.LBB21_10:                              ;   in Loop: Header=BB21_7 Depth=1
	s_or_b32 exec_lo, exec_lo, s14
	v_add_nc_u32_e32 v8, 0xfffffe00, v2
	s_mov_b32 s14, exec_lo
	s_delay_alu instid0(VALU_DEP_1)
	v_cmpx_gt_u32_e64 s8, v8
	s_cbranch_execz .LBB21_13
; %bb.11:                               ;   in Loop: Header=BB21_7 Depth=1
	v_add_nc_u32_e32 v8, s12, v5
	global_load_i8 v8, v8, s[4:5]
	s_waitcnt vmcnt(0)
	v_add_nc_u32_e32 v8, 0x80, v8
	s_delay_alu instid0(VALU_DEP_1) | instskip(NEXT) | instid1(VALU_DEP_1)
	v_xor_b32_e32 v9, s1, v8
	v_and_b32_e32 v9, s3, v9
	s_delay_alu instid0(VALU_DEP_1) | instskip(NEXT) | instid1(VALU_DEP_1)
	v_cmp_eq_u32_e64 s0, 0, v9
	s_and_b32 exec_lo, exec_lo, s0
	s_cbranch_execz .LBB21_13
; %bb.12:                               ;   in Loop: Header=BB21_7 Depth=1
	v_lshrrev_b32_e32 v8, s2, v8
	s_delay_alu instid0(VALU_DEP_1)
	v_lshlrev_b32_e32 v8, 2, v8
	ds_add_u32 v8, v7
.LBB21_13:                              ;   in Loop: Header=BB21_7 Depth=1
	s_or_b32 exec_lo, exec_lo, s14
	v_add_nc_u32_e32 v8, 0xffffff00, v2
	s_mov_b32 s14, exec_lo
	s_delay_alu instid0(VALU_DEP_1)
	v_cmpx_gt_u32_e64 s8, v8
	s_cbranch_execz .LBB21_16
; %bb.14:                               ;   in Loop: Header=BB21_7 Depth=1
	v_add_nc_u32_e32 v8, s12, v4
	global_load_i8 v8, v8, s[4:5]
	s_waitcnt vmcnt(0)
	v_add_nc_u32_e32 v8, 0x80, v8
	s_delay_alu instid0(VALU_DEP_1) | instskip(NEXT) | instid1(VALU_DEP_1)
	v_xor_b32_e32 v9, s1, v8
	v_and_b32_e32 v9, s3, v9
	s_delay_alu instid0(VALU_DEP_1) | instskip(NEXT) | instid1(VALU_DEP_1)
	v_cmp_eq_u32_e64 s0, 0, v9
	s_and_b32 exec_lo, exec_lo, s0
	s_cbranch_execz .LBB21_16
; %bb.15:                               ;   in Loop: Header=BB21_7 Depth=1
	v_lshrrev_b32_e32 v8, s2, v8
	s_delay_alu instid0(VALU_DEP_1)
	v_lshlrev_b32_e32 v8, 2, v8
	ds_add_u32 v8, v7
.LBB21_16:                              ;   in Loop: Header=BB21_7 Depth=1
	s_or_b32 exec_lo, exec_lo, s14
	s_delay_alu instid0(SALU_CYCLE_1)
	s_mov_b32 s14, exec_lo
	v_cmpx_gt_u32_e64 s8, v2
	s_cbranch_execz .LBB21_6
; %bb.17:                               ;   in Loop: Header=BB21_7 Depth=1
	v_add_nc_u32_e32 v8, s12, v3
	global_load_i8 v8, v8, s[4:5]
	s_waitcnt vmcnt(0)
	v_add_nc_u32_e32 v8, 0x80, v8
	s_delay_alu instid0(VALU_DEP_1) | instskip(NEXT) | instid1(VALU_DEP_1)
	v_xor_b32_e32 v9, s1, v8
	v_and_b32_e32 v9, s3, v9
	s_delay_alu instid0(VALU_DEP_1) | instskip(NEXT) | instid1(VALU_DEP_1)
	v_cmp_eq_u32_e64 s0, 0, v9
	s_and_b32 exec_lo, exec_lo, s0
	s_cbranch_execz .LBB21_6
; %bb.18:                               ;   in Loop: Header=BB21_7 Depth=1
	v_lshrrev_b32_e32 v8, s2, v8
	s_delay_alu instid0(VALU_DEP_1)
	v_lshlrev_b32_e32 v8, 2, v8
	ds_add_u32 v8, v7
	s_branch .LBB21_6
.LBB21_19:
	s_and_b32 s10, s11, 3
	s_delay_alu instid0(SALU_CYCLE_1)
	s_cmp_eq_u32 s10, 0
	s_cbranch_scc1 .LBB21_25
; %bb.20:
	s_lshl_b32 s0, s17, 8
	v_mov_b32_e32 v4, 1
	v_add3_u32 v2, s0, s15, v0
	s_delay_alu instid0(VALU_DEP_1)
	v_mul_lo_u32 v3, s9, v2
	s_lshl_b32 s9, s9, 8
	s_set_inst_prefetch_distance 0x1
	s_branch .LBB21_22
	.p2align	6
.LBB21_21:                              ;   in Loop: Header=BB21_22 Depth=1
	s_or_b32 exec_lo, exec_lo, s11
	v_add_nc_u32_e32 v3, s9, v3
	v_add_nc_u32_e32 v2, 0x100, v2
	s_add_i32 s10, s10, -1
	s_delay_alu instid0(SALU_CYCLE_1)
	s_cmp_lg_u32 s10, 0
	s_cbranch_scc0 .LBB21_25
.LBB21_22:                              ; =>This Inner Loop Header: Depth=1
	s_mov_b32 s11, exec_lo
	v_cmpx_gt_u32_e64 s8, v2
	s_cbranch_execz .LBB21_21
; %bb.23:                               ;   in Loop: Header=BB21_22 Depth=1
	global_load_i8 v5, v3, s[4:5]
	s_waitcnt vmcnt(0)
	v_add_nc_u32_e32 v5, 0x80, v5
	s_delay_alu instid0(VALU_DEP_1) | instskip(NEXT) | instid1(VALU_DEP_1)
	v_xor_b32_e32 v6, s1, v5
	v_and_b32_e32 v6, s3, v6
	s_delay_alu instid0(VALU_DEP_1) | instskip(NEXT) | instid1(VALU_DEP_1)
	v_cmp_eq_u32_e64 s0, 0, v6
	s_and_b32 exec_lo, exec_lo, s0
	s_cbranch_execz .LBB21_21
; %bb.24:                               ;   in Loop: Header=BB21_22 Depth=1
	v_lshrrev_b32_e32 v5, s2, v5
	s_delay_alu instid0(VALU_DEP_1)
	v_lshlrev_b32_e32 v5, 2, v5
	ds_add_u32 v5, v4
	s_branch .LBB21_21
.LBB21_25:
	s_set_inst_prefetch_distance 0x2
	v_mov_b32_e32 v2, 0
	s_waitcnt lgkmcnt(0)
	s_barrier
	buffer_gl0_inv
	s_and_saveexec_b32 s0, vcc_lo
	s_cbranch_execz .LBB21_27
; %bb.26:
	ds_load_b32 v2, v1
.LBB21_27:
	s_or_b32 exec_lo, exec_lo, s0
	s_and_saveexec_b32 s0, vcc_lo
	s_cbranch_execz .LBB21_29
; %bb.28:
	v_lshl_or_b32 v0, s16, 8, v0
	v_mov_b32_e32 v1, 0
	s_delay_alu instid0(VALU_DEP_1) | instskip(NEXT) | instid1(VALU_DEP_1)
	v_lshlrev_b64 v[0:1], 1, v[0:1]
	v_add_co_u32 v0, vcc_lo, s6, v0
	s_delay_alu instid0(VALU_DEP_2)
	v_add_co_ci_u32_e32 v1, vcc_lo, s7, v1, vcc_lo
	s_waitcnt lgkmcnt(0)
	global_store_b16 v[0:1], v2, off
.LBB21_29:
	s_nop 0
	s_sendmsg sendmsg(MSG_DEALLOC_VGPRS)
	s_endpgm
	.section	.rodata,"a",@progbits
	.p2align	6, 0x0
	.amdhsa_kernel _ZN2at6native6mbtopk23computeBlockDigitCountsIajjLi3EEEvNS_4cuda6detail10TensorInfoIKT_T0_EEjPjjS8_iijT1_PSB_Ps
		.amdhsa_group_segment_fixed_size 1024
		.amdhsa_private_segment_fixed_size 0
		.amdhsa_kernarg_size 528
		.amdhsa_user_sgpr_count 13
		.amdhsa_user_sgpr_dispatch_ptr 0
		.amdhsa_user_sgpr_queue_ptr 0
		.amdhsa_user_sgpr_kernarg_segment_ptr 1
		.amdhsa_user_sgpr_dispatch_id 0
		.amdhsa_user_sgpr_private_segment_size 0
		.amdhsa_wavefront_size32 1
		.amdhsa_uses_dynamic_stack 0
		.amdhsa_enable_private_segment 0
		.amdhsa_system_sgpr_workgroup_id_x 1
		.amdhsa_system_sgpr_workgroup_id_y 1
		.amdhsa_system_sgpr_workgroup_id_z 1
		.amdhsa_system_sgpr_workgroup_info 0
		.amdhsa_system_vgpr_workitem_id 0
		.amdhsa_next_free_vgpr 10
		.amdhsa_next_free_sgpr 26
		.amdhsa_reserve_vcc 1
		.amdhsa_float_round_mode_32 0
		.amdhsa_float_round_mode_16_64 0
		.amdhsa_float_denorm_mode_32 3
		.amdhsa_float_denorm_mode_16_64 3
		.amdhsa_dx10_clamp 1
		.amdhsa_ieee_mode 1
		.amdhsa_fp16_overflow 0
		.amdhsa_workgroup_processor_mode 1
		.amdhsa_memory_ordered 1
		.amdhsa_forward_progress 0
		.amdhsa_shared_vgpr_count 0
		.amdhsa_exception_fp_ieee_invalid_op 0
		.amdhsa_exception_fp_denorm_src 0
		.amdhsa_exception_fp_ieee_div_zero 0
		.amdhsa_exception_fp_ieee_overflow 0
		.amdhsa_exception_fp_ieee_underflow 0
		.amdhsa_exception_fp_ieee_inexact 0
		.amdhsa_exception_int_div_zero 0
	.end_amdhsa_kernel
	.section	.text._ZN2at6native6mbtopk23computeBlockDigitCountsIajjLi3EEEvNS_4cuda6detail10TensorInfoIKT_T0_EEjPjjS8_iijT1_PSB_Ps,"axG",@progbits,_ZN2at6native6mbtopk23computeBlockDigitCountsIajjLi3EEEvNS_4cuda6detail10TensorInfoIKT_T0_EEjPjjS8_iijT1_PSB_Ps,comdat
.Lfunc_end21:
	.size	_ZN2at6native6mbtopk23computeBlockDigitCountsIajjLi3EEEvNS_4cuda6detail10TensorInfoIKT_T0_EEjPjjS8_iijT1_PSB_Ps, .Lfunc_end21-_ZN2at6native6mbtopk23computeBlockDigitCountsIajjLi3EEEvNS_4cuda6detail10TensorInfoIKT_T0_EEjPjjS8_iijT1_PSB_Ps
                                        ; -- End function
	.section	.AMDGPU.csdata,"",@progbits
; Kernel info:
; codeLenInByte = 1480
; NumSgprs: 28
; NumVgprs: 10
; ScratchSize: 0
; MemoryBound: 0
; FloatMode: 240
; IeeeMode: 1
; LDSByteSize: 1024 bytes/workgroup (compile time only)
; SGPRBlocks: 3
; VGPRBlocks: 1
; NumSGPRsForWavesPerEU: 28
; NumVGPRsForWavesPerEU: 10
; Occupancy: 16
; WaveLimiterHint : 1
; COMPUTE_PGM_RSRC2:SCRATCH_EN: 0
; COMPUTE_PGM_RSRC2:USER_SGPR: 13
; COMPUTE_PGM_RSRC2:TRAP_HANDLER: 0
; COMPUTE_PGM_RSRC2:TGID_X_EN: 1
; COMPUTE_PGM_RSRC2:TGID_Y_EN: 1
; COMPUTE_PGM_RSRC2:TGID_Z_EN: 1
; COMPUTE_PGM_RSRC2:TIDIG_COMP_CNT: 0
	.section	.text._ZN2at6native6mbtopk10gatherTopKIajLi3EEEvNS_4cuda6detail10TensorInfoIKT_T0_EES8_S8_bjS8_NS5_IS6_S8_EES8_NS5_IlS8_EES8_jjPS6_PjSD_j,"axG",@progbits,_ZN2at6native6mbtopk10gatherTopKIajLi3EEEvNS_4cuda6detail10TensorInfoIKT_T0_EES8_S8_bjS8_NS5_IS6_S8_EES8_NS5_IlS8_EES8_jjPS6_PjSD_j,comdat
	.protected	_ZN2at6native6mbtopk10gatherTopKIajLi3EEEvNS_4cuda6detail10TensorInfoIKT_T0_EES8_S8_bjS8_NS5_IS6_S8_EES8_NS5_IlS8_EES8_jjPS6_PjSD_j ; -- Begin function _ZN2at6native6mbtopk10gatherTopKIajLi3EEEvNS_4cuda6detail10TensorInfoIKT_T0_EES8_S8_bjS8_NS5_IS6_S8_EES8_NS5_IlS8_EES8_jjPS6_PjSD_j
	.globl	_ZN2at6native6mbtopk10gatherTopKIajLi3EEEvNS_4cuda6detail10TensorInfoIKT_T0_EES8_S8_bjS8_NS5_IS6_S8_EES8_NS5_IlS8_EES8_jjPS6_PjSD_j
	.p2align	8
	.type	_ZN2at6native6mbtopk10gatherTopKIajLi3EEEvNS_4cuda6detail10TensorInfoIKT_T0_EES8_S8_bjS8_NS5_IS6_S8_EES8_NS5_IlS8_EES8_jjPS6_PjSD_j,@function
_ZN2at6native6mbtopk10gatherTopKIajLi3EEEvNS_4cuda6detail10TensorInfoIKT_T0_EES8_S8_bjS8_NS5_IS6_S8_EES8_NS5_IlS8_EES8_jjPS6_PjSD_j: ; @_ZN2at6native6mbtopk10gatherTopKIajLi3EEEvNS_4cuda6detail10TensorInfoIKT_T0_EES8_S8_bjS8_NS5_IS6_S8_EES8_NS5_IlS8_EES8_jjPS6_PjSD_j
; %bb.0:
	s_clause 0x1
	s_load_b64 s[2:3], s[0:1], 0x2d8
	s_load_b32 s4, s[0:1], 0x2d0
	s_waitcnt lgkmcnt(0)
	s_mul_i32 s3, s3, s15
	s_delay_alu instid0(SALU_CYCLE_1) | instskip(NEXT) | instid1(SALU_CYCLE_1)
	s_add_i32 s3, s3, s14
	s_mul_i32 s2, s3, s2
	s_delay_alu instid0(SALU_CYCLE_1) | instskip(NEXT) | instid1(SALU_CYCLE_1)
	s_add_i32 s2, s2, s13
	s_cmp_ge_u32 s2, s4
	s_cbranch_scc1 .LBB22_40
; %bb.1:
	s_clause 0x6
	s_load_b256 s[4:11], s[0:1], 0x2a8
	s_load_b64 s[40:41], s[0:1], 0xc
	s_load_b64 s[38:39], s[0:1], 0xfc
	;; [unrolled: 1-line block ×3, first 2 shown]
	s_load_b128 s[16:19], s[0:1], 0x15c
	s_load_b64 s[30:31], s[0:1], 0x1d0
	s_load_b64 s[34:35], s[0:1], 0x1dc
	s_waitcnt lgkmcnt(0)
	v_cvt_f32_u32_e32 v1, s6
	v_cvt_f32_u32_e32 v2, s40
	s_sub_i32 s7, 0, s6
	s_delay_alu instid0(VALU_DEP_2) | instskip(NEXT) | instid1(VALU_DEP_1)
	v_rcp_iflag_f32_e32 v1, v1
	v_rcp_iflag_f32_e32 v2, v2
	v_cvt_f32_u32_e32 v3, s34
	s_waitcnt_depctr 0xfff
	v_dual_mul_f32 v1, 0x4f7ffffe, v1 :: v_dual_mul_f32 v2, 0x4f7ffffe, v2
	s_delay_alu instid0(VALU_DEP_1) | instskip(NEXT) | instid1(VALU_DEP_2)
	v_cvt_u32_f32_e32 v1, v1
	v_cvt_u32_f32_e32 v2, v2
	s_delay_alu instid0(VALU_DEP_2) | instskip(NEXT) | instid1(VALU_DEP_1)
	v_readfirstlane_b32 s3, v1
	s_mul_i32 s7, s7, s3
	s_delay_alu instid0(SALU_CYCLE_1) | instskip(NEXT) | instid1(SALU_CYCLE_1)
	s_mul_hi_u32 s7, s3, s7
	s_add_i32 s3, s3, s7
	s_delay_alu instid0(SALU_CYCLE_1) | instskip(NEXT) | instid1(SALU_CYCLE_1)
	s_mul_hi_u32 s3, s2, s3
	s_mul_i32 s7, s3, s6
	s_add_i32 s12, s3, 1
	s_sub_i32 s7, s2, s7
	s_delay_alu instid0(SALU_CYCLE_1)
	s_sub_i32 s13, s7, s6
	s_cmp_ge_u32 s7, s6
	s_cselect_b32 s3, s12, s3
	s_cselect_b32 s7, s13, s7
	s_add_i32 s12, s3, 1
	s_cmp_ge_u32 s7, s6
	s_cselect_b32 s7, s12, s3
	s_load_b128 s[12:15], s[0:1], 0x23c
	v_mov_b32_e32 v1, s7
	global_load_u8 v6, v1, s[8:9]
	v_cvt_f32_u32_e32 v1, s41
	s_sub_i32 s8, 0, s41
	s_clause 0x1
	s_load_b64 s[36:37], s[0:1], 0xf0
	s_load_b128 s[20:23], s[0:1], 0x6c
	v_rcp_iflag_f32_e32 v1, v1
	s_waitcnt_depctr 0xfff
	v_mul_f32_e32 v1, 0x4f7ffffe, v1
	s_delay_alu instid0(VALU_DEP_1) | instskip(NEXT) | instid1(VALU_DEP_1)
	v_cvt_u32_f32_e32 v1, v1
	v_readfirstlane_b32 s3, v1
	v_cvt_f32_u32_e32 v1, s39
	s_delay_alu instid0(VALU_DEP_2) | instskip(NEXT) | instid1(VALU_DEP_1)
	s_mul_i32 s8, s8, s3
	v_rcp_iflag_f32_e32 v1, v1
	s_mul_hi_u32 s8, s3, s8
	s_delay_alu instid0(SALU_CYCLE_1)
	s_add_i32 s3, s3, s8
	s_mul_i32 s8, s7, s6
	s_mul_hi_u32 s3, s7, s3
	s_waitcnt lgkmcnt(0)
	s_sub_i32 s15, s2, s8
	s_mul_i32 s9, s3, s41
	s_delay_alu instid0(SALU_CYCLE_1)
	s_sub_i32 s2, s7, s9
	s_waitcnt_depctr 0xfff
	v_mul_f32_e32 v1, 0x4f7ffffe, v1
	s_add_i32 s9, s3, 1
	s_sub_i32 s19, s2, s41
	s_cmp_ge_u32 s2, s41
	s_delay_alu instid0(VALU_DEP_1)
	v_cvt_u32_f32_e32 v1, v1
	s_cselect_b32 s3, s9, s3
	s_cselect_b32 s2, s19, s2
	s_add_i32 s9, s3, 1
	s_cmp_ge_u32 s2, s41
	v_readfirstlane_b32 s2, v1
	v_cvt_f32_u32_e32 v1, s35
	s_cselect_b32 s23, s9, s3
	v_readfirstlane_b32 s9, v2
	v_cvt_f32_u32_e32 v2, s38
	s_sub_i32 s19, 0, s39
	v_rcp_iflag_f32_e32 v1, v1
	s_mul_i32 s19, s19, s2
	s_sub_i32 s3, 0, s40
	s_mul_hi_u32 s19, s2, s19
	v_rcp_iflag_f32_e32 v2, v2
	s_add_i32 s2, s2, s19
	s_mul_i32 s3, s3, s9
	s_mul_hi_u32 s2, s7, s2
	s_mul_hi_u32 s3, s9, s3
	s_mul_i32 s19, s2, s39
	s_waitcnt_depctr 0xfff
	v_mul_f32_e32 v1, 0x4f7ffffe, v1
	s_add_i32 s3, s9, s3
	s_sub_i32 s9, s7, s19
	s_add_i32 s19, s2, 1
	v_mul_f32_e32 v2, 0x4f7ffffe, v2
	s_sub_i32 s24, s9, s39
	s_cmp_ge_u32 s9, s39
	v_cvt_u32_f32_e32 v1, v1
	s_cselect_b32 s2, s19, s2
	s_cselect_b32 s9, s24, s9
	s_add_i32 s19, s2, 1
	v_cvt_u32_f32_e32 v2, v2
	s_cmp_ge_u32 s9, s39
	v_readfirstlane_b32 s9, v1
	v_rcp_iflag_f32_e32 v1, v3
	s_cselect_b32 s33, s19, s2
	s_sub_i32 s19, 0, s35
	v_readfirstlane_b32 s2, v2
	s_mul_i32 s19, s19, s9
	s_sub_i32 s24, 0, s38
	s_mul_hi_u32 s19, s9, s19
	s_mul_hi_u32 s50, s23, s3
	s_mul_i32 s24, s24, s2
	s_add_i32 s9, s9, s19
	s_mul_hi_u32 s19, s2, s24
	s_mul_hi_u32 s9, s7, s9
	s_waitcnt_depctr 0xfff
	v_mul_f32_e32 v1, 0x4f7ffffe, v1
	s_add_i32 s24, s2, s19
	s_mul_i32 s2, s9, s35
	s_add_i32 s19, s9, 1
	s_sub_i32 s2, s7, s2
	v_cvt_u32_f32_e32 v1, v1
	s_sub_i32 s25, s2, s35
	s_cmp_ge_u32 s2, s35
	v_cmp_eq_u32_e64 s3, 0, v0
	s_cselect_b32 s9, s19, s9
	s_cselect_b32 s2, s25, s2
	s_add_i32 s19, s9, 1
	v_readfirstlane_b32 s25, v1
	s_cmp_ge_u32 s2, s35
	s_mul_hi_u32 s49, s33, s24
	s_cselect_b32 s19, s19, s9
	s_sub_i32 s2, 0, s34
	s_mov_b32 s9, 0
	s_mul_i32 s2, s2, s25
	s_delay_alu instid0(SALU_CYCLE_1) | instskip(SKIP_2) | instid1(SALU_CYCLE_1)
	s_mul_hi_u32 s26, s25, s2
	v_cmp_ne_u32_e64 s2, 0, v0
	s_add_i32 s25, s25, s26
	s_mul_hi_u32 s48, s19, s25
	s_and_saveexec_b32 s51, s3
	s_cbranch_execz .LBB22_17
; %bb.2:
	s_load_b64 s[42:43], s[0:1], 0x2c8
	s_lshl_b64 s[44:45], s[8:9], 2
	s_mov_b32 s8, 0
	s_add_u32 s24, s10, s44
	s_addc_u32 s25, s11, s45
	s_mov_b32 s52, 0
	s_waitcnt lgkmcnt(0)
	s_add_u32 s26, s42, s44
	s_addc_u32 s27, s43, s45
	s_cmp_lt_u32 s6, 4
	s_cbranch_scc1 .LBB22_14
; %bb.3:
	s_mov_b32 s53, 0
.LBB22_4:                               ; =>This Inner Loop Header: Depth=1
	s_add_u32 s24, s10, s44
	s_addc_u32 s25, s11, s45
	s_add_u32 s46, s42, s44
	s_load_b128 s[24:27], s[24:25], 0x0
	s_addc_u32 s47, s43, s45
	s_cmp_ge_u32 s53, s15
	s_cbranch_scc0 .LBB22_11
; %bb.5:                                ;   in Loop: Header=BB22_4 Depth=1
	s_add_i32 s54, s53, 1
	s_delay_alu instid0(SALU_CYCLE_1)
	s_cmp_ge_u32 s54, s15
	s_cbranch_scc0 .LBB22_12
.LBB22_6:                               ;   in Loop: Header=BB22_4 Depth=1
	s_add_i32 s54, s54, 1
	s_delay_alu instid0(SALU_CYCLE_1)
	s_cmp_ge_u32 s54, s15
	s_cbranch_scc0 .LBB22_13
.LBB22_7:                               ;   in Loop: Header=BB22_4 Depth=1
	s_add_i32 s54, s54, 1
	s_delay_alu instid0(SALU_CYCLE_1)
	s_cmp_ge_u32 s54, s15
	s_cbranch_scc1 .LBB22_9
.LBB22_8:                               ;   in Loop: Header=BB22_4 Depth=1
	s_load_b32 s46, s[46:47], 0xc
	s_waitcnt lgkmcnt(0)
	s_add_i32 s9, s9, s27
	s_add_i32 s8, s46, s8
.LBB22_9:                               ;   in Loop: Header=BB22_4 Depth=1
	s_waitcnt lgkmcnt(0)
	s_add_i32 s24, s24, s52
	s_delay_alu instid0(SALU_CYCLE_1) | instskip(NEXT) | instid1(SALU_CYCLE_1)
	s_add_i32 s24, s24, s25
	s_add_i32 s24, s24, s26
	s_delay_alu instid0(SALU_CYCLE_1)
	s_add_i32 s52, s24, s27
	s_add_u32 s10, s10, 16
	s_addc_u32 s11, s11, 0
	s_add_u32 s42, s42, 16
	s_addc_u32 s43, s43, 0
	s_add_i32 s47, s54, 4
	s_add_u32 s26, s42, s44
	s_addc_u32 s27, s43, s45
	s_add_u32 s24, s10, s44
	s_addc_u32 s25, s11, s45
	s_add_i32 s46, s54, 1
	s_cmp_ge_u32 s47, s6
	s_cbranch_scc1 .LBB22_15
; %bb.10:                               ;   in Loop: Header=BB22_4 Depth=1
	s_mov_b32 s53, s46
	s_branch .LBB22_4
.LBB22_11:                              ;   in Loop: Header=BB22_4 Depth=1
	s_load_b32 s54, s[46:47], 0x0
	s_waitcnt lgkmcnt(0)
	s_add_i32 s9, s24, s9
	s_add_i32 s8, s54, s8
	;; [unrolled: 1-line block ×3, first 2 shown]
	s_delay_alu instid0(SALU_CYCLE_1)
	s_cmp_ge_u32 s54, s15
	s_cbranch_scc1 .LBB22_6
.LBB22_12:                              ;   in Loop: Header=BB22_4 Depth=1
	s_load_b32 s55, s[46:47], 0x4
	s_waitcnt lgkmcnt(0)
	s_add_i32 s9, s9, s25
	s_add_i32 s8, s55, s8
	;; [unrolled: 1-line block ×3, first 2 shown]
	s_delay_alu instid0(SALU_CYCLE_1)
	s_cmp_ge_u32 s54, s15
	s_cbranch_scc1 .LBB22_7
.LBB22_13:                              ;   in Loop: Header=BB22_4 Depth=1
	s_load_b32 s55, s[46:47], 0x8
	s_waitcnt lgkmcnt(0)
	s_add_i32 s9, s9, s26
	s_add_i32 s8, s55, s8
	;; [unrolled: 1-line block ×3, first 2 shown]
	s_delay_alu instid0(SALU_CYCLE_1)
	s_cmp_ge_u32 s54, s15
	s_cbranch_scc0 .LBB22_8
	s_branch .LBB22_9
.LBB22_14:
	s_mov_b32 s10, 0
	s_delay_alu instid0(SALU_CYCLE_1)
	s_cmp_ge_u32 s10, s6
	s_cbranch_scc0 .LBB22_38
	s_branch .LBB22_16
.LBB22_15:
	s_add_i32 s10, s53, 4
	s_delay_alu instid0(SALU_CYCLE_1)
	s_cmp_ge_u32 s10, s6
	s_cbranch_scc0 .LBB22_38
.LBB22_16:
	v_dual_mov_b32 v1, s8 :: v_dual_mov_b32 v2, s52
	v_dual_mov_b32 v3, s9 :: v_dual_mov_b32 v4, 0
	ds_store_b96 v4, v[1:3] offset:1056
.LBB22_17:
	s_or_b32 exec_lo, exec_lo, s51
	s_load_b128 s[8:11], s[0:1], 0xd8
	s_waitcnt lgkmcnt(0)
	s_mul_i32 s11, s5, s15
	s_add_i32 s15, s15, 1
	s_lshl_b32 s24, s11, 8
	s_waitcnt vmcnt(0)
	s_barrier
	buffer_gl0_inv
	s_sub_i32 s11, s8, s24
	s_delay_alu instid0(SALU_CYCLE_1) | instskip(SKIP_4) | instid1(VALU_DEP_1)
	s_add_u32 s11, s11, 0xff
	s_addc_u32 s25, 0, 0
	s_cmp_lt_u32 s15, s6
	v_alignbit_b32 v1, s25, s11, 8
	s_mov_b32 s15, 0
	v_readfirstlane_b32 s11, v1
	s_delay_alu instid0(VALU_DEP_1) | instskip(NEXT) | instid1(SALU_CYCLE_1)
	s_cselect_b32 s5, s5, s11
	s_cmp_eq_u32 s5, 0
	s_cbranch_scc1 .LBB22_40
; %bb.18:
	s_mul_i32 s11, s50, s40
	s_mul_i32 s6, s23, s41
	s_sub_i32 s11, s23, s11
	s_sub_i32 s6, s7, s6
	s_add_i32 s25, s50, 1
	s_sub_i32 s26, s11, s40
	s_cmp_ge_u32 s11, s40
	s_mul_i32 s6, s6, s22
	s_cselect_b32 s25, s25, s50
	s_cselect_b32 s11, s26, s11
	s_add_i32 s26, s25, 1
	s_cmp_ge_u32 s11, s40
	s_mul_i32 s11, s33, s39
	s_cselect_b32 s25, s26, s25
	s_mul_i32 s26, s49, s38
	s_mul_i32 s27, s25, s40
	;; [unrolled: 1-line block ×3, first 2 shown]
	s_sub_i32 s22, s23, s27
	s_sub_i32 s20, s33, s26
	s_mul_i32 s21, s22, s21
	s_sub_i32 s11, s7, s11
	s_add_i32 s6, s21, s6
	s_add_i32 s21, s49, 1
	s_add_i32 s6, s6, s25
	s_sub_i32 s22, s20, s38
	s_cmp_ge_u32 s20, s38
	s_mul_i32 s23, s48, s34
	s_cselect_b32 s21, s21, s49
	s_cselect_b32 s20, s22, s20
	s_add_i32 s22, s21, 1
	s_cmp_ge_u32 s20, s38
	s_mul_i32 s11, s11, s18
	s_cselect_b32 s20, s22, s21
	s_mul_i32 s21, s19, s35
	s_mul_i32 s22, s20, s38
	;; [unrolled: 1-line block ×3, first 2 shown]
	s_sub_i32 s22, s33, s22
	s_sub_i32 s16, s19, s23
	s_mul_i32 s17, s22, s17
	s_sub_i32 s7, s7, s21
	s_add_i32 s11, s17, s11
	s_add_i32 s17, s48, 1
	;; [unrolled: 1-line block ×3, first 2 shown]
	s_sub_i32 s18, s16, s34
	s_cmp_ge_u32 s16, s34
	v_dual_mov_b32 v5, 0 :: v_dual_lshlrev_b32 v8, 3, v0
	s_cselect_b32 s17, s17, s48
	s_cselect_b32 s16, s18, s16
	s_add_i32 s18, s17, 1
	s_cmp_ge_u32 s16, s34
	ds_load_b96 v[1:3], v5 offset:1056
	s_cselect_b32 s16, s18, s17
	s_mul_i32 s7, s7, s14
	s_mul_i32 s17, s16, s34
	;; [unrolled: 1-line block ×3, first 2 shown]
	s_sub_i32 s17, s19, s17
	v_bfe_i32 v4, v6, 0, 8
	s_mul_i32 s13, s17, s13
	v_add_nc_u32_e32 v9, -1, v0
	s_add_i32 s7, s13, s7
	v_lshrrev_b32_e32 v10, 2, v0
	s_add_i32 s14, s7, s16
	s_load_b32 s16, s[0:1], 0xe8
	s_add_u32 s6, s28, s6
	s_addc_u32 s7, s29, 0
	s_add_u32 s12, s36, s11
	s_addc_u32 s13, s37, 0
	s_lshl_b64 s[14:15], s[14:15], 3
	v_add_nc_u32_e32 v7, 0x80, v4
	s_add_u32 s11, s30, s14
	s_addc_u32 s14, s31, s15
	s_bitcmp1_b32 s10, 0
	s_load_b32 s10, s[0:1], 0x1c8
	v_lshrrev_b32_e32 v4, 5, v0
	s_waitcnt lgkmcnt(0)
	v_add_nc_u32_e32 v1, v1, v2
	v_lshrrev_b32_e32 v11, 5, v9
	v_cmp_gt_u32_e64 s0, 32, v0
	v_add_lshl_u32 v8, v10, v8, 2
	v_add_lshl_u32 v2, v4, v0, 2
	v_add_nc_u32_e32 v4, s24, v0
	v_mbcnt_lo_u32_b32 v0, -1, 0
	v_add_lshl_u32 v9, v11, v9, 2
	v_and_b32_e32 v6, 0xff, v6
	s_cselect_b32 s1, -1, 0
	v_mul_lo_u32 v10, s16, v4
	v_and_b32_e32 v11, 15, v0
	v_bfe_i32 v12, v0, 4, 1
	v_add_nc_u32_e32 v13, -1, v0
	s_lshl_b32 s15, s16, 8
                                        ; implicit-def: $vgpr14
	s_branch .LBB22_21
.LBB22_19:                              ;   in Loop: Header=BB22_21 Depth=1
	s_or_b32 exec_lo, exec_lo, s16
	v_add_nc_u32_e32 v1, v17, v1
.LBB22_20:                              ;   in Loop: Header=BB22_21 Depth=1
	v_add_nc_u32_e32 v3, v16, v3
	v_add_nc_u32_e32 v10, s15, v10
	;; [unrolled: 1-line block ×3, first 2 shown]
	s_add_i32 s5, s5, -1
	s_delay_alu instid0(SALU_CYCLE_1)
	s_cmp_lg_u32 s5, 0
	s_cbranch_scc0 .LBB22_40
.LBB22_21:                              ; =>This Inner Loop Header: Depth=1
	v_mov_b32_e32 v17, 0
	v_mov_b32_e32 v15, 0
	s_mov_b32 s16, exec_lo
	v_cmpx_gt_u32_e64 s8, v4
	s_cbranch_execz .LBB22_23
; %bb.22:                               ;   in Loop: Header=BB22_21 Depth=1
	global_load_u8 v14, v10, s[6:7]
	s_waitcnt vmcnt(0)
	v_bfe_i32 v15, v14, 0, 8
	s_delay_alu instid0(VALU_DEP_1) | instskip(NEXT) | instid1(VALU_DEP_1)
	v_add_nc_u32_e32 v15, 0x80, v15
	v_cmp_gt_u32_e32 vcc_lo, v15, v7
	v_cndmask_b32_e64 v16, 0, 1, vcc_lo
	v_cmp_lt_u32_e32 vcc_lo, v15, v7
	v_cndmask_b32_e64 v15, 0, 1, vcc_lo
	v_cmp_eq_u16_e32 vcc_lo, v14, v6
	s_delay_alu instid0(VALU_DEP_2) | instskip(NEXT) | instid1(VALU_DEP_1)
	v_cndmask_b32_e64 v15, v15, v16, s1
	v_and_b32_e32 v17, 1, v15
	v_cndmask_b32_e64 v15, 0, 1, vcc_lo
.LBB22_23:                              ;   in Loop: Header=BB22_21 Depth=1
	s_or_b32 exec_lo, exec_lo, s16
	ds_store_b32 v2, v17
	s_waitcnt lgkmcnt(0)
	s_waitcnt_vscnt null, 0x0
	s_barrier
	buffer_gl0_inv
	s_and_saveexec_b32 s16, s0
	s_cbranch_execz .LBB22_25
; %bb.24:                               ;   in Loop: Header=BB22_21 Depth=1
	ds_load_2addr_b32 v[18:19], v8 offset1:1
	ds_load_2addr_b32 v[20:21], v8 offset0:2 offset1:3
	ds_load_2addr_b32 v[22:23], v8 offset0:4 offset1:5
	;; [unrolled: 1-line block ×3, first 2 shown]
	v_cmp_ne_u32_e32 vcc_lo, 0, v11
	; wave barrier
	s_waitcnt lgkmcnt(3)
	v_add_nc_u32_e32 v16, v19, v18
	s_waitcnt lgkmcnt(2)
	s_delay_alu instid0(VALU_DEP_1) | instskip(SKIP_1) | instid1(VALU_DEP_1)
	v_add3_u32 v16, v16, v20, v21
	s_waitcnt lgkmcnt(1)
	v_add3_u32 v16, v16, v22, v23
	s_waitcnt lgkmcnt(0)
	s_delay_alu instid0(VALU_DEP_1) | instskip(NEXT) | instid1(VALU_DEP_1)
	v_add3_u32 v16, v16, v24, v25
	v_mov_b32_dpp v19, v16 row_shr:1 row_mask:0xf bank_mask:0xf
	s_delay_alu instid0(VALU_DEP_1) | instskip(SKIP_1) | instid1(VALU_DEP_2)
	v_cndmask_b32_e32 v19, 0, v19, vcc_lo
	v_cmp_lt_u32_e32 vcc_lo, 1, v11
	v_add_nc_u32_e32 v16, v19, v16
	s_delay_alu instid0(VALU_DEP_1) | instskip(NEXT) | instid1(VALU_DEP_1)
	v_mov_b32_dpp v19, v16 row_shr:2 row_mask:0xf bank_mask:0xf
	v_cndmask_b32_e32 v19, 0, v19, vcc_lo
	v_cmp_lt_u32_e32 vcc_lo, 3, v11
	s_delay_alu instid0(VALU_DEP_2) | instskip(NEXT) | instid1(VALU_DEP_1)
	v_add_nc_u32_e32 v16, v16, v19
	v_mov_b32_dpp v19, v16 row_shr:4 row_mask:0xf bank_mask:0xf
	s_delay_alu instid0(VALU_DEP_1) | instskip(SKIP_1) | instid1(VALU_DEP_2)
	v_cndmask_b32_e32 v19, 0, v19, vcc_lo
	v_cmp_lt_u32_e32 vcc_lo, 7, v11
	v_add_nc_u32_e32 v16, v16, v19
	s_delay_alu instid0(VALU_DEP_1) | instskip(NEXT) | instid1(VALU_DEP_1)
	v_mov_b32_dpp v19, v16 row_shr:8 row_mask:0xf bank_mask:0xf
	v_cndmask_b32_e32 v19, 0, v19, vcc_lo
	v_cmp_gt_i32_e32 vcc_lo, 0, v13
	v_cndmask_b32_e32 v20, v13, v0, vcc_lo
	s_delay_alu instid0(VALU_DEP_1) | instskip(NEXT) | instid1(VALU_DEP_4)
	v_lshlrev_b32_e32 v20, 2, v20
	v_add_nc_u32_e32 v16, v16, v19
	ds_swizzle_b32 v19, v16 offset:swizzle(BROADCAST,32,15)
	s_waitcnt lgkmcnt(0)
	v_and_b32_e32 v19, v12, v19
	s_delay_alu instid0(VALU_DEP_1) | instskip(SKIP_3) | instid1(VALU_DEP_1)
	v_add_nc_u32_e32 v16, v16, v19
	ds_bpermute_b32 v16, v20, v16
	s_waitcnt lgkmcnt(0)
	v_add_nc_u32_e32 v16, v16, v18
	v_cndmask_b32_e64 v16, v16, v17, s3
	ds_store_b32 v8, v16
	; wave barrier
	ds_load_2addr_b32 v[18:19], v8 offset0:1 offset1:2
	ds_load_2addr_b32 v[20:21], v8 offset0:3 offset1:4
	;; [unrolled: 1-line block ×3, first 2 shown]
	ds_load_b32 v24, v8 offset:28
	s_waitcnt lgkmcnt(3)
	v_add_nc_u32_e32 v16, v18, v16
	s_delay_alu instid0(VALU_DEP_1) | instskip(SKIP_1) | instid1(VALU_DEP_1)
	v_add_nc_u32_e32 v18, v19, v16
	s_waitcnt lgkmcnt(2)
	v_add_nc_u32_e32 v19, v20, v18
	s_delay_alu instid0(VALU_DEP_1) | instskip(SKIP_1) | instid1(VALU_DEP_1)
	v_add_nc_u32_e32 v20, v21, v19
	;; [unrolled: 4-line block ×3, first 2 shown]
	s_waitcnt lgkmcnt(0)
	v_add_nc_u32_e32 v23, v24, v22
	ds_store_2addr_b32 v8, v16, v18 offset0:1 offset1:2
	ds_store_2addr_b32 v8, v19, v20 offset0:3 offset1:4
	;; [unrolled: 1-line block ×3, first 2 shown]
	ds_store_b32 v8, v23 offset:28
.LBB22_25:                              ;   in Loop: Header=BB22_21 Depth=1
	s_or_b32 exec_lo, exec_lo, s16
	v_mov_b32_e32 v18, 0
	s_waitcnt lgkmcnt(0)
	s_barrier
	buffer_gl0_inv
	s_and_saveexec_b32 s16, s2
	s_cbranch_execz .LBB22_27
; %bb.26:                               ;   in Loop: Header=BB22_21 Depth=1
	ds_load_b32 v18, v9
.LBB22_27:                              ;   in Loop: Header=BB22_21 Depth=1
	s_or_b32 exec_lo, exec_lo, s16
	ds_load_b32 v16, v5 offset:1048
	s_mov_b32 s16, exec_lo
	s_waitcnt lgkmcnt(0)
	s_barrier
	buffer_gl0_inv
	v_cmpx_ne_u32_e32 0, v17
	s_cbranch_execz .LBB22_29
; %bb.28:                               ;   in Loop: Header=BB22_21 Depth=1
	v_dual_mov_b32 v18, v5 :: v_dual_add_nc_u32 v19, v18, v3
	s_delay_alu instid0(VALU_DEP_1) | instskip(SKIP_1) | instid1(VALU_DEP_2)
	v_mul_lo_u32 v17, v19, s4
	v_mul_lo_u32 v19, v19, s10
	v_lshlrev_b64 v[17:18], 3, v[17:18]
	s_delay_alu instid0(VALU_DEP_1) | instskip(NEXT) | instid1(VALU_DEP_2)
	v_add_co_u32 v17, vcc_lo, s11, v17
	v_add_co_ci_u32_e32 v18, vcc_lo, s14, v18, vcc_lo
	global_store_b8 v19, v14, s[12:13]
	global_store_b64 v[17:18], v[4:5], off
.LBB22_29:                              ;   in Loop: Header=BB22_21 Depth=1
	s_or_b32 exec_lo, exec_lo, s16
	v_cmp_le_u32_e32 vcc_lo, s9, v1
	s_cbranch_vccnz .LBB22_20
; %bb.30:                               ;   in Loop: Header=BB22_21 Depth=1
	ds_store_b32 v2, v15
	s_waitcnt lgkmcnt(0)
	s_waitcnt_vscnt null, 0x0
	s_barrier
	buffer_gl0_inv
	s_and_saveexec_b32 s16, s0
	s_cbranch_execz .LBB22_32
; %bb.31:                               ;   in Loop: Header=BB22_21 Depth=1
	ds_load_2addr_b32 v[17:18], v8 offset1:1
	ds_load_2addr_b32 v[19:20], v8 offset0:2 offset1:3
	ds_load_2addr_b32 v[21:22], v8 offset0:4 offset1:5
	;; [unrolled: 1-line block ×3, first 2 shown]
	v_cmp_ne_u32_e32 vcc_lo, 0, v11
	; wave barrier
	s_waitcnt lgkmcnt(3)
	v_add_nc_u32_e32 v18, v18, v17
	s_waitcnt lgkmcnt(2)
	s_delay_alu instid0(VALU_DEP_1) | instskip(SKIP_1) | instid1(VALU_DEP_1)
	v_add3_u32 v18, v18, v19, v20
	s_waitcnt lgkmcnt(1)
	v_add3_u32 v18, v18, v21, v22
	s_waitcnt lgkmcnt(0)
	s_delay_alu instid0(VALU_DEP_1) | instskip(NEXT) | instid1(VALU_DEP_1)
	v_add3_u32 v18, v18, v23, v24
	v_mov_b32_dpp v19, v18 row_shr:1 row_mask:0xf bank_mask:0xf
	s_delay_alu instid0(VALU_DEP_1) | instskip(SKIP_1) | instid1(VALU_DEP_2)
	v_cndmask_b32_e32 v19, 0, v19, vcc_lo
	v_cmp_lt_u32_e32 vcc_lo, 1, v11
	v_add_nc_u32_e32 v18, v19, v18
	s_delay_alu instid0(VALU_DEP_1) | instskip(NEXT) | instid1(VALU_DEP_1)
	v_mov_b32_dpp v19, v18 row_shr:2 row_mask:0xf bank_mask:0xf
	v_cndmask_b32_e32 v19, 0, v19, vcc_lo
	v_cmp_lt_u32_e32 vcc_lo, 3, v11
	s_delay_alu instid0(VALU_DEP_2) | instskip(NEXT) | instid1(VALU_DEP_1)
	v_add_nc_u32_e32 v18, v18, v19
	v_mov_b32_dpp v19, v18 row_shr:4 row_mask:0xf bank_mask:0xf
	s_delay_alu instid0(VALU_DEP_1) | instskip(SKIP_1) | instid1(VALU_DEP_2)
	v_cndmask_b32_e32 v19, 0, v19, vcc_lo
	v_cmp_lt_u32_e32 vcc_lo, 7, v11
	v_add_nc_u32_e32 v18, v18, v19
	s_delay_alu instid0(VALU_DEP_1) | instskip(NEXT) | instid1(VALU_DEP_1)
	v_mov_b32_dpp v19, v18 row_shr:8 row_mask:0xf bank_mask:0xf
	v_cndmask_b32_e32 v19, 0, v19, vcc_lo
	v_cmp_gt_i32_e32 vcc_lo, 0, v13
	v_cndmask_b32_e32 v20, v13, v0, vcc_lo
	s_delay_alu instid0(VALU_DEP_1) | instskip(NEXT) | instid1(VALU_DEP_4)
	v_lshlrev_b32_e32 v20, 2, v20
	v_add_nc_u32_e32 v18, v18, v19
	ds_swizzle_b32 v19, v18 offset:swizzle(BROADCAST,32,15)
	s_waitcnt lgkmcnt(0)
	v_and_b32_e32 v19, v12, v19
	s_delay_alu instid0(VALU_DEP_1) | instskip(SKIP_3) | instid1(VALU_DEP_1)
	v_add_nc_u32_e32 v18, v18, v19
	ds_bpermute_b32 v18, v20, v18
	s_waitcnt lgkmcnt(0)
	v_add_nc_u32_e32 v17, v18, v17
	v_cndmask_b32_e64 v23, v17, v15, s3
	ds_store_b32 v8, v23
	; wave barrier
	ds_load_2addr_b32 v[17:18], v8 offset0:1 offset1:2
	ds_load_2addr_b32 v[19:20], v8 offset0:3 offset1:4
	;; [unrolled: 1-line block ×3, first 2 shown]
	ds_load_b32 v24, v8 offset:28
	s_waitcnt lgkmcnt(3)
	v_add_nc_u32_e32 v17, v17, v23
	s_delay_alu instid0(VALU_DEP_1) | instskip(SKIP_1) | instid1(VALU_DEP_1)
	v_add_nc_u32_e32 v18, v18, v17
	s_waitcnt lgkmcnt(2)
	v_add_nc_u32_e32 v19, v19, v18
	s_delay_alu instid0(VALU_DEP_1) | instskip(SKIP_1) | instid1(VALU_DEP_1)
	v_add_nc_u32_e32 v20, v20, v19
	;; [unrolled: 4-line block ×3, first 2 shown]
	s_waitcnt lgkmcnt(0)
	v_add_nc_u32_e32 v23, v24, v22
	ds_store_2addr_b32 v8, v17, v18 offset0:1 offset1:2
	ds_store_2addr_b32 v8, v19, v20 offset0:3 offset1:4
	;; [unrolled: 1-line block ×3, first 2 shown]
	ds_store_b32 v8, v23 offset:28
.LBB22_32:                              ;   in Loop: Header=BB22_21 Depth=1
	s_or_b32 exec_lo, exec_lo, s16
	v_mov_b32_e32 v18, 0
	s_waitcnt lgkmcnt(0)
	s_barrier
	buffer_gl0_inv
	s_and_saveexec_b32 s16, s2
	s_cbranch_execz .LBB22_34
; %bb.33:                               ;   in Loop: Header=BB22_21 Depth=1
	ds_load_b32 v18, v9
.LBB22_34:                              ;   in Loop: Header=BB22_21 Depth=1
	s_or_b32 exec_lo, exec_lo, s16
	ds_load_b32 v17, v5 offset:1048
	s_mov_b32 s16, exec_lo
	s_waitcnt lgkmcnt(0)
	s_barrier
	buffer_gl0_inv
	v_cmpx_ne_u32_e32 0, v15
	s_cbranch_execz .LBB22_19
; %bb.35:                               ;   in Loop: Header=BB22_21 Depth=1
	v_add_nc_u32_e32 v15, v18, v1
	s_delay_alu instid0(VALU_DEP_1)
	v_cmp_gt_u32_e32 vcc_lo, s9, v15
	s_and_b32 exec_lo, exec_lo, vcc_lo
	s_cbranch_execz .LBB22_19
; %bb.36:                               ;   in Loop: Header=BB22_21 Depth=1
	v_mul_lo_u32 v18, v15, s4
	v_mov_b32_e32 v19, v5
	v_mul_lo_u32 v15, v15, s10
	s_delay_alu instid0(VALU_DEP_2) | instskip(NEXT) | instid1(VALU_DEP_1)
	v_lshlrev_b64 v[18:19], 3, v[18:19]
	v_add_co_u32 v18, vcc_lo, s11, v18
	s_delay_alu instid0(VALU_DEP_2)
	v_add_co_ci_u32_e32 v19, vcc_lo, s14, v19, vcc_lo
	global_store_b8 v15, v14, s[12:13]
	global_store_b64 v[18:19], v[4:5], off
	s_branch .LBB22_19
	.p2align	6
.LBB22_37:                              ;   in Loop: Header=BB22_38 Depth=1
	s_add_u32 s24, s24, 4
	s_addc_u32 s25, s25, 0
	s_waitcnt lgkmcnt(0)
	s_add_i32 s52, s11, s52
	s_add_u32 s26, s26, 4
	s_addc_u32 s27, s27, 0
	s_add_i32 s10, s10, 1
	s_delay_alu instid0(SALU_CYCLE_1)
	s_cmp_lt_u32 s10, s6
	s_cbranch_scc0 .LBB22_16
.LBB22_38:                              ; =>This Inner Loop Header: Depth=1
	s_load_b32 s11, s[24:25], 0x0
	s_cmp_ge_u32 s10, s15
	s_cbranch_scc1 .LBB22_37
; %bb.39:                               ;   in Loop: Header=BB22_38 Depth=1
	s_load_b32 s42, s[26:27], 0x0
	s_waitcnt lgkmcnt(0)
	s_add_i32 s9, s11, s9
	s_add_i32 s8, s42, s8
	s_branch .LBB22_37
.LBB22_40:
	s_nop 0
	s_sendmsg sendmsg(MSG_DEALLOC_VGPRS)
	s_endpgm
	.section	.rodata,"a",@progbits
	.p2align	6, 0x0
	.amdhsa_kernel _ZN2at6native6mbtopk10gatherTopKIajLi3EEEvNS_4cuda6detail10TensorInfoIKT_T0_EES8_S8_bjS8_NS5_IS6_S8_EES8_NS5_IlS8_EES8_jjPS6_PjSD_j
		.amdhsa_group_segment_fixed_size 1068
		.amdhsa_private_segment_fixed_size 0
		.amdhsa_kernarg_size 984
		.amdhsa_user_sgpr_count 13
		.amdhsa_user_sgpr_dispatch_ptr 0
		.amdhsa_user_sgpr_queue_ptr 0
		.amdhsa_user_sgpr_kernarg_segment_ptr 1
		.amdhsa_user_sgpr_dispatch_id 0
		.amdhsa_user_sgpr_private_segment_size 0
		.amdhsa_wavefront_size32 1
		.amdhsa_uses_dynamic_stack 0
		.amdhsa_enable_private_segment 0
		.amdhsa_system_sgpr_workgroup_id_x 1
		.amdhsa_system_sgpr_workgroup_id_y 1
		.amdhsa_system_sgpr_workgroup_id_z 1
		.amdhsa_system_sgpr_workgroup_info 0
		.amdhsa_system_vgpr_workitem_id 0
		.amdhsa_next_free_vgpr 26
		.amdhsa_next_free_sgpr 56
		.amdhsa_reserve_vcc 1
		.amdhsa_float_round_mode_32 0
		.amdhsa_float_round_mode_16_64 0
		.amdhsa_float_denorm_mode_32 3
		.amdhsa_float_denorm_mode_16_64 3
		.amdhsa_dx10_clamp 1
		.amdhsa_ieee_mode 1
		.amdhsa_fp16_overflow 0
		.amdhsa_workgroup_processor_mode 1
		.amdhsa_memory_ordered 1
		.amdhsa_forward_progress 0
		.amdhsa_shared_vgpr_count 0
		.amdhsa_exception_fp_ieee_invalid_op 0
		.amdhsa_exception_fp_denorm_src 0
		.amdhsa_exception_fp_ieee_div_zero 0
		.amdhsa_exception_fp_ieee_overflow 0
		.amdhsa_exception_fp_ieee_underflow 0
		.amdhsa_exception_fp_ieee_inexact 0
		.amdhsa_exception_int_div_zero 0
	.end_amdhsa_kernel
	.section	.text._ZN2at6native6mbtopk10gatherTopKIajLi3EEEvNS_4cuda6detail10TensorInfoIKT_T0_EES8_S8_bjS8_NS5_IS6_S8_EES8_NS5_IlS8_EES8_jjPS6_PjSD_j,"axG",@progbits,_ZN2at6native6mbtopk10gatherTopKIajLi3EEEvNS_4cuda6detail10TensorInfoIKT_T0_EES8_S8_bjS8_NS5_IS6_S8_EES8_NS5_IlS8_EES8_jjPS6_PjSD_j,comdat
.Lfunc_end22:
	.size	_ZN2at6native6mbtopk10gatherTopKIajLi3EEEvNS_4cuda6detail10TensorInfoIKT_T0_EES8_S8_bjS8_NS5_IS6_S8_EES8_NS5_IlS8_EES8_jjPS6_PjSD_j, .Lfunc_end22-_ZN2at6native6mbtopk10gatherTopKIajLi3EEEvNS_4cuda6detail10TensorInfoIKT_T0_EES8_S8_bjS8_NS5_IS6_S8_EES8_NS5_IlS8_EES8_jjPS6_PjSD_j
                                        ; -- End function
	.section	.AMDGPU.csdata,"",@progbits
; Kernel info:
; codeLenInByte = 3056
; NumSgprs: 58
; NumVgprs: 26
; ScratchSize: 0
; MemoryBound: 0
; FloatMode: 240
; IeeeMode: 1
; LDSByteSize: 1068 bytes/workgroup (compile time only)
; SGPRBlocks: 7
; VGPRBlocks: 3
; NumSGPRsForWavesPerEU: 58
; NumVGPRsForWavesPerEU: 26
; Occupancy: 16
; WaveLimiterHint : 1
; COMPUTE_PGM_RSRC2:SCRATCH_EN: 0
; COMPUTE_PGM_RSRC2:USER_SGPR: 13
; COMPUTE_PGM_RSRC2:TRAP_HANDLER: 0
; COMPUTE_PGM_RSRC2:TGID_X_EN: 1
; COMPUTE_PGM_RSRC2:TGID_Y_EN: 1
; COMPUTE_PGM_RSRC2:TGID_Z_EN: 1
; COMPUTE_PGM_RSRC2:TIDIG_COMP_CNT: 0
	.section	.text._ZN2at6native6sbtopk10gatherTopKIajLi3ELb0EEEvNS_4cuda6detail10TensorInfoIKT_T0_EES8_S8_bS8_S8_NS5_IS6_S8_EES8_NS5_IlS8_EES8_PS6_,"axG",@progbits,_ZN2at6native6sbtopk10gatherTopKIajLi3ELb0EEEvNS_4cuda6detail10TensorInfoIKT_T0_EES8_S8_bS8_S8_NS5_IS6_S8_EES8_NS5_IlS8_EES8_PS6_,comdat
	.protected	_ZN2at6native6sbtopk10gatherTopKIajLi3ELb0EEEvNS_4cuda6detail10TensorInfoIKT_T0_EES8_S8_bS8_S8_NS5_IS6_S8_EES8_NS5_IlS8_EES8_PS6_ ; -- Begin function _ZN2at6native6sbtopk10gatherTopKIajLi3ELb0EEEvNS_4cuda6detail10TensorInfoIKT_T0_EES8_S8_bS8_S8_NS5_IS6_S8_EES8_NS5_IlS8_EES8_PS6_
	.globl	_ZN2at6native6sbtopk10gatherTopKIajLi3ELb0EEEvNS_4cuda6detail10TensorInfoIKT_T0_EES8_S8_bS8_S8_NS5_IS6_S8_EES8_NS5_IlS8_EES8_PS6_
	.p2align	8
	.type	_ZN2at6native6sbtopk10gatherTopKIajLi3ELb0EEEvNS_4cuda6detail10TensorInfoIKT_T0_EES8_S8_bS8_S8_NS5_IS6_S8_EES8_NS5_IlS8_EES8_PS6_,@function
_ZN2at6native6sbtopk10gatherTopKIajLi3ELb0EEEvNS_4cuda6detail10TensorInfoIKT_T0_EES8_S8_bS8_S8_NS5_IS6_S8_EES8_NS5_IlS8_EES8_PS6_: ; @_ZN2at6native6sbtopk10gatherTopKIajLi3ELb0EEEvNS_4cuda6detail10TensorInfoIKT_T0_EES8_S8_bS8_S8_NS5_IS6_S8_EES8_NS5_IlS8_EES8_PS6_
; %bb.0:
	s_clause 0x1
	s_load_b64 s[4:5], s[0:1], 0x2b8
	s_load_b128 s[36:39], s[0:1], 0xd8
	s_add_u32 s6, s0, 0x2b8
	s_addc_u32 s7, s1, 0
	s_waitcnt lgkmcnt(0)
	s_mul_i32 s2, s5, s15
	s_delay_alu instid0(SALU_CYCLE_1) | instskip(NEXT) | instid1(SALU_CYCLE_1)
	s_add_i32 s2, s2, s14
	s_mul_i32 s55, s2, s4
	s_delay_alu instid0(SALU_CYCLE_1) | instskip(NEXT) | instid1(SALU_CYCLE_1)
	s_add_i32 s55, s55, s13
	s_cmp_ge_u32 s55, s39
	s_cbranch_scc1 .LBB23_463
; %bb.1:
	s_clause 0x9
	s_load_b64 s[14:15], s[0:1], 0xc
	s_load_b64 s[52:53], s[0:1], 0xfc
	;; [unrolled: 1-line block ×4, first 2 shown]
	s_load_b128 s[40:43], s[0:1], 0x23c
	s_load_b64 s[34:35], s[0:1], 0x1d0
	s_load_b128 s[44:47], s[0:1], 0x15c
	s_load_b64 s[48:49], s[0:1], 0xf0
	s_load_b32 s54, s[0:1], 0xe8
	s_load_b128 s[8:11], s[0:1], 0x6c
	s_mov_b32 s59, 0
	s_waitcnt lgkmcnt(0)
	v_cvt_f32_u32_e32 v1, s15
	v_cvt_f32_u32_e32 v2, s14
	;; [unrolled: 1-line block ×4, first 2 shown]
	s_sub_i32 s11, 0, s15
	v_rcp_iflag_f32_e32 v1, v1
	v_rcp_iflag_f32_e32 v2, v2
	v_rcp_iflag_f32_e32 v3, v3
	v_rcp_iflag_f32_e32 v4, v4
	v_cvt_f32_u32_e32 v5, s51
	v_cvt_f32_u32_e32 v6, s50
	s_delay_alu instid0(VALU_DEP_2)
	v_rcp_iflag_f32_e32 v5, v5
	v_dual_mul_f32 v1, 0x4f7ffffe, v1 :: v_dual_mul_f32 v2, 0x4f7ffffe, v2
	s_waitcnt_depctr 0xfff
	v_dual_mul_f32 v3, 0x4f7ffffe, v3 :: v_dual_mul_f32 v4, 0x4f7ffffe, v4
	v_cvt_u32_f32_e32 v1, v1
	v_cvt_u32_f32_e32 v2, v2
	s_delay_alu instid0(VALU_DEP_3) | instskip(SKIP_1) | instid1(VALU_DEP_4)
	v_cvt_u32_f32_e32 v3, v3
	v_mul_f32_e32 v5, 0x4f7ffffe, v5
	v_readfirstlane_b32 s5, v1
	v_rcp_iflag_f32_e32 v1, v6
	s_delay_alu instid0(VALU_DEP_3) | instskip(SKIP_1) | instid1(VALU_DEP_3)
	v_readfirstlane_b32 s17, v3
	v_cvt_u32_f32_e32 v3, v4
	s_mul_i32 s11, s11, s5
	s_delay_alu instid0(SALU_CYCLE_1) | instskip(NEXT) | instid1(SALU_CYCLE_1)
	s_mul_hi_u32 s11, s5, s11
	s_add_i32 s5, s5, s11
	s_waitcnt_depctr 0xfff
	v_mul_f32_e32 v1, 0x4f7ffffe, v1
	s_mul_hi_u32 s5, s55, s5
	s_delay_alu instid0(SALU_CYCLE_1)
	s_mul_i32 s11, s5, s15
	s_add_i32 s12, s5, 1
	s_sub_i32 s11, s55, s11
	v_cvt_u32_f32_e32 v1, v1
	s_sub_i32 s16, s11, s15
	s_cmp_ge_u32 s11, s15
	s_cselect_b32 s5, s12, s5
	s_cselect_b32 s11, s16, s11
	s_add_i32 s12, s5, 1
	s_cmp_ge_u32 s11, s15
	v_readfirstlane_b32 s20, v1
	s_cselect_b32 s11, s12, s5
	s_sub_i32 s5, 0, s53
	v_readfirstlane_b32 s12, v2
	s_mul_i32 s5, s5, s17
	s_sub_i32 s16, 0, s14
	s_mul_hi_u32 s5, s17, s5
	v_cvt_u32_f32_e32 v2, v5
	s_add_i32 s17, s17, s5
	s_mul_i32 s16, s16, s12
	s_mul_hi_u32 s5, s55, s17
	s_mul_hi_u32 s16, s12, s16
	s_mul_i32 s17, s5, s53
	s_add_i32 s12, s12, s16
	s_sub_i32 s16, s55, s17
	s_add_i32 s17, s5, 1
	s_sub_i32 s18, s16, s53
	s_cmp_ge_u32 s16, s53
	v_readfirstlane_b32 s19, v2
	s_cselect_b32 s5, s17, s5
	s_cselect_b32 s16, s18, s16
	s_add_i32 s17, s5, 1
	s_cmp_ge_u32 s16, s53
	v_readfirstlane_b32 s16, v3
	s_cselect_b32 s47, s17, s5
	s_sub_i32 s5, 0, s51
	s_sub_i32 s17, 0, s52
	s_mul_i32 s5, s5, s19
	s_mul_i32 s17, s17, s16
	s_mul_hi_u32 s5, s19, s5
	s_mul_hi_u32 s17, s16, s17
	s_add_i32 s19, s19, s5
	s_add_i32 s16, s16, s17
	s_mul_hi_u32 s5, s55, s19
	s_mul_hi_u32 s12, s11, s12
	s_mul_i32 s18, s5, s51
	s_mul_hi_u32 s58, s47, s16
	s_sub_i32 s17, s55, s18
	s_add_i32 s18, s5, 1
	s_sub_i32 s19, s17, s51
	s_cmp_ge_u32 s17, s51
	s_cselect_b32 s5, s18, s5
	s_cselect_b32 s17, s19, s17
	s_add_i32 s18, s5, 1
	s_cmp_ge_u32 s17, s51
	s_cselect_b32 s56, s18, s5
	s_sub_i32 s5, 0, s50
	s_delay_alu instid0(SALU_CYCLE_1) | instskip(NEXT) | instid1(SALU_CYCLE_1)
	s_mul_i32 s5, s5, s20
	s_mul_hi_u32 s17, s20, s5
	v_cmp_eq_u32_e64 s5, 0, v0
	s_add_i32 s20, s20, s17
	s_delay_alu instid0(SALU_CYCLE_1) | instskip(NEXT) | instid1(VALU_DEP_1)
	s_mul_hi_u32 s57, s56, s20
	s_and_saveexec_b32 s16, s5
	s_cbranch_execz .LBB23_3
; %bb.2:
	v_dual_mov_b32 v1, 0 :: v_dual_mov_b32 v2, s36
	s_delay_alu instid0(VALU_DEP_1)
	v_mov_b32_e32 v3, v1
	ds_store_b96 v1, v[1:3] offset:4096
.LBB23_3:
	s_or_b32 exec_lo, exec_lo, s16
	s_mul_i32 s16, s12, s14
	s_mul_i32 s15, s11, s15
	s_sub_i32 s16, s11, s16
	s_sub_i32 s15, s55, s15
	s_add_i32 s17, s12, 1
	s_sub_i32 s18, s16, s14
	s_cmp_ge_u32 s16, s14
	s_waitcnt lgkmcnt(0)
	s_cselect_b32 s12, s17, s12
	s_cselect_b32 s16, s18, s16
	s_add_i32 s17, s12, 1
	s_cmp_ge_u32 s16, s14
	s_barrier
	buffer_gl0_inv
	s_load_b32 s16, s[6:7], 0xc
	s_cselect_b32 s12, s17, s12
	s_mul_i32 s15, s15, s10
	s_mul_i32 s14, s12, s14
	;; [unrolled: 1-line block ×3, first 2 shown]
	s_sub_i32 s11, s11, s14
	v_mbcnt_lo_u32_b32 v12, -1, 0
	s_mul_i32 s9, s11, s9
	v_cmp_gt_u32_e32 vcc_lo, 32, v0
	s_add_i32 s8, s9, s15
	v_mul_lo_u32 v14, v0, s54
	s_add_i32 s8, s8, s12
	v_dual_mov_b32 v26, s37 :: v_dual_lshlrev_b32 v13, 2, v0
	s_add_u32 s30, s2, s8
	s_addc_u32 s31, s3, 0
	s_bitcmp1_b32 s38, 0
	v_cmp_gt_i32_e64 s2, 4, v12
	s_cselect_b32 s3, -1, 0
	v_or_b32_e32 v3, 3, v13
	s_waitcnt lgkmcnt(0)
	s_and_b32 s33, s16, 0xffff
	s_xor_b32 s60, s3, -1
	s_lshl_b32 s61, s33, 2
	s_bfe_u32 s8, s16, 0xb0005
	v_cvt_f32_u32_e32 v1, s61
	s_and_b32 s62, vcc_lo, s2
	s_cmpk_gt_u32 s36, 0xc00
	v_cvt_f32_u32_e32 v2, s33
	s_cselect_b32 s63, -1, 0
	v_rcp_iflag_f32_e32 v1, v1
	s_cmp_gt_u32 s33, 31
	v_mad_u64_u32 v[9:10], null, s54, v13, s[54:55]
	s_cselect_b32 s64, -1, 0
	s_add_i32 s65, s33, -1
	v_mov_b32_e32 v22, 0
	s_add_i32 s9, s65, s36
	s_cmp_lt_u32 s13, s4
	v_mul_lo_u32 v18, s54, v3
	s_waitcnt_depctr 0xfff
	v_mul_f32_e32 v1, 0x4f7ffffe, v1
	s_cselect_b32 s2, 12, 18
	v_lshlrev_b32_e32 v19, 2, v14
	s_add_u32 s38, s6, s2
	s_addc_u32 s39, s7, 0
	v_cvt_u32_f32_e32 v1, v1
	s_add_i32 s2, s8, -1
	s_bfe_u32 s66, s33, 0x30005
	s_cmp_gt_u32 s2, 6
	v_lshl_or_b32 v21, v12, 2, 0xc00
	s_cselect_b32 s67, -1, 0
	s_and_b32 s68, s8, 0x7f8
	v_readfirstlane_b32 s2, v1
	s_cmp_lg_u32 s66, 0
	v_rcp_iflag_f32_e32 v1, v2
	s_cselect_b32 s69, -1, 0
	s_sub_i32 s4, 0, s61
	v_mov_b32_e32 v24, 0
	s_mul_i32 s4, s4, s2
	v_lshrrev_b32_e32 v2, 3, v0
	s_mul_hi_u32 s4, s2, s4
	v_mov_b32_e32 v15, 0
	s_add_i32 s70, s2, s4
	s_delay_alu instid0(VALU_DEP_2)
	v_dual_mov_b32 v25, 0 :: v_dual_and_b32 v16, 0x7c, v2
	s_mul_hi_u32 s2, s36, s70
	s_waitcnt_depctr 0xfff
	v_mul_f32_e32 v1, 0x4f7ffffe, v1
	s_mul_i32 s2, s2, s61
	v_mov_b32_e32 v23, 0
	s_sub_i32 s2, s36, s2
	s_mul_i32 s43, s54, s33
	s_sub_i32 s4, s2, s61
	v_cvt_u32_f32_e32 v1, v1
	s_cmp_ge_u32 s2, s61
	s_mov_b32 s80, 6
	s_cselect_b32 s4, s4, s2
	v_cmp_eq_u32_e64 s2, 0, v12
	s_sub_i32 s6, s4, s61
	v_readfirstlane_b32 s7, v1
	s_cmp_ge_u32 s4, s61
	v_lshlrev_b64 v[1:2], v12, -1
	s_cselect_b32 s10, s6, s4
	s_sub_i32 s4, 0, s33
	v_add_co_u32 v5, s6, s30, v14
	s_delay_alu instid0(VALU_DEP_1)
	v_add_co_ci_u32_e64 v6, null, s31, 0, s6
	s_mul_i32 s6, s4, s7
	s_sub_i32 s72, s36, s10
	s_mul_hi_u32 s6, s7, s6
	v_add_nc_u32_e32 v17, s72, v0
	s_add_i32 s71, s7, s6
	v_not_b32_e32 v11, v1
	s_mul_hi_u32 s7, s9, s71
	v_or_b32_e32 v2, 2, v13
	s_mul_i32 s7, s7, s33
	v_mul_lo_u32 v1, v17, s54
	s_sub_i32 s7, s9, s7
	v_cmp_gt_u32_e64 s4, s36, v0
	s_sub_i32 s8, s7, s33
	s_cmp_ge_u32 s7, s33
	v_mul_lo_u32 v10, s54, v2
	s_cselect_b32 s8, s8, s7
	v_cmp_gt_u32_e64 s6, 2, v0
	s_sub_i32 s11, s8, s33
	s_cmp_ge_u32 s8, s33
	v_cmp_gt_u32_e64 s7, s72, v13
	s_cselect_b32 s11, s11, s8
	v_cmp_gt_u32_e64 s8, s36, v17
	s_sub_i32 s73, s9, s11
	v_add_co_u32 v7, s9, s30, v1
	v_add3_u32 v1, s33, s36, v0
	v_add_co_ci_u32_e64 v8, null, s31, 0, s9
	v_cmp_gt_u32_e64 s9, s73, v0
	s_lshl_b32 s75, s43, 2
	s_delay_alu instid0(VALU_DEP_3) | instskip(SKIP_1) | instid1(VALU_DEP_1)
	v_subrev_nc_u32_e32 v1, s10, v1
	s_mov_b32 s76, 0
                                        ; implicit-def: $sgpr74
                                        ; implicit-def: $sgpr79
                                        ; implicit-def: $sgpr78
                                        ; implicit-def: $sgpr81
                                        ; implicit-def: $sgpr77
                                        ; implicit-def: $sgpr82
                                        ; implicit-def: $sgpr84
                                        ; implicit-def: $sgpr83
                                        ; implicit-def: $sgpr85
                                        ; implicit-def: $sgpr86
	v_mul_lo_u32 v20, s54, v1
	s_branch .LBB23_6
.LBB23_4:                               ;   in Loop: Header=BB23_6 Depth=1
	s_or_b32 exec_lo, exec_lo, s13
	v_dual_mov_b32 v23, v2 :: v_dual_mov_b32 v24, v1
	v_dual_mov_b32 v26, v4 :: v_dual_mov_b32 v25, v3
	s_and_not1_b32 s13, s86, exec_lo
	s_and_b32 s12, s12, exec_lo
	s_and_not1_b32 s85, s85, exec_lo
	s_or_b32 s86, s13, s12
	s_and_not1_b32 s83, s83, exec_lo
	s_and_not1_b32 s84, s84, exec_lo
	;; [unrolled: 1-line block ×3, first 2 shown]
	s_or_not1_b32 s12, s11, exec_lo
.LBB23_5:                               ;   in Loop: Header=BB23_6 Depth=1
	s_or_b32 exec_lo, exec_lo, s10
	s_delay_alu instid0(SALU_CYCLE_1) | instskip(NEXT) | instid1(SALU_CYCLE_1)
	s_and_b32 s10, exec_lo, s12
	s_or_b32 s59, s10, s59
	s_and_not1_b32 s10, s77, exec_lo
	s_and_b32 s11, s86, exec_lo
	s_and_not1_b32 s12, s81, exec_lo
	s_or_b32 s77, s10, s11
	s_and_b32 s10, s85, exec_lo
	s_and_not1_b32 s11, s78, exec_lo
	s_and_b32 s13, s83, exec_lo
	s_or_b32 s81, s12, s10
	s_or_b32 s78, s11, s13
	s_and_not1_b32 s10, s79, exec_lo
	s_and_b32 s11, s84, exec_lo
	s_and_not1_b32 s12, s74, exec_lo
	s_and_b32 s13, s82, exec_lo
	s_or_b32 s79, s10, s11
	s_or_b32 s74, s12, s13
	s_and_not1_b32 exec_lo, exec_lo, s59
	s_cbranch_execz .LBB23_403
.LBB23_6:                               ; =>This Loop Header: Depth=1
                                        ;     Child Loop BB23_11 Depth 2
                                        ;     Child Loop BB23_26 Depth 2
	;; [unrolled: 1-line block ×24, first 2 shown]
	ds_load_b64 v[1:2], v22 offset:4096
	s_waitcnt lgkmcnt(0)
	v_readfirstlane_b32 s87, v1
	s_delay_alu instid0(VALU_DEP_1)
	s_cmp_lg_u32 s87, 0
	s_cbranch_scc1 .LBB23_33
; %bb.7:                                ;   in Loop: Header=BB23_6 Depth=1
	s_and_b32 vcc_lo, exec_lo, s63
	s_cbranch_vccz .LBB23_19
; %bb.8:                                ;   in Loop: Header=BB23_6 Depth=1
	v_cmp_gt_u32_e32 vcc_lo, 0xc01, v2
	s_mov_b32 s87, 0
	s_mov_b32 s10, 0
	s_cbranch_vccz .LBB23_20
; %bb.9:                                ;   in Loop: Header=BB23_6 Depth=1
	global_load_u16 v1, v22, s[38:39]
	global_load_u8 v4, v[5:6], off
	v_mov_b32_e32 v27, v0
	s_mov_b32 s12, 0
	s_waitcnt vmcnt(1)
	v_add_nc_u32_e32 v2, v0, v1
	v_mul_lo_u32 v3, s54, v1
	s_delay_alu instid0(VALU_DEP_2)
	v_mul_lo_u32 v2, s54, v2
	s_branch .LBB23_11
.LBB23_10:                              ;   in Loop: Header=BB23_11 Depth=2
	s_or_b32 exec_lo, exec_lo, s11
	v_add_nc_u32_e32 v2, v2, v3
	v_mov_b32_e32 v4, v28
	s_and_not1_b32 exec_lo, exec_lo, s12
	s_cbranch_execz .LBB23_84
.LBB23_11:                              ;   Parent Loop BB23_6 Depth=1
                                        ; =>  This Inner Loop Header: Depth=2
	v_dual_mov_b32 v28, 0 :: v_dual_add_nc_u32 v27, v27, v1
	s_waitcnt lgkmcnt(0)
	v_mov_b32_e32 v29, 0
	s_mov_b32 s11, exec_lo
	s_delay_alu instid0(VALU_DEP_2)
	v_cmp_le_u32_e32 vcc_lo, s36, v27
	v_cmpx_gt_u32_e64 s36, v27
	s_cbranch_execz .LBB23_13
; %bb.12:                               ;   in Loop: Header=BB23_11 Depth=2
	global_load_u8 v28, v2, s[30:31]
.LBB23_13:                              ;   in Loop: Header=BB23_11 Depth=2
	s_or_b32 exec_lo, exec_lo, s11
	s_waitcnt vmcnt(0)
	v_bfe_i32 v30, v4, 0, 8
	s_delay_alu instid0(VALU_DEP_1) | instskip(NEXT) | instid1(VALU_DEP_1)
	v_add_nc_u32_e32 v30, 0x80, v30
	v_and_b32_e32 v30, v30, v23
	s_delay_alu instid0(VALU_DEP_1) | instskip(NEXT) | instid1(VALU_DEP_1)
	v_cmp_eq_u32_e64 s10, v30, v24
	s_cmp_lg_u32 s10, 0
	s_cselect_b32 s11, -1, 0
	s_delay_alu instid0(SALU_CYCLE_1) | instskip(NEXT) | instid1(SALU_CYCLE_1)
	s_and_b32 s11, s2, s11
	s_and_saveexec_b32 s13, s11
	s_cbranch_execz .LBB23_17
; %bb.14:                               ;   in Loop: Header=BB23_11 Depth=2
	s_mov_b32 s16, exec_lo
	s_bcnt1_i32_b32 s14, s10
	v_mbcnt_lo_u32_b32 v29, s16, 0
	s_mov_b32 s15, exec_lo
                                        ; implicit-def: $vgpr30
	s_delay_alu instid0(VALU_DEP_1)
	v_cmpx_eq_u32_e32 0, v29
	s_cbranch_execz .LBB23_16
; %bb.15:                               ;   in Loop: Header=BB23_11 Depth=2
	s_bcnt1_i32_b32 s11, s16
	s_delay_alu instid0(SALU_CYCLE_1) | instskip(NEXT) | instid1(SALU_CYCLE_1)
	s_mul_i32 s11, s14, s11
	v_mov_b32_e32 v30, s11
	ds_add_rtn_u32 v30, v22, v30 offset:4104
.LBB23_16:                              ;   in Loop: Header=BB23_11 Depth=2
	s_or_b32 exec_lo, exec_lo, s15
	s_waitcnt lgkmcnt(0)
	v_readfirstlane_b32 s11, v30
	s_delay_alu instid0(VALU_DEP_1)
	v_mad_u32_u24 v29, s14, v29, s11
.LBB23_17:                              ;   in Loop: Header=BB23_11 Depth=2
	s_or_b32 exec_lo, exec_lo, s13
	ds_bpermute_b32 v29, v22, v29
	s_and_b32 s11, exec_lo, vcc_lo
	s_delay_alu instid0(SALU_CYCLE_1)
	s_or_b32 s12, s11, s12
	s_and_saveexec_b32 s11, s10
	s_cbranch_execz .LBB23_10
; %bb.18:                               ;   in Loop: Header=BB23_11 Depth=2
	v_and_b32_e32 v30, s10, v11
	s_waitcnt lgkmcnt(0)
	s_delay_alu instid0(VALU_DEP_1)
	v_bcnt_u32_b32 v29, v30, v29
	ds_store_b8 v29, v4
	s_branch .LBB23_10
.LBB23_19:                              ;   in Loop: Header=BB23_6 Depth=1
	s_mov_b32 s87, -1
	s_mov_b32 s10, 0
.LBB23_20:                              ;   in Loop: Header=BB23_6 Depth=1
	s_and_b32 vcc_lo, exec_lo, s87
	s_cbranch_vccz .LBB23_31
.LBB23_21:                              ;   in Loop: Header=BB23_6 Depth=1
	v_mov_b32_e32 v1, 0
	s_and_saveexec_b32 s10, s4
	s_cbranch_execz .LBB23_23
; %bb.22:                               ;   in Loop: Header=BB23_6 Depth=1
	global_load_u8 v1, v[5:6], off
.LBB23_23:                              ;   in Loop: Header=BB23_6 Depth=1
	s_or_b32 exec_lo, exec_lo, s10
	s_and_saveexec_b32 s11, s4
	s_cbranch_execz .LBB23_28
; %bb.24:                               ;   in Loop: Header=BB23_6 Depth=1
	global_load_u16 v2, v22, s[38:39]
	v_mov_b32_e32 v27, v0
	s_mov_b32 s12, 0
	s_waitcnt vmcnt(0)
	v_add_nc_u32_e32 v3, v0, v2
	v_mul_lo_u32 v4, s54, v2
	s_delay_alu instid0(VALU_DEP_2)
	v_mul_lo_u32 v3, s54, v3
	s_branch .LBB23_26
	.p2align	6
.LBB23_25:                              ;   in Loop: Header=BB23_26 Depth=2
	s_or_b32 exec_lo, exec_lo, s13
	ds_store_b8 v27, v1
	v_add_nc_u32_e32 v3, v3, v4
	s_waitcnt vmcnt(0)
	v_mov_b32_e32 v1, v29
	v_mov_b32_e32 v27, v28
	s_and_b32 s10, exec_lo, vcc_lo
	s_delay_alu instid0(SALU_CYCLE_1) | instskip(NEXT) | instid1(SALU_CYCLE_1)
	s_or_b32 s12, s10, s12
	s_and_not1_b32 exec_lo, exec_lo, s12
	s_cbranch_execz .LBB23_28
.LBB23_26:                              ;   Parent Loop BB23_6 Depth=1
                                        ; =>  This Inner Loop Header: Depth=2
	v_dual_mov_b32 v29, 0 :: v_dual_add_nc_u32 v28, v27, v2
	s_mov_b32 s13, exec_lo
	s_delay_alu instid0(VALU_DEP_1)
	v_cmp_le_u32_e32 vcc_lo, s36, v28
	v_cmpx_gt_u32_e64 s36, v28
	s_cbranch_execz .LBB23_25
; %bb.27:                               ;   in Loop: Header=BB23_26 Depth=2
	global_load_u8 v29, v3, s[30:31]
	s_branch .LBB23_25
.LBB23_28:                              ;   in Loop: Header=BB23_6 Depth=1
	s_or_b32 exec_lo, exec_lo, s11
	s_waitcnt vmcnt(0) lgkmcnt(0)
	s_barrier
	buffer_gl0_inv
	s_and_saveexec_b32 s10, s5
	s_cbranch_execz .LBB23_30
; %bb.29:                               ;   in Loop: Header=BB23_6 Depth=1
	v_mov_b32_e32 v1, s36
	ds_store_b32 v22, v1 offset:4096
.LBB23_30:                              ;   in Loop: Header=BB23_6 Depth=1
	s_or_b32 exec_lo, exec_lo, s10
	s_mov_b32 s10, -1
	s_waitcnt lgkmcnt(0)
	s_barrier
                                        ; implicit-def: $sgpr87
.LBB23_31:                              ;   in Loop: Header=BB23_6 Depth=1
	s_and_b32 vcc_lo, exec_lo, s10
	s_cbranch_vccz .LBB23_33
; %bb.32:                               ;   in Loop: Header=BB23_6 Depth=1
	buffer_gl0_inv
	ds_load_b32 v1, v22 offset:4096
	s_waitcnt lgkmcnt(0)
	v_readfirstlane_b32 s87, v1
.LBB23_33:                              ;   in Loop: Header=BB23_6 Depth=1
	s_delay_alu instid0(VALU_DEP_1)
	s_cmp_lt_i32 s87, 1
	s_cbranch_scc0 .LBB23_37
; %bb.34:                               ;   in Loop: Header=BB23_6 Depth=1
	v_dual_mov_b32 v1, 0 :: v_dual_mov_b32 v2, 0
	v_dual_mov_b32 v3, 0 :: v_dual_mov_b32 v4, 0
	s_mov_b32 s89, 0
	s_and_saveexec_b32 s88, s7
	s_cbranch_execnz .LBB23_38
; %bb.35:                               ;   in Loop: Header=BB23_6 Depth=1
	s_or_b32 exec_lo, exec_lo, s88
	v_mov_b32_e32 v30, 0
	s_and_saveexec_b32 s10, s8
	s_cbranch_execnz .LBB23_41
.LBB23_36:                              ;   in Loop: Header=BB23_6 Depth=1
	s_or_b32 exec_lo, exec_lo, s10
	s_and_saveexec_b32 s14, s8
	s_cbranch_execnz .LBB23_42
	s_branch .LBB23_47
.LBB23_37:                              ;   in Loop: Header=BB23_6 Depth=1
                                        ; implicit-def: $vgpr4
	s_cbranch_execnz .LBB23_48
	s_branch .LBB23_57
.LBB23_38:                              ;   in Loop: Header=BB23_6 Depth=1
	v_mov_b32_e32 v27, v13
	s_and_b32 s90, s80, 0xfe
	s_mov_b32 s91, 0
	s_mov_b32 s92, 0
	;; [unrolled: 1-line block ×5, first 2 shown]
.LBB23_39:                              ;   Parent Loop BB23_6 Depth=1
                                        ; =>  This Inner Loop Header: Depth=2
	v_add_nc_u32_e32 v1, s91, v19
	v_add_nc_u32_e32 v2, s91, v9
	;; [unrolled: 1-line block ×5, first 2 shown]
	s_clause 0x3
	global_load_i8 v1, v1, s[30:31]
	global_load_i8 v2, v2, s[30:31]
	global_load_i8 v3, v3, s[30:31]
	global_load_i8 v4, v4, s[30:31]
	s_add_i32 s91, s91, s75
	v_cmp_le_u32_e32 vcc_lo, s72, v27
	s_waitcnt vmcnt(3)
	v_add_nc_u32_e32 v1, 0x80, v1
	s_waitcnt vmcnt(2)
	v_add_nc_u32_e32 v2, 0x80, v2
	;; [unrolled: 2-line block ×4, first 2 shown]
	v_and_b32_e32 v28, v1, v23
	v_bfe_u32 v1, v1, s90, 2
	v_and_b32_e32 v29, v2, v23
	v_bfe_u32 v2, v2, s90, 2
	;; [unrolled: 2-line block ×3, first 2 shown]
	v_cmp_eq_u32_e64 s10, v28, v24
	v_cmp_eq_u32_e64 s14, 0, v1
	v_and_b32_e32 v31, v4, v23
	v_bfe_u32 v4, v4, s90, 2
	v_cmp_eq_u32_e64 s11, v29, v24
	v_cmp_eq_u32_e64 s15, 0, v2
	;; [unrolled: 1-line block ×4, first 2 shown]
	s_and_b32 s14, s10, s14
	v_cmp_eq_u32_e64 s13, v31, v24
	v_cmp_eq_u32_e64 s17, 0, v4
	v_cmp_eq_u32_e64 s18, 1, v1
	v_cmp_eq_u32_e64 s22, 2, v1
	v_cmp_eq_u32_e64 s26, 3, v1
	v_cndmask_b32_e64 v1, 0, 1, s14
	s_and_b32 s14, s11, s15
	v_cmp_eq_u32_e64 s19, 1, v2
	v_cmp_eq_u32_e64 s23, 2, v2
	v_cmp_eq_u32_e64 s27, 3, v2
	v_cndmask_b32_e64 v2, 0, 1, s14
	s_and_b32 s14, s12, s16
	v_cmp_eq_u32_e64 s20, 1, v3
	v_cmp_eq_u32_e64 s24, 2, v3
	v_cmp_eq_u32_e64 s28, 3, v3
	;; [unrolled: 5-line block ×3, first 2 shown]
	v_cndmask_b32_e64 v4, 0, 1, s14
	s_and_b32 s14, s10, s18
	s_delay_alu instid0(SALU_CYCLE_1) | instskip(SKIP_1) | instid1(SALU_CYCLE_1)
	v_cndmask_b32_e64 v28, 0, 1, s14
	s_and_b32 s14, s11, s19
	v_cndmask_b32_e64 v29, 0, 1, s14
	s_and_b32 s14, s12, s20
	s_delay_alu instid0(SALU_CYCLE_1) | instskip(SKIP_1) | instid1(VALU_DEP_2)
	v_cndmask_b32_e64 v30, 0, 1, s14
	s_and_b32 s14, s13, s21
	v_cmp_ne_u32_e64 s15, 0, v29
	v_cndmask_b32_e64 v31, 0, 1, s14
	s_and_b32 s14, s10, s22
	s_and_b32 s10, s10, s26
	v_cndmask_b32_e64 v32, 0, 1, s14
	s_and_b32 s14, s11, s23
	v_cndmask_b32_e64 v36, 0, 1, s10
	;; [unrolled: 2-line block ×7, first 2 shown]
	v_cndmask_b32_e64 v39, 0, 1, s10
	v_cmp_ne_u32_e64 s10, 0, v1
	v_cmp_ne_u32_e64 s14, 0, v28
	;; [unrolled: 1-line block ×11, first 2 shown]
	s_bcnt1_i32_b32 s10, s10
	s_bcnt1_i32_b32 s14, s14
	;; [unrolled: 1-line block ×4, first 2 shown]
	v_cmp_ne_u32_e64 s13, 0, v4
	v_cmp_ne_u32_e64 s17, 0, v31
	;; [unrolled: 1-line block ×4, first 2 shown]
	s_bcnt1_i32_b32 s11, s11
	s_bcnt1_i32_b32 s15, s15
	s_bcnt1_i32_b32 s19, s19
	s_bcnt1_i32_b32 s23, s23
	s_add_i32 s10, s10, s95
	s_add_i32 s14, s14, s94
	s_add_i32 s18, s18, s93
	s_add_i32 s22, s22, s92
	s_bcnt1_i32_b32 s12, s12
	s_bcnt1_i32_b32 s16, s16
	s_bcnt1_i32_b32 s20, s20
	s_bcnt1_i32_b32 s24, s24
	s_add_i32 s10, s10, s11
	s_add_i32 s11, s14, s15
	s_add_i32 s14, s18, s19
	s_add_i32 s15, s22, s23
	;; [unrolled: 8-line block ×3, first 2 shown]
	s_add_i32 s95, s10, s13
	s_add_i32 s94, s11, s17
	;; [unrolled: 1-line block ×4, first 2 shown]
	v_mov_b32_e32 v3, s93
	v_dual_mov_b32 v1, s95 :: v_dual_mov_b32 v2, s94
	v_mov_b32_e32 v4, s92
	s_or_b32 s89, vcc_lo, s89
	s_delay_alu instid0(SALU_CYCLE_1)
	s_and_not1_b32 exec_lo, exec_lo, s89
	s_cbranch_execnz .LBB23_39
; %bb.40:                               ;   in Loop: Header=BB23_6 Depth=1
	s_or_b32 exec_lo, exec_lo, s89
	s_delay_alu instid0(SALU_CYCLE_1)
	s_or_b32 exec_lo, exec_lo, s88
	v_mov_b32_e32 v30, 0
	s_and_saveexec_b32 s10, s8
	s_cbranch_execz .LBB23_36
.LBB23_41:                              ;   in Loop: Header=BB23_6 Depth=1
	global_load_u8 v30, v[7:8], off
	s_or_b32 exec_lo, exec_lo, s10
	s_and_saveexec_b32 s14, s8
	s_cbranch_execz .LBB23_47
.LBB23_42:                              ;   in Loop: Header=BB23_6 Depth=1
	v_dual_mov_b32 v27, v20 :: v_dual_mov_b32 v28, v17
	s_and_b32 s16, s80, 0xfe
	s_mov_b32 s15, 0
	s_branch .LBB23_44
.LBB23_43:                              ;   in Loop: Header=BB23_44 Depth=2
	s_or_b32 exec_lo, exec_lo, s11
	s_waitcnt vmcnt(0)
	v_bfe_i32 v30, v30, 0, 8
	s_and_b32 s11, exec_lo, vcc_lo
	v_add_nc_u32_e32 v27, s43, v27
	s_or_b32 s15, s11, s15
	s_delay_alu instid0(VALU_DEP_2) | instskip(NEXT) | instid1(VALU_DEP_1)
	v_add_nc_u32_e32 v30, 0x80, v30
	v_and_b32_e32 v31, v30, v23
	v_bfe_u32 v30, v30, s16, 2
	s_delay_alu instid0(VALU_DEP_2) | instskip(NEXT) | instid1(VALU_DEP_2)
	v_cmp_eq_u32_e32 vcc_lo, v31, v24
	v_cmp_eq_u32_e64 s10, 0, v30
	v_cmp_eq_u32_e64 s11, 1, v30
	;; [unrolled: 1-line block ×4, first 2 shown]
	s_delay_alu instid0(VALU_DEP_4) | instskip(NEXT) | instid1(SALU_CYCLE_1)
	s_and_b32 s10, vcc_lo, s10
	v_cndmask_b32_e64 v30, 0, 1, s10
	s_and_b32 s10, vcc_lo, s11
	s_delay_alu instid0(SALU_CYCLE_1) | instskip(SKIP_1) | instid1(SALU_CYCLE_1)
	v_cndmask_b32_e64 v31, 0, 1, s10
	s_and_b32 s10, vcc_lo, s12
	v_cndmask_b32_e64 v32, 0, 1, s10
	s_and_b32 s10, vcc_lo, s13
	v_cmp_ne_u32_e32 vcc_lo, 0, v30
	v_mov_b32_e32 v30, v29
	v_cndmask_b32_e64 v33, 0, 1, s10
	v_cmp_ne_u32_e64 s10, 0, v31
	v_cmp_ne_u32_e64 s11, 0, v32
	s_bcnt1_i32_b32 s13, vcc_lo
	s_delay_alu instid0(VALU_DEP_3) | instskip(NEXT) | instid1(VALU_DEP_3)
	v_cmp_ne_u32_e64 s12, 0, v33
	s_bcnt1_i32_b32 s10, s10
	s_delay_alu instid0(VALU_DEP_2)
	s_bcnt1_i32_b32 s11, s11
	v_add_nc_u32_e32 v1, s13, v1
	v_add_nc_u32_e32 v2, s10, v2
	s_bcnt1_i32_b32 s12, s12
	v_add_nc_u32_e32 v3, s11, v3
	v_add_nc_u32_e32 v4, s12, v4
	s_and_not1_b32 exec_lo, exec_lo, s15
	s_cbranch_execz .LBB23_46
.LBB23_44:                              ;   Parent Loop BB23_6 Depth=1
                                        ; =>  This Inner Loop Header: Depth=2
	s_delay_alu instid0(VALU_DEP_1) | instskip(SKIP_1) | instid1(VALU_DEP_1)
	v_dual_mov_b32 v29, 0 :: v_dual_add_nc_u32 v28, s33, v28
	s_mov_b32 s11, exec_lo
	v_cmp_le_u32_e32 vcc_lo, s36, v28
	v_cmpx_gt_u32_e64 s36, v28
	s_cbranch_execz .LBB23_43
; %bb.45:                               ;   in Loop: Header=BB23_44 Depth=2
	global_load_u8 v29, v27, s[30:31]
	s_branch .LBB23_43
.LBB23_46:                              ;   in Loop: Header=BB23_6 Depth=1
	s_or_b32 exec_lo, exec_lo, s15
.LBB23_47:                              ;   in Loop: Header=BB23_6 Depth=1
	s_delay_alu instid0(SALU_CYCLE_1)
	s_or_b32 exec_lo, exec_lo, s14
	s_branch .LBB23_57
.LBB23_48:                              ;   in Loop: Header=BB23_6 Depth=1
	s_mul_hi_u32 s10, s87, s70
	v_dual_mov_b32 v1, 0 :: v_dual_mov_b32 v2, 0
	s_mul_i32 s10, s10, s61
	v_dual_mov_b32 v3, 0 :: v_dual_mov_b32 v4, 0
	s_sub_i32 s10, s87, s10
	s_mov_b32 s90, 0
	s_sub_i32 s11, s10, s61
	s_cmp_ge_u32 s10, s61
	s_mov_b32 s89, exec_lo
	s_cselect_b32 s10, s11, s10
	s_delay_alu instid0(SALU_CYCLE_1) | instskip(SKIP_2) | instid1(SALU_CYCLE_1)
	s_sub_i32 s11, s10, s61
	s_cmp_ge_u32 s10, s61
	s_cselect_b32 s10, s11, s10
	s_sub_i32 s88, s87, s10
	s_delay_alu instid0(SALU_CYCLE_1)
	v_cmpx_gt_u32_e64 s88, v13
	s_cbranch_execz .LBB23_52
; %bb.49:                               ;   in Loop: Header=BB23_6 Depth=1
	v_mov_b32_e32 v27, v13
	s_and_b32 s91, s80, 0xfe
	s_mov_b32 s92, 0
	s_mov_b32 s93, 0
	;; [unrolled: 1-line block ×4, first 2 shown]
.LBB23_50:                              ;   Parent Loop BB23_6 Depth=1
                                        ; =>  This Inner Loop Header: Depth=2
	ds_load_b32 v1, v27
	s_waitcnt lgkmcnt(0)
	v_bfe_i32 v2, v1, 0, 8
	v_bfe_i32 v3, v1, 8, 8
	;; [unrolled: 1-line block ×3, first 2 shown]
	v_ashrrev_i32_e32 v1, 24, v1
	s_delay_alu instid0(VALU_DEP_4) | instskip(NEXT) | instid1(VALU_DEP_4)
	v_add_nc_u32_e32 v2, 0x80, v2
	v_add_nc_u32_e32 v3, 0x80, v3
	s_delay_alu instid0(VALU_DEP_4) | instskip(NEXT) | instid1(VALU_DEP_4)
	v_add_nc_u32_e32 v4, 0x80, v4
	v_add_nc_u32_e32 v1, 0x80, v1
	s_delay_alu instid0(VALU_DEP_4)
	v_and_b32_e32 v28, v2, v23
	v_bfe_u32 v2, v2, s91, 2
	v_and_b32_e32 v29, v3, v23
	v_bfe_u32 v3, v3, s91, 2
	s_waitcnt vmcnt(0)
	v_and_b32_e32 v30, v4, v23
	v_bfe_u32 v4, v4, s91, 2
	v_cmp_eq_u32_e64 s10, v28, v24
	v_cmp_eq_u32_e64 s14, 0, v2
	v_and_b32_e32 v31, v1, v23
	v_bfe_u32 v1, v1, s91, 2
	v_cmp_eq_u32_e64 s11, v29, v24
	v_cmp_eq_u32_e64 s15, 0, v3
	;; [unrolled: 1-line block ×4, first 2 shown]
	s_and_b32 s14, s10, s14
	v_cmp_eq_u32_e64 s13, v31, v24
	v_cmp_eq_u32_e64 s17, 0, v1
	;; [unrolled: 1-line block ×5, first 2 shown]
	v_cndmask_b32_e64 v1, 0, 1, s14
	s_and_b32 s14, s11, s15
	v_cmp_eq_u32_e64 s18, 1, v2
	v_cmp_eq_u32_e64 s22, 2, v2
	v_cmp_eq_u32_e64 s26, 3, v2
	v_cndmask_b32_e64 v2, 0, 1, s14
	s_and_b32 s14, s12, s16
	v_cmp_eq_u32_e64 s19, 1, v3
	v_cmp_eq_u32_e64 s23, 2, v3
	v_cmp_eq_u32_e64 s27, 3, v3
	;; [unrolled: 5-line block ×3, first 2 shown]
	v_cndmask_b32_e64 v4, 0, 1, s14
	s_and_b32 s14, s10, s18
	s_delay_alu instid0(SALU_CYCLE_1) | instskip(SKIP_1) | instid1(SALU_CYCLE_1)
	v_cndmask_b32_e64 v28, 0, 1, s14
	s_and_b32 s14, s11, s19
	v_cndmask_b32_e64 v29, 0, 1, s14
	s_and_b32 s14, s12, s20
	s_delay_alu instid0(SALU_CYCLE_1) | instskip(SKIP_1) | instid1(VALU_DEP_2)
	v_cndmask_b32_e64 v30, 0, 1, s14
	s_and_b32 s14, s13, s21
	v_cmp_ne_u32_e64 s15, 0, v29
	v_cndmask_b32_e64 v31, 0, 1, s14
	s_and_b32 s14, s10, s22
	s_and_b32 s10, s10, s26
	v_cndmask_b32_e64 v32, 0, 1, s14
	s_and_b32 s14, s11, s23
	v_cndmask_b32_e64 v36, 0, 1, s10
	;; [unrolled: 2-line block ×7, first 2 shown]
	v_cndmask_b32_e64 v39, 0, 1, s10
	v_cmp_ne_u32_e64 s10, 0, v1
	v_cmp_ne_u32_e64 s14, 0, v28
	;; [unrolled: 1-line block ×6, first 2 shown]
	s_bcnt1_i32_b32 s10, s10
	s_bcnt1_i32_b32 s14, s14
	v_cmp_ne_u32_e64 s17, 0, v31
	v_cmp_ne_u32_e64 s19, 0, v33
	;; [unrolled: 1-line block ×3, first 2 shown]
	s_bcnt1_i32_b32 s11, s11
	s_bcnt1_i32_b32 s15, s15
	s_add_i32 s10, s10, s95
	s_add_i32 s14, s14, s94
	v_cmp_ne_u32_e64 s12, 0, v3
	v_cmp_ne_u32_e64 s20, 0, v34
	;; [unrolled: 1-line block ×3, first 2 shown]
	s_bcnt1_i32_b32 s16, s16
	s_add_i32 s10, s10, s11
	s_add_i32 s11, s14, s15
	s_bcnt1_i32_b32 s18, s18
	s_bcnt1_i32_b32 s22, s22
	v_cmp_ne_u32_e64 s13, 0, v4
	v_cmp_ne_u32_e64 s21, 0, v35
	;; [unrolled: 1-line block ×3, first 2 shown]
	s_bcnt1_i32_b32 s17, s17
	s_add_i32 s11, s11, s16
	s_bcnt1_i32_b32 s19, s19
	s_bcnt1_i32_b32 s23, s23
	s_add_i32 s18, s18, s93
	s_add_i32 s22, s22, s92
	;; [unrolled: 1-line block ×3, first 2 shown]
	s_delay_alu instid0(SALU_CYCLE_1)
	v_dual_mov_b32 v2, s94 :: v_dual_add_nc_u32 v27, s61, v27
	s_bcnt1_i32_b32 s12, s12
	s_bcnt1_i32_b32 s20, s20
	;; [unrolled: 1-line block ×3, first 2 shown]
	s_add_i32 s14, s18, s19
	s_add_i32 s15, s22, s23
	s_bcnt1_i32_b32 s13, s13
	s_bcnt1_i32_b32 s21, s21
	;; [unrolled: 1-line block ×3, first 2 shown]
	s_add_i32 s10, s10, s12
	s_add_i32 s12, s14, s20
	;; [unrolled: 1-line block ×3, first 2 shown]
	v_cmp_le_u32_e32 vcc_lo, s88, v27
	s_add_i32 s95, s10, s13
	s_add_i32 s93, s12, s21
	;; [unrolled: 1-line block ×3, first 2 shown]
	v_mov_b32_e32 v1, s95
	v_dual_mov_b32 v3, s93 :: v_dual_mov_b32 v4, s92
	s_or_b32 s90, vcc_lo, s90
	s_delay_alu instid0(SALU_CYCLE_1)
	s_and_not1_b32 exec_lo, exec_lo, s90
	s_cbranch_execnz .LBB23_50
; %bb.51:                               ;   in Loop: Header=BB23_6 Depth=1
	s_or_b32 exec_lo, exec_lo, s90
.LBB23_52:                              ;   in Loop: Header=BB23_6 Depth=1
	s_delay_alu instid0(SALU_CYCLE_1) | instskip(SKIP_2) | instid1(VALU_DEP_1)
	s_or_b32 exec_lo, exec_lo, s89
	v_add_nc_u32_e32 v27, s88, v0
	s_mov_b32 s15, exec_lo
	v_cmpx_gt_u32_e64 s87, v27
	s_cbranch_execz .LBB23_56
; %bb.53:                               ;   in Loop: Header=BB23_6 Depth=1
	s_and_b32 s17, s80, 0xfe
	s_mov_b32 s16, 0
.LBB23_54:                              ;   Parent Loop BB23_6 Depth=1
                                        ; =>  This Inner Loop Header: Depth=2
	ds_load_i8 v28, v27
	v_add_nc_u32_e32 v27, s33, v27
	s_delay_alu instid0(VALU_DEP_1) | instskip(SKIP_2) | instid1(VALU_DEP_1)
	v_cmp_le_u32_e32 vcc_lo, s87, v27
	s_waitcnt lgkmcnt(0)
	v_add_nc_u32_e32 v28, 0x80, v28
	v_and_b32_e32 v29, v28, v23
	v_bfe_u32 v28, v28, s17, 2
	s_delay_alu instid0(VALU_DEP_2) | instskip(NEXT) | instid1(VALU_DEP_2)
	v_cmp_eq_u32_e64 s10, v29, v24
	v_cmp_eq_u32_e64 s11, 0, v28
	;; [unrolled: 1-line block ×5, first 2 shown]
	s_delay_alu instid0(VALU_DEP_4) | instskip(NEXT) | instid1(SALU_CYCLE_1)
	s_and_b32 s11, s10, s11
	v_cndmask_b32_e64 v28, 0, 1, s11
	s_and_b32 s11, s10, s12
	s_delay_alu instid0(SALU_CYCLE_1)
	v_cndmask_b32_e64 v29, 0, 1, s11
	s_and_b32 s11, s10, s13
	s_and_b32 s10, s10, s14
	s_waitcnt vmcnt(0)
	v_cndmask_b32_e64 v30, 0, 1, s11
	v_cndmask_b32_e64 v31, 0, 1, s10
	v_cmp_ne_u32_e64 s10, 0, v28
	v_cmp_ne_u32_e64 s11, 0, v29
	s_delay_alu instid0(VALU_DEP_4) | instskip(NEXT) | instid1(VALU_DEP_4)
	v_cmp_ne_u32_e64 s12, 0, v30
	v_cmp_ne_u32_e64 s13, 0, v31
	s_delay_alu instid0(VALU_DEP_4) | instskip(NEXT) | instid1(VALU_DEP_3)
	s_bcnt1_i32_b32 s10, s10
	s_bcnt1_i32_b32 s11, s11
	v_add_nc_u32_e32 v1, s10, v1
	s_bcnt1_i32_b32 s12, s12
	s_bcnt1_i32_b32 s13, s13
	v_add_nc_u32_e32 v2, s11, v2
	v_add_nc_u32_e32 v3, s12, v3
	;; [unrolled: 1-line block ×3, first 2 shown]
	s_or_b32 s16, vcc_lo, s16
	s_delay_alu instid0(SALU_CYCLE_1)
	s_and_not1_b32 exec_lo, exec_lo, s16
	s_cbranch_execnz .LBB23_54
; %bb.55:                               ;   in Loop: Header=BB23_6 Depth=1
	s_or_b32 exec_lo, exec_lo, s16
.LBB23_56:                              ;   in Loop: Header=BB23_6 Depth=1
	s_delay_alu instid0(SALU_CYCLE_1)
	s_or_b32 exec_lo, exec_lo, s15
.LBB23_57:                              ;   in Loop: Header=BB23_6 Depth=1
	s_lshl_b32 s10, s76, 7
	s_and_saveexec_b32 s11, s2
	s_cbranch_execz .LBB23_59
; %bb.58:                               ;   in Loop: Header=BB23_6 Depth=1
	v_or_b32_e32 v27, s10, v16
	s_delay_alu instid0(VALU_DEP_1)
	v_lshlrev_b32_e32 v27, 2, v27
	ds_store_b128 v27, v[1:4] offset:3072
.LBB23_59:                              ;   in Loop: Header=BB23_6 Depth=1
	s_or_b32 exec_lo, exec_lo, s11
	s_waitcnt vmcnt(0) lgkmcnt(0)
	s_barrier
	buffer_gl0_inv
	s_and_saveexec_b32 s11, s62
	s_cbranch_execz .LBB23_69
; %bb.60:                               ;   in Loop: Header=BB23_6 Depth=1
	v_mov_b32_e32 v1, 0
	s_and_not1_b32 vcc_lo, exec_lo, s64
	s_cbranch_vccnz .LBB23_68
; %bb.61:                               ;   in Loop: Header=BB23_6 Depth=1
	v_mov_b32_e32 v1, 0
	s_and_not1_b32 vcc_lo, exec_lo, s67
	s_mov_b32 s12, 0
	s_cbranch_vccnz .LBB23_65
; %bb.62:                               ;   in Loop: Header=BB23_6 Depth=1
	v_lshl_add_u32 v2, s76, 9, v21
	v_mov_b32_e32 v1, 0
	.p2align	6
.LBB23_63:                              ;   Parent Loop BB23_6 Depth=1
                                        ; =>  This Inner Loop Header: Depth=2
	ds_load_2addr_b32 v[3:4], v2 offset1:4
	ds_load_2addr_b32 v[27:28], v2 offset0:8 offset1:12
	ds_load_2addr_b32 v[29:30], v2 offset0:16 offset1:20
	;; [unrolled: 1-line block ×3, first 2 shown]
	v_add_nc_u32_e32 v2, 0x80, v2
	s_add_i32 s12, s12, 8
	s_delay_alu instid0(SALU_CYCLE_1) | instskip(SKIP_3) | instid1(VALU_DEP_1)
	s_cmp_eq_u32 s68, s12
	s_waitcnt lgkmcnt(3)
	v_add3_u32 v1, v3, v1, v4
	s_waitcnt lgkmcnt(2)
	v_add3_u32 v1, v27, v1, v28
	s_waitcnt lgkmcnt(1)
	s_delay_alu instid0(VALU_DEP_1) | instskip(SKIP_1) | instid1(VALU_DEP_1)
	v_add3_u32 v1, v29, v1, v30
	s_waitcnt lgkmcnt(0)
	v_add3_u32 v1, v31, v1, v32
	s_cbranch_scc0 .LBB23_63
; %bb.64:                               ;   in Loop: Header=BB23_6 Depth=1
	s_mov_b32 s12, s68
.LBB23_65:                              ;   in Loop: Header=BB23_6 Depth=1
	s_and_not1_b32 vcc_lo, exec_lo, s69
	s_cbranch_vccnz .LBB23_68
; %bb.66:                               ;   in Loop: Header=BB23_6 Depth=1
	s_lshl_b32 s13, s76, 9
	s_lshl_b32 s12, s12, 4
	s_delay_alu instid0(SALU_CYCLE_1)
	v_add3_u32 v2, s13, s12, v21
	s_mov_b32 s12, s66
.LBB23_67:                              ;   Parent Loop BB23_6 Depth=1
                                        ; =>  This Inner Loop Header: Depth=2
	ds_load_b32 v3, v2
	v_add_nc_u32_e32 v2, 16, v2
	s_add_i32 s12, s12, -1
	s_delay_alu instid0(SALU_CYCLE_1)
	s_cmp_lg_u32 s12, 0
	s_waitcnt lgkmcnt(0)
	v_add_nc_u32_e32 v1, v3, v1
	s_cbranch_scc1 .LBB23_67
.LBB23_68:                              ;   in Loop: Header=BB23_6 Depth=1
	v_add_lshl_u32 v2, s10, v12, 2
	ds_store_b32 v2, v1 offset:3072
.LBB23_69:                              ;   in Loop: Header=BB23_6 Depth=1
	s_or_b32 exec_lo, exec_lo, s11
	s_lshl_b32 s10, s10, 2
	s_waitcnt lgkmcnt(0)
	v_mov_b32_e32 v1, s10
	s_barrier
	buffer_gl0_inv
	s_and_b32 s17, s80, 0xfe
	v_cmp_eq_u32_e64 s10, 1, v26
	ds_load_b128 v[1:4], v1 offset:3072
	s_lshl_b32 s13, 3, s17
	s_and_not1_b32 vcc_lo, exec_lo, s60
	s_not_b32 s14, s13
	s_waitcnt lgkmcnt(0)
	v_readfirstlane_b32 s12, v1
	v_readfirstlane_b32 s16, v2
	;; [unrolled: 1-line block ×4, first 2 shown]
	s_cbranch_vccnz .LBB23_82
; %bb.70:                               ;   in Loop: Header=BB23_6 Depth=1
	s_cmp_eq_u32 s12, 1
	v_dual_mov_b32 v1, v24 :: v_dual_mov_b32 v2, v23
	v_mov_b32_e32 v3, v25
	s_cselect_b32 s11, -1, 0
	s_mov_b32 s26, -1
	s_and_b32 s25, s11, s10
                                        ; implicit-def: $sgpr15
                                        ; implicit-def: $sgpr22
                                        ; implicit-def: $sgpr21
	s_delay_alu instid0(SALU_CYCLE_1)
	s_and_saveexec_b32 s20, s25
	s_cbranch_execz .LBB23_101
; %bb.71:                               ;   in Loop: Header=BB23_6 Depth=1
	ds_load_b32 v1, v22 offset:4096
	s_waitcnt lgkmcnt(0)
	s_barrier
	buffer_gl0_inv
	v_readfirstlane_b32 s15, v1
	s_and_saveexec_b32 s11, s6
	s_cbranch_execz .LBB23_73
; %bb.72:                               ;   in Loop: Header=BB23_6 Depth=1
	ds_store_b8 v0, v15 offset:3072
.LBB23_73:                              ;   in Loop: Header=BB23_6 Depth=1
	s_or_b32 exec_lo, exec_lo, s11
	v_and_b32_e32 v1, s14, v24
	v_or_b32_e32 v2, s13, v23
	s_cmp_eq_u32 s15, 0
	s_waitcnt lgkmcnt(0)
	s_barrier
	buffer_gl0_inv
	s_cbranch_scc1 .LBB23_87
; %bb.74:                               ;   in Loop: Header=BB23_6 Depth=1
	s_add_i32 s11, s15, s65
                                        ; implicit-def: $vgpr3
	s_delay_alu instid0(SALU_CYCLE_1) | instskip(NEXT) | instid1(SALU_CYCLE_1)
	s_mul_hi_u32 s21, s11, s71
	s_mul_i32 s21, s21, s33
	s_delay_alu instid0(SALU_CYCLE_1) | instskip(NEXT) | instid1(SALU_CYCLE_1)
	s_sub_i32 s21, s11, s21
	s_sub_i32 s22, s21, s33
	s_cmp_ge_u32 s21, s33
	s_cselect_b32 s21, s22, s21
	s_delay_alu instid0(SALU_CYCLE_1) | instskip(SKIP_2) | instid1(SALU_CYCLE_1)
	s_sub_i32 s22, s21, s33
	s_cmp_ge_u32 s21, s33
	s_cselect_b32 s21, s22, s21
	s_sub_i32 s22, s11, s21
	s_mov_b32 s11, 0
	s_mov_b32 s21, exec_lo
	v_cmpx_gt_u32_e64 s22, v0
	s_cbranch_execz .LBB23_89
; %bb.75:                               ;   in Loop: Header=BB23_6 Depth=1
	v_mov_b32_e32 v3, v0
	s_mov_b32 s23, 0
                                        ; implicit-def: $sgpr24
	s_set_inst_prefetch_distance 0x1
	s_branch .LBB23_77
	.p2align	6
.LBB23_76:                              ;   in Loop: Header=BB23_77 Depth=2
	s_or_b32 exec_lo, exec_lo, s11
	s_waitcnt lgkmcnt(0)
	s_barrier
	buffer_gl0_inv
	ds_load_u16 v4, v22 offset:3072
	v_add_nc_u32_e32 v3, s33, v3
	s_waitcnt lgkmcnt(0)
	s_barrier
	buffer_gl0_inv
	v_cmp_le_u32_e32 vcc_lo, s22, v3
	v_and_b32_e32 v27, 0xff, v4
	s_delay_alu instid0(VALU_DEP_1) | instskip(NEXT) | instid1(VALU_DEP_1)
	v_cmp_ne_u16_e64 s11, 0, v27
	s_or_b32 s26, vcc_lo, s11
	s_delay_alu instid0(SALU_CYCLE_1) | instskip(NEXT) | instid1(SALU_CYCLE_1)
	s_and_b32 s26, exec_lo, s26
	s_or_b32 s23, s26, s23
	s_and_not1_b32 s24, s24, exec_lo
	s_and_b32 s11, s11, exec_lo
	s_delay_alu instid0(SALU_CYCLE_1)
	s_or_b32 s24, s24, s11
	s_and_not1_b32 exec_lo, exec_lo, s23
	s_cbranch_execz .LBB23_88
.LBB23_77:                              ;   Parent Loop BB23_6 Depth=1
                                        ; =>  This Inner Loop Header: Depth=2
	s_delay_alu instid0(VALU_DEP_1)
	v_cmp_gt_u32_e32 vcc_lo, s15, v3
	v_mov_b32_e32 v4, 0
	s_and_saveexec_b32 s11, vcc_lo
	s_cbranch_execz .LBB23_79
; %bb.78:                               ;   in Loop: Header=BB23_77 Depth=2
	ds_load_u8 v4, v3
.LBB23_79:                              ;   in Loop: Header=BB23_77 Depth=2
	s_or_b32 exec_lo, exec_lo, s11
	s_and_saveexec_b32 s11, vcc_lo
	s_cbranch_execz .LBB23_76
; %bb.80:                               ;   in Loop: Header=BB23_77 Depth=2
	s_waitcnt lgkmcnt(0)
	v_bfe_i32 v27, v4, 0, 8
	s_delay_alu instid0(VALU_DEP_1) | instskip(NEXT) | instid1(VALU_DEP_1)
	v_add_nc_u32_e32 v27, 0x80, v27
	v_and_b32_e32 v27, v27, v2
	s_delay_alu instid0(VALU_DEP_1)
	v_cmp_eq_u32_e32 vcc_lo, v27, v1
	s_and_b32 exec_lo, exec_lo, vcc_lo
	s_cbranch_execz .LBB23_76
; %bb.81:                               ;   in Loop: Header=BB23_77 Depth=2
	v_lshlrev_b16 v4, 8, v4
	s_delay_alu instid0(VALU_DEP_1)
	v_or_b32_e32 v4, 1, v4
	ds_store_b16 v22, v4 offset:3072
	s_branch .LBB23_76
.LBB23_82:                              ;   in Loop: Header=BB23_6 Depth=1
	s_mov_b32 s20, 0
	s_mov_b32 s11, 0
                                        ; implicit-def: $sgpr21
                                        ; implicit-def: $sgpr22
                                        ; implicit-def: $sgpr15
                                        ; implicit-def: $vgpr27
                                        ; implicit-def: $vgpr4
                                        ; implicit-def: $vgpr1
                                        ; implicit-def: $vgpr2
                                        ; implicit-def: $vgpr3
	s_cbranch_execnz .LBB23_237
.LBB23_83:                              ;   in Loop: Header=BB23_6 Depth=1
	s_mov_b32 s23, s15
	s_mov_b32 s24, s15
	s_and_saveexec_b32 s10, s20
	s_cbranch_execnz .LBB23_399
	s_branch .LBB23_400
.LBB23_84:                              ;   in Loop: Header=BB23_6 Depth=1
	s_or_b32 exec_lo, exec_lo, s12
	s_waitcnt lgkmcnt(0)
	s_barrier
	buffer_gl0_inv
	s_and_saveexec_b32 s10, s5
	s_cbranch_execz .LBB23_86
; %bb.85:                               ;   in Loop: Header=BB23_6 Depth=1
	ds_load_b32 v1, v22 offset:4104
	s_waitcnt lgkmcnt(0)
	ds_store_b32 v22, v1 offset:4096
.LBB23_86:                              ;   in Loop: Header=BB23_6 Depth=1
	s_or_b32 exec_lo, exec_lo, s10
	s_waitcnt lgkmcnt(0)
	s_mov_b32 s10, -1
	s_barrier
	s_and_b32 vcc_lo, exec_lo, s87
	s_cbranch_vccnz .LBB23_21
	s_branch .LBB23_31
.LBB23_87:                              ;   in Loop: Header=BB23_6 Depth=1
	s_mov_b32 s15, -1
	s_mov_b32 s11, 0
                                        ; implicit-def: $sgpr21
                                        ; implicit-def: $vgpr3
	s_mov_b32 s22, s15
	s_cbranch_execnz .LBB23_90
	s_branch .LBB23_100
.LBB23_88:                              ;   in Loop: Header=BB23_6 Depth=1
	s_set_inst_prefetch_distance 0x2
	s_or_b32 exec_lo, exec_lo, s23
	v_lshrrev_b16 v3, 8, v4
	s_and_b32 s11, s24, exec_lo
.LBB23_89:                              ;   in Loop: Header=BB23_6 Depth=1
	s_or_b32 exec_lo, exec_lo, s21
	s_mov_b32 s21, -1
	s_mov_b32 s15, 0
	s_delay_alu instid0(SALU_CYCLE_1)
	s_mov_b32 s22, s15
	s_branch .LBB23_100
.LBB23_90:                              ;   in Loop: Header=BB23_6 Depth=1
	s_mov_b32 s11, 0
                                        ; implicit-def: $vgpr3
	s_and_saveexec_b32 s15, s9
	s_cbranch_execz .LBB23_99
; %bb.91:                               ;   in Loop: Header=BB23_6 Depth=1
	v_dual_mov_b32 v3, v14 :: v_dual_mov_b32 v4, v0
	s_mov_b32 s21, 0
                                        ; implicit-def: $sgpr22
	s_set_inst_prefetch_distance 0x1
	s_branch .LBB23_93
	.p2align	6
.LBB23_92:                              ;   in Loop: Header=BB23_93 Depth=2
	s_or_b32 exec_lo, exec_lo, s11
	s_waitcnt vmcnt(0) lgkmcnt(0)
	s_barrier
	buffer_gl0_inv
	ds_load_u16 v27, v22 offset:3072
	v_add_nc_u32_e32 v4, s33, v4
	v_add_nc_u32_e32 v3, s43, v3
	s_waitcnt lgkmcnt(0)
	s_barrier
	buffer_gl0_inv
	v_cmp_le_u32_e32 vcc_lo, s73, v4
	v_and_b32_e32 v28, 0xff, v27
	s_delay_alu instid0(VALU_DEP_1) | instskip(NEXT) | instid1(VALU_DEP_1)
	v_cmp_ne_u16_e64 s11, 0, v28
	s_or_b32 s23, vcc_lo, s11
	s_delay_alu instid0(SALU_CYCLE_1) | instskip(NEXT) | instid1(SALU_CYCLE_1)
	s_and_b32 s23, exec_lo, s23
	s_or_b32 s21, s23, s21
	s_and_not1_b32 s22, s22, exec_lo
	s_and_b32 s11, s11, exec_lo
	s_delay_alu instid0(SALU_CYCLE_1)
	s_or_b32 s22, s22, s11
	s_and_not1_b32 exec_lo, exec_lo, s21
	s_cbranch_execz .LBB23_98
.LBB23_93:                              ;   Parent Loop BB23_6 Depth=1
                                        ; =>  This Inner Loop Header: Depth=2
	s_delay_alu instid0(VALU_DEP_1)
	v_cmp_gt_u32_e32 vcc_lo, s36, v4
	v_mov_b32_e32 v27, 0
	s_and_saveexec_b32 s11, vcc_lo
	s_cbranch_execz .LBB23_95
; %bb.94:                               ;   in Loop: Header=BB23_93 Depth=2
	global_load_u8 v27, v3, s[30:31]
.LBB23_95:                              ;   in Loop: Header=BB23_93 Depth=2
	s_or_b32 exec_lo, exec_lo, s11
	s_and_saveexec_b32 s11, vcc_lo
	s_cbranch_execz .LBB23_92
; %bb.96:                               ;   in Loop: Header=BB23_93 Depth=2
	s_waitcnt vmcnt(0)
	v_bfe_i32 v28, v27, 0, 8
	s_delay_alu instid0(VALU_DEP_1) | instskip(NEXT) | instid1(VALU_DEP_1)
	v_add_nc_u32_e32 v28, 0x80, v28
	v_and_b32_e32 v28, v28, v2
	s_delay_alu instid0(VALU_DEP_1)
	v_cmp_eq_u32_e32 vcc_lo, v28, v1
	s_and_b32 exec_lo, exec_lo, vcc_lo
	s_cbranch_execz .LBB23_92
; %bb.97:                               ;   in Loop: Header=BB23_93 Depth=2
	v_lshlrev_b16 v27, 8, v27
	s_delay_alu instid0(VALU_DEP_1)
	v_or_b32_e32 v27, 1, v27
	ds_store_b16 v22, v27 offset:3072
	s_branch .LBB23_92
.LBB23_98:                              ;   in Loop: Header=BB23_6 Depth=1
	s_set_inst_prefetch_distance 0x2
	s_or_b32 exec_lo, exec_lo, s21
	v_lshrrev_b16 v3, 8, v27
	s_and_b32 s11, s22, exec_lo
.LBB23_99:                              ;   in Loop: Header=BB23_6 Depth=1
	s_or_b32 exec_lo, exec_lo, s15
	s_mov_b32 s22, -1
	s_mov_b32 s15, 0
	s_mov_b32 s21, 0
.LBB23_100:                             ;   in Loop: Header=BB23_6 Depth=1
	s_or_not1_b32 s26, s11, exec_lo
.LBB23_101:                             ;   in Loop: Header=BB23_6 Depth=1
	s_or_b32 exec_lo, exec_lo, s20
	s_mov_b32 s23, 0
	s_mov_b32 s20, 0
	;; [unrolled: 1-line block ×3, first 2 shown]
                                        ; implicit-def: $vgpr27
                                        ; implicit-def: $vgpr4
	s_and_saveexec_b32 s24, s26
	s_cbranch_execz .LBB23_236
; %bb.102:                              ;   in Loop: Header=BB23_6 Depth=1
	v_dual_mov_b32 v4, 1 :: v_dual_mov_b32 v27, 1
	s_xor_b32 s25, s25, -1
	s_delay_alu instid0(SALU_CYCLE_1)
	s_and_saveexec_b32 s11, s25
	s_cbranch_execz .LBB23_112
; %bb.103:                              ;   in Loop: Header=BB23_6 Depth=1
	s_mov_b32 s25, exec_lo
                                        ; implicit-def: $sgpr26
                                        ; implicit-def: $sgpr20
	v_cmpx_ge_u32_e64 s12, v26
	s_xor_b32 s25, exec_lo, s25
	s_cbranch_execz .LBB23_109
; %bb.104:                              ;   in Loop: Header=BB23_6 Depth=1
	ds_load_b32 v4, v22 offset:4096
	s_waitcnt lgkmcnt(0)
	v_cmp_ne_u32_e32 vcc_lo, 0, v4
	s_cbranch_vccnz .LBB23_108
; %bb.105:                              ;   in Loop: Header=BB23_6 Depth=1
	s_and_saveexec_b32 s20, s5
	s_cbranch_execz .LBB23_107
; %bb.106:                              ;   in Loop: Header=BB23_6 Depth=1
	v_mov_b32_e32 v4, s12
	ds_store_b32 v22, v4 offset:4100
.LBB23_107:                             ;   in Loop: Header=BB23_6 Depth=1
	s_or_b32 exec_lo, exec_lo, s20
	s_waitcnt lgkmcnt(0)
	s_barrier
	buffer_gl0_inv
.LBB23_108:                             ;   in Loop: Header=BB23_6 Depth=1
	v_and_b32_e32 v1, s14, v1
	v_or_b32_e32 v2, s13, v2
	s_mov_b32 s20, 0
	s_mov_b32 s26, 8
.LBB23_109:                             ;   in Loop: Header=BB23_6 Depth=1
	s_or_saveexec_b32 s25, s25
	v_dual_mov_b32 v27, s26 :: v_dual_mov_b32 v4, v26
	s_xor_b32 exec_lo, exec_lo, s25
; %bb.110:                              ;   in Loop: Header=BB23_6 Depth=1
	v_subrev_nc_u32_e32 v4, s12, v26
	v_mov_b32_e32 v27, 0
	s_or_b32 s20, s20, exec_lo
; %bb.111:                              ;   in Loop: Header=BB23_6 Depth=1
	s_or_b32 exec_lo, exec_lo, s25
	s_delay_alu instid0(SALU_CYCLE_1)
	s_and_b32 s20, s20, exec_lo
.LBB23_112:                             ;   in Loop: Header=BB23_6 Depth=1
	s_or_b32 exec_lo, exec_lo, s11
	s_mov_b32 s11, -1
                                        ; implicit-def: $sgpr25
                                        ; implicit-def: $sgpr27
                                        ; implicit-def: $sgpr28
	s_and_saveexec_b32 s26, s20
	s_delay_alu instid0(SALU_CYCLE_1)
	s_xor_b32 s20, exec_lo, s26
	s_cbranch_execz .LBB23_233
; %bb.113:                              ;   in Loop: Header=BB23_6 Depth=1
	v_cmp_eq_u32_e32 vcc_lo, 1, v4
	s_cmp_eq_u32 s16, 1
                                        ; implicit-def: $sgpr25
                                        ; implicit-def: $sgpr27
                                        ; implicit-def: $sgpr26
	s_cselect_b32 s11, -1, 0
	s_delay_alu instid0(SALU_CYCLE_1)
	s_and_b32 s29, s11, vcc_lo
	s_mov_b32 s11, -1
	s_and_saveexec_b32 s28, s29
	s_cbranch_execz .LBB23_139
; %bb.114:                              ;   in Loop: Header=BB23_6 Depth=1
	ds_load_b32 v3, v22 offset:4096
	s_waitcnt lgkmcnt(0)
	s_barrier
	buffer_gl0_inv
	v_readfirstlane_b32 s25, v3
	s_and_saveexec_b32 s11, s6
	s_cbranch_execz .LBB23_116
; %bb.115:                              ;   in Loop: Header=BB23_6 Depth=1
	ds_store_b8 v0, v15 offset:3072
.LBB23_116:                             ;   in Loop: Header=BB23_6 Depth=1
	s_or_b32 exec_lo, exec_lo, s11
	s_lshl_b32 s11, 1, s17
	v_or_b32_e32 v2, s13, v2
	v_and_or_b32 v1, v1, s14, s11
	s_cmp_eq_u32 s25, 0
	s_waitcnt lgkmcnt(0)
	s_barrier
	buffer_gl0_inv
	s_cbranch_scc1 .LBB23_125
; %bb.117:                              ;   in Loop: Header=BB23_6 Depth=1
	s_add_i32 s11, s25, s65
                                        ; implicit-def: $vgpr3
	s_delay_alu instid0(SALU_CYCLE_1) | instskip(NEXT) | instid1(SALU_CYCLE_1)
	s_mul_hi_u32 s26, s11, s71
	s_mul_i32 s26, s26, s33
	s_delay_alu instid0(SALU_CYCLE_1) | instskip(NEXT) | instid1(SALU_CYCLE_1)
	s_sub_i32 s26, s11, s26
	s_sub_i32 s27, s26, s33
	s_cmp_ge_u32 s26, s33
	s_cselect_b32 s26, s27, s26
	s_delay_alu instid0(SALU_CYCLE_1) | instskip(SKIP_2) | instid1(SALU_CYCLE_1)
	s_sub_i32 s27, s26, s33
	s_cmp_ge_u32 s26, s33
	s_cselect_b32 s26, s27, s26
	s_sub_i32 s27, s11, s26
	s_mov_b32 s11, 0
	s_mov_b32 s26, exec_lo
	v_cmpx_gt_u32_e64 s27, v0
	s_cbranch_execz .LBB23_127
; %bb.118:                              ;   in Loop: Header=BB23_6 Depth=1
	v_mov_b32_e32 v3, v0
	s_mov_b32 s87, 0
                                        ; implicit-def: $sgpr88
	s_set_inst_prefetch_distance 0x1
	s_branch .LBB23_120
	.p2align	6
.LBB23_119:                             ;   in Loop: Header=BB23_120 Depth=2
	s_or_b32 exec_lo, exec_lo, s11
	s_waitcnt lgkmcnt(0)
	s_barrier
	buffer_gl0_inv
	ds_load_u16 v27, v22 offset:3072
	v_add_nc_u32_e32 v3, s33, v3
	s_waitcnt lgkmcnt(0)
	s_barrier
	buffer_gl0_inv
	v_cmp_le_u32_e32 vcc_lo, s27, v3
	v_and_b32_e32 v28, 0xff, v27
	s_delay_alu instid0(VALU_DEP_1) | instskip(NEXT) | instid1(VALU_DEP_1)
	v_cmp_ne_u16_e64 s11, 0, v28
	s_or_b32 s89, vcc_lo, s11
	s_delay_alu instid0(SALU_CYCLE_1) | instskip(NEXT) | instid1(SALU_CYCLE_1)
	s_and_b32 s89, exec_lo, s89
	s_or_b32 s87, s89, s87
	s_and_not1_b32 s88, s88, exec_lo
	s_and_b32 s11, s11, exec_lo
	s_delay_alu instid0(SALU_CYCLE_1)
	s_or_b32 s88, s88, s11
	s_and_not1_b32 exec_lo, exec_lo, s87
	s_cbranch_execz .LBB23_126
.LBB23_120:                             ;   Parent Loop BB23_6 Depth=1
                                        ; =>  This Inner Loop Header: Depth=2
	s_delay_alu instid0(VALU_DEP_1)
	v_cmp_gt_u32_e32 vcc_lo, s25, v3
	v_mov_b32_e32 v27, 0
	s_and_saveexec_b32 s11, vcc_lo
	s_cbranch_execz .LBB23_122
; %bb.121:                              ;   in Loop: Header=BB23_120 Depth=2
	ds_load_u8 v27, v3
.LBB23_122:                             ;   in Loop: Header=BB23_120 Depth=2
	s_or_b32 exec_lo, exec_lo, s11
	s_and_saveexec_b32 s11, vcc_lo
	s_cbranch_execz .LBB23_119
; %bb.123:                              ;   in Loop: Header=BB23_120 Depth=2
	s_waitcnt lgkmcnt(0)
	v_bfe_i32 v28, v27, 0, 8
	s_delay_alu instid0(VALU_DEP_1) | instskip(NEXT) | instid1(VALU_DEP_1)
	v_add_nc_u32_e32 v28, 0x80, v28
	v_and_b32_e32 v28, v28, v2
	s_delay_alu instid0(VALU_DEP_1)
	v_cmp_eq_u32_e32 vcc_lo, v28, v1
	s_and_b32 exec_lo, exec_lo, vcc_lo
	s_cbranch_execz .LBB23_119
; %bb.124:                              ;   in Loop: Header=BB23_120 Depth=2
	v_lshlrev_b16 v27, 8, v27
	s_delay_alu instid0(VALU_DEP_1)
	v_or_b32_e32 v27, 1, v27
	ds_store_b16 v22, v27 offset:3072
	s_branch .LBB23_119
.LBB23_125:                             ;   in Loop: Header=BB23_6 Depth=1
	s_mov_b32 s25, -1
	s_mov_b32 s11, 0
                                        ; implicit-def: $sgpr26
                                        ; implicit-def: $vgpr3
	s_mov_b32 s27, s25
	s_cbranch_execnz .LBB23_128
	s_branch .LBB23_138
.LBB23_126:                             ;   in Loop: Header=BB23_6 Depth=1
	s_set_inst_prefetch_distance 0x2
	s_or_b32 exec_lo, exec_lo, s87
	v_lshrrev_b16 v3, 8, v27
	s_and_b32 s11, s88, exec_lo
.LBB23_127:                             ;   in Loop: Header=BB23_6 Depth=1
	s_or_b32 exec_lo, exec_lo, s26
	s_mov_b32 s26, -1
	s_mov_b32 s25, 0
	s_delay_alu instid0(SALU_CYCLE_1)
	s_mov_b32 s27, s25
	s_branch .LBB23_138
.LBB23_128:                             ;   in Loop: Header=BB23_6 Depth=1
	s_mov_b32 s11, 0
                                        ; implicit-def: $vgpr3
	s_and_saveexec_b32 s25, s9
	s_cbranch_execz .LBB23_137
; %bb.129:                              ;   in Loop: Header=BB23_6 Depth=1
	v_mov_b32_e32 v3, v14
	v_mov_b32_e32 v27, v0
	s_mov_b32 s26, 0
                                        ; implicit-def: $sgpr27
	s_set_inst_prefetch_distance 0x1
	s_branch .LBB23_131
	.p2align	6
.LBB23_130:                             ;   in Loop: Header=BB23_131 Depth=2
	s_or_b32 exec_lo, exec_lo, s11
	s_waitcnt vmcnt(0) lgkmcnt(0)
	s_barrier
	buffer_gl0_inv
	ds_load_u16 v28, v22 offset:3072
	v_add_nc_u32_e32 v27, s33, v27
	v_add_nc_u32_e32 v3, s43, v3
	s_waitcnt lgkmcnt(0)
	s_barrier
	buffer_gl0_inv
	v_cmp_le_u32_e32 vcc_lo, s73, v27
	v_and_b32_e32 v29, 0xff, v28
	s_delay_alu instid0(VALU_DEP_1) | instskip(NEXT) | instid1(VALU_DEP_1)
	v_cmp_ne_u16_e64 s11, 0, v29
	s_or_b32 s87, vcc_lo, s11
	s_delay_alu instid0(SALU_CYCLE_1) | instskip(NEXT) | instid1(SALU_CYCLE_1)
	s_and_b32 s87, exec_lo, s87
	s_or_b32 s26, s87, s26
	s_and_not1_b32 s27, s27, exec_lo
	s_and_b32 s11, s11, exec_lo
	s_delay_alu instid0(SALU_CYCLE_1)
	s_or_b32 s27, s27, s11
	s_and_not1_b32 exec_lo, exec_lo, s26
	s_cbranch_execz .LBB23_136
.LBB23_131:                             ;   Parent Loop BB23_6 Depth=1
                                        ; =>  This Inner Loop Header: Depth=2
	s_delay_alu instid0(VALU_DEP_1)
	v_cmp_gt_u32_e32 vcc_lo, s36, v27
	v_mov_b32_e32 v28, 0
	s_and_saveexec_b32 s11, vcc_lo
	s_cbranch_execz .LBB23_133
; %bb.132:                              ;   in Loop: Header=BB23_131 Depth=2
	global_load_u8 v28, v3, s[30:31]
.LBB23_133:                             ;   in Loop: Header=BB23_131 Depth=2
	s_or_b32 exec_lo, exec_lo, s11
	s_and_saveexec_b32 s11, vcc_lo
	s_cbranch_execz .LBB23_130
; %bb.134:                              ;   in Loop: Header=BB23_131 Depth=2
	s_waitcnt vmcnt(0)
	v_bfe_i32 v29, v28, 0, 8
	s_delay_alu instid0(VALU_DEP_1) | instskip(NEXT) | instid1(VALU_DEP_1)
	v_add_nc_u32_e32 v29, 0x80, v29
	v_and_b32_e32 v29, v29, v2
	s_delay_alu instid0(VALU_DEP_1)
	v_cmp_eq_u32_e32 vcc_lo, v29, v1
	s_and_b32 exec_lo, exec_lo, vcc_lo
	s_cbranch_execz .LBB23_130
; %bb.135:                              ;   in Loop: Header=BB23_131 Depth=2
	v_lshlrev_b16 v28, 8, v28
	s_delay_alu instid0(VALU_DEP_1)
	v_or_b32_e32 v28, 1, v28
	ds_store_b16 v22, v28 offset:3072
	s_branch .LBB23_130
.LBB23_136:                             ;   in Loop: Header=BB23_6 Depth=1
	s_set_inst_prefetch_distance 0x2
	s_or_b32 exec_lo, exec_lo, s26
	v_lshrrev_b16 v3, 8, v28
	s_and_b32 s11, s27, exec_lo
.LBB23_137:                             ;   in Loop: Header=BB23_6 Depth=1
	s_or_b32 exec_lo, exec_lo, s25
	s_mov_b32 s27, -1
	s_mov_b32 s25, 0
	s_mov_b32 s26, 0
.LBB23_138:                             ;   in Loop: Header=BB23_6 Depth=1
	s_or_not1_b32 s11, s11, exec_lo
.LBB23_139:                             ;   in Loop: Header=BB23_6 Depth=1
	s_or_b32 exec_lo, exec_lo, s28
	s_mov_b32 s87, 0
                                        ; implicit-def: $vgpr27
	s_and_saveexec_b32 s28, s11
	s_cbranch_execz .LBB23_232
; %bb.140:                              ;   in Loop: Header=BB23_6 Depth=1
	v_dual_mov_b32 v28, 1 :: v_dual_mov_b32 v27, 1
	s_xor_b32 s29, s29, -1
	s_mov_b32 s88, 0
	s_and_saveexec_b32 s11, s29
	s_cbranch_execz .LBB23_150
; %bb.141:                              ;   in Loop: Header=BB23_6 Depth=1
	s_mov_b32 s87, exec_lo
                                        ; implicit-def: $sgpr88
                                        ; implicit-def: $sgpr29
	v_cmpx_ge_u32_e64 s16, v4
	s_xor_b32 s87, exec_lo, s87
	s_cbranch_execz .LBB23_147
; %bb.142:                              ;   in Loop: Header=BB23_6 Depth=1
	ds_load_b32 v27, v22 offset:4096
	s_waitcnt lgkmcnt(0)
	v_cmp_ne_u32_e32 vcc_lo, 0, v27
	s_cbranch_vccnz .LBB23_146
; %bb.143:                              ;   in Loop: Header=BB23_6 Depth=1
	s_and_saveexec_b32 s29, s5
	s_cbranch_execz .LBB23_145
; %bb.144:                              ;   in Loop: Header=BB23_6 Depth=1
	v_mov_b32_e32 v27, s16
	ds_store_b32 v22, v27 offset:4100
.LBB23_145:                             ;   in Loop: Header=BB23_6 Depth=1
	s_or_b32 exec_lo, exec_lo, s29
	s_waitcnt lgkmcnt(0)
	s_barrier
	buffer_gl0_inv
.LBB23_146:                             ;   in Loop: Header=BB23_6 Depth=1
	s_lshl_b32 s29, 1, s17
	v_or_b32_e32 v2, s13, v2
	v_and_or_b32 v1, v1, s14, s29
	s_mov_b32 s29, 0
	s_mov_b32 s88, 8
.LBB23_147:                             ;   in Loop: Header=BB23_6 Depth=1
	s_or_saveexec_b32 s87, s87
	v_mov_b32_e32 v27, s88
	s_xor_b32 exec_lo, exec_lo, s87
; %bb.148:                              ;   in Loop: Header=BB23_6 Depth=1
	v_subrev_nc_u32_e32 v4, s16, v4
	v_mov_b32_e32 v27, 0
	s_or_b32 s29, s29, exec_lo
; %bb.149:                              ;   in Loop: Header=BB23_6 Depth=1
	s_or_b32 exec_lo, exec_lo, s87
	s_delay_alu instid0(VALU_DEP_2)
	v_mov_b32_e32 v28, v4
	s_and_b32 s88, s29, exec_lo
.LBB23_150:                             ;   in Loop: Header=BB23_6 Depth=1
	s_or_b32 exec_lo, exec_lo, s11
	s_mov_b32 s11, -1
                                        ; implicit-def: $sgpr87
                                        ; implicit-def: $sgpr89
                                        ; implicit-def: $sgpr90
	s_and_saveexec_b32 s29, s88
	s_cbranch_execz .LBB23_231
; %bb.151:                              ;   in Loop: Header=BB23_6 Depth=1
	v_cmp_eq_u32_e32 vcc_lo, 1, v28
	s_cmp_eq_u32 s18, 1
                                        ; implicit-def: $sgpr87
                                        ; implicit-def: $sgpr89
                                        ; implicit-def: $sgpr88
	s_cselect_b32 s11, -1, 0
	s_delay_alu instid0(SALU_CYCLE_1)
	s_and_b32 s91, s11, vcc_lo
	s_mov_b32 s11, -1
	s_and_saveexec_b32 s90, s91
	s_cbranch_execz .LBB23_177
; %bb.152:                              ;   in Loop: Header=BB23_6 Depth=1
	ds_load_b32 v3, v22 offset:4096
	s_waitcnt lgkmcnt(0)
	s_barrier
	buffer_gl0_inv
	v_readfirstlane_b32 s87, v3
	s_and_saveexec_b32 s11, s6
	s_cbranch_execz .LBB23_154
; %bb.153:                              ;   in Loop: Header=BB23_6 Depth=1
	ds_store_b8 v0, v15 offset:3072
.LBB23_154:                             ;   in Loop: Header=BB23_6 Depth=1
	s_or_b32 exec_lo, exec_lo, s11
	s_lshl_b32 s11, 2, s17
	v_or_b32_e32 v2, s13, v2
	v_and_or_b32 v1, v1, s14, s11
	s_cmp_eq_u32 s87, 0
	s_waitcnt lgkmcnt(0)
	s_barrier
	buffer_gl0_inv
	s_cbranch_scc1 .LBB23_163
; %bb.155:                              ;   in Loop: Header=BB23_6 Depth=1
	s_add_i32 s11, s87, s65
                                        ; implicit-def: $vgpr3
	s_delay_alu instid0(SALU_CYCLE_1) | instskip(NEXT) | instid1(SALU_CYCLE_1)
	s_mul_hi_u32 s88, s11, s71
	s_mul_i32 s88, s88, s33
	s_delay_alu instid0(SALU_CYCLE_1) | instskip(NEXT) | instid1(SALU_CYCLE_1)
	s_sub_i32 s88, s11, s88
	s_sub_i32 s89, s88, s33
	s_cmp_ge_u32 s88, s33
	s_cselect_b32 s88, s89, s88
	s_delay_alu instid0(SALU_CYCLE_1) | instskip(SKIP_2) | instid1(SALU_CYCLE_1)
	s_sub_i32 s89, s88, s33
	s_cmp_ge_u32 s88, s33
	s_cselect_b32 s88, s89, s88
	s_sub_i32 s89, s11, s88
	s_mov_b32 s11, 0
	s_mov_b32 s88, exec_lo
	v_cmpx_gt_u32_e64 s89, v0
	s_cbranch_execz .LBB23_165
; %bb.156:                              ;   in Loop: Header=BB23_6 Depth=1
	v_mov_b32_e32 v3, v0
	s_mov_b32 s92, 0
                                        ; implicit-def: $sgpr93
	s_set_inst_prefetch_distance 0x1
	s_branch .LBB23_158
	.p2align	6
.LBB23_157:                             ;   in Loop: Header=BB23_158 Depth=2
	s_or_b32 exec_lo, exec_lo, s11
	s_waitcnt lgkmcnt(0)
	s_barrier
	buffer_gl0_inv
	ds_load_u16 v4, v22 offset:3072
	v_add_nc_u32_e32 v3, s33, v3
	s_waitcnt lgkmcnt(0)
	s_barrier
	buffer_gl0_inv
	v_cmp_le_u32_e32 vcc_lo, s89, v3
	v_and_b32_e32 v27, 0xff, v4
	s_delay_alu instid0(VALU_DEP_1) | instskip(NEXT) | instid1(VALU_DEP_1)
	v_cmp_ne_u16_e64 s11, 0, v27
	s_or_b32 s94, vcc_lo, s11
	s_delay_alu instid0(SALU_CYCLE_1) | instskip(NEXT) | instid1(SALU_CYCLE_1)
	s_and_b32 s94, exec_lo, s94
	s_or_b32 s92, s94, s92
	s_and_not1_b32 s93, s93, exec_lo
	s_and_b32 s11, s11, exec_lo
	s_delay_alu instid0(SALU_CYCLE_1)
	s_or_b32 s93, s93, s11
	s_and_not1_b32 exec_lo, exec_lo, s92
	s_cbranch_execz .LBB23_164
.LBB23_158:                             ;   Parent Loop BB23_6 Depth=1
                                        ; =>  This Inner Loop Header: Depth=2
	s_delay_alu instid0(VALU_DEP_1)
	v_cmp_gt_u32_e32 vcc_lo, s87, v3
	v_mov_b32_e32 v4, 0
	s_and_saveexec_b32 s11, vcc_lo
	s_cbranch_execz .LBB23_160
; %bb.159:                              ;   in Loop: Header=BB23_158 Depth=2
	ds_load_u8 v4, v3
.LBB23_160:                             ;   in Loop: Header=BB23_158 Depth=2
	s_or_b32 exec_lo, exec_lo, s11
	s_and_saveexec_b32 s11, vcc_lo
	s_cbranch_execz .LBB23_157
; %bb.161:                              ;   in Loop: Header=BB23_158 Depth=2
	s_waitcnt lgkmcnt(0)
	v_bfe_i32 v27, v4, 0, 8
	s_delay_alu instid0(VALU_DEP_1) | instskip(NEXT) | instid1(VALU_DEP_1)
	v_add_nc_u32_e32 v27, 0x80, v27
	v_and_b32_e32 v27, v27, v2
	s_delay_alu instid0(VALU_DEP_1)
	v_cmp_eq_u32_e32 vcc_lo, v27, v1
	s_and_b32 exec_lo, exec_lo, vcc_lo
	s_cbranch_execz .LBB23_157
; %bb.162:                              ;   in Loop: Header=BB23_158 Depth=2
	v_lshlrev_b16 v4, 8, v4
	s_delay_alu instid0(VALU_DEP_1)
	v_or_b32_e32 v4, 1, v4
	ds_store_b16 v22, v4 offset:3072
	s_branch .LBB23_157
.LBB23_163:                             ;   in Loop: Header=BB23_6 Depth=1
	s_mov_b32 s87, -1
	s_mov_b32 s11, 0
                                        ; implicit-def: $sgpr88
                                        ; implicit-def: $vgpr3
	s_mov_b32 s89, s87
	s_cbranch_execnz .LBB23_166
	s_branch .LBB23_176
.LBB23_164:                             ;   in Loop: Header=BB23_6 Depth=1
	s_set_inst_prefetch_distance 0x2
	s_or_b32 exec_lo, exec_lo, s92
	v_lshrrev_b16 v3, 8, v4
	s_and_b32 s11, s93, exec_lo
.LBB23_165:                             ;   in Loop: Header=BB23_6 Depth=1
	s_or_b32 exec_lo, exec_lo, s88
	s_mov_b32 s88, -1
	s_mov_b32 s87, 0
	s_delay_alu instid0(SALU_CYCLE_1)
	s_mov_b32 s89, s87
	s_branch .LBB23_176
.LBB23_166:                             ;   in Loop: Header=BB23_6 Depth=1
	s_mov_b32 s11, 0
                                        ; implicit-def: $vgpr3
	s_and_saveexec_b32 s87, s9
	s_cbranch_execz .LBB23_175
; %bb.167:                              ;   in Loop: Header=BB23_6 Depth=1
	v_dual_mov_b32 v3, v14 :: v_dual_mov_b32 v4, v0
	s_mov_b32 s88, 0
                                        ; implicit-def: $sgpr89
	s_set_inst_prefetch_distance 0x1
	s_branch .LBB23_169
	.p2align	6
.LBB23_168:                             ;   in Loop: Header=BB23_169 Depth=2
	s_or_b32 exec_lo, exec_lo, s11
	s_waitcnt vmcnt(0) lgkmcnt(0)
	s_barrier
	buffer_gl0_inv
	ds_load_u16 v27, v22 offset:3072
	v_add_nc_u32_e32 v4, s33, v4
	v_add_nc_u32_e32 v3, s43, v3
	s_waitcnt lgkmcnt(0)
	s_barrier
	buffer_gl0_inv
	v_cmp_le_u32_e32 vcc_lo, s73, v4
	v_and_b32_e32 v29, 0xff, v27
	s_delay_alu instid0(VALU_DEP_1) | instskip(NEXT) | instid1(VALU_DEP_1)
	v_cmp_ne_u16_e64 s11, 0, v29
	s_or_b32 s92, vcc_lo, s11
	s_delay_alu instid0(SALU_CYCLE_1) | instskip(NEXT) | instid1(SALU_CYCLE_1)
	s_and_b32 s92, exec_lo, s92
	s_or_b32 s88, s92, s88
	s_and_not1_b32 s89, s89, exec_lo
	s_and_b32 s11, s11, exec_lo
	s_delay_alu instid0(SALU_CYCLE_1)
	s_or_b32 s89, s89, s11
	s_and_not1_b32 exec_lo, exec_lo, s88
	s_cbranch_execz .LBB23_174
.LBB23_169:                             ;   Parent Loop BB23_6 Depth=1
                                        ; =>  This Inner Loop Header: Depth=2
	s_delay_alu instid0(VALU_DEP_1)
	v_cmp_gt_u32_e32 vcc_lo, s36, v4
	v_mov_b32_e32 v27, 0
	s_and_saveexec_b32 s11, vcc_lo
	s_cbranch_execz .LBB23_171
; %bb.170:                              ;   in Loop: Header=BB23_169 Depth=2
	global_load_u8 v27, v3, s[30:31]
.LBB23_171:                             ;   in Loop: Header=BB23_169 Depth=2
	s_or_b32 exec_lo, exec_lo, s11
	s_and_saveexec_b32 s11, vcc_lo
	s_cbranch_execz .LBB23_168
; %bb.172:                              ;   in Loop: Header=BB23_169 Depth=2
	s_waitcnt vmcnt(0)
	v_bfe_i32 v29, v27, 0, 8
	s_delay_alu instid0(VALU_DEP_1) | instskip(NEXT) | instid1(VALU_DEP_1)
	v_add_nc_u32_e32 v29, 0x80, v29
	v_and_b32_e32 v29, v29, v2
	s_delay_alu instid0(VALU_DEP_1)
	v_cmp_eq_u32_e32 vcc_lo, v29, v1
	s_and_b32 exec_lo, exec_lo, vcc_lo
	s_cbranch_execz .LBB23_168
; %bb.173:                              ;   in Loop: Header=BB23_169 Depth=2
	v_lshlrev_b16 v27, 8, v27
	s_delay_alu instid0(VALU_DEP_1)
	v_or_b32_e32 v27, 1, v27
	ds_store_b16 v22, v27 offset:3072
	s_branch .LBB23_168
.LBB23_174:                             ;   in Loop: Header=BB23_6 Depth=1
	s_set_inst_prefetch_distance 0x2
	s_or_b32 exec_lo, exec_lo, s88
	v_lshrrev_b16 v3, 8, v27
	s_and_b32 s11, s89, exec_lo
.LBB23_175:                             ;   in Loop: Header=BB23_6 Depth=1
	s_or_b32 exec_lo, exec_lo, s87
	s_mov_b32 s89, -1
	s_mov_b32 s87, 0
	s_mov_b32 s88, 0
.LBB23_176:                             ;   in Loop: Header=BB23_6 Depth=1
	s_or_not1_b32 s11, s11, exec_lo
.LBB23_177:                             ;   in Loop: Header=BB23_6 Depth=1
	s_or_b32 exec_lo, exec_lo, s90
	s_mov_b32 s92, 0
                                        ; implicit-def: $vgpr27
	s_and_saveexec_b32 s90, s11
	s_cbranch_execz .LBB23_230
; %bb.178:                              ;   in Loop: Header=BB23_6 Depth=1
	v_dual_mov_b32 v4, 1 :: v_dual_mov_b32 v27, 1
	s_xor_b32 s91, s91, -1
	s_mov_b32 s93, 0
	s_and_saveexec_b32 s11, s91
	s_cbranch_execz .LBB23_188
; %bb.179:                              ;   in Loop: Header=BB23_6 Depth=1
	s_mov_b32 s92, exec_lo
                                        ; implicit-def: $sgpr93
                                        ; implicit-def: $sgpr91
	v_cmpx_ge_u32_e64 s18, v28
	s_xor_b32 s92, exec_lo, s92
	s_cbranch_execz .LBB23_185
; %bb.180:                              ;   in Loop: Header=BB23_6 Depth=1
	ds_load_b32 v4, v22 offset:4096
	s_waitcnt lgkmcnt(0)
	v_cmp_ne_u32_e32 vcc_lo, 0, v4
	s_cbranch_vccnz .LBB23_184
; %bb.181:                              ;   in Loop: Header=BB23_6 Depth=1
	s_and_saveexec_b32 s91, s5
	s_cbranch_execz .LBB23_183
; %bb.182:                              ;   in Loop: Header=BB23_6 Depth=1
	v_mov_b32_e32 v4, s18
	ds_store_b32 v22, v4 offset:4100
.LBB23_183:                             ;   in Loop: Header=BB23_6 Depth=1
	s_or_b32 exec_lo, exec_lo, s91
	s_waitcnt lgkmcnt(0)
	s_barrier
	buffer_gl0_inv
.LBB23_184:                             ;   in Loop: Header=BB23_6 Depth=1
	s_lshl_b32 s91, 2, s17
	v_or_b32_e32 v2, s13, v2
	v_and_or_b32 v1, v1, s14, s91
	s_mov_b32 s91, 0
	s_mov_b32 s93, 8
.LBB23_185:                             ;   in Loop: Header=BB23_6 Depth=1
	s_or_saveexec_b32 s92, s92
	v_mov_b32_e32 v27, s93
	s_xor_b32 exec_lo, exec_lo, s92
; %bb.186:                              ;   in Loop: Header=BB23_6 Depth=1
	v_subrev_nc_u32_e32 v28, s18, v28
	v_mov_b32_e32 v27, 0
	s_or_b32 s91, s91, exec_lo
; %bb.187:                              ;   in Loop: Header=BB23_6 Depth=1
	s_or_b32 exec_lo, exec_lo, s92
	s_delay_alu instid0(VALU_DEP_2)
	v_mov_b32_e32 v4, v28
	s_and_b32 s93, s91, exec_lo
.LBB23_188:                             ;   in Loop: Header=BB23_6 Depth=1
	s_or_b32 exec_lo, exec_lo, s11
	s_mov_b32 s92, -1
                                        ; implicit-def: $sgpr11
                                        ; implicit-def: $sgpr95
                                        ; implicit-def: $sgpr94
	s_and_saveexec_b32 s91, s93
	s_cbranch_execz .LBB23_229
; %bb.189:                              ;   in Loop: Header=BB23_6 Depth=1
	v_cmp_eq_u32_e32 vcc_lo, 1, v4
	s_cmp_eq_u32 s19, 1
	s_mov_b32 s96, -1
	s_cselect_b32 s11, -1, 0
                                        ; implicit-def: $sgpr95
                                        ; implicit-def: $sgpr94
	s_delay_alu instid0(SALU_CYCLE_1) | instskip(NEXT) | instid1(SALU_CYCLE_1)
	s_and_b32 s92, s11, vcc_lo
                                        ; implicit-def: $sgpr11
	s_and_saveexec_b32 s93, s92
	s_cbranch_execz .LBB23_216
; %bb.190:                              ;   in Loop: Header=BB23_6 Depth=1
	ds_load_b32 v3, v22 offset:4096
	s_waitcnt lgkmcnt(0)
	s_barrier
	buffer_gl0_inv
	v_readfirstlane_b32 s94, v3
	s_and_saveexec_b32 s11, s6
	s_cbranch_execz .LBB23_192
; %bb.191:                              ;   in Loop: Header=BB23_6 Depth=1
	ds_store_b8 v0, v15 offset:3072
.LBB23_192:                             ;   in Loop: Header=BB23_6 Depth=1
	s_or_b32 exec_lo, exec_lo, s11
	v_or_b32_e32 v1, s13, v1
	v_or_b32_e32 v2, s13, v2
	s_cmp_eq_u32 s94, 0
	s_waitcnt lgkmcnt(0)
	s_barrier
	buffer_gl0_inv
	s_cbranch_scc1 .LBB23_201
; %bb.193:                              ;   in Loop: Header=BB23_6 Depth=1
	s_add_i32 s11, s94, s65
                                        ; implicit-def: $vgpr3
	s_delay_alu instid0(SALU_CYCLE_1) | instskip(NEXT) | instid1(SALU_CYCLE_1)
	s_mul_hi_u32 s95, s11, s71
	s_mul_i32 s95, s95, s33
	s_delay_alu instid0(SALU_CYCLE_1) | instskip(NEXT) | instid1(SALU_CYCLE_1)
	s_sub_i32 s95, s11, s95
	s_sub_i32 s96, s95, s33
	s_cmp_ge_u32 s95, s33
	s_cselect_b32 s95, s96, s95
	s_delay_alu instid0(SALU_CYCLE_1)
	s_sub_i32 s96, s95, s33
	s_cmp_ge_u32 s95, s33
	s_cselect_b32 s95, s96, s95
	s_mov_b32 s96, 0
	s_sub_i32 s97, s11, s95
	s_mov_b32 s95, exec_lo
	v_cmpx_gt_u32_e64 s97, v0
	s_cbranch_execz .LBB23_203
; %bb.194:                              ;   in Loop: Header=BB23_6 Depth=1
	v_mov_b32_e32 v3, v0
                                        ; implicit-def: $sgpr98
	s_set_inst_prefetch_distance 0x1
	s_branch .LBB23_196
	.p2align	6
.LBB23_195:                             ;   in Loop: Header=BB23_196 Depth=2
	s_or_b32 exec_lo, exec_lo, s11
	s_waitcnt lgkmcnt(0)
	s_barrier
	buffer_gl0_inv
	ds_load_u16 v27, v22 offset:3072
	v_add_nc_u32_e32 v3, s33, v3
	s_waitcnt lgkmcnt(0)
	s_barrier
	buffer_gl0_inv
	v_cmp_le_u32_e32 vcc_lo, s97, v3
	v_and_b32_e32 v28, 0xff, v27
	s_delay_alu instid0(VALU_DEP_1) | instskip(NEXT) | instid1(VALU_DEP_1)
	v_cmp_ne_u16_e64 s11, 0, v28
	s_or_b32 s99, vcc_lo, s11
	s_delay_alu instid0(SALU_CYCLE_1) | instskip(NEXT) | instid1(SALU_CYCLE_1)
	s_and_b32 s99, exec_lo, s99
	s_or_b32 s96, s99, s96
	s_and_not1_b32 s98, s98, exec_lo
	s_and_b32 s11, s11, exec_lo
	s_delay_alu instid0(SALU_CYCLE_1)
	s_or_b32 s98, s98, s11
	s_and_not1_b32 exec_lo, exec_lo, s96
	s_cbranch_execz .LBB23_202
.LBB23_196:                             ;   Parent Loop BB23_6 Depth=1
                                        ; =>  This Inner Loop Header: Depth=2
	s_delay_alu instid0(VALU_DEP_1)
	v_cmp_gt_u32_e32 vcc_lo, s94, v3
	v_mov_b32_e32 v27, 0
	s_and_saveexec_b32 s11, vcc_lo
	s_cbranch_execz .LBB23_198
; %bb.197:                              ;   in Loop: Header=BB23_196 Depth=2
	ds_load_u8 v27, v3
.LBB23_198:                             ;   in Loop: Header=BB23_196 Depth=2
	s_or_b32 exec_lo, exec_lo, s11
	s_and_saveexec_b32 s11, vcc_lo
	s_cbranch_execz .LBB23_195
; %bb.199:                              ;   in Loop: Header=BB23_196 Depth=2
	s_waitcnt lgkmcnt(0)
	v_bfe_i32 v28, v27, 0, 8
	s_delay_alu instid0(VALU_DEP_1) | instskip(NEXT) | instid1(VALU_DEP_1)
	v_add_nc_u32_e32 v28, 0x80, v28
	v_and_b32_e32 v28, v28, v2
	s_delay_alu instid0(VALU_DEP_1)
	v_cmp_eq_u32_e32 vcc_lo, v28, v1
	s_and_b32 exec_lo, exec_lo, vcc_lo
	s_cbranch_execz .LBB23_195
; %bb.200:                              ;   in Loop: Header=BB23_196 Depth=2
	v_lshlrev_b16 v27, 8, v27
	s_delay_alu instid0(VALU_DEP_1)
	v_or_b32_e32 v27, 1, v27
	ds_store_b16 v22, v27 offset:3072
	s_branch .LBB23_195
.LBB23_201:                             ;   in Loop: Header=BB23_6 Depth=1
	s_mov_b32 s11, -1
	s_mov_b32 s96, 0
                                        ; implicit-def: $sgpr94
                                        ; implicit-def: $vgpr3
	s_branch .LBB23_204
.LBB23_202:                             ;   in Loop: Header=BB23_6 Depth=1
	s_set_inst_prefetch_distance 0x2
	s_or_b32 exec_lo, exec_lo, s96
	v_lshrrev_b16 v3, 8, v27
	s_and_b32 s96, s98, exec_lo
.LBB23_203:                             ;   in Loop: Header=BB23_6 Depth=1
	s_or_b32 exec_lo, exec_lo, s95
	s_mov_b32 s94, -1
	s_mov_b32 s11, 0
.LBB23_204:                             ;   in Loop: Header=BB23_6 Depth=1
	s_delay_alu instid0(SALU_CYCLE_1)
	s_and_b32 vcc_lo, exec_lo, s11
	s_mov_b32 s95, s11
	s_cbranch_vccz .LBB23_215
; %bb.205:                              ;   in Loop: Header=BB23_6 Depth=1
	s_mov_b32 s96, 0
                                        ; implicit-def: $vgpr3
	s_and_saveexec_b32 s94, s9
	s_cbranch_execz .LBB23_214
; %bb.206:                              ;   in Loop: Header=BB23_6 Depth=1
	v_mov_b32_e32 v3, v14
	v_mov_b32_e32 v27, v0
	s_mov_b32 s95, 0
                                        ; implicit-def: $sgpr96
	s_set_inst_prefetch_distance 0x1
	s_branch .LBB23_208
	.p2align	6
.LBB23_207:                             ;   in Loop: Header=BB23_208 Depth=2
	s_or_b32 exec_lo, exec_lo, s11
	s_waitcnt vmcnt(0) lgkmcnt(0)
	s_barrier
	buffer_gl0_inv
	ds_load_u16 v28, v22 offset:3072
	v_add_nc_u32_e32 v27, s33, v27
	v_add_nc_u32_e32 v3, s43, v3
	s_waitcnt lgkmcnt(0)
	s_barrier
	buffer_gl0_inv
	v_cmp_le_u32_e32 vcc_lo, s73, v27
	v_and_b32_e32 v29, 0xff, v28
	s_delay_alu instid0(VALU_DEP_1) | instskip(NEXT) | instid1(VALU_DEP_1)
	v_cmp_ne_u16_e64 s11, 0, v29
	s_or_b32 s97, vcc_lo, s11
	s_delay_alu instid0(SALU_CYCLE_1) | instskip(NEXT) | instid1(SALU_CYCLE_1)
	s_and_b32 s97, exec_lo, s97
	s_or_b32 s95, s97, s95
	s_and_not1_b32 s96, s96, exec_lo
	s_and_b32 s11, s11, exec_lo
	s_delay_alu instid0(SALU_CYCLE_1)
	s_or_b32 s96, s96, s11
	s_and_not1_b32 exec_lo, exec_lo, s95
	s_cbranch_execz .LBB23_213
.LBB23_208:                             ;   Parent Loop BB23_6 Depth=1
                                        ; =>  This Inner Loop Header: Depth=2
	s_delay_alu instid0(VALU_DEP_1)
	v_cmp_gt_u32_e32 vcc_lo, s36, v27
	v_mov_b32_e32 v28, 0
	s_and_saveexec_b32 s11, vcc_lo
	s_cbranch_execz .LBB23_210
; %bb.209:                              ;   in Loop: Header=BB23_208 Depth=2
	global_load_u8 v28, v3, s[30:31]
.LBB23_210:                             ;   in Loop: Header=BB23_208 Depth=2
	s_or_b32 exec_lo, exec_lo, s11
	s_and_saveexec_b32 s11, vcc_lo
	s_cbranch_execz .LBB23_207
; %bb.211:                              ;   in Loop: Header=BB23_208 Depth=2
	s_waitcnt vmcnt(0)
	v_bfe_i32 v29, v28, 0, 8
	s_delay_alu instid0(VALU_DEP_1) | instskip(NEXT) | instid1(VALU_DEP_1)
	v_add_nc_u32_e32 v29, 0x80, v29
	v_and_b32_e32 v29, v29, v2
	s_delay_alu instid0(VALU_DEP_1)
	v_cmp_eq_u32_e32 vcc_lo, v29, v1
	s_and_b32 exec_lo, exec_lo, vcc_lo
	s_cbranch_execz .LBB23_207
; %bb.212:                              ;   in Loop: Header=BB23_208 Depth=2
	v_lshlrev_b16 v28, 8, v28
	s_delay_alu instid0(VALU_DEP_1)
	v_or_b32_e32 v28, 1, v28
	ds_store_b16 v22, v28 offset:3072
	s_branch .LBB23_207
.LBB23_213:                             ;   in Loop: Header=BB23_6 Depth=1
	s_set_inst_prefetch_distance 0x2
	s_or_b32 exec_lo, exec_lo, s95
	v_lshrrev_b16 v3, 8, v28
	s_and_b32 s96, s96, exec_lo
.LBB23_214:                             ;   in Loop: Header=BB23_6 Depth=1
	s_or_b32 exec_lo, exec_lo, s94
	s_mov_b32 s95, -1
	s_mov_b32 s11, 0
	s_mov_b32 s94, 0
.LBB23_215:                             ;   in Loop: Header=BB23_6 Depth=1
	s_or_not1_b32 s96, s96, exec_lo
.LBB23_216:                             ;   in Loop: Header=BB23_6 Depth=1
	s_or_b32 exec_lo, exec_lo, s93
	s_mov_b32 s97, 0
                                        ; implicit-def: $vgpr27
                                        ; implicit-def: $vgpr28
	s_and_saveexec_b32 s93, s96
	s_cbranch_execz .LBB23_228
; %bb.217:                              ;   in Loop: Header=BB23_6 Depth=1
	v_dual_mov_b32 v27, 1 :: v_dual_mov_b32 v28, 1
	s_xor_b32 s96, s92, -1
	s_delay_alu instid0(SALU_CYCLE_1)
	s_and_saveexec_b32 s92, s96
	s_cbranch_execz .LBB23_227
; %bb.218:                              ;   in Loop: Header=BB23_6 Depth=1
	s_mov_b32 s96, exec_lo
                                        ; implicit-def: $sgpr97
	v_cmpx_ge_u32_e64 s19, v4
	s_xor_b32 s96, exec_lo, s96
	s_cbranch_execz .LBB23_224
; %bb.219:                              ;   in Loop: Header=BB23_6 Depth=1
	ds_load_b32 v27, v22 offset:4096
	s_waitcnt lgkmcnt(0)
	v_cmp_ne_u32_e32 vcc_lo, 0, v27
	s_cbranch_vccnz .LBB23_223
; %bb.220:                              ;   in Loop: Header=BB23_6 Depth=1
	s_and_saveexec_b32 s97, s5
	s_cbranch_execz .LBB23_222
; %bb.221:                              ;   in Loop: Header=BB23_6 Depth=1
	v_mov_b32_e32 v27, s19
	ds_store_b32 v22, v27 offset:4100
.LBB23_222:                             ;   in Loop: Header=BB23_6 Depth=1
	s_or_b32 exec_lo, exec_lo, s97
	s_waitcnt lgkmcnt(0)
	s_barrier
	buffer_gl0_inv
.LBB23_223:                             ;   in Loop: Header=BB23_6 Depth=1
	v_or_b32_e32 v1, s13, v1
	v_or_b32_e32 v2, s13, v2
	s_mov_b32 s97, 8
.LBB23_224:                             ;   in Loop: Header=BB23_6 Depth=1
	s_or_saveexec_b32 s96, s96
	v_mov_b32_e32 v27, s97
	s_xor_b32 exec_lo, exec_lo, s96
; %bb.225:                              ;   in Loop: Header=BB23_6 Depth=1
	v_subrev_nc_u32_e32 v4, s19, v4
	v_mov_b32_e32 v27, 8
; %bb.226:                              ;   in Loop: Header=BB23_6 Depth=1
	s_or_b32 exec_lo, exec_lo, s96
	s_delay_alu instid0(VALU_DEP_2)
	v_mov_b32_e32 v28, v4
.LBB23_227:                             ;   in Loop: Header=BB23_6 Depth=1
	s_or_b32 exec_lo, exec_lo, s92
	s_delay_alu instid0(SALU_CYCLE_1)
	s_mov_b32 s97, exec_lo
.LBB23_228:                             ;   in Loop: Header=BB23_6 Depth=1
	s_or_b32 exec_lo, exec_lo, s93
	s_delay_alu instid0(VALU_DEP_1)
	v_mov_b32_e32 v4, v28
	s_or_not1_b32 s92, s97, exec_lo
.LBB23_229:                             ;   in Loop: Header=BB23_6 Depth=1
	s_or_b32 exec_lo, exec_lo, s91
	s_delay_alu instid0(SALU_CYCLE_1)
	s_and_not1_b32 s87, s87, exec_lo
	s_and_b32 s11, s11, exec_lo
	v_mov_b32_e32 v28, v4
	s_or_b32 s87, s87, s11
	s_and_not1_b32 s11, s89, exec_lo
	s_and_b32 s89, s95, exec_lo
	s_and_not1_b32 s88, s88, exec_lo
	s_and_b32 s91, s94, exec_lo
	s_or_b32 s89, s11, s89
	s_or_b32 s88, s88, s91
	s_and_b32 s92, s92, exec_lo
.LBB23_230:                             ;   in Loop: Header=BB23_6 Depth=1
	s_or_b32 exec_lo, exec_lo, s90
	s_delay_alu instid0(SALU_CYCLE_1)
	s_and_b32 s90, s87, exec_lo
	s_and_b32 s89, s89, exec_lo
	;; [unrolled: 1-line block ×3, first 2 shown]
	s_or_not1_b32 s11, s92, exec_lo
.LBB23_231:                             ;   in Loop: Header=BB23_6 Depth=1
	s_or_b32 exec_lo, exec_lo, s29
	s_delay_alu instid0(SALU_CYCLE_1)
	s_and_not1_b32 s25, s25, exec_lo
	s_and_b32 s29, s90, exec_lo
	v_mov_b32_e32 v4, v28
	s_or_b32 s25, s25, s29
	s_and_not1_b32 s27, s27, exec_lo
	s_and_b32 s29, s89, exec_lo
	s_and_not1_b32 s26, s26, exec_lo
	s_and_b32 s87, s87, exec_lo
	s_or_b32 s27, s27, s29
	s_or_b32 s26, s26, s87
	s_and_b32 s87, s11, exec_lo
.LBB23_232:                             ;   in Loop: Header=BB23_6 Depth=1
	s_or_b32 exec_lo, exec_lo, s28
	s_delay_alu instid0(SALU_CYCLE_1)
	s_and_b32 s28, s25, exec_lo
	s_and_b32 s27, s27, exec_lo
	;; [unrolled: 1-line block ×3, first 2 shown]
	s_or_not1_b32 s11, s87, exec_lo
.LBB23_233:                             ;   in Loop: Header=BB23_6 Depth=1
	s_or_b32 exec_lo, exec_lo, s20
	s_mov_b32 s20, 0
	s_mov_b32 s26, 0
	s_and_saveexec_b32 s29, s11
	s_delay_alu instid0(SALU_CYCLE_1)
	s_xor_b32 s29, exec_lo, s29
; %bb.234:                              ;   in Loop: Header=BB23_6 Depth=1
	v_cmp_ne_u32_e32 vcc_lo, 8, v27
	v_cmp_eq_u32_e64 s11, 8, v27
	s_and_not1_b32 s28, s28, exec_lo
	s_and_not1_b32 s27, s27, exec_lo
	;; [unrolled: 1-line block ×3, first 2 shown]
	s_and_b32 s26, vcc_lo, exec_lo
	s_and_b32 s20, s11, exec_lo
; %bb.235:                              ;   in Loop: Header=BB23_6 Depth=1
	s_or_b32 exec_lo, exec_lo, s29
	s_delay_alu instid0(SALU_CYCLE_1)
	s_and_not1_b32 s11, s15, exec_lo
	s_and_b32 s15, s28, exec_lo
	s_and_not1_b32 s21, s21, exec_lo
	s_or_b32 s15, s11, s15
	s_and_not1_b32 s11, s22, exec_lo
	s_and_b32 s22, s27, exec_lo
	s_and_b32 s25, s25, exec_lo
	s_or_b32 s22, s11, s22
	s_or_b32 s21, s21, s25
	s_and_b32 s11, s26, exec_lo
	s_and_b32 s20, s20, exec_lo
.LBB23_236:                             ;   in Loop: Header=BB23_6 Depth=1
	s_or_b32 exec_lo, exec_lo, s24
	s_delay_alu instid0(SALU_CYCLE_1)
	s_and_b32 vcc_lo, exec_lo, s23
	s_cbranch_vccz .LBB23_83
.LBB23_237:                             ;   in Loop: Header=BB23_6 Depth=1
	s_cmp_eq_u32 s19, 1
                                        ; implicit-def: $sgpr23
                                        ; implicit-def: $sgpr24
	s_cselect_b32 s15, -1, 0
	s_delay_alu instid0(SALU_CYCLE_1)
	s_and_b32 s22, s15, s10
	s_mov_b32 s10, -1
                                        ; implicit-def: $sgpr15
	s_and_saveexec_b32 s21, s22
	s_cbranch_execz .LBB23_263
; %bb.238:                              ;   in Loop: Header=BB23_6 Depth=1
	ds_load_b32 v1, v22 offset:4096
	s_waitcnt lgkmcnt(0)
	s_barrier
	buffer_gl0_inv
	v_readfirstlane_b32 s15, v1
	s_and_saveexec_b32 s10, s6
	s_cbranch_execz .LBB23_240
; %bb.239:                              ;   in Loop: Header=BB23_6 Depth=1
	ds_store_b8 v0, v15 offset:3072
.LBB23_240:                             ;   in Loop: Header=BB23_6 Depth=1
	s_or_b32 exec_lo, exec_lo, s10
	v_or_b32_e32 v24, s13, v24
	v_or_b32_e32 v23, s13, v23
	s_cmp_eq_u32 s15, 0
	s_waitcnt lgkmcnt(0)
	s_barrier
	buffer_gl0_inv
	s_cbranch_scc1 .LBB23_249
; %bb.241:                              ;   in Loop: Header=BB23_6 Depth=1
	s_add_i32 s10, s15, s65
                                        ; implicit-def: $vgpr25
	s_delay_alu instid0(SALU_CYCLE_1) | instskip(NEXT) | instid1(SALU_CYCLE_1)
	s_mul_hi_u32 s23, s10, s71
	s_mul_i32 s23, s23, s33
	s_delay_alu instid0(SALU_CYCLE_1) | instskip(NEXT) | instid1(SALU_CYCLE_1)
	s_sub_i32 s23, s10, s23
	s_sub_i32 s24, s23, s33
	s_cmp_ge_u32 s23, s33
	s_cselect_b32 s23, s24, s23
	s_delay_alu instid0(SALU_CYCLE_1) | instskip(SKIP_2) | instid1(SALU_CYCLE_1)
	s_sub_i32 s24, s23, s33
	s_cmp_ge_u32 s23, s33
	s_cselect_b32 s23, s24, s23
	s_sub_i32 s24, s10, s23
	s_mov_b32 s10, 0
	s_mov_b32 s23, exec_lo
	v_cmpx_gt_u32_e64 s24, v0
	s_cbranch_execz .LBB23_251
; %bb.242:                              ;   in Loop: Header=BB23_6 Depth=1
	v_mov_b32_e32 v1, v0
	s_mov_b32 s25, 0
                                        ; implicit-def: $sgpr26
	s_set_inst_prefetch_distance 0x1
	s_branch .LBB23_244
	.p2align	6
.LBB23_243:                             ;   in Loop: Header=BB23_244 Depth=2
	s_or_b32 exec_lo, exec_lo, s10
	s_waitcnt lgkmcnt(0)
	s_barrier
	buffer_gl0_inv
	ds_load_u16 v2, v22 offset:3072
	v_add_nc_u32_e32 v1, s33, v1
	s_waitcnt lgkmcnt(0)
	s_barrier
	buffer_gl0_inv
	v_cmp_le_u32_e32 vcc_lo, s24, v1
	v_and_b32_e32 v3, 0xff, v2
	s_delay_alu instid0(VALU_DEP_1) | instskip(NEXT) | instid1(VALU_DEP_1)
	v_cmp_ne_u16_e64 s10, 0, v3
	s_or_b32 s27, vcc_lo, s10
	s_delay_alu instid0(SALU_CYCLE_1) | instskip(NEXT) | instid1(SALU_CYCLE_1)
	s_and_b32 s27, exec_lo, s27
	s_or_b32 s25, s27, s25
	s_and_not1_b32 s26, s26, exec_lo
	s_and_b32 s10, s10, exec_lo
	s_delay_alu instid0(SALU_CYCLE_1)
	s_or_b32 s26, s26, s10
	s_and_not1_b32 exec_lo, exec_lo, s25
	s_cbranch_execz .LBB23_250
.LBB23_244:                             ;   Parent Loop BB23_6 Depth=1
                                        ; =>  This Inner Loop Header: Depth=2
	s_delay_alu instid0(VALU_DEP_1)
	v_cmp_gt_u32_e32 vcc_lo, s15, v1
	v_mov_b32_e32 v2, 0
	s_and_saveexec_b32 s10, vcc_lo
	s_cbranch_execz .LBB23_246
; %bb.245:                              ;   in Loop: Header=BB23_244 Depth=2
	ds_load_u8 v2, v1
.LBB23_246:                             ;   in Loop: Header=BB23_244 Depth=2
	s_or_b32 exec_lo, exec_lo, s10
	s_and_saveexec_b32 s10, vcc_lo
	s_cbranch_execz .LBB23_243
; %bb.247:                              ;   in Loop: Header=BB23_244 Depth=2
	s_waitcnt lgkmcnt(0)
	v_bfe_i32 v3, v2, 0, 8
	s_delay_alu instid0(VALU_DEP_1) | instskip(NEXT) | instid1(VALU_DEP_1)
	v_add_nc_u32_e32 v3, 0x80, v3
	v_and_b32_e32 v3, v3, v23
	s_delay_alu instid0(VALU_DEP_1)
	v_cmp_eq_u32_e32 vcc_lo, v3, v24
	s_and_b32 exec_lo, exec_lo, vcc_lo
	s_cbranch_execz .LBB23_243
; %bb.248:                              ;   in Loop: Header=BB23_244 Depth=2
	v_lshlrev_b16 v2, 8, v2
	s_delay_alu instid0(VALU_DEP_1)
	v_or_b32_e32 v2, 1, v2
	ds_store_b16 v22, v2 offset:3072
	s_branch .LBB23_243
.LBB23_249:                             ;   in Loop: Header=BB23_6 Depth=1
	s_mov_b32 s23, -1
	s_mov_b32 s10, 0
                                        ; implicit-def: $sgpr24
                                        ; implicit-def: $vgpr25
	s_mov_b32 s15, s23
	s_cbranch_execnz .LBB23_252
	s_branch .LBB23_262
.LBB23_250:                             ;   in Loop: Header=BB23_6 Depth=1
	s_set_inst_prefetch_distance 0x2
	s_or_b32 exec_lo, exec_lo, s25
	v_lshrrev_b16 v25, 8, v2
	s_and_b32 s10, s26, exec_lo
.LBB23_251:                             ;   in Loop: Header=BB23_6 Depth=1
	s_or_b32 exec_lo, exec_lo, s23
	s_mov_b32 s23, 0
	s_mov_b32 s24, -1
	s_mov_b32 s15, s23
	s_branch .LBB23_262
.LBB23_252:                             ;   in Loop: Header=BB23_6 Depth=1
	s_mov_b32 s10, 0
                                        ; implicit-def: $vgpr25
	s_and_saveexec_b32 s15, s9
	s_cbranch_execz .LBB23_261
; %bb.253:                              ;   in Loop: Header=BB23_6 Depth=1
	v_dual_mov_b32 v1, v14 :: v_dual_mov_b32 v2, v0
	s_mov_b32 s23, 0
                                        ; implicit-def: $sgpr24
	s_set_inst_prefetch_distance 0x1
	s_branch .LBB23_255
	.p2align	6
.LBB23_254:                             ;   in Loop: Header=BB23_255 Depth=2
	s_or_b32 exec_lo, exec_lo, s10
	s_waitcnt vmcnt(0) lgkmcnt(0)
	s_barrier
	buffer_gl0_inv
	ds_load_u16 v3, v22 offset:3072
	v_add_nc_u32_e32 v2, s33, v2
	v_add_nc_u32_e32 v1, s43, v1
	s_waitcnt lgkmcnt(0)
	s_barrier
	buffer_gl0_inv
	v_cmp_le_u32_e32 vcc_lo, s73, v2
	v_and_b32_e32 v4, 0xff, v3
	s_delay_alu instid0(VALU_DEP_1) | instskip(NEXT) | instid1(VALU_DEP_1)
	v_cmp_ne_u16_e64 s10, 0, v4
	s_or_b32 s25, vcc_lo, s10
	s_delay_alu instid0(SALU_CYCLE_1) | instskip(NEXT) | instid1(SALU_CYCLE_1)
	s_and_b32 s25, exec_lo, s25
	s_or_b32 s23, s25, s23
	s_and_not1_b32 s24, s24, exec_lo
	s_and_b32 s10, s10, exec_lo
	s_delay_alu instid0(SALU_CYCLE_1)
	s_or_b32 s24, s24, s10
	s_and_not1_b32 exec_lo, exec_lo, s23
	s_cbranch_execz .LBB23_260
.LBB23_255:                             ;   Parent Loop BB23_6 Depth=1
                                        ; =>  This Inner Loop Header: Depth=2
	s_delay_alu instid0(VALU_DEP_1)
	v_cmp_gt_u32_e32 vcc_lo, s36, v2
	v_mov_b32_e32 v3, 0
	s_and_saveexec_b32 s10, vcc_lo
	s_cbranch_execz .LBB23_257
; %bb.256:                              ;   in Loop: Header=BB23_255 Depth=2
	global_load_u8 v3, v1, s[30:31]
.LBB23_257:                             ;   in Loop: Header=BB23_255 Depth=2
	s_or_b32 exec_lo, exec_lo, s10
	s_and_saveexec_b32 s10, vcc_lo
	s_cbranch_execz .LBB23_254
; %bb.258:                              ;   in Loop: Header=BB23_255 Depth=2
	s_waitcnt vmcnt(0)
	v_bfe_i32 v4, v3, 0, 8
	s_delay_alu instid0(VALU_DEP_1) | instskip(NEXT) | instid1(VALU_DEP_1)
	v_add_nc_u32_e32 v4, 0x80, v4
	v_and_b32_e32 v4, v4, v23
	s_delay_alu instid0(VALU_DEP_1)
	v_cmp_eq_u32_e32 vcc_lo, v4, v24
	s_and_b32 exec_lo, exec_lo, vcc_lo
	s_cbranch_execz .LBB23_254
; %bb.259:                              ;   in Loop: Header=BB23_255 Depth=2
	v_lshlrev_b16 v3, 8, v3
	s_delay_alu instid0(VALU_DEP_1)
	v_or_b32_e32 v3, 1, v3
	ds_store_b16 v22, v3 offset:3072
	s_branch .LBB23_254
.LBB23_260:                             ;   in Loop: Header=BB23_6 Depth=1
	s_set_inst_prefetch_distance 0x2
	s_or_b32 exec_lo, exec_lo, s23
	v_lshrrev_b16 v25, 8, v3
	s_and_b32 s10, s24, exec_lo
.LBB23_261:                             ;   in Loop: Header=BB23_6 Depth=1
	s_or_b32 exec_lo, exec_lo, s15
	s_mov_b32 s24, 0
	s_mov_b32 s23, -1
	s_mov_b32 s15, 0
.LBB23_262:                             ;   in Loop: Header=BB23_6 Depth=1
	s_or_not1_b32 s10, s10, exec_lo
.LBB23_263:                             ;   in Loop: Header=BB23_6 Depth=1
	s_or_b32 exec_lo, exec_lo, s21
                                        ; implicit-def: $vgpr27
                                        ; implicit-def: $vgpr4
                                        ; implicit-def: $vgpr1
                                        ; implicit-def: $vgpr2
                                        ; implicit-def: $vgpr3
	s_and_saveexec_b32 s21, s10
	s_cbranch_execz .LBB23_398
; %bb.264:                              ;   in Loop: Header=BB23_6 Depth=1
	v_dual_mov_b32 v4, 1 :: v_dual_mov_b32 v27, 1
	s_xor_b32 s22, s22, -1
	s_mov_b32 s28, 0
	s_and_saveexec_b32 s10, s22
	s_cbranch_execz .LBB23_274
; %bb.265:                              ;   in Loop: Header=BB23_6 Depth=1
	s_mov_b32 s25, exec_lo
                                        ; implicit-def: $sgpr26
                                        ; implicit-def: $sgpr22
	v_cmpx_ge_u32_e64 s19, v26
	s_xor_b32 s25, exec_lo, s25
	s_cbranch_execz .LBB23_271
; %bb.266:                              ;   in Loop: Header=BB23_6 Depth=1
	ds_load_b32 v1, v22 offset:4096
	s_waitcnt lgkmcnt(0)
	v_cmp_ne_u32_e32 vcc_lo, 0, v1
	s_cbranch_vccnz .LBB23_270
; %bb.267:                              ;   in Loop: Header=BB23_6 Depth=1
	s_and_saveexec_b32 s22, s5
	s_cbranch_execz .LBB23_269
; %bb.268:                              ;   in Loop: Header=BB23_6 Depth=1
	v_mov_b32_e32 v1, s19
	ds_store_b32 v22, v1 offset:4100
.LBB23_269:                             ;   in Loop: Header=BB23_6 Depth=1
	s_or_b32 exec_lo, exec_lo, s22
	s_waitcnt lgkmcnt(0)
	s_barrier
	buffer_gl0_inv
.LBB23_270:                             ;   in Loop: Header=BB23_6 Depth=1
	v_or_b32_e32 v24, s13, v24
	v_or_b32_e32 v23, s13, v23
	s_mov_b32 s22, 0
	s_mov_b32 s26, 5
.LBB23_271:                             ;   in Loop: Header=BB23_6 Depth=1
	s_or_saveexec_b32 s25, s25
	v_mov_b32_e32 v27, s26
	s_xor_b32 exec_lo, exec_lo, s25
; %bb.272:                              ;   in Loop: Header=BB23_6 Depth=1
	v_subrev_nc_u32_e32 v26, s19, v26
	v_mov_b32_e32 v27, 0
	s_or_b32 s22, s22, exec_lo
; %bb.273:                              ;   in Loop: Header=BB23_6 Depth=1
	s_or_b32 exec_lo, exec_lo, s25
	s_delay_alu instid0(VALU_DEP_2)
	v_mov_b32_e32 v4, v26
	s_and_b32 s28, s22, exec_lo
.LBB23_274:                             ;   in Loop: Header=BB23_6 Depth=1
	s_or_b32 exec_lo, exec_lo, s10
	s_mov_b32 s26, -1
                                        ; implicit-def: $sgpr22
                                        ; implicit-def: $sgpr25
                                        ; implicit-def: $sgpr27
	s_and_saveexec_b32 s10, s28
	s_delay_alu instid0(SALU_CYCLE_1)
	s_xor_b32 s19, exec_lo, s10
	s_cbranch_execz .LBB23_395
; %bb.275:                              ;   in Loop: Header=BB23_6 Depth=1
	v_cmp_eq_u32_e32 vcc_lo, 1, v4
	s_cmp_eq_u32 s18, 1
                                        ; implicit-def: $sgpr22
                                        ; implicit-def: $sgpr25
                                        ; implicit-def: $sgpr26
	s_cselect_b32 s10, -1, 0
	s_delay_alu instid0(SALU_CYCLE_1)
	s_and_b32 s28, s10, vcc_lo
	s_mov_b32 s10, -1
	s_and_saveexec_b32 s27, s28
	s_cbranch_execz .LBB23_301
; %bb.276:                              ;   in Loop: Header=BB23_6 Depth=1
	ds_load_b32 v1, v22 offset:4096
	s_waitcnt lgkmcnt(0)
	s_barrier
	buffer_gl0_inv
	v_readfirstlane_b32 s22, v1
	s_and_saveexec_b32 s10, s6
	s_cbranch_execz .LBB23_278
; %bb.277:                              ;   in Loop: Header=BB23_6 Depth=1
	ds_store_b8 v0, v15 offset:3072
.LBB23_278:                             ;   in Loop: Header=BB23_6 Depth=1
	s_or_b32 exec_lo, exec_lo, s10
	s_lshl_b32 s10, 2, s17
	v_or_b32_e32 v23, s13, v23
	v_and_or_b32 v24, v24, s14, s10
	s_cmp_eq_u32 s22, 0
	s_waitcnt lgkmcnt(0)
	s_barrier
	buffer_gl0_inv
	s_cbranch_scc1 .LBB23_287
; %bb.279:                              ;   in Loop: Header=BB23_6 Depth=1
	s_add_i32 s10, s22, s65
                                        ; implicit-def: $vgpr25
	s_delay_alu instid0(SALU_CYCLE_1) | instskip(NEXT) | instid1(SALU_CYCLE_1)
	s_mul_hi_u32 s25, s10, s71
	s_mul_i32 s25, s25, s33
	s_delay_alu instid0(SALU_CYCLE_1) | instskip(NEXT) | instid1(SALU_CYCLE_1)
	s_sub_i32 s25, s10, s25
	s_sub_i32 s26, s25, s33
	s_cmp_ge_u32 s25, s33
	s_cselect_b32 s25, s26, s25
	s_delay_alu instid0(SALU_CYCLE_1) | instskip(SKIP_2) | instid1(SALU_CYCLE_1)
	s_sub_i32 s26, s25, s33
	s_cmp_ge_u32 s25, s33
	s_cselect_b32 s25, s26, s25
	s_sub_i32 s26, s10, s25
	s_mov_b32 s10, 0
	s_mov_b32 s25, exec_lo
	v_cmpx_gt_u32_e64 s26, v0
	s_cbranch_execz .LBB23_289
; %bb.280:                              ;   in Loop: Header=BB23_6 Depth=1
	v_mov_b32_e32 v1, v0
	s_mov_b32 s29, 0
                                        ; implicit-def: $sgpr87
	s_set_inst_prefetch_distance 0x1
	s_branch .LBB23_282
	.p2align	6
.LBB23_281:                             ;   in Loop: Header=BB23_282 Depth=2
	s_or_b32 exec_lo, exec_lo, s10
	s_waitcnt lgkmcnt(0)
	s_barrier
	buffer_gl0_inv
	ds_load_u16 v2, v22 offset:3072
	v_add_nc_u32_e32 v1, s33, v1
	s_waitcnt lgkmcnt(0)
	s_barrier
	buffer_gl0_inv
	v_cmp_le_u32_e32 vcc_lo, s26, v1
	v_and_b32_e32 v3, 0xff, v2
	s_delay_alu instid0(VALU_DEP_1) | instskip(NEXT) | instid1(VALU_DEP_1)
	v_cmp_ne_u16_e64 s10, 0, v3
	s_or_b32 s88, vcc_lo, s10
	s_delay_alu instid0(SALU_CYCLE_1) | instskip(NEXT) | instid1(SALU_CYCLE_1)
	s_and_b32 s88, exec_lo, s88
	s_or_b32 s29, s88, s29
	s_and_not1_b32 s87, s87, exec_lo
	s_and_b32 s10, s10, exec_lo
	s_delay_alu instid0(SALU_CYCLE_1)
	s_or_b32 s87, s87, s10
	s_and_not1_b32 exec_lo, exec_lo, s29
	s_cbranch_execz .LBB23_288
.LBB23_282:                             ;   Parent Loop BB23_6 Depth=1
                                        ; =>  This Inner Loop Header: Depth=2
	s_delay_alu instid0(VALU_DEP_1)
	v_cmp_gt_u32_e32 vcc_lo, s22, v1
	v_mov_b32_e32 v2, 0
	s_and_saveexec_b32 s10, vcc_lo
	s_cbranch_execz .LBB23_284
; %bb.283:                              ;   in Loop: Header=BB23_282 Depth=2
	ds_load_u8 v2, v1
.LBB23_284:                             ;   in Loop: Header=BB23_282 Depth=2
	s_or_b32 exec_lo, exec_lo, s10
	s_and_saveexec_b32 s10, vcc_lo
	s_cbranch_execz .LBB23_281
; %bb.285:                              ;   in Loop: Header=BB23_282 Depth=2
	s_waitcnt lgkmcnt(0)
	v_bfe_i32 v3, v2, 0, 8
	s_delay_alu instid0(VALU_DEP_1) | instskip(NEXT) | instid1(VALU_DEP_1)
	v_add_nc_u32_e32 v3, 0x80, v3
	v_and_b32_e32 v3, v3, v23
	s_delay_alu instid0(VALU_DEP_1)
	v_cmp_eq_u32_e32 vcc_lo, v3, v24
	s_and_b32 exec_lo, exec_lo, vcc_lo
	s_cbranch_execz .LBB23_281
; %bb.286:                              ;   in Loop: Header=BB23_282 Depth=2
	v_lshlrev_b16 v2, 8, v2
	s_delay_alu instid0(VALU_DEP_1)
	v_or_b32_e32 v2, 1, v2
	ds_store_b16 v22, v2 offset:3072
	s_branch .LBB23_281
.LBB23_287:                             ;   in Loop: Header=BB23_6 Depth=1
	s_mov_b32 s22, -1
	s_mov_b32 s10, 0
                                        ; implicit-def: $sgpr25
                                        ; implicit-def: $vgpr25
	s_mov_b32 s26, s22
	s_cbranch_execnz .LBB23_290
	s_branch .LBB23_300
.LBB23_288:                             ;   in Loop: Header=BB23_6 Depth=1
	s_set_inst_prefetch_distance 0x2
	s_or_b32 exec_lo, exec_lo, s29
	v_lshrrev_b16 v25, 8, v2
	s_and_b32 s10, s87, exec_lo
.LBB23_289:                             ;   in Loop: Header=BB23_6 Depth=1
	s_or_b32 exec_lo, exec_lo, s25
	s_mov_b32 s22, 0
	s_mov_b32 s25, -1
	s_mov_b32 s26, s22
	s_branch .LBB23_300
.LBB23_290:                             ;   in Loop: Header=BB23_6 Depth=1
	s_mov_b32 s10, 0
                                        ; implicit-def: $vgpr25
	s_and_saveexec_b32 s22, s9
	s_cbranch_execz .LBB23_299
; %bb.291:                              ;   in Loop: Header=BB23_6 Depth=1
	v_dual_mov_b32 v1, v14 :: v_dual_mov_b32 v2, v0
	s_mov_b32 s25, 0
                                        ; implicit-def: $sgpr26
	s_set_inst_prefetch_distance 0x1
	s_branch .LBB23_293
	.p2align	6
.LBB23_292:                             ;   in Loop: Header=BB23_293 Depth=2
	s_or_b32 exec_lo, exec_lo, s10
	s_waitcnt vmcnt(0) lgkmcnt(0)
	s_barrier
	buffer_gl0_inv
	ds_load_u16 v3, v22 offset:3072
	v_add_nc_u32_e32 v2, s33, v2
	v_add_nc_u32_e32 v1, s43, v1
	s_waitcnt lgkmcnt(0)
	s_barrier
	buffer_gl0_inv
	v_cmp_le_u32_e32 vcc_lo, s73, v2
	v_and_b32_e32 v25, 0xff, v3
	s_delay_alu instid0(VALU_DEP_1) | instskip(NEXT) | instid1(VALU_DEP_1)
	v_cmp_ne_u16_e64 s10, 0, v25
	s_or_b32 s29, vcc_lo, s10
	s_delay_alu instid0(SALU_CYCLE_1) | instskip(NEXT) | instid1(SALU_CYCLE_1)
	s_and_b32 s29, exec_lo, s29
	s_or_b32 s25, s29, s25
	s_and_not1_b32 s26, s26, exec_lo
	s_and_b32 s10, s10, exec_lo
	s_delay_alu instid0(SALU_CYCLE_1)
	s_or_b32 s26, s26, s10
	s_and_not1_b32 exec_lo, exec_lo, s25
	s_cbranch_execz .LBB23_298
.LBB23_293:                             ;   Parent Loop BB23_6 Depth=1
                                        ; =>  This Inner Loop Header: Depth=2
	s_delay_alu instid0(VALU_DEP_1)
	v_cmp_gt_u32_e32 vcc_lo, s36, v2
	v_mov_b32_e32 v3, 0
	s_and_saveexec_b32 s10, vcc_lo
	s_cbranch_execz .LBB23_295
; %bb.294:                              ;   in Loop: Header=BB23_293 Depth=2
	global_load_u8 v3, v1, s[30:31]
.LBB23_295:                             ;   in Loop: Header=BB23_293 Depth=2
	s_or_b32 exec_lo, exec_lo, s10
	s_and_saveexec_b32 s10, vcc_lo
	s_cbranch_execz .LBB23_292
; %bb.296:                              ;   in Loop: Header=BB23_293 Depth=2
	s_waitcnt vmcnt(0)
	v_bfe_i32 v25, v3, 0, 8
	s_delay_alu instid0(VALU_DEP_1) | instskip(NEXT) | instid1(VALU_DEP_1)
	v_add_nc_u32_e32 v25, 0x80, v25
	v_and_b32_e32 v25, v25, v23
	s_delay_alu instid0(VALU_DEP_1)
	v_cmp_eq_u32_e32 vcc_lo, v25, v24
	s_and_b32 exec_lo, exec_lo, vcc_lo
	s_cbranch_execz .LBB23_292
; %bb.297:                              ;   in Loop: Header=BB23_293 Depth=2
	v_lshlrev_b16 v3, 8, v3
	s_delay_alu instid0(VALU_DEP_1)
	v_or_b32_e32 v3, 1, v3
	ds_store_b16 v22, v3 offset:3072
	s_branch .LBB23_292
.LBB23_298:                             ;   in Loop: Header=BB23_6 Depth=1
	s_set_inst_prefetch_distance 0x2
	s_or_b32 exec_lo, exec_lo, s25
	v_lshrrev_b16 v25, 8, v3
	s_and_b32 s10, s26, exec_lo
.LBB23_299:                             ;   in Loop: Header=BB23_6 Depth=1
	s_or_b32 exec_lo, exec_lo, s22
	s_mov_b32 s25, 0
	s_mov_b32 s22, -1
	s_mov_b32 s26, 0
.LBB23_300:                             ;   in Loop: Header=BB23_6 Depth=1
	s_or_not1_b32 s10, s10, exec_lo
.LBB23_301:                             ;   in Loop: Header=BB23_6 Depth=1
	s_or_b32 exec_lo, exec_lo, s27
	s_mov_b32 s29, 0
                                        ; implicit-def: $vgpr27
	s_and_saveexec_b32 s27, s10
	s_cbranch_execz .LBB23_394
; %bb.302:                              ;   in Loop: Header=BB23_6 Depth=1
	v_mov_b32_e32 v1, 1
	v_mov_b32_e32 v27, 1
	s_xor_b32 s28, s28, -1
	s_mov_b32 s87, 0
	s_and_saveexec_b32 s10, s28
	s_cbranch_execz .LBB23_312
; %bb.303:                              ;   in Loop: Header=BB23_6 Depth=1
	s_mov_b32 s29, exec_lo
                                        ; implicit-def: $sgpr87
                                        ; implicit-def: $sgpr28
	v_cmpx_ge_u32_e64 s18, v4
	s_xor_b32 s29, exec_lo, s29
	s_cbranch_execz .LBB23_309
; %bb.304:                              ;   in Loop: Header=BB23_6 Depth=1
	ds_load_b32 v1, v22 offset:4096
	s_waitcnt lgkmcnt(0)
	v_cmp_ne_u32_e32 vcc_lo, 0, v1
	s_cbranch_vccnz .LBB23_308
; %bb.305:                              ;   in Loop: Header=BB23_6 Depth=1
	s_and_saveexec_b32 s28, s5
	s_cbranch_execz .LBB23_307
; %bb.306:                              ;   in Loop: Header=BB23_6 Depth=1
	v_mov_b32_e32 v1, s18
	ds_store_b32 v22, v1 offset:4100
.LBB23_307:                             ;   in Loop: Header=BB23_6 Depth=1
	s_or_b32 exec_lo, exec_lo, s28
	s_waitcnt lgkmcnt(0)
	s_barrier
	buffer_gl0_inv
.LBB23_308:                             ;   in Loop: Header=BB23_6 Depth=1
	s_lshl_b32 s28, 2, s17
	v_or_b32_e32 v23, s13, v23
	v_and_or_b32 v24, v24, s14, s28
	s_mov_b32 s28, 0
	s_mov_b32 s87, 5
.LBB23_309:                             ;   in Loop: Header=BB23_6 Depth=1
	s_or_saveexec_b32 s29, s29
	v_mov_b32_e32 v27, s87
	s_xor_b32 exec_lo, exec_lo, s29
; %bb.310:                              ;   in Loop: Header=BB23_6 Depth=1
	v_subrev_nc_u32_e32 v4, s18, v4
	v_mov_b32_e32 v27, 0
	s_or_b32 s28, s28, exec_lo
; %bb.311:                              ;   in Loop: Header=BB23_6 Depth=1
	s_or_b32 exec_lo, exec_lo, s29
	s_delay_alu instid0(VALU_DEP_2)
	v_mov_b32_e32 v1, v4
	s_and_b32 s87, s28, exec_lo
.LBB23_312:                             ;   in Loop: Header=BB23_6 Depth=1
	s_or_b32 exec_lo, exec_lo, s10
	s_mov_b32 s10, -1
                                        ; implicit-def: $sgpr28
                                        ; implicit-def: $sgpr29
                                        ; implicit-def: $sgpr88
	s_and_saveexec_b32 s18, s87
	s_cbranch_execz .LBB23_393
; %bb.313:                              ;   in Loop: Header=BB23_6 Depth=1
	v_cmp_eq_u32_e32 vcc_lo, 1, v1
	s_cmp_eq_u32 s16, 1
                                        ; implicit-def: $sgpr28
                                        ; implicit-def: $sgpr29
                                        ; implicit-def: $sgpr87
	s_cselect_b32 s10, -1, 0
	s_delay_alu instid0(SALU_CYCLE_1)
	s_and_b32 s89, s10, vcc_lo
	s_mov_b32 s10, -1
	s_and_saveexec_b32 s88, s89
	s_cbranch_execz .LBB23_339
; %bb.314:                              ;   in Loop: Header=BB23_6 Depth=1
	ds_load_b32 v2, v22 offset:4096
	s_waitcnt lgkmcnt(0)
	s_barrier
	buffer_gl0_inv
	v_readfirstlane_b32 s28, v2
	s_and_saveexec_b32 s10, s6
	s_cbranch_execz .LBB23_316
; %bb.315:                              ;   in Loop: Header=BB23_6 Depth=1
	ds_store_b8 v0, v15 offset:3072
.LBB23_316:                             ;   in Loop: Header=BB23_6 Depth=1
	s_or_b32 exec_lo, exec_lo, s10
	s_lshl_b32 s10, 1, s17
	v_or_b32_e32 v23, s13, v23
	v_and_or_b32 v24, v24, s14, s10
	s_cmp_eq_u32 s28, 0
	s_waitcnt lgkmcnt(0)
	s_barrier
	buffer_gl0_inv
	s_cbranch_scc1 .LBB23_325
; %bb.317:                              ;   in Loop: Header=BB23_6 Depth=1
	s_add_i32 s10, s28, s65
                                        ; implicit-def: $vgpr25
	s_delay_alu instid0(SALU_CYCLE_1) | instskip(NEXT) | instid1(SALU_CYCLE_1)
	s_mul_hi_u32 s29, s10, s71
	s_mul_i32 s29, s29, s33
	s_delay_alu instid0(SALU_CYCLE_1) | instskip(NEXT) | instid1(SALU_CYCLE_1)
	s_sub_i32 s29, s10, s29
	s_sub_i32 s87, s29, s33
	s_cmp_ge_u32 s29, s33
	s_cselect_b32 s29, s87, s29
	s_delay_alu instid0(SALU_CYCLE_1) | instskip(SKIP_2) | instid1(SALU_CYCLE_1)
	s_sub_i32 s87, s29, s33
	s_cmp_ge_u32 s29, s33
	s_cselect_b32 s29, s87, s29
	s_sub_i32 s87, s10, s29
	s_mov_b32 s10, 0
	s_mov_b32 s29, exec_lo
	v_cmpx_gt_u32_e64 s87, v0
	s_cbranch_execz .LBB23_327
; %bb.318:                              ;   in Loop: Header=BB23_6 Depth=1
	v_mov_b32_e32 v2, v0
	s_mov_b32 s90, 0
                                        ; implicit-def: $sgpr91
	s_set_inst_prefetch_distance 0x1
	s_branch .LBB23_320
	.p2align	6
.LBB23_319:                             ;   in Loop: Header=BB23_320 Depth=2
	s_or_b32 exec_lo, exec_lo, s10
	s_waitcnt lgkmcnt(0)
	s_barrier
	buffer_gl0_inv
	ds_load_u16 v3, v22 offset:3072
	v_add_nc_u32_e32 v2, s33, v2
	s_waitcnt lgkmcnt(0)
	s_barrier
	buffer_gl0_inv
	v_cmp_le_u32_e32 vcc_lo, s87, v2
	v_and_b32_e32 v4, 0xff, v3
	s_delay_alu instid0(VALU_DEP_1) | instskip(NEXT) | instid1(VALU_DEP_1)
	v_cmp_ne_u16_e64 s10, 0, v4
	s_or_b32 s92, vcc_lo, s10
	s_delay_alu instid0(SALU_CYCLE_1) | instskip(NEXT) | instid1(SALU_CYCLE_1)
	s_and_b32 s92, exec_lo, s92
	s_or_b32 s90, s92, s90
	s_and_not1_b32 s91, s91, exec_lo
	s_and_b32 s10, s10, exec_lo
	s_delay_alu instid0(SALU_CYCLE_1)
	s_or_b32 s91, s91, s10
	s_and_not1_b32 exec_lo, exec_lo, s90
	s_cbranch_execz .LBB23_326
.LBB23_320:                             ;   Parent Loop BB23_6 Depth=1
                                        ; =>  This Inner Loop Header: Depth=2
	s_delay_alu instid0(VALU_DEP_1)
	v_cmp_gt_u32_e32 vcc_lo, s28, v2
	v_mov_b32_e32 v3, 0
	s_and_saveexec_b32 s10, vcc_lo
	s_cbranch_execz .LBB23_322
; %bb.321:                              ;   in Loop: Header=BB23_320 Depth=2
	ds_load_u8 v3, v2
.LBB23_322:                             ;   in Loop: Header=BB23_320 Depth=2
	s_or_b32 exec_lo, exec_lo, s10
	s_and_saveexec_b32 s10, vcc_lo
	s_cbranch_execz .LBB23_319
; %bb.323:                              ;   in Loop: Header=BB23_320 Depth=2
	s_waitcnt lgkmcnt(0)
	v_bfe_i32 v4, v3, 0, 8
	s_delay_alu instid0(VALU_DEP_1) | instskip(NEXT) | instid1(VALU_DEP_1)
	v_add_nc_u32_e32 v4, 0x80, v4
	v_and_b32_e32 v4, v4, v23
	s_delay_alu instid0(VALU_DEP_1)
	v_cmp_eq_u32_e32 vcc_lo, v4, v24
	s_and_b32 exec_lo, exec_lo, vcc_lo
	s_cbranch_execz .LBB23_319
; %bb.324:                              ;   in Loop: Header=BB23_320 Depth=2
	v_lshlrev_b16 v3, 8, v3
	s_delay_alu instid0(VALU_DEP_1)
	v_or_b32_e32 v3, 1, v3
	ds_store_b16 v22, v3 offset:3072
	s_branch .LBB23_319
.LBB23_325:                             ;   in Loop: Header=BB23_6 Depth=1
	s_mov_b32 s28, -1
	s_mov_b32 s10, 0
                                        ; implicit-def: $sgpr29
                                        ; implicit-def: $vgpr25
	s_mov_b32 s87, s28
	s_cbranch_execnz .LBB23_328
	s_branch .LBB23_338
.LBB23_326:                             ;   in Loop: Header=BB23_6 Depth=1
	s_set_inst_prefetch_distance 0x2
	s_or_b32 exec_lo, exec_lo, s90
	v_lshrrev_b16 v25, 8, v3
	s_and_b32 s10, s91, exec_lo
.LBB23_327:                             ;   in Loop: Header=BB23_6 Depth=1
	s_or_b32 exec_lo, exec_lo, s29
	s_mov_b32 s28, 0
	s_mov_b32 s29, -1
	s_mov_b32 s87, s28
	s_branch .LBB23_338
.LBB23_328:                             ;   in Loop: Header=BB23_6 Depth=1
	s_mov_b32 s10, 0
                                        ; implicit-def: $vgpr25
	s_and_saveexec_b32 s28, s9
	s_cbranch_execz .LBB23_337
; %bb.329:                              ;   in Loop: Header=BB23_6 Depth=1
	v_dual_mov_b32 v2, v14 :: v_dual_mov_b32 v3, v0
	s_mov_b32 s29, 0
                                        ; implicit-def: $sgpr87
	s_set_inst_prefetch_distance 0x1
	s_branch .LBB23_331
	.p2align	6
.LBB23_330:                             ;   in Loop: Header=BB23_331 Depth=2
	s_or_b32 exec_lo, exec_lo, s10
	s_waitcnt vmcnt(0) lgkmcnt(0)
	s_barrier
	buffer_gl0_inv
	ds_load_u16 v4, v22 offset:3072
	v_add_nc_u32_e32 v3, s33, v3
	v_add_nc_u32_e32 v2, s43, v2
	s_waitcnt lgkmcnt(0)
	s_barrier
	buffer_gl0_inv
	v_cmp_le_u32_e32 vcc_lo, s73, v3
	v_and_b32_e32 v25, 0xff, v4
	s_delay_alu instid0(VALU_DEP_1) | instskip(NEXT) | instid1(VALU_DEP_1)
	v_cmp_ne_u16_e64 s10, 0, v25
	s_or_b32 s90, vcc_lo, s10
	s_delay_alu instid0(SALU_CYCLE_1) | instskip(NEXT) | instid1(SALU_CYCLE_1)
	s_and_b32 s90, exec_lo, s90
	s_or_b32 s29, s90, s29
	s_and_not1_b32 s87, s87, exec_lo
	s_and_b32 s10, s10, exec_lo
	s_delay_alu instid0(SALU_CYCLE_1)
	s_or_b32 s87, s87, s10
	s_and_not1_b32 exec_lo, exec_lo, s29
	s_cbranch_execz .LBB23_336
.LBB23_331:                             ;   Parent Loop BB23_6 Depth=1
                                        ; =>  This Inner Loop Header: Depth=2
	s_delay_alu instid0(VALU_DEP_1)
	v_cmp_gt_u32_e32 vcc_lo, s36, v3
	v_mov_b32_e32 v4, 0
	s_and_saveexec_b32 s10, vcc_lo
	s_cbranch_execz .LBB23_333
; %bb.332:                              ;   in Loop: Header=BB23_331 Depth=2
	global_load_u8 v4, v2, s[30:31]
.LBB23_333:                             ;   in Loop: Header=BB23_331 Depth=2
	s_or_b32 exec_lo, exec_lo, s10
	s_and_saveexec_b32 s10, vcc_lo
	s_cbranch_execz .LBB23_330
; %bb.334:                              ;   in Loop: Header=BB23_331 Depth=2
	s_waitcnt vmcnt(0)
	v_bfe_i32 v25, v4, 0, 8
	s_delay_alu instid0(VALU_DEP_1) | instskip(NEXT) | instid1(VALU_DEP_1)
	v_add_nc_u32_e32 v25, 0x80, v25
	v_and_b32_e32 v25, v25, v23
	s_delay_alu instid0(VALU_DEP_1)
	v_cmp_eq_u32_e32 vcc_lo, v25, v24
	s_and_b32 exec_lo, exec_lo, vcc_lo
	s_cbranch_execz .LBB23_330
; %bb.335:                              ;   in Loop: Header=BB23_331 Depth=2
	v_lshlrev_b16 v4, 8, v4
	s_delay_alu instid0(VALU_DEP_1)
	v_or_b32_e32 v4, 1, v4
	ds_store_b16 v22, v4 offset:3072
	s_branch .LBB23_330
.LBB23_336:                             ;   in Loop: Header=BB23_6 Depth=1
	s_set_inst_prefetch_distance 0x2
	s_or_b32 exec_lo, exec_lo, s29
	v_lshrrev_b16 v25, 8, v4
	s_and_b32 s10, s87, exec_lo
.LBB23_337:                             ;   in Loop: Header=BB23_6 Depth=1
	s_or_b32 exec_lo, exec_lo, s28
	s_mov_b32 s29, 0
	s_mov_b32 s28, -1
	s_mov_b32 s87, 0
.LBB23_338:                             ;   in Loop: Header=BB23_6 Depth=1
	s_or_not1_b32 s10, s10, exec_lo
.LBB23_339:                             ;   in Loop: Header=BB23_6 Depth=1
	s_or_b32 exec_lo, exec_lo, s88
	s_mov_b32 s90, 0
                                        ; implicit-def: $vgpr27
	s_and_saveexec_b32 s88, s10
	s_cbranch_execz .LBB23_392
; %bb.340:                              ;   in Loop: Header=BB23_6 Depth=1
	v_dual_mov_b32 v2, 1 :: v_dual_mov_b32 v27, 1
	s_xor_b32 s90, s89, -1
	s_mov_b32 s89, 0
	s_and_saveexec_b32 s10, s90
	s_cbranch_execz .LBB23_350
; %bb.341:                              ;   in Loop: Header=BB23_6 Depth=1
	s_mov_b32 s90, exec_lo
                                        ; implicit-def: $sgpr91
                                        ; implicit-def: $sgpr89
	v_cmpx_ge_u32_e64 s16, v1
	s_xor_b32 s90, exec_lo, s90
	s_cbranch_execz .LBB23_347
; %bb.342:                              ;   in Loop: Header=BB23_6 Depth=1
	ds_load_b32 v2, v22 offset:4096
	s_waitcnt lgkmcnt(0)
	v_cmp_ne_u32_e32 vcc_lo, 0, v2
	s_cbranch_vccnz .LBB23_346
; %bb.343:                              ;   in Loop: Header=BB23_6 Depth=1
	s_and_saveexec_b32 s89, s5
	s_cbranch_execz .LBB23_345
; %bb.344:                              ;   in Loop: Header=BB23_6 Depth=1
	v_mov_b32_e32 v2, s16
	ds_store_b32 v22, v2 offset:4100
.LBB23_345:                             ;   in Loop: Header=BB23_6 Depth=1
	s_or_b32 exec_lo, exec_lo, s89
	s_waitcnt lgkmcnt(0)
	s_barrier
	buffer_gl0_inv
.LBB23_346:                             ;   in Loop: Header=BB23_6 Depth=1
	s_lshl_b32 s17, 1, s17
	v_or_b32_e32 v23, s13, v23
	v_and_or_b32 v24, v24, s14, s17
	s_mov_b32 s89, 0
	s_mov_b32 s91, 5
.LBB23_347:                             ;   in Loop: Header=BB23_6 Depth=1
	s_or_saveexec_b32 s17, s90
	v_mov_b32_e32 v27, s91
	s_xor_b32 exec_lo, exec_lo, s17
; %bb.348:                              ;   in Loop: Header=BB23_6 Depth=1
	v_subrev_nc_u32_e32 v1, s16, v1
	v_mov_b32_e32 v27, 0
	s_or_b32 s89, s89, exec_lo
; %bb.349:                              ;   in Loop: Header=BB23_6 Depth=1
	s_or_b32 exec_lo, exec_lo, s17
	s_delay_alu instid0(VALU_DEP_2)
	v_mov_b32_e32 v2, v1
	s_and_b32 s89, s89, exec_lo
.LBB23_350:                             ;   in Loop: Header=BB23_6 Depth=1
	s_or_b32 exec_lo, exec_lo, s10
	s_mov_b32 s17, -1
                                        ; implicit-def: $sgpr10
                                        ; implicit-def: $sgpr90
                                        ; implicit-def: $sgpr91
	s_and_saveexec_b32 s16, s89
	s_cbranch_execz .LBB23_391
; %bb.351:                              ;   in Loop: Header=BB23_6 Depth=1
	v_cmp_eq_u32_e32 vcc_lo, 1, v2
	s_cmp_eq_u32 s12, 1
	s_mov_b32 s92, -1
	s_cselect_b32 s10, -1, 0
                                        ; implicit-def: $sgpr90
                                        ; implicit-def: $sgpr91
	s_delay_alu instid0(SALU_CYCLE_1) | instskip(NEXT) | instid1(SALU_CYCLE_1)
	s_and_b32 s17, s10, vcc_lo
                                        ; implicit-def: $sgpr10
	s_and_saveexec_b32 s89, s17
	s_cbranch_execz .LBB23_378
; %bb.352:                              ;   in Loop: Header=BB23_6 Depth=1
	ds_load_b32 v1, v22 offset:4096
	s_waitcnt lgkmcnt(0)
	s_barrier
	buffer_gl0_inv
	v_readfirstlane_b32 s90, v1
	s_and_saveexec_b32 s10, s6
	s_cbranch_execz .LBB23_354
; %bb.353:                              ;   in Loop: Header=BB23_6 Depth=1
	ds_store_b8 v0, v15 offset:3072
.LBB23_354:                             ;   in Loop: Header=BB23_6 Depth=1
	s_or_b32 exec_lo, exec_lo, s10
	v_and_b32_e32 v24, s14, v24
	v_or_b32_e32 v23, s13, v23
	s_cmp_eq_u32 s90, 0
	s_waitcnt lgkmcnt(0)
	s_barrier
	buffer_gl0_inv
	s_cbranch_scc1 .LBB23_363
; %bb.355:                              ;   in Loop: Header=BB23_6 Depth=1
	s_add_i32 s10, s90, s65
                                        ; implicit-def: $vgpr25
	s_delay_alu instid0(SALU_CYCLE_1) | instskip(NEXT) | instid1(SALU_CYCLE_1)
	s_mul_hi_u32 s91, s10, s71
	s_mul_i32 s91, s91, s33
	s_delay_alu instid0(SALU_CYCLE_1) | instskip(NEXT) | instid1(SALU_CYCLE_1)
	s_sub_i32 s91, s10, s91
	s_sub_i32 s92, s91, s33
	s_cmp_ge_u32 s91, s33
	s_cselect_b32 s91, s92, s91
	s_delay_alu instid0(SALU_CYCLE_1)
	s_sub_i32 s92, s91, s33
	s_cmp_ge_u32 s91, s33
	s_cselect_b32 s91, s92, s91
	s_mov_b32 s92, 0
	s_sub_i32 s93, s10, s91
	s_mov_b32 s91, exec_lo
	v_cmpx_gt_u32_e64 s93, v0
	s_cbranch_execz .LBB23_365
; %bb.356:                              ;   in Loop: Header=BB23_6 Depth=1
	v_mov_b32_e32 v1, v0
                                        ; implicit-def: $sgpr94
	s_set_inst_prefetch_distance 0x1
	s_branch .LBB23_358
	.p2align	6
.LBB23_357:                             ;   in Loop: Header=BB23_358 Depth=2
	s_or_b32 exec_lo, exec_lo, s10
	s_waitcnt lgkmcnt(0)
	s_barrier
	buffer_gl0_inv
	ds_load_u16 v3, v22 offset:3072
	v_add_nc_u32_e32 v1, s33, v1
	s_waitcnt lgkmcnt(0)
	s_barrier
	buffer_gl0_inv
	v_cmp_le_u32_e32 vcc_lo, s93, v1
	v_and_b32_e32 v4, 0xff, v3
	s_delay_alu instid0(VALU_DEP_1) | instskip(NEXT) | instid1(VALU_DEP_1)
	v_cmp_ne_u16_e64 s10, 0, v4
	s_or_b32 s95, vcc_lo, s10
	s_delay_alu instid0(SALU_CYCLE_1) | instskip(NEXT) | instid1(SALU_CYCLE_1)
	s_and_b32 s95, exec_lo, s95
	s_or_b32 s92, s95, s92
	s_and_not1_b32 s94, s94, exec_lo
	s_and_b32 s10, s10, exec_lo
	s_delay_alu instid0(SALU_CYCLE_1)
	s_or_b32 s94, s94, s10
	s_and_not1_b32 exec_lo, exec_lo, s92
	s_cbranch_execz .LBB23_364
.LBB23_358:                             ;   Parent Loop BB23_6 Depth=1
                                        ; =>  This Inner Loop Header: Depth=2
	s_delay_alu instid0(VALU_DEP_1)
	v_cmp_gt_u32_e32 vcc_lo, s90, v1
	v_mov_b32_e32 v3, 0
	s_and_saveexec_b32 s10, vcc_lo
	s_cbranch_execz .LBB23_360
; %bb.359:                              ;   in Loop: Header=BB23_358 Depth=2
	ds_load_u8 v3, v1
.LBB23_360:                             ;   in Loop: Header=BB23_358 Depth=2
	s_or_b32 exec_lo, exec_lo, s10
	s_and_saveexec_b32 s10, vcc_lo
	s_cbranch_execz .LBB23_357
; %bb.361:                              ;   in Loop: Header=BB23_358 Depth=2
	s_waitcnt lgkmcnt(0)
	v_bfe_i32 v4, v3, 0, 8
	s_delay_alu instid0(VALU_DEP_1) | instskip(NEXT) | instid1(VALU_DEP_1)
	v_add_nc_u32_e32 v4, 0x80, v4
	v_and_b32_e32 v4, v4, v23
	s_delay_alu instid0(VALU_DEP_1)
	v_cmp_eq_u32_e32 vcc_lo, v4, v24
	s_and_b32 exec_lo, exec_lo, vcc_lo
	s_cbranch_execz .LBB23_357
; %bb.362:                              ;   in Loop: Header=BB23_358 Depth=2
	v_lshlrev_b16 v3, 8, v3
	s_delay_alu instid0(VALU_DEP_1)
	v_or_b32_e32 v3, 1, v3
	ds_store_b16 v22, v3 offset:3072
	s_branch .LBB23_357
.LBB23_363:                             ;   in Loop: Header=BB23_6 Depth=1
	s_mov_b32 s10, -1
	s_mov_b32 s92, 0
                                        ; implicit-def: $sgpr90
                                        ; implicit-def: $vgpr25
	s_branch .LBB23_366
.LBB23_364:                             ;   in Loop: Header=BB23_6 Depth=1
	s_set_inst_prefetch_distance 0x2
	s_or_b32 exec_lo, exec_lo, s92
	v_lshrrev_b16 v25, 8, v3
	s_and_b32 s92, s94, exec_lo
.LBB23_365:                             ;   in Loop: Header=BB23_6 Depth=1
	s_or_b32 exec_lo, exec_lo, s91
	s_mov_b32 s10, 0
	s_mov_b32 s90, -1
.LBB23_366:                             ;   in Loop: Header=BB23_6 Depth=1
	s_and_b32 vcc_lo, exec_lo, s10
	s_mov_b32 s91, s10
	s_cbranch_vccz .LBB23_377
; %bb.367:                              ;   in Loop: Header=BB23_6 Depth=1
	s_mov_b32 s92, 0
                                        ; implicit-def: $vgpr25
	s_and_saveexec_b32 s90, s9
	s_cbranch_execz .LBB23_376
; %bb.368:                              ;   in Loop: Header=BB23_6 Depth=1
	v_mov_b32_e32 v1, v14
	v_mov_b32_e32 v3, v0
	s_mov_b32 s91, 0
                                        ; implicit-def: $sgpr92
	s_set_inst_prefetch_distance 0x1
	s_branch .LBB23_370
	.p2align	6
.LBB23_369:                             ;   in Loop: Header=BB23_370 Depth=2
	s_or_b32 exec_lo, exec_lo, s10
	s_waitcnt vmcnt(0) lgkmcnt(0)
	s_barrier
	buffer_gl0_inv
	ds_load_u16 v4, v22 offset:3072
	v_add_nc_u32_e32 v3, s33, v3
	v_add_nc_u32_e32 v1, s43, v1
	s_waitcnt lgkmcnt(0)
	s_barrier
	buffer_gl0_inv
	v_cmp_le_u32_e32 vcc_lo, s73, v3
	v_and_b32_e32 v25, 0xff, v4
	s_delay_alu instid0(VALU_DEP_1) | instskip(NEXT) | instid1(VALU_DEP_1)
	v_cmp_ne_u16_e64 s10, 0, v25
	s_or_b32 s93, vcc_lo, s10
	s_delay_alu instid0(SALU_CYCLE_1) | instskip(NEXT) | instid1(SALU_CYCLE_1)
	s_and_b32 s93, exec_lo, s93
	s_or_b32 s91, s93, s91
	s_and_not1_b32 s92, s92, exec_lo
	s_and_b32 s10, s10, exec_lo
	s_delay_alu instid0(SALU_CYCLE_1)
	s_or_b32 s92, s92, s10
	s_and_not1_b32 exec_lo, exec_lo, s91
	s_cbranch_execz .LBB23_375
.LBB23_370:                             ;   Parent Loop BB23_6 Depth=1
                                        ; =>  This Inner Loop Header: Depth=2
	s_delay_alu instid0(VALU_DEP_1)
	v_cmp_gt_u32_e32 vcc_lo, s36, v3
	v_mov_b32_e32 v4, 0
	s_and_saveexec_b32 s10, vcc_lo
	s_cbranch_execz .LBB23_372
; %bb.371:                              ;   in Loop: Header=BB23_370 Depth=2
	global_load_u8 v4, v1, s[30:31]
.LBB23_372:                             ;   in Loop: Header=BB23_370 Depth=2
	s_or_b32 exec_lo, exec_lo, s10
	s_and_saveexec_b32 s10, vcc_lo
	s_cbranch_execz .LBB23_369
; %bb.373:                              ;   in Loop: Header=BB23_370 Depth=2
	s_waitcnt vmcnt(0)
	v_bfe_i32 v25, v4, 0, 8
	s_delay_alu instid0(VALU_DEP_1) | instskip(NEXT) | instid1(VALU_DEP_1)
	v_add_nc_u32_e32 v25, 0x80, v25
	v_and_b32_e32 v25, v25, v23
	s_delay_alu instid0(VALU_DEP_1)
	v_cmp_eq_u32_e32 vcc_lo, v25, v24
	s_and_b32 exec_lo, exec_lo, vcc_lo
	s_cbranch_execz .LBB23_369
; %bb.374:                              ;   in Loop: Header=BB23_370 Depth=2
	v_lshlrev_b16 v4, 8, v4
	s_delay_alu instid0(VALU_DEP_1)
	v_or_b32_e32 v4, 1, v4
	ds_store_b16 v22, v4 offset:3072
	s_branch .LBB23_369
.LBB23_375:                             ;   in Loop: Header=BB23_6 Depth=1
	s_set_inst_prefetch_distance 0x2
	s_or_b32 exec_lo, exec_lo, s91
	v_lshrrev_b16 v25, 8, v4
	s_and_b32 s92, s92, exec_lo
.LBB23_376:                             ;   in Loop: Header=BB23_6 Depth=1
	s_or_b32 exec_lo, exec_lo, s90
	s_mov_b32 s90, 0
	s_mov_b32 s10, -1
	s_mov_b32 s91, 0
.LBB23_377:                             ;   in Loop: Header=BB23_6 Depth=1
	s_or_not1_b32 s92, s92, exec_lo
.LBB23_378:                             ;   in Loop: Header=BB23_6 Depth=1
	s_or_b32 exec_lo, exec_lo, s89
	s_mov_b32 s93, 0
                                        ; implicit-def: $vgpr27
                                        ; implicit-def: $vgpr1
	s_and_saveexec_b32 s89, s92
	s_cbranch_execz .LBB23_390
; %bb.379:                              ;   in Loop: Header=BB23_6 Depth=1
	v_mov_b32_e32 v27, 1
	v_mov_b32_e32 v1, 1
	s_xor_b32 s92, s17, -1
	s_delay_alu instid0(SALU_CYCLE_1)
	s_and_saveexec_b32 s17, s92
	s_cbranch_execz .LBB23_389
; %bb.380:                              ;   in Loop: Header=BB23_6 Depth=1
	s_mov_b32 s92, exec_lo
                                        ; implicit-def: $sgpr93
	v_cmpx_ge_u32_e64 s12, v2
	s_xor_b32 s92, exec_lo, s92
	s_cbranch_execz .LBB23_386
; %bb.381:                              ;   in Loop: Header=BB23_6 Depth=1
	ds_load_b32 v1, v22 offset:4096
	s_waitcnt lgkmcnt(0)
	v_cmp_ne_u32_e32 vcc_lo, 0, v1
	s_cbranch_vccnz .LBB23_385
; %bb.382:                              ;   in Loop: Header=BB23_6 Depth=1
	s_and_saveexec_b32 s93, s5
	s_cbranch_execz .LBB23_384
; %bb.383:                              ;   in Loop: Header=BB23_6 Depth=1
	v_mov_b32_e32 v1, s12
	ds_store_b32 v22, v1 offset:4100
.LBB23_384:                             ;   in Loop: Header=BB23_6 Depth=1
	s_or_b32 exec_lo, exec_lo, s93
	s_waitcnt lgkmcnt(0)
	s_barrier
	buffer_gl0_inv
.LBB23_385:                             ;   in Loop: Header=BB23_6 Depth=1
	v_and_b32_e32 v24, s14, v24
	v_or_b32_e32 v23, s13, v23
	s_mov_b32 s93, 5
.LBB23_386:                             ;   in Loop: Header=BB23_6 Depth=1
	s_or_saveexec_b32 s13, s92
	v_mov_b32_e32 v27, s93
	s_xor_b32 exec_lo, exec_lo, s13
; %bb.387:                              ;   in Loop: Header=BB23_6 Depth=1
	v_subrev_nc_u32_e32 v2, s12, v2
	v_mov_b32_e32 v27, 5
; %bb.388:                              ;   in Loop: Header=BB23_6 Depth=1
	s_or_b32 exec_lo, exec_lo, s13
	s_delay_alu instid0(VALU_DEP_2)
	v_mov_b32_e32 v1, v2
.LBB23_389:                             ;   in Loop: Header=BB23_6 Depth=1
	s_or_b32 exec_lo, exec_lo, s17
	s_delay_alu instid0(SALU_CYCLE_1)
	s_mov_b32 s93, exec_lo
.LBB23_390:                             ;   in Loop: Header=BB23_6 Depth=1
	s_or_b32 exec_lo, exec_lo, s89
	s_delay_alu instid0(VALU_DEP_1)
	v_mov_b32_e32 v2, v1
	s_or_not1_b32 s17, s93, exec_lo
.LBB23_391:                             ;   in Loop: Header=BB23_6 Depth=1
	s_or_b32 exec_lo, exec_lo, s16
	s_delay_alu instid0(SALU_CYCLE_1)
	s_and_not1_b32 s12, s28, exec_lo
	s_and_b32 s10, s10, exec_lo
	s_and_not1_b32 s13, s87, exec_lo
	s_or_b32 s28, s12, s10
	s_and_not1_b32 s10, s29, exec_lo
	s_and_b32 s12, s90, exec_lo
	s_and_b32 s14, s91, exec_lo
	v_mov_b32_e32 v1, v2
	s_or_b32 s29, s10, s12
	s_or_b32 s87, s13, s14
	s_and_b32 s90, s17, exec_lo
.LBB23_392:                             ;   in Loop: Header=BB23_6 Depth=1
	s_or_b32 exec_lo, exec_lo, s88
	s_delay_alu instid0(SALU_CYCLE_1)
	s_and_b32 s88, s28, exec_lo
	s_and_b32 s29, s29, exec_lo
	;; [unrolled: 1-line block ×3, first 2 shown]
	s_or_not1_b32 s10, s90, exec_lo
.LBB23_393:                             ;   in Loop: Header=BB23_6 Depth=1
	s_or_b32 exec_lo, exec_lo, s18
	s_delay_alu instid0(SALU_CYCLE_1)
	s_and_not1_b32 s12, s22, exec_lo
	s_and_b32 s13, s88, exec_lo
	s_and_not1_b32 s14, s26, exec_lo
	s_or_b32 s22, s12, s13
	s_and_not1_b32 s12, s25, exec_lo
	s_and_b32 s13, s29, exec_lo
	s_and_b32 s16, s28, exec_lo
	v_mov_b32_e32 v4, v1
	s_or_b32 s25, s12, s13
	s_or_b32 s26, s14, s16
	s_and_b32 s29, s10, exec_lo
.LBB23_394:                             ;   in Loop: Header=BB23_6 Depth=1
	s_or_b32 exec_lo, exec_lo, s27
	s_delay_alu instid0(SALU_CYCLE_1)
	s_and_b32 s27, s22, exec_lo
	s_and_b32 s25, s25, exec_lo
	;; [unrolled: 1-line block ×3, first 2 shown]
	s_or_not1_b32 s26, s29, exec_lo
.LBB23_395:                             ;   in Loop: Header=BB23_6 Depth=1
	s_or_b32 exec_lo, exec_lo, s19
	s_mov_b32 s10, s20
	s_mov_b32 s12, s11
	s_and_saveexec_b32 s13, s26
; %bb.396:                              ;   in Loop: Header=BB23_6 Depth=1
	v_cmp_eq_u32_e32 vcc_lo, 5, v27
	v_cmp_ne_u32_e64 s10, 5, v27
	s_and_not1_b32 s12, s11, exec_lo
	s_and_not1_b32 s14, s20, exec_lo
	;; [unrolled: 1-line block ×3, first 2 shown]
	s_and_b32 s16, vcc_lo, exec_lo
	s_and_b32 s10, s10, exec_lo
	s_and_not1_b32 s25, s25, exec_lo
	s_and_not1_b32 s22, s22, exec_lo
	s_or_b32 s12, s12, s10
	s_or_b32 s10, s14, s16
; %bb.397:                              ;   in Loop: Header=BB23_6 Depth=1
	s_or_b32 exec_lo, exec_lo, s13
	s_delay_alu instid0(SALU_CYCLE_1)
	s_and_not1_b32 s13, s23, exec_lo
	s_and_b32 s14, s27, exec_lo
	v_dual_mov_b32 v1, v24 :: v_dual_mov_b32 v2, v23
	s_or_b32 s23, s13, s14
	s_and_not1_b32 s13, s24, exec_lo
	s_and_b32 s14, s25, exec_lo
	v_mov_b32_e32 v3, v25
	s_and_not1_b32 s15, s15, exec_lo
	s_and_b32 s16, s22, exec_lo
	s_or_b32 s24, s13, s14
	s_and_not1_b32 s11, s11, exec_lo
	s_and_b32 s12, s12, exec_lo
	s_and_not1_b32 s13, s20, exec_lo
	s_and_b32 s10, s10, exec_lo
	s_or_b32 s15, s15, s16
	s_or_b32 s11, s11, s12
	;; [unrolled: 1-line block ×3, first 2 shown]
.LBB23_398:                             ;   in Loop: Header=BB23_6 Depth=1
	s_or_b32 exec_lo, exec_lo, s21
	s_mov_b32 s22, s15
	s_mov_b32 s21, s15
	s_and_saveexec_b32 s10, s20
.LBB23_399:                             ;   in Loop: Header=BB23_6 Depth=1
	v_mov_b32_e32 v27, 0
	s_and_not1_b32 s15, s15, exec_lo
	s_and_not1_b32 s23, s23, exec_lo
	;; [unrolled: 1-line block ×5, first 2 shown]
	s_or_b32 s11, s11, exec_lo
.LBB23_400:                             ;   in Loop: Header=BB23_6 Depth=1
	s_or_b32 exec_lo, exec_lo, s10
	s_delay_alu instid0(SALU_CYCLE_1)
	s_and_not1_b32 s10, s86, exec_lo
	s_and_b32 s13, s15, exec_lo
	s_and_not1_b32 s14, s83, exec_lo
	s_or_b32 s86, s10, s13
	s_and_not1_b32 s10, s85, exec_lo
	s_and_b32 s13, s23, exec_lo
	s_and_b32 s15, s24, exec_lo
	s_or_b32 s85, s10, s13
	s_or_b32 s83, s14, s15
	s_and_not1_b32 s10, s84, exec_lo
	s_and_b32 s13, s22, exec_lo
	s_and_not1_b32 s14, s82, exec_lo
	s_and_b32 s15, s21, exec_lo
	s_mov_b32 s12, -1
	s_or_b32 s84, s10, s13
	s_or_b32 s82, s14, s15
                                        ; implicit-def: $vgpr23
                                        ; implicit-def: $vgpr24
                                        ; implicit-def: $vgpr26
                                        ; implicit-def: $vgpr25
	s_and_saveexec_b32 s10, s11
	s_delay_alu instid0(SALU_CYCLE_1)
	s_xor_b32 s10, exec_lo, s10
	s_cbranch_execz .LBB23_5
; %bb.401:                              ;   in Loop: Header=BB23_6 Depth=1
	s_mov_b32 s11, -1
	s_mov_b32 s13, exec_lo
	v_cmpx_eq_u32_e32 0, v27
	s_cbranch_execz .LBB23_4
; %bb.402:                              ;   in Loop: Header=BB23_6 Depth=1
	s_xor_b32 s76, s76, 1
	s_add_i32 s14, s80, -2
	s_cmp_eq_u32 s80, 0
	s_mov_b32 s80, s14
	s_cselect_b32 s11, -1, 0
	s_xor_b32 s12, exec_lo, -1
	s_or_not1_b32 s11, s11, exec_lo
	s_branch .LBB23_4
.LBB23_403:
	s_or_b32 exec_lo, exec_lo, s59
	s_xor_b32 s7, s81, -1
	s_xor_b32 s12, s78, -1
	;; [unrolled: 1-line block ×5, first 2 shown]
	s_mov_b32 s9, 0
	s_and_saveexec_b32 s10, s8
	s_delay_alu instid0(SALU_CYCLE_1)
	s_xor_b32 s8, exec_lo, s10
	s_cbranch_execz .LBB23_460
; %bb.404:
	s_mov_b32 s10, 0
	s_and_saveexec_b32 s9, s11
	s_delay_alu instid0(SALU_CYCLE_1)
	s_xor_b32 s9, exec_lo, s9
	s_cbranch_execz .LBB23_458
; %bb.405:
	s_mov_b32 s11, 0
	s_and_saveexec_b32 s10, s12
	s_delay_alu instid0(SALU_CYCLE_1)
	s_xor_b32 s10, exec_lo, s10
	s_cbranch_execz .LBB23_456
; %bb.406:
	s_mov_b32 s12, 0
	s_and_saveexec_b32 s11, s7
	s_delay_alu instid0(SALU_CYCLE_1)
	s_xor_b32 s11, exec_lo, s11
	s_cbranch_execz .LBB23_454
; %bb.407:
	s_and_saveexec_b32 s7, s6
	s_delay_alu instid0(SALU_CYCLE_1)
	s_xor_b32 s6, exec_lo, s7
; %bb.408:
	v_xor_b32_e32 v3, 0xffffff80, v1
; %bb.409:
	s_or_b32 exec_lo, exec_lo, s6
	s_and_saveexec_b32 s6, s5
	s_cbranch_execz .LBB23_411
; %bb.410:
	v_mov_b32_e32 v1, 0
	ds_store_b32 v1, v1 offset:4108
.LBB23_411:
	s_or_b32 exec_lo, exec_lo, s6
	v_mov_b32_e32 v7, 0
	s_waitcnt lgkmcnt(0)
	s_barrier
	buffer_gl0_inv
	s_and_saveexec_b32 s5, s4
	s_cbranch_execz .LBB23_413
; %bb.412:
	global_load_u8 v7, v[5:6], off
.LBB23_413:
	s_or_b32 exec_lo, exec_lo, s5
	s_mul_i32 s7, s58, s52
	s_add_i32 s5, s36, 31
	s_mul_i32 s6, s47, s53
	s_sub_i32 s7, s47, s7
	s_and_not1_b32 s5, s5, 31
	s_sub_i32 s6, s55, s6
	s_add_i32 s12, s58, 1
	s_sub_i32 s13, s7, s52
	s_cmp_ge_u32 s7, s52
	s_mul_i32 s6, s6, s46
	s_cselect_b32 s12, s12, s58
	s_cselect_b32 s7, s13, s7
	s_add_i32 s13, s12, 1
	s_cmp_ge_u32 s7, s52
	v_add_nc_u32_e32 v1, s33, v0
	s_cselect_b32 s7, s13, s12
	s_mul_i32 s13, s56, s51
	s_mul_i32 s12, s7, s52
	s_mul_i32 s7, s7, s44
	s_sub_i32 s12, s47, s12
	v_mul_lo_u32 v4, s54, v1
	s_mul_i32 s12, s12, s45
	s_mov_b32 s16, 0
	s_add_i32 s6, s12, s6
	s_mul_i32 s12, s57, s50
	s_add_i32 s6, s6, s7
	s_sub_i32 s12, s56, s12
	s_sub_i32 s7, s55, s13
	s_add_i32 s13, s57, 1
	s_sub_i32 s14, s12, s50
	s_cmp_ge_u32 s12, s50
	s_mul_i32 s7, s7, s42
	s_cselect_b32 s13, s13, s57
	s_cselect_b32 s12, s14, s12
	s_add_i32 s14, s13, 1
	s_cmp_ge_u32 s12, s50
	s_mov_b32 s17, exec_lo
	s_cselect_b32 s14, s14, s13
	s_delay_alu instid0(SALU_CYCLE_1)
	s_mul_i32 s12, s14, s50
	s_mul_i32 s14, s14, s40
	s_sub_i32 s15, s56, s12
	s_clause 0x1
	s_load_b32 s12, s[0:1], 0x1c8
	s_load_b32 s13, s[0:1], 0x2a8
	s_mul_i32 s0, s15, s41
	s_mov_b32 s1, 0
	s_add_i32 s0, s0, s7
	s_delay_alu instid0(SALU_CYCLE_1)
	s_add_i32 s0, s0, s14
	s_add_u32 s6, s48, s6
	s_addc_u32 s7, s49, 0
	s_lshl_b64 s[14:15], s[0:1], 3
	s_mov_b32 s0, -1
	s_add_u32 s14, s34, s14
	s_addc_u32 s15, s35, s15
	v_cmpx_gt_u32_e64 s5, v0
	s_cbranch_execz .LBB23_429
; %bb.414:
	v_bfe_i32 v9, v3, 0, 8
	v_mul_lo_u32 v8, s54, v1
	v_dual_mov_b32 v2, 0 :: v_dual_mov_b32 v1, v0
                                        ; implicit-def: $sgpr18
                                        ; implicit-def: $vgpr13
	s_delay_alu instid0(VALU_DEP_3)
	v_add_nc_u32_e32 v9, 0x80, v9
	s_branch .LBB23_416
.LBB23_415:                             ;   in Loop: Header=BB23_416 Depth=1
	s_or_b32 exec_lo, exec_lo, s19
	s_xor_b32 s19, s20, -1
	s_and_b32 s0, exec_lo, s0
	v_mov_b32_e32 v7, v12
	s_or_b32 s16, s0, s16
	v_mov_b32_e32 v1, v10
	s_and_not1_b32 s0, s18, exec_lo
	s_and_b32 s18, s19, exec_lo
	s_delay_alu instid0(SALU_CYCLE_1)
	s_or_b32 s18, s0, s18
	s_and_not1_b32 exec_lo, exec_lo, s16
	s_cbranch_execz .LBB23_428
.LBB23_416:                             ; =>This Inner Loop Header: Depth=1
	s_delay_alu instid0(VALU_DEP_2) | instskip(SKIP_2) | instid1(VALU_DEP_2)
	v_add_nc_u32_e32 v10, s33, v1
	v_mov_b32_e32 v12, 0
	s_mov_b32 s0, exec_lo
	v_cmpx_gt_u32_e64 s36, v10
	s_cbranch_execz .LBB23_418
; %bb.417:                              ;   in Loop: Header=BB23_416 Depth=1
	global_load_u8 v12, v8, s[30:31]
.LBB23_418:                             ;   in Loop: Header=BB23_416 Depth=1
	s_or_b32 exec_lo, exec_lo, s0
	s_waitcnt vmcnt(0)
	v_bfe_i32 v14, v7, 0, 8
	s_delay_alu instid0(VALU_DEP_1) | instskip(NEXT) | instid1(VALU_DEP_1)
	v_add_nc_u32_e32 v14, 0x80, v14
	v_cmp_gt_u32_e32 vcc_lo, v14, v9
	v_cndmask_b32_e64 v15, 0, 1, vcc_lo
	v_cmp_lt_u32_e32 vcc_lo, v14, v9
	v_cndmask_b32_e64 v14, 0, 1, vcc_lo
	v_cmp_gt_u32_e32 vcc_lo, s36, v1
	s_delay_alu instid0(VALU_DEP_2) | instskip(NEXT) | instid1(VALU_DEP_1)
	v_cndmask_b32_e64 v14, v14, v15, s3
	v_and_b32_e32 v14, 1, v14
	s_delay_alu instid0(VALU_DEP_1) | instskip(NEXT) | instid1(VALU_DEP_1)
	v_cmp_eq_u32_e64 s0, 1, v14
	s_and_b32 s19, vcc_lo, s0
	s_delay_alu instid0(SALU_CYCLE_1) | instskip(NEXT) | instid1(VALU_DEP_1)
	v_cndmask_b32_e64 v14, 0, 1, s19
	v_cmp_ne_u32_e32 vcc_lo, 0, v14
	s_cmp_lg_u32 vcc_lo, 0
	s_cselect_b32 s0, -1, 0
	s_delay_alu instid0(SALU_CYCLE_1) | instskip(NEXT) | instid1(SALU_CYCLE_1)
	s_and_b32 s0, s2, s0
	s_and_saveexec_b32 s20, s0
	s_cbranch_execz .LBB23_422
; %bb.419:                              ;   in Loop: Header=BB23_416 Depth=1
	s_mov_b32 s23, exec_lo
	s_bcnt1_i32_b32 s21, vcc_lo
	s_waitcnt lgkmcnt(0)
	v_mbcnt_lo_u32_b32 v13, s23, 0
	s_mov_b32 s22, exec_lo
                                        ; implicit-def: $vgpr14
	s_delay_alu instid0(VALU_DEP_1)
	v_cmpx_eq_u32_e32 0, v13
	s_cbranch_execz .LBB23_421
; %bb.420:                              ;   in Loop: Header=BB23_416 Depth=1
	s_bcnt1_i32_b32 s0, s23
	s_delay_alu instid0(SALU_CYCLE_1) | instskip(NEXT) | instid1(SALU_CYCLE_1)
	s_mul_i32 s0, s21, s0
	v_mov_b32_e32 v14, s0
	ds_add_rtn_u32 v14, v2, v14 offset:4108
.LBB23_421:                             ;   in Loop: Header=BB23_416 Depth=1
	s_or_b32 exec_lo, exec_lo, s22
	s_waitcnt lgkmcnt(0)
	v_readfirstlane_b32 s0, v14
	s_delay_alu instid0(VALU_DEP_1)
	v_mad_u32_u24 v13, s21, v13, s0
.LBB23_422:                             ;   in Loop: Header=BB23_416 Depth=1
	s_or_b32 exec_lo, exec_lo, s20
	s_waitcnt lgkmcnt(0)
	ds_bpermute_b32 v13, v2, v13
	s_mov_b32 s0, -1
	s_mov_b32 s22, -1
                                        ; implicit-def: $sgpr20
	s_and_saveexec_b32 s21, s19
	s_cbranch_execz .LBB23_426
; %bb.423:                              ;   in Loop: Header=BB23_416 Depth=1
	v_and_b32_e32 v14, vcc_lo, v11
	s_mov_b32 s19, 0
	s_mov_b32 s20, exec_lo
	s_waitcnt lgkmcnt(0)
	s_delay_alu instid0(VALU_DEP_1) | instskip(NEXT) | instid1(VALU_DEP_1)
	v_bcnt_u32_b32 v14, v14, v13
	v_cmpx_gt_u32_e64 s37, v14
	s_cbranch_execz .LBB23_425
; %bb.424:                              ;   in Loop: Header=BB23_416 Depth=1
	v_mul_lo_u32 v15, v14, s13
	v_mov_b32_e32 v16, v2
	v_mul_lo_u32 v17, v14, s12
	s_mov_b32 s19, exec_lo
	s_delay_alu instid0(VALU_DEP_2) | instskip(NEXT) | instid1(VALU_DEP_1)
	v_lshlrev_b64 v[15:16], 3, v[15:16]
	v_add_co_u32 v14, vcc_lo, s14, v15
	s_delay_alu instid0(VALU_DEP_2)
	v_add_co_ci_u32_e32 v15, vcc_lo, s15, v16, vcc_lo
	global_store_b8 v17, v7, s[6:7]
	global_store_b64 v[14:15], v[1:2], off
.LBB23_425:                             ;   in Loop: Header=BB23_416 Depth=1
	s_or_b32 exec_lo, exec_lo, s20
	s_mov_b32 s20, -1
	s_or_not1_b32 s22, s19, exec_lo
.LBB23_426:                             ;   in Loop: Header=BB23_416 Depth=1
	s_or_b32 exec_lo, exec_lo, s21
	s_and_saveexec_b32 s19, s22
	s_cbranch_execz .LBB23_415
; %bb.427:                              ;   in Loop: Header=BB23_416 Depth=1
	v_cmp_le_u32_e32 vcc_lo, s5, v10
	v_add_nc_u32_e32 v8, s43, v8
	s_and_not1_b32 s20, s20, exec_lo
	s_or_not1_b32 s0, vcc_lo, exec_lo
	s_branch .LBB23_415
.LBB23_428:
	s_or_b32 exec_lo, exec_lo, s16
	s_delay_alu instid0(SALU_CYCLE_1)
	s_mov_b32 s16, exec_lo
	s_or_not1_b32 s0, s18, exec_lo
.LBB23_429:
	s_or_b32 exec_lo, exec_lo, s17
	s_and_saveexec_b32 s3, s0
	s_cbranch_execz .LBB23_452
; %bb.430:
	v_mov_b32_e32 v1, 0
	s_waitcnt vmcnt(0)
	v_mov_b32_e32 v7, 0
	s_waitcnt lgkmcnt(0)
	s_waitcnt_vscnt null, 0x0
	s_barrier
	buffer_gl0_inv
	s_and_saveexec_b32 s0, s4
	s_cbranch_execz .LBB23_432
; %bb.431:
	global_load_u8 v7, v[5:6], off
.LBB23_432:
	s_or_b32 exec_lo, exec_lo, s0
	v_and_b32_e32 v2, 0xff, v3
	s_mov_b32 s4, 0
                                        ; implicit-def: $sgpr1
                                        ; implicit-def: $sgpr17
                                        ; implicit-def: $sgpr18
                                        ; implicit-def: $vgpr5
	s_branch .LBB23_435
.LBB23_433:                             ;   in Loop: Header=BB23_435 Depth=1
	s_or_b32 exec_lo, exec_lo, s21
	v_mov_b32_e32 v0, v6
	s_and_not1_b32 s0, s18, exec_lo
	s_and_b32 s18, s23, exec_lo
	s_and_not1_b32 s17, s17, exec_lo
	s_and_b32 s20, s20, exec_lo
	s_or_b32 s18, s0, s18
	s_or_b32 s17, s17, s20
.LBB23_434:                             ;   in Loop: Header=BB23_435 Depth=1
	s_or_b32 exec_lo, exec_lo, s19
	s_xor_b32 s0, s18, -1
	s_and_b32 s19, exec_lo, s17
	s_delay_alu instid0(SALU_CYCLE_1) | instskip(SKIP_2) | instid1(SALU_CYCLE_1)
	s_or_b32 s4, s19, s4
	s_and_not1_b32 s1, s1, exec_lo
	s_and_b32 s0, s0, exec_lo
	s_or_b32 s1, s1, s0
	s_and_not1_b32 exec_lo, exec_lo, s4
	s_cbranch_execz .LBB23_450
.LBB23_435:                             ; =>This Inner Loop Header: Depth=1
	s_or_b32 s18, s18, exec_lo
	s_or_b32 s17, s17, exec_lo
	s_mov_b32 s19, exec_lo
	v_cmpx_gt_u32_e64 s5, v0
	s_cbranch_execz .LBB23_434
; %bb.436:                              ;   in Loop: Header=BB23_435 Depth=1
	v_add_nc_u32_e32 v6, s33, v0
	v_mov_b32_e32 v8, 0
	s_mov_b32 s0, exec_lo
	s_delay_alu instid0(VALU_DEP_2)
	v_cmpx_gt_u32_e64 s36, v6
	s_cbranch_execz .LBB23_438
; %bb.437:                              ;   in Loop: Header=BB23_435 Depth=1
	global_load_u8 v8, v4, s[30:31]
.LBB23_438:                             ;   in Loop: Header=BB23_435 Depth=1
	s_or_b32 exec_lo, exec_lo, s0
	s_waitcnt vmcnt(0)
	v_and_b32_e32 v9, 0xff, v7
	v_cmp_gt_u32_e32 vcc_lo, s36, v0
	s_delay_alu instid0(VALU_DEP_2) | instskip(NEXT) | instid1(VALU_DEP_1)
	v_cmp_eq_u16_e64 s0, v9, v2
	s_and_b32 s21, vcc_lo, s0
	s_delay_alu instid0(SALU_CYCLE_1) | instskip(NEXT) | instid1(VALU_DEP_1)
	v_cndmask_b32_e64 v9, 0, 1, s21
	v_cmp_ne_u32_e32 vcc_lo, 0, v9
	s_cmp_lg_u32 vcc_lo, 0
	s_cselect_b32 s0, -1, 0
	s_delay_alu instid0(SALU_CYCLE_1) | instskip(NEXT) | instid1(SALU_CYCLE_1)
	s_and_b32 s0, s2, s0
	s_and_saveexec_b32 s20, s0
	s_cbranch_execz .LBB23_442
; %bb.439:                              ;   in Loop: Header=BB23_435 Depth=1
	s_mov_b32 s24, exec_lo
	s_bcnt1_i32_b32 s22, vcc_lo
	v_mbcnt_lo_u32_b32 v5, s24, 0
	s_mov_b32 s23, exec_lo
                                        ; implicit-def: $vgpr9
	s_delay_alu instid0(VALU_DEP_1)
	v_cmpx_eq_u32_e32 0, v5
	s_cbranch_execz .LBB23_441
; %bb.440:                              ;   in Loop: Header=BB23_435 Depth=1
	s_bcnt1_i32_b32 s0, s24
	s_delay_alu instid0(SALU_CYCLE_1) | instskip(NEXT) | instid1(SALU_CYCLE_1)
	s_mul_i32 s0, s22, s0
	v_mov_b32_e32 v9, s0
	ds_add_rtn_u32 v9, v1, v9 offset:4108
.LBB23_441:                             ;   in Loop: Header=BB23_435 Depth=1
	s_or_b32 exec_lo, exec_lo, s23
	s_waitcnt lgkmcnt(0)
	v_readfirstlane_b32 s0, v9
	s_delay_alu instid0(VALU_DEP_1)
	v_mad_u32_u24 v5, s22, v5, s0
.LBB23_442:                             ;   in Loop: Header=BB23_435 Depth=1
	s_or_b32 exec_lo, exec_lo, s20
	ds_bpermute_b32 v5, v1, v5
	s_cmp_eq_u32 vcc_lo, 0
	s_mov_b32 s20, -1
	s_cselect_b32 s22, -1, 0
	s_mov_b32 s23, -1
	s_waitcnt lgkmcnt(0)
	v_cmp_gt_u32_e64 s0, s37, v5
	s_delay_alu instid0(VALU_DEP_1) | instskip(SKIP_3) | instid1(SALU_CYCLE_1)
	s_or_b32 s0, s22, s0
	s_mov_b32 s22, -1
	v_cndmask_b32_e64 v7, v7, v8, s0
	s_and_b32 s24, s21, s0
	s_and_saveexec_b32 s21, s24
	s_cbranch_execz .LBB23_448
; %bb.443:                              ;   in Loop: Header=BB23_435 Depth=1
	v_and_b32_e32 v7, vcc_lo, v11
	v_sub_nc_u32_e32 v9, s37, v5
	s_mov_b32 s24, -1
	s_mov_b32 s23, exec_lo
	s_delay_alu instid0(VALU_DEP_2) | instskip(NEXT) | instid1(VALU_DEP_1)
	v_bcnt_u32_b32 v7, v7, 0
	v_cmp_le_u32_e64 s22, v9, v7
	v_cmpx_gt_u32_e64 v9, v7
	s_cbranch_execz .LBB23_447
; %bb.444:                              ;   in Loop: Header=BB23_435 Depth=1
	v_add_nc_u32_e32 v7, v5, v7
	s_delay_alu instid0(VALU_DEP_3) | instskip(SKIP_1) | instid1(VALU_DEP_1)
	s_mov_b32 s25, s22
	s_mov_b32 s24, exec_lo
	v_cmpx_gt_u32_e64 s37, v7
	s_cbranch_execz .LBB23_446
; %bb.445:                              ;   in Loop: Header=BB23_435 Depth=1
	v_mul_lo_u32 v9, v7, s13
	v_mov_b32_e32 v10, v1
	v_mul_lo_u32 v7, v7, s12
	s_or_b32 s25, s22, exec_lo
	s_delay_alu instid0(VALU_DEP_2)
	v_lshlrev_b64 v[9:10], 3, v[9:10]
	global_store_b8 v7, v3, s[6:7]
	v_add_co_u32 v9, vcc_lo, s14, v9
	v_add_co_ci_u32_e32 v10, vcc_lo, s15, v10, vcc_lo
	global_store_b64 v[9:10], v[0:1], off
.LBB23_446:                             ;   in Loop: Header=BB23_435 Depth=1
	s_or_b32 exec_lo, exec_lo, s24
	s_delay_alu instid0(SALU_CYCLE_1)
	s_and_not1_b32 s22, s22, exec_lo
	s_and_b32 s25, s25, exec_lo
	s_xor_b32 s24, exec_lo, -1
	s_or_b32 s22, s22, s25
.LBB23_447:                             ;   in Loop: Header=BB23_435 Depth=1
	s_or_b32 exec_lo, exec_lo, s23
	v_mov_b32_e32 v7, v8
	s_or_not1_b32 s23, s24, exec_lo
	s_or_b32 s0, s0, exec_lo
	s_or_not1_b32 s22, s22, exec_lo
.LBB23_448:                             ;   in Loop: Header=BB23_435 Depth=1
	s_or_b32 exec_lo, exec_lo, s21
	s_and_saveexec_b32 s21, s22
	s_cbranch_execz .LBB23_433
; %bb.449:                              ;   in Loop: Header=BB23_435 Depth=1
	v_add_nc_u32_e32 v4, s43, v4
	s_xor_b32 s0, s0, -1
	s_or_b32 s23, s23, exec_lo
	s_or_not1_b32 s20, s0, exec_lo
	s_branch .LBB23_433
.LBB23_450:
	s_or_b32 exec_lo, exec_lo, s4
	s_mov_b32 s0, 0
	s_and_saveexec_b32 s2, s1
	s_delay_alu instid0(SALU_CYCLE_1)
	s_xor_b32 s1, exec_lo, s2
	s_cbranch_execnz .LBB23_482
.LBB23_451:
	s_or_b32 exec_lo, exec_lo, s1
	s_delay_alu instid0(SALU_CYCLE_1)
	s_and_b32 s1, s0, exec_lo
	s_and_not1_b32 s16, s16, exec_lo
.LBB23_452:
	s_or_b32 exec_lo, exec_lo, s3
	s_and_saveexec_b32 s0, s16
	s_delay_alu instid0(SALU_CYCLE_1)
	s_xor_b32 s0, exec_lo, s0
	s_cbranch_execnz .LBB23_478
.LBB23_453:
	s_or_b32 exec_lo, exec_lo, s0
	s_waitcnt lgkmcnt(0)
	s_and_b32 s12, s1, exec_lo
.LBB23_454:
	s_and_not1_saveexec_b32 s0, s11
	s_cbranch_execnz .LBB23_474
.LBB23_455:
	s_or_b32 exec_lo, exec_lo, s0
	s_delay_alu instid0(SALU_CYCLE_1)
	s_and_b32 s11, s12, exec_lo
.LBB23_456:
	s_and_not1_saveexec_b32 s0, s10
	s_cbranch_execnz .LBB23_470
.LBB23_457:
	s_or_b32 exec_lo, exec_lo, s0
	s_delay_alu instid0(SALU_CYCLE_1)
	s_and_b32 s10, s11, exec_lo
.LBB23_458:
	s_and_not1_saveexec_b32 s0, s9
	s_cbranch_execnz .LBB23_466
.LBB23_459:
	s_or_b32 exec_lo, exec_lo, s0
	s_delay_alu instid0(SALU_CYCLE_1)
	s_and_b32 s9, s10, exec_lo
.LBB23_460:
	s_and_not1_saveexec_b32 s0, s8
	s_cbranch_execnz .LBB23_464
; %bb.461:
	s_or_b32 exec_lo, exec_lo, s0
	s_and_saveexec_b32 s0, s9
.LBB23_462:
	; divergent unreachable
.LBB23_463:
	s_nop 0
	s_sendmsg sendmsg(MSG_DEALLOC_VGPRS)
	s_endpgm
.LBB23_464:
	s_cbranch_execnz .LBB23_468
; %bb.465:
	s_or_b32 s9, s9, exec_lo
	s_or_b32 exec_lo, exec_lo, s0
	s_and_saveexec_b32 s0, s9
	s_cbranch_execnz .LBB23_462
	s_branch .LBB23_463
.LBB23_466:
	s_cbranch_execnz .LBB23_472
; %bb.467:
	s_or_b32 s10, s10, exec_lo
	s_branch .LBB23_459
.LBB23_468:
	s_trap 2
	s_sendmsg_rtn_b32 s0, sendmsg(MSG_RTN_GET_DOORBELL)
	s_mov_b32 ttmp2, m0
	s_waitcnt lgkmcnt(0)
	s_and_b32 s0, s0, 0x3ff
	s_delay_alu instid0(SALU_CYCLE_1) | instskip(NEXT) | instid1(SALU_CYCLE_1)
	s_bitset1_b32 s0, 10
	s_mov_b32 m0, s0
	s_sendmsg sendmsg(MSG_INTERRUPT)
	s_mov_b32 m0, ttmp2
.LBB23_469:                             ; =>This Inner Loop Header: Depth=1
	s_sethalt 5
	s_branch .LBB23_469
.LBB23_470:
	s_cbranch_execnz .LBB23_476
; %bb.471:
	s_or_b32 s11, s11, exec_lo
	s_branch .LBB23_457
.LBB23_472:
	s_trap 2
	s_sendmsg_rtn_b32 s0, sendmsg(MSG_RTN_GET_DOORBELL)
	s_mov_b32 ttmp2, m0
	s_waitcnt lgkmcnt(0)
	s_and_b32 s0, s0, 0x3ff
	s_delay_alu instid0(SALU_CYCLE_1) | instskip(NEXT) | instid1(SALU_CYCLE_1)
	s_bitset1_b32 s0, 10
	s_mov_b32 m0, s0
	s_sendmsg sendmsg(MSG_INTERRUPT)
	s_mov_b32 m0, ttmp2
.LBB23_473:                             ; =>This Inner Loop Header: Depth=1
	s_sethalt 5
	s_branch .LBB23_473
.LBB23_474:
	s_cbranch_execnz .LBB23_480
; %bb.475:
	s_or_b32 s12, s12, exec_lo
	s_branch .LBB23_455
.LBB23_476:
	s_trap 2
	s_sendmsg_rtn_b32 s0, sendmsg(MSG_RTN_GET_DOORBELL)
	s_mov_b32 ttmp2, m0
	s_waitcnt lgkmcnt(0)
	s_and_b32 s0, s0, 0x3ff
	s_delay_alu instid0(SALU_CYCLE_1) | instskip(NEXT) | instid1(SALU_CYCLE_1)
	s_bitset1_b32 s0, 10
	s_mov_b32 m0, s0
	s_sendmsg sendmsg(MSG_INTERRUPT)
	s_mov_b32 m0, ttmp2
.LBB23_477:                             ; =>This Inner Loop Header: Depth=1
	s_sethalt 5
	s_branch .LBB23_477
.LBB23_478:
	s_cbranch_execnz .LBB23_484
; %bb.479:
	s_or_b32 s1, s1, exec_lo
	s_branch .LBB23_453
.LBB23_480:
	s_trap 2
	s_sendmsg_rtn_b32 s0, sendmsg(MSG_RTN_GET_DOORBELL)
	s_mov_b32 ttmp2, m0
	s_waitcnt lgkmcnt(0)
	s_and_b32 s0, s0, 0x3ff
	s_delay_alu instid0(SALU_CYCLE_1) | instskip(NEXT) | instid1(SALU_CYCLE_1)
	s_bitset1_b32 s0, 10
	s_mov_b32 m0, s0
	s_sendmsg sendmsg(MSG_INTERRUPT)
	s_mov_b32 m0, ttmp2
.LBB23_481:                             ; =>This Inner Loop Header: Depth=1
	s_sethalt 5
	s_branch .LBB23_481
.LBB23_482:
	s_cbranch_execnz .LBB23_486
; %bb.483:
	s_mov_b32 s0, exec_lo
	s_branch .LBB23_451
.LBB23_484:
	s_trap 2
	s_sendmsg_rtn_b32 s0, sendmsg(MSG_RTN_GET_DOORBELL)
	s_mov_b32 ttmp2, m0
	s_waitcnt lgkmcnt(0)
	s_and_b32 s0, s0, 0x3ff
	s_delay_alu instid0(SALU_CYCLE_1) | instskip(NEXT) | instid1(SALU_CYCLE_1)
	s_bitset1_b32 s0, 10
	s_mov_b32 m0, s0
	s_sendmsg sendmsg(MSG_INTERRUPT)
	s_mov_b32 m0, ttmp2
.LBB23_485:                             ; =>This Inner Loop Header: Depth=1
	s_sethalt 5
	s_branch .LBB23_485
.LBB23_486:
	s_trap 2
	s_sendmsg_rtn_b32 s0, sendmsg(MSG_RTN_GET_DOORBELL)
	s_mov_b32 ttmp2, m0
	s_waitcnt lgkmcnt(0)
	s_and_b32 s0, s0, 0x3ff
	s_delay_alu instid0(SALU_CYCLE_1) | instskip(NEXT) | instid1(SALU_CYCLE_1)
	s_bitset1_b32 s0, 10
	s_mov_b32 m0, s0
	s_sendmsg sendmsg(MSG_INTERRUPT)
	s_mov_b32 m0, ttmp2
.LBB23_487:                             ; =>This Inner Loop Header: Depth=1
	s_sethalt 5
	s_branch .LBB23_487
	.section	.rodata,"a",@progbits
	.p2align	6, 0x0
	.amdhsa_kernel _ZN2at6native6sbtopk10gatherTopKIajLi3ELb0EEEvNS_4cuda6detail10TensorInfoIKT_T0_EES8_S8_bS8_S8_NS5_IS6_S8_EES8_NS5_IlS8_EES8_PS6_
		.amdhsa_group_segment_fixed_size 4112
		.amdhsa_private_segment_fixed_size 0
		.amdhsa_kernarg_size 952
		.amdhsa_user_sgpr_count 13
		.amdhsa_user_sgpr_dispatch_ptr 0
		.amdhsa_user_sgpr_queue_ptr 0
		.amdhsa_user_sgpr_kernarg_segment_ptr 1
		.amdhsa_user_sgpr_dispatch_id 0
		.amdhsa_user_sgpr_private_segment_size 0
		.amdhsa_wavefront_size32 1
		.amdhsa_uses_dynamic_stack 0
		.amdhsa_enable_private_segment 0
		.amdhsa_system_sgpr_workgroup_id_x 1
		.amdhsa_system_sgpr_workgroup_id_y 1
		.amdhsa_system_sgpr_workgroup_id_z 1
		.amdhsa_system_sgpr_workgroup_info 0
		.amdhsa_system_vgpr_workitem_id 0
		.amdhsa_next_free_vgpr 40
		.amdhsa_next_free_sgpr 100
		.amdhsa_reserve_vcc 1
		.amdhsa_float_round_mode_32 0
		.amdhsa_float_round_mode_16_64 0
		.amdhsa_float_denorm_mode_32 3
		.amdhsa_float_denorm_mode_16_64 3
		.amdhsa_dx10_clamp 1
		.amdhsa_ieee_mode 1
		.amdhsa_fp16_overflow 0
		.amdhsa_workgroup_processor_mode 1
		.amdhsa_memory_ordered 1
		.amdhsa_forward_progress 0
		.amdhsa_shared_vgpr_count 0
		.amdhsa_exception_fp_ieee_invalid_op 0
		.amdhsa_exception_fp_denorm_src 0
		.amdhsa_exception_fp_ieee_div_zero 0
		.amdhsa_exception_fp_ieee_overflow 0
		.amdhsa_exception_fp_ieee_underflow 0
		.amdhsa_exception_fp_ieee_inexact 0
		.amdhsa_exception_int_div_zero 0
	.end_amdhsa_kernel
	.section	.text._ZN2at6native6sbtopk10gatherTopKIajLi3ELb0EEEvNS_4cuda6detail10TensorInfoIKT_T0_EES8_S8_bS8_S8_NS5_IS6_S8_EES8_NS5_IlS8_EES8_PS6_,"axG",@progbits,_ZN2at6native6sbtopk10gatherTopKIajLi3ELb0EEEvNS_4cuda6detail10TensorInfoIKT_T0_EES8_S8_bS8_S8_NS5_IS6_S8_EES8_NS5_IlS8_EES8_PS6_,comdat
.Lfunc_end23:
	.size	_ZN2at6native6sbtopk10gatherTopKIajLi3ELb0EEEvNS_4cuda6detail10TensorInfoIKT_T0_EES8_S8_bS8_S8_NS5_IS6_S8_EES8_NS5_IlS8_EES8_PS6_, .Lfunc_end23-_ZN2at6native6sbtopk10gatherTopKIajLi3ELb0EEEvNS_4cuda6detail10TensorInfoIKT_T0_EES8_S8_bS8_S8_NS5_IS6_S8_EES8_NS5_IlS8_EES8_PS6_
                                        ; -- End function
	.section	.AMDGPU.csdata,"",@progbits
; Kernel info:
; codeLenInByte = 15920
; NumSgprs: 102
; NumVgprs: 40
; ScratchSize: 0
; MemoryBound: 0
; FloatMode: 240
; IeeeMode: 1
; LDSByteSize: 4112 bytes/workgroup (compile time only)
; SGPRBlocks: 12
; VGPRBlocks: 4
; NumSGPRsForWavesPerEU: 102
; NumVGPRsForWavesPerEU: 40
; Occupancy: 16
; WaveLimiterHint : 1
; COMPUTE_PGM_RSRC2:SCRATCH_EN: 0
; COMPUTE_PGM_RSRC2:USER_SGPR: 13
; COMPUTE_PGM_RSRC2:TRAP_HANDLER: 0
; COMPUTE_PGM_RSRC2:TGID_X_EN: 1
; COMPUTE_PGM_RSRC2:TGID_Y_EN: 1
; COMPUTE_PGM_RSRC2:TGID_Z_EN: 1
; COMPUTE_PGM_RSRC2:TIDIG_COMP_CNT: 0
	.section	.text._ZN2at6native6mbtopk23computeBlockDigitCountsIajjLin1EEEvNS_4cuda6detail10TensorInfoIKT_T0_EEjPjjS8_iijT1_PSB_Ps,"axG",@progbits,_ZN2at6native6mbtopk23computeBlockDigitCountsIajjLin1EEEvNS_4cuda6detail10TensorInfoIKT_T0_EEjPjjS8_iijT1_PSB_Ps,comdat
	.protected	_ZN2at6native6mbtopk23computeBlockDigitCountsIajjLin1EEEvNS_4cuda6detail10TensorInfoIKT_T0_EEjPjjS8_iijT1_PSB_Ps ; -- Begin function _ZN2at6native6mbtopk23computeBlockDigitCountsIajjLin1EEEvNS_4cuda6detail10TensorInfoIKT_T0_EEjPjjS8_iijT1_PSB_Ps
	.globl	_ZN2at6native6mbtopk23computeBlockDigitCountsIajjLin1EEEvNS_4cuda6detail10TensorInfoIKT_T0_EEjPjjS8_iijT1_PSB_Ps
	.p2align	8
	.type	_ZN2at6native6mbtopk23computeBlockDigitCountsIajjLin1EEEvNS_4cuda6detail10TensorInfoIKT_T0_EEjPjjS8_iijT1_PSB_Ps,@function
_ZN2at6native6mbtopk23computeBlockDigitCountsIajjLin1EEEvNS_4cuda6detail10TensorInfoIKT_T0_EEjPjjS8_iijT1_PSB_Ps: ; @_ZN2at6native6mbtopk23computeBlockDigitCountsIajjLin1EEEvNS_4cuda6detail10TensorInfoIKT_T0_EEjPjjS8_iijT1_PSB_Ps
; %bb.0:
	s_clause 0x2
	s_load_b64 s[2:3], s[0:1], 0xf8
	s_load_b128 s[8:11], s[0:1], 0xe8
	s_load_b64 s[4:5], s[0:1], 0x110
	s_waitcnt lgkmcnt(0)
	v_cvt_f32_u32_e32 v1, s2
	s_sub_i32 s7, 0, s2
	s_mul_i32 s5, s5, s15
	s_delay_alu instid0(SALU_CYCLE_1) | instskip(NEXT) | instid1(VALU_DEP_1)
	s_add_i32 s5, s5, s14
	v_rcp_iflag_f32_e32 v1, v1
	s_mul_i32 s16, s5, s4
	s_delay_alu instid0(SALU_CYCLE_1) | instskip(SKIP_3) | instid1(VALU_DEP_1)
	s_add_i32 s16, s16, s13
	s_mov_b32 s13, 0
	s_waitcnt_depctr 0xfff
	v_mul_f32_e32 v1, 0x4f7ffffe, v1
	v_cvt_u32_f32_e32 v1, v1
	s_delay_alu instid0(VALU_DEP_1) | instskip(NEXT) | instid1(VALU_DEP_1)
	v_readfirstlane_b32 s6, v1
	s_mul_i32 s7, s7, s6
	s_delay_alu instid0(SALU_CYCLE_1) | instskip(NEXT) | instid1(SALU_CYCLE_1)
	s_mul_hi_u32 s4, s6, s7
	s_add_i32 s6, s6, s4
	s_delay_alu instid0(SALU_CYCLE_1) | instskip(NEXT) | instid1(SALU_CYCLE_1)
	s_mul_hi_u32 s4, s16, s6
	s_mul_i32 s5, s4, s2
	s_add_i32 s6, s4, 1
	s_sub_i32 s5, s16, s5
	s_delay_alu instid0(SALU_CYCLE_1)
	s_sub_i32 s7, s5, s2
	s_cmp_ge_u32 s5, s2
	s_cselect_b32 s4, s6, s4
	s_cselect_b32 s5, s7, s5
	s_add_i32 s6, s4, 1
	s_cmp_ge_u32 s5, s2
	s_cselect_b32 s12, s6, s4
	s_delay_alu instid0(SALU_CYCLE_1)
	s_cmp_ge_u32 s12, s8
	s_cbranch_scc1 .LBB24_32
; %bb.1:
	s_clause 0x1
	s_load_b128 s[4:7], s[0:1], 0x100
	s_load_b32 s8, s[0:1], 0xd0
	s_lshl_b64 s[14:15], s[12:13], 2
	s_mov_b32 s17, s12
	s_waitcnt lgkmcnt(0)
	s_add_u32 s4, s4, s14
	s_addc_u32 s5, s5, s15
	s_cmp_lt_i32 s8, 2
	s_cbranch_scc1 .LBB24_4
; %bb.2:
	s_add_i32 s18, s8, -1
	s_mov_b32 s19, 0
	s_add_i32 s8, s8, 1
	s_lshl_b64 s[14:15], s[18:19], 2
	s_mov_b32 s17, s12
	s_add_u32 s13, s14, s0
	s_addc_u32 s15, s15, s1
	s_add_u32 s14, s13, 8
	s_addc_u32 s15, s15, 0
	s_mov_b32 s13, s19
	s_set_inst_prefetch_distance 0x1
	.p2align	6
.LBB24_3:                               ; =>This Inner Loop Header: Depth=1
	s_clause 0x1
	s_load_b32 s18, s[14:15], 0x0
	s_load_b32 s19, s[14:15], 0x64
	s_mov_b32 s22, s17
	s_waitcnt lgkmcnt(0)
	v_cvt_f32_u32_e32 v1, s18
	s_sub_i32 s21, 0, s18
	s_waitcnt_depctr 0xfff
	v_rcp_iflag_f32_e32 v1, v1
	s_waitcnt_depctr 0xfff
	v_mul_f32_e32 v1, 0x4f7ffffe, v1
	s_delay_alu instid0(VALU_DEP_1) | instskip(NEXT) | instid1(VALU_DEP_1)
	v_cvt_u32_f32_e32 v1, v1
	v_readfirstlane_b32 s20, v1
	s_delay_alu instid0(VALU_DEP_1) | instskip(NEXT) | instid1(SALU_CYCLE_1)
	s_mul_i32 s21, s21, s20
	s_mul_hi_u32 s21, s20, s21
	s_delay_alu instid0(SALU_CYCLE_1) | instskip(NEXT) | instid1(SALU_CYCLE_1)
	s_add_i32 s20, s20, s21
	s_mul_hi_u32 s17, s17, s20
	s_delay_alu instid0(SALU_CYCLE_1) | instskip(SKIP_2) | instid1(SALU_CYCLE_1)
	s_mul_i32 s20, s17, s18
	s_add_i32 s21, s17, 1
	s_sub_i32 s20, s22, s20
	s_sub_i32 s23, s20, s18
	s_cmp_ge_u32 s20, s18
	s_cselect_b32 s17, s21, s17
	s_cselect_b32 s20, s23, s20
	s_add_i32 s21, s17, 1
	s_cmp_ge_u32 s20, s18
	s_cselect_b32 s17, s21, s17
	s_add_i32 s8, s8, -1
	s_mul_i32 s18, s17, s18
	s_delay_alu instid0(SALU_CYCLE_1) | instskip(NEXT) | instid1(SALU_CYCLE_1)
	s_sub_i32 s18, s22, s18
	s_mul_i32 s18, s19, s18
	s_delay_alu instid0(SALU_CYCLE_1)
	s_add_i32 s13, s18, s13
	s_add_u32 s14, s14, -4
	s_addc_u32 s15, s15, -1
	s_cmp_gt_u32 s8, 2
	s_cbranch_scc1 .LBB24_3
.LBB24_4:
	s_set_inst_prefetch_distance 0x2
	s_load_b32 s8, s[4:5], 0x0
	v_cmp_gt_u32_e32 vcc_lo, 0x100, v0
	v_lshlrev_b32_e32 v1, 2, v0
	s_and_saveexec_b32 s4, vcc_lo
	s_cbranch_execz .LBB24_6
; %bb.5:
	v_mov_b32_e32 v2, 0
	ds_store_b32 v1, v2
.LBB24_6:
	s_or_b32 exec_lo, exec_lo, s4
	s_load_b32 s14, s[0:1], 0xd8
	s_mul_i32 s4, s12, s2
	s_waitcnt lgkmcnt(0)
	s_sub_i32 s4, s16, s4
	s_barrier
	s_mul_i32 s5, s11, s4
	s_add_i32 s4, s4, 1
	s_lshl_b32 s12, s5, 8
	buffer_gl0_inv
	s_sub_i32 s5, s14, s12
	s_delay_alu instid0(SALU_CYCLE_1) | instskip(SKIP_3) | instid1(VALU_DEP_1)
	s_add_u32 s5, s5, 0xff
	s_addc_u32 s15, 0, 0
	s_cmp_lt_u32 s4, s2
	v_alignbit_b32 v2, s15, s5, 8
	v_readfirstlane_b32 s5, v2
	s_delay_alu instid0(VALU_DEP_1)
	s_cselect_b32 s2, s11, s5
	s_mov_b32 s11, 0
	s_cmp_lt_i32 s2, 1
	s_cbranch_scc1 .LBB24_28
; %bb.7:
	s_clause 0x1
	s_load_b32 s4, s[0:1], 0x6c
	s_load_b64 s[0:1], s[0:1], 0x0
	s_waitcnt lgkmcnt(0)
	s_mul_i32 s4, s4, s17
	s_delay_alu instid0(SALU_CYCLE_1) | instskip(NEXT) | instid1(SALU_CYCLE_1)
	s_add_i32 s4, s4, s13
	s_add_u32 s4, s0, s4
	s_addc_u32 s5, s1, 0
	s_and_b32 s1, s10, 0xff
	s_cmp_lt_u32 s2, 4
	s_cbranch_scc1 .LBB24_22
; %bb.8:
	v_dual_mov_b32 v7, 1 :: v_dual_add_nc_u32 v6, s12, v0
	s_and_b32 s11, s2, 0x7ffffffc
	s_lshl_b32 s10, s9, 10
	s_mov_b32 s13, 0
	s_delay_alu instid0(VALU_DEP_1)
	v_add_nc_u32_e32 v2, 0x300, v6
	v_add_nc_u32_e32 v4, 0x200, v6
	;; [unrolled: 1-line block ×3, first 2 shown]
	v_mul_lo_u32 v6, s9, v6
	s_mov_b32 s15, 0
	v_mul_lo_u32 v3, s9, v2
	v_mul_lo_u32 v4, s9, v4
	;; [unrolled: 1-line block ×3, first 2 shown]
	s_branch .LBB24_10
.LBB24_9:                               ;   in Loop: Header=BB24_10 Depth=1
	s_or_b32 exec_lo, exec_lo, s17
	v_add_nc_u32_e32 v2, 0x400, v2
	s_add_i32 s15, s15, 4
	s_add_i32 s13, s13, s10
	s_cmp_eq_u32 s11, s15
	s_cbranch_scc1 .LBB24_22
.LBB24_10:                              ; =>This Inner Loop Header: Depth=1
	v_add_nc_u32_e32 v8, 0xfffffd00, v2
	s_mov_b32 s17, exec_lo
	s_delay_alu instid0(VALU_DEP_1)
	v_cmpx_gt_u32_e64 s14, v8
	s_cbranch_execz .LBB24_13
; %bb.11:                               ;   in Loop: Header=BB24_10 Depth=1
	v_add_nc_u32_e32 v8, s13, v6
	global_load_i8 v8, v8, s[4:5]
	s_waitcnt vmcnt(0)
	v_add_nc_u32_e32 v8, 0x80, v8
	s_delay_alu instid0(VALU_DEP_1) | instskip(NEXT) | instid1(VALU_DEP_1)
	v_xor_b32_e32 v9, s8, v8
	v_and_b32_e32 v9, s3, v9
	s_delay_alu instid0(VALU_DEP_1) | instskip(NEXT) | instid1(VALU_DEP_1)
	v_cmp_eq_u32_e64 s0, 0, v9
	s_and_b32 exec_lo, exec_lo, s0
	s_cbranch_execz .LBB24_13
; %bb.12:                               ;   in Loop: Header=BB24_10 Depth=1
	v_lshrrev_b32_e32 v8, s1, v8
	s_delay_alu instid0(VALU_DEP_1)
	v_lshlrev_b32_e32 v8, 2, v8
	ds_add_u32 v8, v7
.LBB24_13:                              ;   in Loop: Header=BB24_10 Depth=1
	s_or_b32 exec_lo, exec_lo, s17
	v_add_nc_u32_e32 v8, 0xfffffe00, v2
	s_mov_b32 s17, exec_lo
	s_delay_alu instid0(VALU_DEP_1)
	v_cmpx_gt_u32_e64 s14, v8
	s_cbranch_execz .LBB24_16
; %bb.14:                               ;   in Loop: Header=BB24_10 Depth=1
	v_add_nc_u32_e32 v8, s13, v5
	global_load_i8 v8, v8, s[4:5]
	s_waitcnt vmcnt(0)
	v_add_nc_u32_e32 v8, 0x80, v8
	s_delay_alu instid0(VALU_DEP_1) | instskip(NEXT) | instid1(VALU_DEP_1)
	v_xor_b32_e32 v9, s8, v8
	v_and_b32_e32 v9, s3, v9
	s_delay_alu instid0(VALU_DEP_1) | instskip(NEXT) | instid1(VALU_DEP_1)
	v_cmp_eq_u32_e64 s0, 0, v9
	s_and_b32 exec_lo, exec_lo, s0
	s_cbranch_execz .LBB24_16
; %bb.15:                               ;   in Loop: Header=BB24_10 Depth=1
	v_lshrrev_b32_e32 v8, s1, v8
	s_delay_alu instid0(VALU_DEP_1)
	v_lshlrev_b32_e32 v8, 2, v8
	ds_add_u32 v8, v7
.LBB24_16:                              ;   in Loop: Header=BB24_10 Depth=1
	s_or_b32 exec_lo, exec_lo, s17
	;; [unrolled: 24-line block ×3, first 2 shown]
	s_delay_alu instid0(SALU_CYCLE_1)
	s_mov_b32 s17, exec_lo
	v_cmpx_gt_u32_e64 s14, v2
	s_cbranch_execz .LBB24_9
; %bb.20:                               ;   in Loop: Header=BB24_10 Depth=1
	v_add_nc_u32_e32 v8, s13, v3
	global_load_i8 v8, v8, s[4:5]
	s_waitcnt vmcnt(0)
	v_add_nc_u32_e32 v8, 0x80, v8
	s_delay_alu instid0(VALU_DEP_1) | instskip(NEXT) | instid1(VALU_DEP_1)
	v_xor_b32_e32 v9, s8, v8
	v_and_b32_e32 v9, s3, v9
	s_delay_alu instid0(VALU_DEP_1) | instskip(NEXT) | instid1(VALU_DEP_1)
	v_cmp_eq_u32_e64 s0, 0, v9
	s_and_b32 exec_lo, exec_lo, s0
	s_cbranch_execz .LBB24_9
; %bb.21:                               ;   in Loop: Header=BB24_10 Depth=1
	v_lshrrev_b32_e32 v8, s1, v8
	s_delay_alu instid0(VALU_DEP_1)
	v_lshlrev_b32_e32 v8, 2, v8
	ds_add_u32 v8, v7
	s_branch .LBB24_9
.LBB24_22:
	s_and_b32 s2, s2, 3
	s_delay_alu instid0(SALU_CYCLE_1)
	s_cmp_eq_u32 s2, 0
	s_cbranch_scc1 .LBB24_28
; %bb.23:
	s_lshl_b32 s0, s11, 8
	v_mov_b32_e32 v4, 1
	v_add3_u32 v2, s0, s12, v0
	s_delay_alu instid0(VALU_DEP_1)
	v_mul_lo_u32 v3, s9, v2
	s_lshl_b32 s9, s9, 8
	s_set_inst_prefetch_distance 0x1
	s_branch .LBB24_25
	.p2align	6
.LBB24_24:                              ;   in Loop: Header=BB24_25 Depth=1
	s_or_b32 exec_lo, exec_lo, s10
	v_add_nc_u32_e32 v3, s9, v3
	v_add_nc_u32_e32 v2, 0x100, v2
	s_add_i32 s2, s2, -1
	s_delay_alu instid0(SALU_CYCLE_1)
	s_cmp_lg_u32 s2, 0
	s_cbranch_scc0 .LBB24_28
.LBB24_25:                              ; =>This Inner Loop Header: Depth=1
	s_mov_b32 s10, exec_lo
	v_cmpx_gt_u32_e64 s14, v2
	s_cbranch_execz .LBB24_24
; %bb.26:                               ;   in Loop: Header=BB24_25 Depth=1
	global_load_i8 v5, v3, s[4:5]
	s_waitcnt vmcnt(0)
	v_add_nc_u32_e32 v5, 0x80, v5
	s_delay_alu instid0(VALU_DEP_1) | instskip(NEXT) | instid1(VALU_DEP_1)
	v_xor_b32_e32 v6, s8, v5
	v_and_b32_e32 v6, s3, v6
	s_delay_alu instid0(VALU_DEP_1) | instskip(NEXT) | instid1(VALU_DEP_1)
	v_cmp_eq_u32_e64 s0, 0, v6
	s_and_b32 exec_lo, exec_lo, s0
	s_cbranch_execz .LBB24_24
; %bb.27:                               ;   in Loop: Header=BB24_25 Depth=1
	v_lshrrev_b32_e32 v5, s1, v5
	s_delay_alu instid0(VALU_DEP_1)
	v_lshlrev_b32_e32 v5, 2, v5
	ds_add_u32 v5, v4
	s_branch .LBB24_24
.LBB24_28:
	s_set_inst_prefetch_distance 0x2
	v_mov_b32_e32 v2, 0
	s_waitcnt lgkmcnt(0)
	s_barrier
	buffer_gl0_inv
	s_and_saveexec_b32 s0, vcc_lo
	s_cbranch_execz .LBB24_30
; %bb.29:
	ds_load_b32 v2, v1
.LBB24_30:
	s_or_b32 exec_lo, exec_lo, s0
	s_and_saveexec_b32 s0, vcc_lo
	s_cbranch_execz .LBB24_32
; %bb.31:
	v_lshl_or_b32 v0, s16, 8, v0
	v_mov_b32_e32 v1, 0
	s_delay_alu instid0(VALU_DEP_1) | instskip(NEXT) | instid1(VALU_DEP_1)
	v_lshlrev_b64 v[0:1], 1, v[0:1]
	v_add_co_u32 v0, vcc_lo, s6, v0
	s_delay_alu instid0(VALU_DEP_2)
	v_add_co_ci_u32_e32 v1, vcc_lo, s7, v1, vcc_lo
	s_waitcnt lgkmcnt(0)
	global_store_b16 v[0:1], v2, off
.LBB24_32:
	s_nop 0
	s_sendmsg sendmsg(MSG_DEALLOC_VGPRS)
	s_endpgm
	.section	.rodata,"a",@progbits
	.p2align	6, 0x0
	.amdhsa_kernel _ZN2at6native6mbtopk23computeBlockDigitCountsIajjLin1EEEvNS_4cuda6detail10TensorInfoIKT_T0_EEjPjjS8_iijT1_PSB_Ps
		.amdhsa_group_segment_fixed_size 1024
		.amdhsa_private_segment_fixed_size 0
		.amdhsa_kernarg_size 528
		.amdhsa_user_sgpr_count 13
		.amdhsa_user_sgpr_dispatch_ptr 0
		.amdhsa_user_sgpr_queue_ptr 0
		.amdhsa_user_sgpr_kernarg_segment_ptr 1
		.amdhsa_user_sgpr_dispatch_id 0
		.amdhsa_user_sgpr_private_segment_size 0
		.amdhsa_wavefront_size32 1
		.amdhsa_uses_dynamic_stack 0
		.amdhsa_enable_private_segment 0
		.amdhsa_system_sgpr_workgroup_id_x 1
		.amdhsa_system_sgpr_workgroup_id_y 1
		.amdhsa_system_sgpr_workgroup_id_z 1
		.amdhsa_system_sgpr_workgroup_info 0
		.amdhsa_system_vgpr_workitem_id 0
		.amdhsa_next_free_vgpr 10
		.amdhsa_next_free_sgpr 24
		.amdhsa_reserve_vcc 1
		.amdhsa_float_round_mode_32 0
		.amdhsa_float_round_mode_16_64 0
		.amdhsa_float_denorm_mode_32 3
		.amdhsa_float_denorm_mode_16_64 3
		.amdhsa_dx10_clamp 1
		.amdhsa_ieee_mode 1
		.amdhsa_fp16_overflow 0
		.amdhsa_workgroup_processor_mode 1
		.amdhsa_memory_ordered 1
		.amdhsa_forward_progress 0
		.amdhsa_shared_vgpr_count 0
		.amdhsa_exception_fp_ieee_invalid_op 0
		.amdhsa_exception_fp_denorm_src 0
		.amdhsa_exception_fp_ieee_div_zero 0
		.amdhsa_exception_fp_ieee_overflow 0
		.amdhsa_exception_fp_ieee_underflow 0
		.amdhsa_exception_fp_ieee_inexact 0
		.amdhsa_exception_int_div_zero 0
	.end_amdhsa_kernel
	.section	.text._ZN2at6native6mbtopk23computeBlockDigitCountsIajjLin1EEEvNS_4cuda6detail10TensorInfoIKT_T0_EEjPjjS8_iijT1_PSB_Ps,"axG",@progbits,_ZN2at6native6mbtopk23computeBlockDigitCountsIajjLin1EEEvNS_4cuda6detail10TensorInfoIKT_T0_EEjPjjS8_iijT1_PSB_Ps,comdat
.Lfunc_end24:
	.size	_ZN2at6native6mbtopk23computeBlockDigitCountsIajjLin1EEEvNS_4cuda6detail10TensorInfoIKT_T0_EEjPjjS8_iijT1_PSB_Ps, .Lfunc_end24-_ZN2at6native6mbtopk23computeBlockDigitCountsIajjLin1EEEvNS_4cuda6detail10TensorInfoIKT_T0_EEjPjjS8_iijT1_PSB_Ps
                                        ; -- End function
	.section	.AMDGPU.csdata,"",@progbits
; Kernel info:
; codeLenInByte = 1496
; NumSgprs: 26
; NumVgprs: 10
; ScratchSize: 0
; MemoryBound: 0
; FloatMode: 240
; IeeeMode: 1
; LDSByteSize: 1024 bytes/workgroup (compile time only)
; SGPRBlocks: 3
; VGPRBlocks: 1
; NumSGPRsForWavesPerEU: 26
; NumVGPRsForWavesPerEU: 10
; Occupancy: 16
; WaveLimiterHint : 1
; COMPUTE_PGM_RSRC2:SCRATCH_EN: 0
; COMPUTE_PGM_RSRC2:USER_SGPR: 13
; COMPUTE_PGM_RSRC2:TRAP_HANDLER: 0
; COMPUTE_PGM_RSRC2:TGID_X_EN: 1
; COMPUTE_PGM_RSRC2:TGID_Y_EN: 1
; COMPUTE_PGM_RSRC2:TGID_Z_EN: 1
; COMPUTE_PGM_RSRC2:TIDIG_COMP_CNT: 0
	.section	.text._ZN2at6native6mbtopk10gatherTopKIajLin1EEEvNS_4cuda6detail10TensorInfoIKT_T0_EES8_S8_bjS8_NS5_IS6_S8_EES8_NS5_IlS8_EES8_jjPS6_PjSD_j,"axG",@progbits,_ZN2at6native6mbtopk10gatherTopKIajLin1EEEvNS_4cuda6detail10TensorInfoIKT_T0_EES8_S8_bjS8_NS5_IS6_S8_EES8_NS5_IlS8_EES8_jjPS6_PjSD_j,comdat
	.protected	_ZN2at6native6mbtopk10gatherTopKIajLin1EEEvNS_4cuda6detail10TensorInfoIKT_T0_EES8_S8_bjS8_NS5_IS6_S8_EES8_NS5_IlS8_EES8_jjPS6_PjSD_j ; -- Begin function _ZN2at6native6mbtopk10gatherTopKIajLin1EEEvNS_4cuda6detail10TensorInfoIKT_T0_EES8_S8_bjS8_NS5_IS6_S8_EES8_NS5_IlS8_EES8_jjPS6_PjSD_j
	.globl	_ZN2at6native6mbtopk10gatherTopKIajLin1EEEvNS_4cuda6detail10TensorInfoIKT_T0_EES8_S8_bjS8_NS5_IS6_S8_EES8_NS5_IlS8_EES8_jjPS6_PjSD_j
	.p2align	8
	.type	_ZN2at6native6mbtopk10gatherTopKIajLin1EEEvNS_4cuda6detail10TensorInfoIKT_T0_EES8_S8_bjS8_NS5_IS6_S8_EES8_NS5_IlS8_EES8_jjPS6_PjSD_j,@function
_ZN2at6native6mbtopk10gatherTopKIajLin1EEEvNS_4cuda6detail10TensorInfoIKT_T0_EES8_S8_bjS8_NS5_IS6_S8_EES8_NS5_IlS8_EES8_jjPS6_PjSD_j: ; @_ZN2at6native6mbtopk10gatherTopKIajLin1EEEvNS_4cuda6detail10TensorInfoIKT_T0_EES8_S8_bjS8_NS5_IS6_S8_EES8_NS5_IlS8_EES8_jjPS6_PjSD_j
; %bb.0:
	s_clause 0x1
	s_load_b64 s[2:3], s[0:1], 0x2d8
	s_load_b32 s4, s[0:1], 0x2d0
	s_waitcnt lgkmcnt(0)
	s_mul_i32 s3, s3, s15
	s_delay_alu instid0(SALU_CYCLE_1) | instskip(NEXT) | instid1(SALU_CYCLE_1)
	s_add_i32 s3, s3, s14
	s_mul_i32 s12, s3, s2
	s_delay_alu instid0(SALU_CYCLE_1) | instskip(NEXT) | instid1(SALU_CYCLE_1)
	s_add_i32 s12, s12, s13
	s_cmp_ge_u32 s12, s4
	s_cbranch_scc1 .LBB25_49
; %bb.1:
	s_clause 0x1
	s_load_b128 s[4:7], s[0:1], 0x2a8
	s_load_b32 s2, s[0:1], 0xd0
	s_mov_b32 s17, 0
	s_waitcnt lgkmcnt(0)
	v_cvt_f32_u32_e32 v1, s6
	s_sub_i32 s7, 0, s6
	s_delay_alu instid0(VALU_DEP_1) | instskip(SKIP_2) | instid1(VALU_DEP_1)
	v_rcp_iflag_f32_e32 v1, v1
	s_waitcnt_depctr 0xfff
	v_mul_f32_e32 v1, 0x4f7ffffe, v1
	v_cvt_u32_f32_e32 v1, v1
	s_delay_alu instid0(VALU_DEP_1) | instskip(NEXT) | instid1(VALU_DEP_1)
	v_readfirstlane_b32 s3, v1
	s_mul_i32 s7, s7, s3
	s_delay_alu instid0(SALU_CYCLE_1) | instskip(NEXT) | instid1(SALU_CYCLE_1)
	s_mul_hi_u32 s7, s3, s7
	s_add_i32 s3, s3, s7
	s_delay_alu instid0(SALU_CYCLE_1) | instskip(NEXT) | instid1(SALU_CYCLE_1)
	s_mul_hi_u32 s3, s12, s3
	s_mul_i32 s7, s3, s6
	s_add_i32 s8, s3, 1
	s_sub_i32 s7, s12, s7
	s_delay_alu instid0(SALU_CYCLE_1)
	s_sub_i32 s9, s7, s6
	s_cmp_ge_u32 s7, s6
	s_cselect_b32 s3, s8, s3
	s_cselect_b32 s7, s9, s7
	s_add_i32 s8, s3, 1
	s_cmp_ge_u32 s7, s6
	s_cselect_b32 s13, s8, s3
	s_cmp_lt_i32 s2, 2
	s_mov_b32 s7, s13
	s_cbranch_scc1 .LBB25_4
; %bb.2:
	s_add_i32 s16, s2, -1
	s_add_i32 s8, s2, 1
	s_lshl_b64 s[10:11], s[16:17], 2
	s_mov_b32 s7, s13
	s_add_u32 s2, s10, s0
	s_addc_u32 s3, s11, s1
	s_add_u32 s2, s2, 8
	s_addc_u32 s3, s3, 0
	s_set_inst_prefetch_distance 0x1
	.p2align	6
.LBB25_3:                               ; =>This Inner Loop Header: Depth=1
	s_clause 0x1
	s_load_b32 s9, s[2:3], 0x0
	s_load_b32 s10, s[2:3], 0x64
	s_mov_b32 s15, s7
	s_waitcnt lgkmcnt(0)
	v_cvt_f32_u32_e32 v1, s9
	s_sub_i32 s14, 0, s9
	s_waitcnt_depctr 0xfff
	v_rcp_iflag_f32_e32 v1, v1
	s_waitcnt_depctr 0xfff
	v_mul_f32_e32 v1, 0x4f7ffffe, v1
	s_delay_alu instid0(VALU_DEP_1) | instskip(NEXT) | instid1(VALU_DEP_1)
	v_cvt_u32_f32_e32 v1, v1
	v_readfirstlane_b32 s11, v1
	s_delay_alu instid0(VALU_DEP_1) | instskip(NEXT) | instid1(SALU_CYCLE_1)
	s_mul_i32 s14, s14, s11
	s_mul_hi_u32 s14, s11, s14
	s_delay_alu instid0(SALU_CYCLE_1) | instskip(NEXT) | instid1(SALU_CYCLE_1)
	s_add_i32 s11, s11, s14
	s_mul_hi_u32 s7, s7, s11
	s_delay_alu instid0(SALU_CYCLE_1) | instskip(SKIP_2) | instid1(SALU_CYCLE_1)
	s_mul_i32 s11, s7, s9
	s_add_i32 s14, s7, 1
	s_sub_i32 s11, s15, s11
	s_sub_i32 s16, s11, s9
	s_cmp_ge_u32 s11, s9
	s_cselect_b32 s7, s14, s7
	s_cselect_b32 s11, s16, s11
	s_add_i32 s14, s7, 1
	s_cmp_ge_u32 s11, s9
	s_cselect_b32 s7, s14, s7
	s_add_i32 s8, s8, -1
	s_mul_i32 s9, s7, s9
	s_delay_alu instid0(SALU_CYCLE_1) | instskip(NEXT) | instid1(SALU_CYCLE_1)
	s_sub_i32 s9, s15, s9
	s_mul_i32 s9, s10, s9
	s_delay_alu instid0(SALU_CYCLE_1)
	s_add_i32 s17, s9, s17
	s_add_u32 s2, s2, -4
	s_addc_u32 s3, s3, -1
	s_cmp_gt_u32 s8, 2
	s_cbranch_scc1 .LBB25_3
.LBB25_4:
	s_set_inst_prefetch_distance 0x2
	s_load_b32 s8, s[0:1], 0x1c0
	s_add_u32 s2, s0, 0xf0
	s_addc_u32 s3, s1, 0
	s_mov_b32 s19, 0
	s_mov_b32 s16, s13
	s_waitcnt lgkmcnt(0)
	s_cmp_lt_i32 s8, 2
	s_cbranch_scc1 .LBB25_7
; %bb.5:
	s_add_i32 s18, s8, -1
	s_add_i32 s10, s8, 1
	s_lshl_b64 s[14:15], s[18:19], 2
	s_mov_b32 s16, s13
	s_add_u32 s8, s14, s2
	s_addc_u32 s9, s15, s3
	s_add_u32 s8, s8, 8
	s_addc_u32 s9, s9, 0
	s_set_inst_prefetch_distance 0x1
	.p2align	6
.LBB25_6:                               ; =>This Inner Loop Header: Depth=1
	s_clause 0x1
	s_load_b32 s11, s[8:9], 0x0
	s_load_b32 s14, s[8:9], 0x64
	s_mov_b32 s20, s16
	s_waitcnt lgkmcnt(0)
	v_cvt_f32_u32_e32 v1, s11
	s_sub_i32 s18, 0, s11
	s_waitcnt_depctr 0xfff
	v_rcp_iflag_f32_e32 v1, v1
	s_waitcnt_depctr 0xfff
	v_mul_f32_e32 v1, 0x4f7ffffe, v1
	s_delay_alu instid0(VALU_DEP_1) | instskip(NEXT) | instid1(VALU_DEP_1)
	v_cvt_u32_f32_e32 v1, v1
	v_readfirstlane_b32 s15, v1
	s_delay_alu instid0(VALU_DEP_1) | instskip(NEXT) | instid1(SALU_CYCLE_1)
	s_mul_i32 s18, s18, s15
	s_mul_hi_u32 s18, s15, s18
	s_delay_alu instid0(SALU_CYCLE_1) | instskip(NEXT) | instid1(SALU_CYCLE_1)
	s_add_i32 s15, s15, s18
	s_mul_hi_u32 s15, s16, s15
	s_delay_alu instid0(SALU_CYCLE_1) | instskip(SKIP_2) | instid1(SALU_CYCLE_1)
	s_mul_i32 s16, s15, s11
	s_add_i32 s18, s15, 1
	s_sub_i32 s16, s20, s16
	s_sub_i32 s21, s16, s11
	s_cmp_ge_u32 s16, s11
	s_cselect_b32 s15, s18, s15
	s_cselect_b32 s16, s21, s16
	s_add_i32 s18, s15, 1
	s_cmp_ge_u32 s16, s11
	s_cselect_b32 s16, s18, s15
	s_add_i32 s10, s10, -1
	s_mul_i32 s11, s16, s11
	s_delay_alu instid0(SALU_CYCLE_1) | instskip(NEXT) | instid1(SALU_CYCLE_1)
	s_sub_i32 s11, s20, s11
	s_mul_i32 s11, s14, s11
	s_delay_alu instid0(SALU_CYCLE_1)
	s_add_i32 s19, s11, s19
	s_add_u32 s8, s8, -4
	s_addc_u32 s9, s9, -1
	s_cmp_gt_u32 s10, 2
	s_cbranch_scc1 .LBB25_6
.LBB25_7:
	s_set_inst_prefetch_distance 0x2
	s_clause 0x1
	s_load_b32 s18, s[0:1], 0x6c
	s_load_b32 s8, s[0:1], 0x2a0
	s_add_u32 s9, s0, 0x1d0
	s_addc_u32 s11, s1, 0
	s_mov_b32 s21, 0
	s_mov_b32 s20, s13
	s_waitcnt lgkmcnt(0)
	s_cmp_lt_i32 s8, 2
	s_cbranch_scc1 .LBB25_10
; %bb.8:
	s_add_i32 s20, s8, -1
	s_add_i32 s10, s8, 1
	s_lshl_b64 s[14:15], s[20:21], 2
	s_mov_b32 s20, s13
	s_add_u32 s8, s14, s9
	s_addc_u32 s9, s15, s11
	s_add_u32 s8, s8, 8
	s_addc_u32 s9, s9, 0
	s_set_inst_prefetch_distance 0x1
	.p2align	6
.LBB25_9:                               ; =>This Inner Loop Header: Depth=1
	s_clause 0x1
	s_load_b32 s11, s[8:9], 0x0
	s_load_b32 s14, s[8:9], 0x64
	s_mov_b32 s23, s20
	s_waitcnt lgkmcnt(0)
	v_cvt_f32_u32_e32 v1, s11
	s_sub_i32 s22, 0, s11
	s_waitcnt_depctr 0xfff
	v_rcp_iflag_f32_e32 v1, v1
	s_waitcnt_depctr 0xfff
	v_mul_f32_e32 v1, 0x4f7ffffe, v1
	s_delay_alu instid0(VALU_DEP_1) | instskip(NEXT) | instid1(VALU_DEP_1)
	v_cvt_u32_f32_e32 v1, v1
	v_readfirstlane_b32 s15, v1
	s_delay_alu instid0(VALU_DEP_1) | instskip(NEXT) | instid1(SALU_CYCLE_1)
	s_mul_i32 s22, s22, s15
	s_mul_hi_u32 s22, s15, s22
	s_delay_alu instid0(SALU_CYCLE_1) | instskip(NEXT) | instid1(SALU_CYCLE_1)
	s_add_i32 s15, s15, s22
	s_mul_hi_u32 s15, s20, s15
	s_delay_alu instid0(SALU_CYCLE_1) | instskip(SKIP_2) | instid1(SALU_CYCLE_1)
	s_mul_i32 s20, s15, s11
	s_add_i32 s22, s15, 1
	s_sub_i32 s20, s23, s20
	s_sub_i32 s24, s20, s11
	s_cmp_ge_u32 s20, s11
	s_cselect_b32 s15, s22, s15
	s_cselect_b32 s20, s24, s20
	s_add_i32 s22, s15, 1
	s_cmp_ge_u32 s20, s11
	s_cselect_b32 s20, s22, s15
	s_add_i32 s10, s10, -1
	s_mul_i32 s11, s20, s11
	s_delay_alu instid0(SALU_CYCLE_1) | instskip(NEXT) | instid1(SALU_CYCLE_1)
	s_sub_i32 s11, s23, s11
	s_mul_i32 s11, s14, s11
	s_delay_alu instid0(SALU_CYCLE_1)
	s_add_i32 s21, s11, s21
	s_add_u32 s8, s8, -4
	s_addc_u32 s9, s9, -1
	s_cmp_gt_u32 s10, 2
	s_cbranch_scc1 .LBB25_9
.LBB25_10:
	s_set_inst_prefetch_distance 0x2
	s_clause 0x1
	s_load_b32 s33, s[2:3], 0x6c
	s_load_b128 s[8:11], s[0:1], 0x2b8
	v_mov_b32_e32 v1, s13
	v_cmp_ne_u32_e64 s2, 0, v0
	v_cmp_eq_u32_e64 s3, 0, v0
	s_waitcnt lgkmcnt(0)
	global_load_u8 v8, v1, s[8:9]
	s_clause 0x2
	s_load_b64 s[26:27], s[0:1], 0x0
	s_load_b64 s[24:25], s[0:1], 0xf0
	;; [unrolled: 1-line block ×3, first 2 shown]
	s_mul_i32 s8, s13, s6
	s_mov_b32 s9, 0
	s_sub_i32 s36, s12, s8
	s_and_saveexec_b32 s37, s3
	s_cbranch_execz .LBB25_26
; %bb.11:
	s_load_b64 s[28:29], s[0:1], 0x2c8
	s_lshl_b64 s[30:31], s[8:9], 2
	s_mov_b32 s8, 0
	s_add_u32 s12, s10, s30
	s_addc_u32 s13, s11, s31
	s_mov_b32 s38, 0
	s_waitcnt lgkmcnt(0)
	s_add_u32 s14, s28, s30
	s_addc_u32 s15, s29, s31
	s_cmp_lt_u32 s6, 4
	s_cbranch_scc1 .LBB25_23
; %bb.12:
	s_mov_b32 s39, 0
.LBB25_13:                              ; =>This Inner Loop Header: Depth=1
	s_add_u32 s12, s10, s30
	s_addc_u32 s13, s11, s31
	s_add_u32 s34, s28, s30
	s_load_b128 s[12:15], s[12:13], 0x0
	s_addc_u32 s35, s29, s31
	s_cmp_ge_u32 s39, s36
	s_cbranch_scc0 .LBB25_20
; %bb.14:                               ;   in Loop: Header=BB25_13 Depth=1
	s_add_i32 s40, s39, 1
	s_delay_alu instid0(SALU_CYCLE_1)
	s_cmp_ge_u32 s40, s36
	s_cbranch_scc0 .LBB25_21
.LBB25_15:                              ;   in Loop: Header=BB25_13 Depth=1
	s_add_i32 s40, s40, 1
	s_delay_alu instid0(SALU_CYCLE_1)
	s_cmp_ge_u32 s40, s36
	s_cbranch_scc0 .LBB25_22
.LBB25_16:                              ;   in Loop: Header=BB25_13 Depth=1
	s_add_i32 s40, s40, 1
	s_delay_alu instid0(SALU_CYCLE_1)
	s_cmp_ge_u32 s40, s36
	s_cbranch_scc1 .LBB25_18
.LBB25_17:                              ;   in Loop: Header=BB25_13 Depth=1
	s_load_b32 s34, s[34:35], 0xc
	s_waitcnt lgkmcnt(0)
	s_add_i32 s9, s9, s15
	s_add_i32 s8, s34, s8
.LBB25_18:                              ;   in Loop: Header=BB25_13 Depth=1
	s_waitcnt lgkmcnt(0)
	s_add_i32 s12, s12, s38
	s_delay_alu instid0(SALU_CYCLE_1) | instskip(NEXT) | instid1(SALU_CYCLE_1)
	s_add_i32 s12, s12, s13
	s_add_i32 s12, s12, s14
	s_delay_alu instid0(SALU_CYCLE_1)
	s_add_i32 s38, s12, s15
	s_add_u32 s10, s10, 16
	s_addc_u32 s11, s11, 0
	s_add_u32 s28, s28, 16
	s_addc_u32 s29, s29, 0
	s_add_i32 s35, s40, 4
	s_add_u32 s14, s28, s30
	s_addc_u32 s15, s29, s31
	s_add_u32 s12, s10, s30
	s_addc_u32 s13, s11, s31
	s_add_i32 s34, s40, 1
	s_cmp_ge_u32 s35, s6
	s_cbranch_scc1 .LBB25_24
; %bb.19:                               ;   in Loop: Header=BB25_13 Depth=1
	s_mov_b32 s39, s34
	s_branch .LBB25_13
.LBB25_20:                              ;   in Loop: Header=BB25_13 Depth=1
	s_load_b32 s40, s[34:35], 0x0
	s_waitcnt lgkmcnt(0)
	s_add_i32 s9, s12, s9
	s_add_i32 s8, s40, s8
	;; [unrolled: 1-line block ×3, first 2 shown]
	s_delay_alu instid0(SALU_CYCLE_1)
	s_cmp_ge_u32 s40, s36
	s_cbranch_scc1 .LBB25_15
.LBB25_21:                              ;   in Loop: Header=BB25_13 Depth=1
	s_load_b32 s41, s[34:35], 0x4
	s_waitcnt lgkmcnt(0)
	s_add_i32 s9, s9, s13
	s_add_i32 s8, s41, s8
	;; [unrolled: 1-line block ×3, first 2 shown]
	s_delay_alu instid0(SALU_CYCLE_1)
	s_cmp_ge_u32 s40, s36
	s_cbranch_scc1 .LBB25_16
.LBB25_22:                              ;   in Loop: Header=BB25_13 Depth=1
	s_load_b32 s41, s[34:35], 0x8
	s_waitcnt lgkmcnt(0)
	s_add_i32 s9, s9, s14
	s_add_i32 s8, s41, s8
	;; [unrolled: 1-line block ×3, first 2 shown]
	s_delay_alu instid0(SALU_CYCLE_1)
	s_cmp_ge_u32 s40, s36
	s_cbranch_scc0 .LBB25_17
	s_branch .LBB25_18
.LBB25_23:
	s_mov_b32 s10, 0
	s_delay_alu instid0(SALU_CYCLE_1)
	s_cmp_ge_u32 s10, s6
	s_cbranch_scc0 .LBB25_47
	s_branch .LBB25_25
.LBB25_24:
	s_add_i32 s10, s39, 4
	s_delay_alu instid0(SALU_CYCLE_1)
	s_cmp_ge_u32 s10, s6
	s_cbranch_scc0 .LBB25_47
.LBB25_25:
	v_dual_mov_b32 v1, s8 :: v_dual_mov_b32 v2, s38
	v_dual_mov_b32 v3, s9 :: v_dual_mov_b32 v4, 0
	ds_store_b96 v4, v[1:3] offset:1056
.LBB25_26:
	s_or_b32 exec_lo, exec_lo, s37
	s_clause 0x1
	s_load_b32 s12, s[0:1], 0x23c
	s_load_b128 s[8:11], s[0:1], 0xd8
	s_waitcnt lgkmcnt(0)
	s_mul_i32 s11, s5, s36
	s_add_i32 s36, s36, 1
	s_lshl_b32 s28, s11, 8
	s_mov_b32 s15, 0
	s_waitcnt vmcnt(0)
	s_barrier
	buffer_gl0_inv
	s_sub_i32 s11, s8, s28
	s_delay_alu instid0(SALU_CYCLE_1) | instskip(SKIP_3) | instid1(VALU_DEP_1)
	s_add_u32 s11, s11, 0xff
	s_addc_u32 s13, 0, 0
	s_cmp_lt_u32 s36, s6
	v_alignbit_b32 v1, s13, s11, 8
	v_readfirstlane_b32 s11, v1
	s_delay_alu instid0(VALU_DEP_1) | instskip(NEXT) | instid1(SALU_CYCLE_1)
	s_cselect_b32 s5, s5, s11
	s_cmp_eq_u32 s5, 0
	s_cbranch_scc1 .LBB25_49
; %bb.27:
	v_bfe_i32 v4, v8, 0, 8
	v_mov_b32_e32 v5, 0
	s_mul_i32 s6, s33, s16
	s_mul_i32 s7, s18, s7
	;; [unrolled: 1-line block ×3, first 2 shown]
	v_add_nc_u32_e32 v6, 0x80, v4
	ds_load_b96 v[1:3], v5 offset:1056
	s_clause 0x1
	s_load_b32 s16, s[0:1], 0xe8
	s_load_b32 s11, s[0:1], 0x1c8
	s_add_i32 s7, s7, s17
	s_add_i32 s0, s6, s19
	;; [unrolled: 1-line block ×3, first 2 shown]
	v_lshrrev_b32_e32 v7, 5, v0
	v_add_nc_u32_e32 v11, -1, v0
	s_add_u32 s6, s26, s7
	s_addc_u32 s7, s27, 0
	v_lshlrev_b32_e32 v9, 3, v0
	v_lshrrev_b32_e32 v10, 2, v0
	s_add_u32 s12, s24, s0
	v_add_nc_u32_e32 v4, s28, v0
	s_addc_u32 s13, s25, 0
	s_lshl_b64 s[0:1], s[14:15], 3
	v_add_lshl_u32 v7, v7, v0, 2
	s_add_u32 s14, s22, s0
	v_lshrrev_b32_e32 v12, 5, v11
	v_cmp_gt_u32_e64 s0, 32, v0
	v_mbcnt_lo_u32_b32 v0, -1, 0
	s_waitcnt lgkmcnt(0)
	v_add_nc_u32_e32 v1, v1, v2
	v_add_lshl_u32 v2, v10, v9, 2
	v_mul_lo_u32 v10, s16, v4
	s_addc_u32 s15, s23, s1
	v_add_lshl_u32 v9, v12, v11, 2
	v_and_b32_e32 v8, 0xff, v8
	v_and_b32_e32 v11, 15, v0
	v_bfe_i32 v12, v0, 4, 1
	v_add_nc_u32_e32 v13, -1, v0
	s_bitcmp1_b32 s10, 0
                                        ; implicit-def: $vgpr14
	s_cselect_b32 s1, -1, 0
	s_lshl_b32 s10, s16, 8
	s_branch .LBB25_30
.LBB25_28:                              ;   in Loop: Header=BB25_30 Depth=1
	s_or_b32 exec_lo, exec_lo, s16
	v_add_nc_u32_e32 v1, v17, v1
.LBB25_29:                              ;   in Loop: Header=BB25_30 Depth=1
	v_add_nc_u32_e32 v3, v16, v3
	v_add_nc_u32_e32 v10, s10, v10
	;; [unrolled: 1-line block ×3, first 2 shown]
	s_add_i32 s5, s5, -1
	s_delay_alu instid0(SALU_CYCLE_1)
	s_cmp_lg_u32 s5, 0
	s_cbranch_scc0 .LBB25_49
.LBB25_30:                              ; =>This Inner Loop Header: Depth=1
	v_mov_b32_e32 v17, 0
	v_mov_b32_e32 v15, 0
	s_mov_b32 s16, exec_lo
	v_cmpx_gt_u32_e64 s8, v4
	s_cbranch_execz .LBB25_32
; %bb.31:                               ;   in Loop: Header=BB25_30 Depth=1
	global_load_u8 v14, v10, s[6:7]
	s_waitcnt vmcnt(0)
	v_bfe_i32 v15, v14, 0, 8
	s_delay_alu instid0(VALU_DEP_1) | instskip(NEXT) | instid1(VALU_DEP_1)
	v_add_nc_u32_e32 v15, 0x80, v15
	v_cmp_gt_u32_e32 vcc_lo, v15, v6
	v_cndmask_b32_e64 v16, 0, 1, vcc_lo
	v_cmp_lt_u32_e32 vcc_lo, v15, v6
	v_cndmask_b32_e64 v15, 0, 1, vcc_lo
	v_cmp_eq_u16_e32 vcc_lo, v14, v8
	s_delay_alu instid0(VALU_DEP_2) | instskip(NEXT) | instid1(VALU_DEP_1)
	v_cndmask_b32_e64 v15, v15, v16, s1
	v_and_b32_e32 v17, 1, v15
	v_cndmask_b32_e64 v15, 0, 1, vcc_lo
.LBB25_32:                              ;   in Loop: Header=BB25_30 Depth=1
	s_or_b32 exec_lo, exec_lo, s16
	ds_store_b32 v7, v17
	s_waitcnt lgkmcnt(0)
	s_waitcnt_vscnt null, 0x0
	s_barrier
	buffer_gl0_inv
	s_and_saveexec_b32 s16, s0
	s_cbranch_execz .LBB25_34
; %bb.33:                               ;   in Loop: Header=BB25_30 Depth=1
	ds_load_2addr_b32 v[18:19], v2 offset1:1
	ds_load_2addr_b32 v[20:21], v2 offset0:2 offset1:3
	ds_load_2addr_b32 v[22:23], v2 offset0:4 offset1:5
	;; [unrolled: 1-line block ×3, first 2 shown]
	v_cmp_ne_u32_e32 vcc_lo, 0, v11
	; wave barrier
	s_waitcnt lgkmcnt(3)
	v_add_nc_u32_e32 v16, v19, v18
	s_waitcnt lgkmcnt(2)
	s_delay_alu instid0(VALU_DEP_1) | instskip(SKIP_1) | instid1(VALU_DEP_1)
	v_add3_u32 v16, v16, v20, v21
	s_waitcnt lgkmcnt(1)
	v_add3_u32 v16, v16, v22, v23
	s_waitcnt lgkmcnt(0)
	s_delay_alu instid0(VALU_DEP_1) | instskip(NEXT) | instid1(VALU_DEP_1)
	v_add3_u32 v16, v16, v24, v25
	v_mov_b32_dpp v19, v16 row_shr:1 row_mask:0xf bank_mask:0xf
	s_delay_alu instid0(VALU_DEP_1) | instskip(SKIP_1) | instid1(VALU_DEP_2)
	v_cndmask_b32_e32 v19, 0, v19, vcc_lo
	v_cmp_lt_u32_e32 vcc_lo, 1, v11
	v_add_nc_u32_e32 v16, v19, v16
	s_delay_alu instid0(VALU_DEP_1) | instskip(NEXT) | instid1(VALU_DEP_1)
	v_mov_b32_dpp v19, v16 row_shr:2 row_mask:0xf bank_mask:0xf
	v_cndmask_b32_e32 v19, 0, v19, vcc_lo
	v_cmp_lt_u32_e32 vcc_lo, 3, v11
	s_delay_alu instid0(VALU_DEP_2) | instskip(NEXT) | instid1(VALU_DEP_1)
	v_add_nc_u32_e32 v16, v16, v19
	v_mov_b32_dpp v19, v16 row_shr:4 row_mask:0xf bank_mask:0xf
	s_delay_alu instid0(VALU_DEP_1) | instskip(SKIP_1) | instid1(VALU_DEP_2)
	v_cndmask_b32_e32 v19, 0, v19, vcc_lo
	v_cmp_lt_u32_e32 vcc_lo, 7, v11
	v_add_nc_u32_e32 v16, v16, v19
	s_delay_alu instid0(VALU_DEP_1) | instskip(NEXT) | instid1(VALU_DEP_1)
	v_mov_b32_dpp v19, v16 row_shr:8 row_mask:0xf bank_mask:0xf
	v_cndmask_b32_e32 v19, 0, v19, vcc_lo
	v_cmp_gt_i32_e32 vcc_lo, 0, v13
	v_cndmask_b32_e32 v20, v13, v0, vcc_lo
	s_delay_alu instid0(VALU_DEP_1) | instskip(NEXT) | instid1(VALU_DEP_4)
	v_lshlrev_b32_e32 v20, 2, v20
	v_add_nc_u32_e32 v16, v16, v19
	ds_swizzle_b32 v19, v16 offset:swizzle(BROADCAST,32,15)
	s_waitcnt lgkmcnt(0)
	v_and_b32_e32 v19, v12, v19
	s_delay_alu instid0(VALU_DEP_1) | instskip(SKIP_3) | instid1(VALU_DEP_1)
	v_add_nc_u32_e32 v16, v16, v19
	ds_bpermute_b32 v16, v20, v16
	s_waitcnt lgkmcnt(0)
	v_add_nc_u32_e32 v16, v16, v18
	v_cndmask_b32_e64 v16, v16, v17, s3
	ds_store_b32 v2, v16
	; wave barrier
	ds_load_2addr_b32 v[18:19], v2 offset0:1 offset1:2
	ds_load_2addr_b32 v[20:21], v2 offset0:3 offset1:4
	;; [unrolled: 1-line block ×3, first 2 shown]
	ds_load_b32 v24, v2 offset:28
	s_waitcnt lgkmcnt(3)
	v_add_nc_u32_e32 v16, v18, v16
	s_delay_alu instid0(VALU_DEP_1) | instskip(SKIP_1) | instid1(VALU_DEP_1)
	v_add_nc_u32_e32 v18, v19, v16
	s_waitcnt lgkmcnt(2)
	v_add_nc_u32_e32 v19, v20, v18
	s_delay_alu instid0(VALU_DEP_1) | instskip(SKIP_1) | instid1(VALU_DEP_1)
	v_add_nc_u32_e32 v20, v21, v19
	;; [unrolled: 4-line block ×3, first 2 shown]
	s_waitcnt lgkmcnt(0)
	v_add_nc_u32_e32 v23, v24, v22
	ds_store_2addr_b32 v2, v16, v18 offset0:1 offset1:2
	ds_store_2addr_b32 v2, v19, v20 offset0:3 offset1:4
	;; [unrolled: 1-line block ×3, first 2 shown]
	ds_store_b32 v2, v23 offset:28
.LBB25_34:                              ;   in Loop: Header=BB25_30 Depth=1
	s_or_b32 exec_lo, exec_lo, s16
	v_mov_b32_e32 v18, 0
	s_waitcnt lgkmcnt(0)
	s_barrier
	buffer_gl0_inv
	s_and_saveexec_b32 s16, s2
	s_cbranch_execz .LBB25_36
; %bb.35:                               ;   in Loop: Header=BB25_30 Depth=1
	ds_load_b32 v18, v9
.LBB25_36:                              ;   in Loop: Header=BB25_30 Depth=1
	s_or_b32 exec_lo, exec_lo, s16
	ds_load_b32 v16, v5 offset:1048
	s_mov_b32 s16, exec_lo
	s_waitcnt lgkmcnt(0)
	s_barrier
	buffer_gl0_inv
	v_cmpx_ne_u32_e32 0, v17
	s_cbranch_execz .LBB25_38
; %bb.37:                               ;   in Loop: Header=BB25_30 Depth=1
	v_dual_mov_b32 v18, v5 :: v_dual_add_nc_u32 v19, v18, v3
	s_delay_alu instid0(VALU_DEP_1) | instskip(SKIP_1) | instid1(VALU_DEP_2)
	v_mul_lo_u32 v17, v19, s4
	v_mul_lo_u32 v19, v19, s11
	v_lshlrev_b64 v[17:18], 3, v[17:18]
	s_delay_alu instid0(VALU_DEP_1) | instskip(NEXT) | instid1(VALU_DEP_2)
	v_add_co_u32 v17, vcc_lo, s14, v17
	v_add_co_ci_u32_e32 v18, vcc_lo, s15, v18, vcc_lo
	global_store_b8 v19, v14, s[12:13]
	global_store_b64 v[17:18], v[4:5], off
.LBB25_38:                              ;   in Loop: Header=BB25_30 Depth=1
	s_or_b32 exec_lo, exec_lo, s16
	v_cmp_le_u32_e32 vcc_lo, s9, v1
	s_cbranch_vccnz .LBB25_29
; %bb.39:                               ;   in Loop: Header=BB25_30 Depth=1
	ds_store_b32 v7, v15
	s_waitcnt lgkmcnt(0)
	s_waitcnt_vscnt null, 0x0
	s_barrier
	buffer_gl0_inv
	s_and_saveexec_b32 s16, s0
	s_cbranch_execz .LBB25_41
; %bb.40:                               ;   in Loop: Header=BB25_30 Depth=1
	ds_load_2addr_b32 v[17:18], v2 offset1:1
	ds_load_2addr_b32 v[19:20], v2 offset0:2 offset1:3
	ds_load_2addr_b32 v[21:22], v2 offset0:4 offset1:5
	;; [unrolled: 1-line block ×3, first 2 shown]
	v_cmp_ne_u32_e32 vcc_lo, 0, v11
	; wave barrier
	s_waitcnt lgkmcnt(3)
	v_add_nc_u32_e32 v18, v18, v17
	s_waitcnt lgkmcnt(2)
	s_delay_alu instid0(VALU_DEP_1) | instskip(SKIP_1) | instid1(VALU_DEP_1)
	v_add3_u32 v18, v18, v19, v20
	s_waitcnt lgkmcnt(1)
	v_add3_u32 v18, v18, v21, v22
	s_waitcnt lgkmcnt(0)
	s_delay_alu instid0(VALU_DEP_1) | instskip(NEXT) | instid1(VALU_DEP_1)
	v_add3_u32 v18, v18, v23, v24
	v_mov_b32_dpp v19, v18 row_shr:1 row_mask:0xf bank_mask:0xf
	s_delay_alu instid0(VALU_DEP_1) | instskip(SKIP_1) | instid1(VALU_DEP_2)
	v_cndmask_b32_e32 v19, 0, v19, vcc_lo
	v_cmp_lt_u32_e32 vcc_lo, 1, v11
	v_add_nc_u32_e32 v18, v19, v18
	s_delay_alu instid0(VALU_DEP_1) | instskip(NEXT) | instid1(VALU_DEP_1)
	v_mov_b32_dpp v19, v18 row_shr:2 row_mask:0xf bank_mask:0xf
	v_cndmask_b32_e32 v19, 0, v19, vcc_lo
	v_cmp_lt_u32_e32 vcc_lo, 3, v11
	s_delay_alu instid0(VALU_DEP_2) | instskip(NEXT) | instid1(VALU_DEP_1)
	v_add_nc_u32_e32 v18, v18, v19
	v_mov_b32_dpp v19, v18 row_shr:4 row_mask:0xf bank_mask:0xf
	s_delay_alu instid0(VALU_DEP_1) | instskip(SKIP_1) | instid1(VALU_DEP_2)
	v_cndmask_b32_e32 v19, 0, v19, vcc_lo
	v_cmp_lt_u32_e32 vcc_lo, 7, v11
	v_add_nc_u32_e32 v18, v18, v19
	s_delay_alu instid0(VALU_DEP_1) | instskip(NEXT) | instid1(VALU_DEP_1)
	v_mov_b32_dpp v19, v18 row_shr:8 row_mask:0xf bank_mask:0xf
	v_cndmask_b32_e32 v19, 0, v19, vcc_lo
	v_cmp_gt_i32_e32 vcc_lo, 0, v13
	v_cndmask_b32_e32 v20, v13, v0, vcc_lo
	s_delay_alu instid0(VALU_DEP_1) | instskip(NEXT) | instid1(VALU_DEP_4)
	v_lshlrev_b32_e32 v20, 2, v20
	v_add_nc_u32_e32 v18, v18, v19
	ds_swizzle_b32 v19, v18 offset:swizzle(BROADCAST,32,15)
	s_waitcnt lgkmcnt(0)
	v_and_b32_e32 v19, v12, v19
	s_delay_alu instid0(VALU_DEP_1) | instskip(SKIP_3) | instid1(VALU_DEP_1)
	v_add_nc_u32_e32 v18, v18, v19
	ds_bpermute_b32 v18, v20, v18
	s_waitcnt lgkmcnt(0)
	v_add_nc_u32_e32 v17, v18, v17
	v_cndmask_b32_e64 v23, v17, v15, s3
	ds_store_b32 v2, v23
	; wave barrier
	ds_load_2addr_b32 v[17:18], v2 offset0:1 offset1:2
	ds_load_2addr_b32 v[19:20], v2 offset0:3 offset1:4
	;; [unrolled: 1-line block ×3, first 2 shown]
	ds_load_b32 v24, v2 offset:28
	s_waitcnt lgkmcnt(3)
	v_add_nc_u32_e32 v17, v17, v23
	s_delay_alu instid0(VALU_DEP_1) | instskip(SKIP_1) | instid1(VALU_DEP_1)
	v_add_nc_u32_e32 v18, v18, v17
	s_waitcnt lgkmcnt(2)
	v_add_nc_u32_e32 v19, v19, v18
	s_delay_alu instid0(VALU_DEP_1) | instskip(SKIP_1) | instid1(VALU_DEP_1)
	v_add_nc_u32_e32 v20, v20, v19
	;; [unrolled: 4-line block ×3, first 2 shown]
	s_waitcnt lgkmcnt(0)
	v_add_nc_u32_e32 v23, v24, v22
	ds_store_2addr_b32 v2, v17, v18 offset0:1 offset1:2
	ds_store_2addr_b32 v2, v19, v20 offset0:3 offset1:4
	;; [unrolled: 1-line block ×3, first 2 shown]
	ds_store_b32 v2, v23 offset:28
.LBB25_41:                              ;   in Loop: Header=BB25_30 Depth=1
	s_or_b32 exec_lo, exec_lo, s16
	v_mov_b32_e32 v18, 0
	s_waitcnt lgkmcnt(0)
	s_barrier
	buffer_gl0_inv
	s_and_saveexec_b32 s16, s2
	s_cbranch_execz .LBB25_43
; %bb.42:                               ;   in Loop: Header=BB25_30 Depth=1
	ds_load_b32 v18, v9
.LBB25_43:                              ;   in Loop: Header=BB25_30 Depth=1
	s_or_b32 exec_lo, exec_lo, s16
	ds_load_b32 v17, v5 offset:1048
	s_mov_b32 s16, exec_lo
	s_waitcnt lgkmcnt(0)
	s_barrier
	buffer_gl0_inv
	v_cmpx_ne_u32_e32 0, v15
	s_cbranch_execz .LBB25_28
; %bb.44:                               ;   in Loop: Header=BB25_30 Depth=1
	v_add_nc_u32_e32 v15, v18, v1
	s_delay_alu instid0(VALU_DEP_1)
	v_cmp_gt_u32_e32 vcc_lo, s9, v15
	s_and_b32 exec_lo, exec_lo, vcc_lo
	s_cbranch_execz .LBB25_28
; %bb.45:                               ;   in Loop: Header=BB25_30 Depth=1
	v_mul_lo_u32 v18, v15, s4
	v_mov_b32_e32 v19, v5
	v_mul_lo_u32 v15, v15, s11
	s_delay_alu instid0(VALU_DEP_2) | instskip(NEXT) | instid1(VALU_DEP_1)
	v_lshlrev_b64 v[18:19], 3, v[18:19]
	v_add_co_u32 v18, vcc_lo, s14, v18
	s_delay_alu instid0(VALU_DEP_2)
	v_add_co_ci_u32_e32 v19, vcc_lo, s15, v19, vcc_lo
	global_store_b8 v15, v14, s[12:13]
	global_store_b64 v[18:19], v[4:5], off
	s_branch .LBB25_28
	.p2align	6
.LBB25_46:                              ;   in Loop: Header=BB25_47 Depth=1
	s_add_u32 s12, s12, 4
	s_addc_u32 s13, s13, 0
	s_waitcnt lgkmcnt(0)
	s_add_i32 s38, s11, s38
	s_add_u32 s14, s14, 4
	s_addc_u32 s15, s15, 0
	s_add_i32 s10, s10, 1
	s_delay_alu instid0(SALU_CYCLE_1)
	s_cmp_lt_u32 s10, s6
	s_cbranch_scc0 .LBB25_25
.LBB25_47:                              ; =>This Inner Loop Header: Depth=1
	s_load_b32 s11, s[12:13], 0x0
	s_cmp_ge_u32 s10, s36
	s_cbranch_scc1 .LBB25_46
; %bb.48:                               ;   in Loop: Header=BB25_47 Depth=1
	s_load_b32 s28, s[14:15], 0x0
	s_waitcnt lgkmcnt(0)
	s_add_i32 s9, s11, s9
	s_add_i32 s8, s28, s8
	s_branch .LBB25_46
.LBB25_49:
	s_nop 0
	s_sendmsg sendmsg(MSG_DEALLOC_VGPRS)
	s_endpgm
	.section	.rodata,"a",@progbits
	.p2align	6, 0x0
	.amdhsa_kernel _ZN2at6native6mbtopk10gatherTopKIajLin1EEEvNS_4cuda6detail10TensorInfoIKT_T0_EES8_S8_bjS8_NS5_IS6_S8_EES8_NS5_IlS8_EES8_jjPS6_PjSD_j
		.amdhsa_group_segment_fixed_size 1068
		.amdhsa_private_segment_fixed_size 0
		.amdhsa_kernarg_size 984
		.amdhsa_user_sgpr_count 13
		.amdhsa_user_sgpr_dispatch_ptr 0
		.amdhsa_user_sgpr_queue_ptr 0
		.amdhsa_user_sgpr_kernarg_segment_ptr 1
		.amdhsa_user_sgpr_dispatch_id 0
		.amdhsa_user_sgpr_private_segment_size 0
		.amdhsa_wavefront_size32 1
		.amdhsa_uses_dynamic_stack 0
		.amdhsa_enable_private_segment 0
		.amdhsa_system_sgpr_workgroup_id_x 1
		.amdhsa_system_sgpr_workgroup_id_y 1
		.amdhsa_system_sgpr_workgroup_id_z 1
		.amdhsa_system_sgpr_workgroup_info 0
		.amdhsa_system_vgpr_workitem_id 0
		.amdhsa_next_free_vgpr 26
		.amdhsa_next_free_sgpr 42
		.amdhsa_reserve_vcc 1
		.amdhsa_float_round_mode_32 0
		.amdhsa_float_round_mode_16_64 0
		.amdhsa_float_denorm_mode_32 3
		.amdhsa_float_denorm_mode_16_64 3
		.amdhsa_dx10_clamp 1
		.amdhsa_ieee_mode 1
		.amdhsa_fp16_overflow 0
		.amdhsa_workgroup_processor_mode 1
		.amdhsa_memory_ordered 1
		.amdhsa_forward_progress 0
		.amdhsa_shared_vgpr_count 0
		.amdhsa_exception_fp_ieee_invalid_op 0
		.amdhsa_exception_fp_denorm_src 0
		.amdhsa_exception_fp_ieee_div_zero 0
		.amdhsa_exception_fp_ieee_overflow 0
		.amdhsa_exception_fp_ieee_underflow 0
		.amdhsa_exception_fp_ieee_inexact 0
		.amdhsa_exception_int_div_zero 0
	.end_amdhsa_kernel
	.section	.text._ZN2at6native6mbtopk10gatherTopKIajLin1EEEvNS_4cuda6detail10TensorInfoIKT_T0_EES8_S8_bjS8_NS5_IS6_S8_EES8_NS5_IlS8_EES8_jjPS6_PjSD_j,"axG",@progbits,_ZN2at6native6mbtopk10gatherTopKIajLin1EEEvNS_4cuda6detail10TensorInfoIKT_T0_EES8_S8_bjS8_NS5_IS6_S8_EES8_NS5_IlS8_EES8_jjPS6_PjSD_j,comdat
.Lfunc_end25:
	.size	_ZN2at6native6mbtopk10gatherTopKIajLin1EEEvNS_4cuda6detail10TensorInfoIKT_T0_EES8_S8_bjS8_NS5_IS6_S8_EES8_NS5_IlS8_EES8_jjPS6_PjSD_j, .Lfunc_end25-_ZN2at6native6mbtopk10gatherTopKIajLin1EEEvNS_4cuda6detail10TensorInfoIKT_T0_EES8_S8_bjS8_NS5_IS6_S8_EES8_NS5_IlS8_EES8_jjPS6_PjSD_j
                                        ; -- End function
	.section	.AMDGPU.csdata,"",@progbits
; Kernel info:
; codeLenInByte = 3192
; NumSgprs: 44
; NumVgprs: 26
; ScratchSize: 0
; MemoryBound: 0
; FloatMode: 240
; IeeeMode: 1
; LDSByteSize: 1068 bytes/workgroup (compile time only)
; SGPRBlocks: 5
; VGPRBlocks: 3
; NumSGPRsForWavesPerEU: 44
; NumVGPRsForWavesPerEU: 26
; Occupancy: 16
; WaveLimiterHint : 1
; COMPUTE_PGM_RSRC2:SCRATCH_EN: 0
; COMPUTE_PGM_RSRC2:USER_SGPR: 13
; COMPUTE_PGM_RSRC2:TRAP_HANDLER: 0
; COMPUTE_PGM_RSRC2:TGID_X_EN: 1
; COMPUTE_PGM_RSRC2:TGID_Y_EN: 1
; COMPUTE_PGM_RSRC2:TGID_Z_EN: 1
; COMPUTE_PGM_RSRC2:TIDIG_COMP_CNT: 0
	.section	.text._ZN2at6native6sbtopk10gatherTopKIajLin1ELb0EEEvNS_4cuda6detail10TensorInfoIKT_T0_EES8_S8_bS8_S8_NS5_IS6_S8_EES8_NS5_IlS8_EES8_PS6_,"axG",@progbits,_ZN2at6native6sbtopk10gatherTopKIajLin1ELb0EEEvNS_4cuda6detail10TensorInfoIKT_T0_EES8_S8_bS8_S8_NS5_IS6_S8_EES8_NS5_IlS8_EES8_PS6_,comdat
	.protected	_ZN2at6native6sbtopk10gatherTopKIajLin1ELb0EEEvNS_4cuda6detail10TensorInfoIKT_T0_EES8_S8_bS8_S8_NS5_IS6_S8_EES8_NS5_IlS8_EES8_PS6_ ; -- Begin function _ZN2at6native6sbtopk10gatherTopKIajLin1ELb0EEEvNS_4cuda6detail10TensorInfoIKT_T0_EES8_S8_bS8_S8_NS5_IS6_S8_EES8_NS5_IlS8_EES8_PS6_
	.globl	_ZN2at6native6sbtopk10gatherTopKIajLin1ELb0EEEvNS_4cuda6detail10TensorInfoIKT_T0_EES8_S8_bS8_S8_NS5_IS6_S8_EES8_NS5_IlS8_EES8_PS6_
	.p2align	8
	.type	_ZN2at6native6sbtopk10gatherTopKIajLin1ELb0EEEvNS_4cuda6detail10TensorInfoIKT_T0_EES8_S8_bS8_S8_NS5_IS6_S8_EES8_NS5_IlS8_EES8_PS6_,@function
_ZN2at6native6sbtopk10gatherTopKIajLin1ELb0EEEvNS_4cuda6detail10TensorInfoIKT_T0_EES8_S8_bS8_S8_NS5_IS6_S8_EES8_NS5_IlS8_EES8_PS6_: ; @_ZN2at6native6sbtopk10gatherTopKIajLin1ELb0EEEvNS_4cuda6detail10TensorInfoIKT_T0_EES8_S8_bS8_S8_NS5_IS6_S8_EES8_NS5_IlS8_EES8_PS6_
; %bb.0:
	s_clause 0x1
	s_load_b64 s[4:5], s[0:1], 0x2b8
	s_load_b128 s[36:39], s[0:1], 0xd8
	s_add_u32 s6, s0, 0x2b8
	s_addc_u32 s7, s1, 0
	s_waitcnt lgkmcnt(0)
	s_mul_i32 s2, s5, s15
	s_delay_alu instid0(SALU_CYCLE_1) | instskip(NEXT) | instid1(SALU_CYCLE_1)
	s_add_i32 s2, s2, s14
	s_mul_i32 s2, s2, s4
	s_delay_alu instid0(SALU_CYCLE_1) | instskip(NEXT) | instid1(SALU_CYCLE_1)
	s_add_i32 s48, s2, s13
	s_cmp_ge_u32 s48, s39
	s_cbranch_scc1 .LBB26_472
; %bb.1:
	s_clause 0x1
	s_load_b32 s5, s[0:1], 0xd0
	s_load_b32 s34, s[0:1], 0xe8
	s_mov_b32 s3, 0
	s_mov_b32 s2, s48
	s_waitcnt lgkmcnt(0)
	s_cmp_lt_i32 s5, 2
	s_cbranch_scc1 .LBB26_4
; %bb.2:
	s_add_i32 s2, s5, -1
	s_add_i32 s5, s5, 1
	s_lshl_b64 s[8:9], s[2:3], 2
	s_delay_alu instid0(SALU_CYCLE_1)
	s_add_u32 s2, s8, s0
	s_addc_u32 s9, s9, s1
	s_add_u32 s8, s2, 8
	s_addc_u32 s9, s9, 0
	s_mov_b32 s2, s48
	s_set_inst_prefetch_distance 0x1
	.p2align	6
.LBB26_3:                               ; =>This Inner Loop Header: Depth=1
	s_clause 0x1
	s_load_b32 s10, s[8:9], 0x0
	s_load_b32 s11, s[8:9], 0x64
	s_mov_b32 s15, s2
	s_waitcnt lgkmcnt(0)
	v_cvt_f32_u32_e32 v1, s10
	s_sub_i32 s14, 0, s10
	s_waitcnt_depctr 0xfff
	v_rcp_iflag_f32_e32 v1, v1
	s_waitcnt_depctr 0xfff
	v_mul_f32_e32 v1, 0x4f7ffffe, v1
	s_delay_alu instid0(VALU_DEP_1) | instskip(NEXT) | instid1(VALU_DEP_1)
	v_cvt_u32_f32_e32 v1, v1
	v_readfirstlane_b32 s12, v1
	s_delay_alu instid0(VALU_DEP_1) | instskip(NEXT) | instid1(SALU_CYCLE_1)
	s_mul_i32 s14, s14, s12
	s_mul_hi_u32 s14, s12, s14
	s_delay_alu instid0(SALU_CYCLE_1) | instskip(NEXT) | instid1(SALU_CYCLE_1)
	s_add_i32 s12, s12, s14
	s_mul_hi_u32 s2, s2, s12
	s_delay_alu instid0(SALU_CYCLE_1) | instskip(SKIP_2) | instid1(SALU_CYCLE_1)
	s_mul_i32 s12, s2, s10
	s_add_i32 s14, s2, 1
	s_sub_i32 s12, s15, s12
	s_sub_i32 s16, s12, s10
	s_cmp_ge_u32 s12, s10
	s_cselect_b32 s2, s14, s2
	s_cselect_b32 s12, s16, s12
	s_add_i32 s14, s2, 1
	s_cmp_ge_u32 s12, s10
	s_cselect_b32 s2, s14, s2
	s_add_i32 s5, s5, -1
	s_mul_i32 s10, s2, s10
	s_delay_alu instid0(SALU_CYCLE_1) | instskip(NEXT) | instid1(SALU_CYCLE_1)
	s_sub_i32 s10, s15, s10
	s_mul_i32 s10, s11, s10
	s_delay_alu instid0(SALU_CYCLE_1)
	s_add_i32 s3, s10, s3
	s_add_u32 s8, s8, -4
	s_addc_u32 s9, s9, -1
	s_cmp_gt_u32 s5, 2
	s_cbranch_scc1 .LBB26_3
.LBB26_4:
	s_set_inst_prefetch_distance 0x2
	s_load_b32 s5, s[0:1], 0x1c0
	s_add_u32 s8, s0, 0xf0
	s_addc_u32 s9, s1, 0
	s_mov_b32 s41, 0
	s_mov_b32 s40, s48
	s_waitcnt lgkmcnt(0)
	s_cmp_lt_i32 s5, 2
	s_cbranch_scc1 .LBB26_7
; %bb.5:
	s_add_i32 s40, s5, -1
	s_add_i32 s5, s5, 1
	s_lshl_b64 s[10:11], s[40:41], 2
	s_mov_b32 s40, s48
	s_add_u32 s10, s10, s8
	s_addc_u32 s11, s11, s9
	s_add_u32 s10, s10, 8
	s_addc_u32 s11, s11, 0
	s_set_inst_prefetch_distance 0x1
	.p2align	6
.LBB26_6:                               ; =>This Inner Loop Header: Depth=1
	s_clause 0x1
	s_load_b32 s12, s[10:11], 0x0
	s_load_b32 s14, s[10:11], 0x64
	s_mov_b32 s17, s40
	s_waitcnt lgkmcnt(0)
	v_cvt_f32_u32_e32 v1, s12
	s_sub_i32 s16, 0, s12
	s_waitcnt_depctr 0xfff
	v_rcp_iflag_f32_e32 v1, v1
	s_waitcnt_depctr 0xfff
	v_mul_f32_e32 v1, 0x4f7ffffe, v1
	s_delay_alu instid0(VALU_DEP_1) | instskip(NEXT) | instid1(VALU_DEP_1)
	v_cvt_u32_f32_e32 v1, v1
	v_readfirstlane_b32 s15, v1
	s_delay_alu instid0(VALU_DEP_1) | instskip(NEXT) | instid1(SALU_CYCLE_1)
	s_mul_i32 s16, s16, s15
	s_mul_hi_u32 s16, s15, s16
	s_delay_alu instid0(SALU_CYCLE_1) | instskip(NEXT) | instid1(SALU_CYCLE_1)
	s_add_i32 s15, s15, s16
	s_mul_hi_u32 s15, s40, s15
	s_delay_alu instid0(SALU_CYCLE_1) | instskip(SKIP_2) | instid1(SALU_CYCLE_1)
	s_mul_i32 s16, s15, s12
	s_add_i32 s18, s15, 1
	s_sub_i32 s16, s40, s16
	s_sub_i32 s19, s16, s12
	s_cmp_ge_u32 s16, s12
	s_cselect_b32 s15, s18, s15
	s_cselect_b32 s16, s19, s16
	s_add_i32 s18, s15, 1
	s_cmp_ge_u32 s16, s12
	s_cselect_b32 s40, s18, s15
	s_add_i32 s5, s5, -1
	s_mul_i32 s12, s40, s12
	s_delay_alu instid0(SALU_CYCLE_1) | instskip(NEXT) | instid1(SALU_CYCLE_1)
	s_sub_i32 s12, s17, s12
	s_mul_i32 s12, s14, s12
	s_delay_alu instid0(SALU_CYCLE_1)
	s_add_i32 s41, s12, s41
	s_add_u32 s10, s10, -4
	s_addc_u32 s11, s11, -1
	s_cmp_gt_u32 s5, 2
	s_cbranch_scc1 .LBB26_6
.LBB26_7:
	s_set_inst_prefetch_distance 0x2
	s_clause 0x1
	s_load_b32 s12, s[0:1], 0x6c
	s_load_b32 s5, s[0:1], 0x2a0
	s_add_u32 s10, s0, 0x1d0
	s_addc_u32 s11, s1, 0
	s_mov_b32 s43, 0
	s_waitcnt lgkmcnt(0)
	s_cmp_lt_i32 s5, 2
	s_cbranch_scc1 .LBB26_10
; %bb.8:
	s_add_i32 s42, s5, -1
	s_add_i32 s5, s5, 1
	s_lshl_b64 s[14:15], s[42:43], 2
	s_delay_alu instid0(SALU_CYCLE_1)
	s_add_u32 s10, s14, s10
	s_addc_u32 s11, s15, s11
	s_add_u32 s10, s10, 8
	s_addc_u32 s11, s11, 0
	s_set_inst_prefetch_distance 0x1
	.p2align	6
.LBB26_9:                               ; =>This Inner Loop Header: Depth=1
	s_clause 0x1
	s_load_b32 s14, s[10:11], 0x0
	s_load_b32 s15, s[10:11], 0x64
	s_mov_b32 s18, s48
	s_waitcnt lgkmcnt(0)
	v_cvt_f32_u32_e32 v1, s14
	s_sub_i32 s17, 0, s14
	s_waitcnt_depctr 0xfff
	v_rcp_iflag_f32_e32 v1, v1
	s_waitcnt_depctr 0xfff
	v_mul_f32_e32 v1, 0x4f7ffffe, v1
	s_delay_alu instid0(VALU_DEP_1) | instskip(NEXT) | instid1(VALU_DEP_1)
	v_cvt_u32_f32_e32 v1, v1
	v_readfirstlane_b32 s16, v1
	s_delay_alu instid0(VALU_DEP_1) | instskip(NEXT) | instid1(SALU_CYCLE_1)
	s_mul_i32 s17, s17, s16
	s_mul_hi_u32 s17, s16, s17
	s_delay_alu instid0(SALU_CYCLE_1) | instskip(NEXT) | instid1(SALU_CYCLE_1)
	s_add_i32 s16, s16, s17
	s_mul_hi_u32 s16, s48, s16
	s_delay_alu instid0(SALU_CYCLE_1) | instskip(SKIP_2) | instid1(SALU_CYCLE_1)
	s_mul_i32 s17, s16, s14
	s_add_i32 s19, s16, 1
	s_sub_i32 s17, s48, s17
	s_sub_i32 s20, s17, s14
	s_cmp_ge_u32 s17, s14
	s_cselect_b32 s16, s19, s16
	s_cselect_b32 s17, s20, s17
	s_add_i32 s19, s16, 1
	s_cmp_ge_u32 s17, s14
	s_cselect_b32 s48, s19, s16
	s_add_i32 s5, s5, -1
	s_mul_i32 s14, s48, s14
	s_delay_alu instid0(SALU_CYCLE_1) | instskip(NEXT) | instid1(SALU_CYCLE_1)
	s_sub_i32 s14, s18, s14
	s_mul_i32 s14, s15, s14
	s_delay_alu instid0(SALU_CYCLE_1)
	s_add_i32 s43, s14, s43
	s_add_u32 s10, s10, -4
	s_addc_u32 s11, s11, -1
	s_cmp_gt_u32 s5, 2
	s_cbranch_scc1 .LBB26_9
.LBB26_10:
	s_set_inst_prefetch_distance 0x2
	s_clause 0x3
	s_load_b32 s42, s[8:9], 0x6c
	s_load_b64 s[8:9], s[0:1], 0x0
	s_load_b64 s[46:47], s[0:1], 0xf0
	;; [unrolled: 1-line block ×3, first 2 shown]
	v_cmp_eq_u32_e64 s5, 0, v0
	s_mov_b32 s50, 0
	s_delay_alu instid0(VALU_DEP_1)
	s_and_saveexec_b32 s10, s5
	s_cbranch_execz .LBB26_12
; %bb.11:
	v_dual_mov_b32 v1, 0 :: v_dual_mov_b32 v2, s36
	s_delay_alu instid0(VALU_DEP_1)
	v_mov_b32_e32 v3, v1
	ds_store_b96 v1, v[1:3] offset:4096
.LBB26_12:
	s_or_b32 exec_lo, exec_lo, s10
	s_waitcnt lgkmcnt(0)
	s_barrier
	buffer_gl0_inv
	s_load_b32 s10, s[6:7], 0xc
	s_mul_i32 s2, s12, s2
	v_mbcnt_lo_u32_b32 v12, -1, 0
	s_add_i32 s2, s2, s3
	v_cmp_gt_u32_e32 vcc_lo, 32, v0
	s_add_u32 s30, s8, s2
	s_addc_u32 s31, s9, 0
	s_bitcmp1_b32 s38, 0
	v_cmp_gt_i32_e64 s2, 4, v12
	s_cselect_b32 s3, -1, 0
	v_mul_lo_u32 v14, v0, s34
	s_xor_b32 s51, s3, -1
	s_load_b32 s49, s[0:1], 0x23c
	s_and_b32 s52, vcc_lo, s2
	v_dual_mov_b32 v26, s37 :: v_dual_lshlrev_b32 v13, 2, v0
	v_lshl_or_b32 v21, v12, 2, 0xc00
	v_mov_b32_e32 v25, 0
	s_delay_alu instid0(VALU_DEP_4) | instskip(NEXT) | instid1(VALU_DEP_4)
	v_lshlrev_b32_e32 v19, 2, v14
	v_or_b32_e32 v3, 3, v13
	s_waitcnt lgkmcnt(0)
	s_and_b32 s33, s10, 0xffff
	s_bfe_u32 s2, s10, 0xb0005
	s_lshl_b32 s53, s33, 2
	s_cmpk_gt_u32 s36, 0xc00
	v_cvt_f32_u32_e32 v1, s53
	s_cselect_b32 s54, -1, 0
	s_cmp_gt_u32 s33, 31
	v_cvt_f32_u32_e32 v2, s33
	s_cselect_b32 s55, -1, 0
	v_rcp_iflag_f32_e32 v1, v1
	s_add_i32 s56, s33, -1
	v_mad_u64_u32 v[9:10], null, s34, v13, s[34:35]
	s_add_i32 s9, s56, s36
	s_cmp_lt_u32 s13, s4
	v_rcp_iflag_f32_e32 v2, v2
	s_cselect_b32 s4, 12, 18
	v_mov_b32_e32 v22, 0
	s_add_u32 s38, s6, s4
	s_waitcnt_depctr 0xfff
	v_mul_f32_e32 v1, 0x4f7ffffe, v1
	s_addc_u32 s39, s7, 0
	s_add_i32 s4, s2, -1
	s_bfe_u32 s57, s33, 0x30005
	s_cmp_gt_u32 s4, 6
	v_cvt_u32_f32_e32 v1, v1
	s_cselect_b32 s58, -1, 0
	s_and_b32 s59, s2, 0x7f8
	s_cmp_lg_u32 s57, 0
	v_mov_b32_e32 v24, 0
	v_readfirstlane_b32 s2, v1
	s_cselect_b32 s60, -1, 0
	s_sub_i32 s4, 0, s53
	v_mul_f32_e32 v1, 0x4f7ffffe, v2
	v_lshrrev_b32_e32 v2, 3, v0
	s_mul_i32 s4, s4, s2
	v_mov_b32_e32 v15, 0
	s_mul_hi_u32 s6, s2, s4
	v_cvt_u32_f32_e32 v1, v1
	v_and_b32_e32 v16, 0x7c, v2
	s_add_i32 s61, s2, s6
	v_mul_lo_u32 v18, s34, v3
	s_mul_hi_u32 s2, s36, s61
	v_cmp_gt_u32_e64 s4, s36, v0
	s_mul_i32 s2, s2, s53
	v_cmp_gt_u32_e64 s6, 2, v0
	s_sub_i32 s7, s36, s2
	v_cmp_eq_u32_e64 s2, 0, v12
	s_sub_i32 s8, s7, s53
	s_cmp_ge_u32 s7, s53
	v_mov_b32_e32 v23, 0
	s_cselect_b32 s7, s8, s7
	v_readfirstlane_b32 s8, v1
	s_sub_i32 s10, s7, s53
	s_cmp_ge_u32 s7, s53
	v_lshlrev_b64 v[1:2], v12, -1
	s_cselect_b32 s10, s10, s7
	s_sub_i32 s7, 0, s33
	s_sub_i32 s63, s36, s10
	s_mul_i32 s7, s7, s8
	v_add_nc_u32_e32 v17, s63, v0
	s_mul_hi_u32 s7, s8, s7
	v_not_b32_e32 v11, v1
	s_add_i32 s62, s8, s7
	v_add_co_u32 v5, s7, s30, v14
	s_delay_alu instid0(VALU_DEP_1)
	v_add_co_ci_u32_e64 v6, null, s31, 0, s7
	s_mul_hi_u32 s7, s9, s62
	v_add3_u32 v1, s33, s36, v0
	s_mul_i32 s7, s7, s33
	v_mul_lo_u32 v4, v17, s34
	s_sub_i32 s7, s9, s7
	v_or_b32_e32 v2, 2, v13
	s_sub_i32 s8, s7, s33
	s_cmp_ge_u32 s7, s33
	v_subrev_nc_u32_e32 v1, s10, v1
	s_cselect_b32 s8, s8, s7
	v_mul_lo_u32 v10, s34, v2
	s_sub_i32 s11, s8, s33
	s_cmp_ge_u32 s8, s33
	v_mul_lo_u32 v20, s34, v1
	s_cselect_b32 s11, s11, s8
	v_cmp_gt_u32_e64 s7, s63, v13
	s_sub_i32 s64, s9, s11
	v_add_co_u32 v7, s9, s30, v4
	v_cmp_gt_u32_e64 s8, s36, v17
	v_add_co_ci_u32_e64 v8, null, s31, 0, s9
	v_cmp_gt_u32_e64 s9, s64, v0
	s_mul_i32 s35, s34, s33
	s_mov_b32 s71, 6
	s_lshl_b32 s66, s35, 2
	s_mov_b32 s67, 0
                                        ; implicit-def: $sgpr65
                                        ; implicit-def: $sgpr70
                                        ; implicit-def: $sgpr69
                                        ; implicit-def: $sgpr72
                                        ; implicit-def: $sgpr68
                                        ; implicit-def: $sgpr73
                                        ; implicit-def: $sgpr75
                                        ; implicit-def: $sgpr74
                                        ; implicit-def: $sgpr76
                                        ; implicit-def: $sgpr77
	s_branch .LBB26_15
.LBB26_13:                              ;   in Loop: Header=BB26_15 Depth=1
	s_or_b32 exec_lo, exec_lo, s13
	v_dual_mov_b32 v23, v2 :: v_dual_mov_b32 v24, v1
	v_dual_mov_b32 v26, v4 :: v_dual_mov_b32 v25, v3
	s_and_not1_b32 s13, s77, exec_lo
	s_and_b32 s12, s12, exec_lo
	s_and_not1_b32 s76, s76, exec_lo
	s_or_b32 s77, s13, s12
	s_and_not1_b32 s74, s74, exec_lo
	s_and_not1_b32 s75, s75, exec_lo
	;; [unrolled: 1-line block ×3, first 2 shown]
	s_or_not1_b32 s12, s11, exec_lo
.LBB26_14:                              ;   in Loop: Header=BB26_15 Depth=1
	s_or_b32 exec_lo, exec_lo, s10
	s_delay_alu instid0(SALU_CYCLE_1) | instskip(NEXT) | instid1(SALU_CYCLE_1)
	s_and_b32 s10, exec_lo, s12
	s_or_b32 s50, s10, s50
	s_and_not1_b32 s10, s68, exec_lo
	s_and_b32 s11, s77, exec_lo
	s_and_not1_b32 s12, s72, exec_lo
	s_or_b32 s68, s10, s11
	s_and_b32 s10, s76, exec_lo
	s_and_not1_b32 s11, s69, exec_lo
	s_and_b32 s13, s74, exec_lo
	s_or_b32 s72, s12, s10
	s_or_b32 s69, s11, s13
	s_and_not1_b32 s10, s70, exec_lo
	s_and_b32 s11, s75, exec_lo
	s_and_not1_b32 s12, s65, exec_lo
	s_and_b32 s13, s73, exec_lo
	s_or_b32 s70, s10, s11
	s_or_b32 s65, s12, s13
	s_and_not1_b32 exec_lo, exec_lo, s50
	s_cbranch_execz .LBB26_412
.LBB26_15:                              ; =>This Loop Header: Depth=1
                                        ;     Child Loop BB26_20 Depth 2
                                        ;     Child Loop BB26_35 Depth 2
                                        ;     Child Loop BB26_59 Depth 2
                                        ;     Child Loop BB26_63 Depth 2
                                        ;     Child Loop BB26_48 Depth 2
                                        ;     Child Loop BB26_53 Depth 2
                                        ;     Child Loop BB26_72 Depth 2
                                        ;     Child Loop BB26_76 Depth 2
                                        ;     Child Loop BB26_102 Depth 2
                                        ;     Child Loop BB26_86 Depth 2
                                        ;     Child Loop BB26_140 Depth 2
                                        ;     Child Loop BB26_129 Depth 2
                                        ;     Child Loop BB26_178 Depth 2
                                        ;     Child Loop BB26_167 Depth 2
                                        ;     Child Loop BB26_205 Depth 2
                                        ;     Child Loop BB26_217 Depth 2
                                        ;     Child Loop BB26_264 Depth 2
                                        ;     Child Loop BB26_253 Depth 2
                                        ;     Child Loop BB26_302 Depth 2
                                        ;     Child Loop BB26_291 Depth 2
                                        ;     Child Loop BB26_340 Depth 2
                                        ;     Child Loop BB26_329 Depth 2
                                        ;     Child Loop BB26_367 Depth 2
                                        ;     Child Loop BB26_379 Depth 2
	ds_load_b64 v[1:2], v22 offset:4096
	s_waitcnt lgkmcnt(0)
	v_readfirstlane_b32 s78, v1
	s_delay_alu instid0(VALU_DEP_1)
	s_cmp_lg_u32 s78, 0
	s_cbranch_scc1 .LBB26_42
; %bb.16:                               ;   in Loop: Header=BB26_15 Depth=1
	s_and_b32 vcc_lo, exec_lo, s54
	s_cbranch_vccz .LBB26_28
; %bb.17:                               ;   in Loop: Header=BB26_15 Depth=1
	v_cmp_gt_u32_e32 vcc_lo, 0xc01, v2
	s_mov_b32 s78, 0
	s_mov_b32 s10, 0
	s_cbranch_vccz .LBB26_29
; %bb.18:                               ;   in Loop: Header=BB26_15 Depth=1
	global_load_u16 v1, v22, s[38:39]
	global_load_u8 v4, v[5:6], off
	v_mov_b32_e32 v27, v0
	s_mov_b32 s12, 0
	s_waitcnt vmcnt(1)
	v_add_nc_u32_e32 v2, v0, v1
	v_mul_lo_u32 v3, s34, v1
	s_delay_alu instid0(VALU_DEP_2)
	v_mul_lo_u32 v2, s34, v2
	s_branch .LBB26_20
.LBB26_19:                              ;   in Loop: Header=BB26_20 Depth=2
	s_or_b32 exec_lo, exec_lo, s11
	v_add_nc_u32_e32 v2, v2, v3
	v_mov_b32_e32 v4, v28
	s_and_not1_b32 exec_lo, exec_lo, s12
	s_cbranch_execz .LBB26_93
.LBB26_20:                              ;   Parent Loop BB26_15 Depth=1
                                        ; =>  This Inner Loop Header: Depth=2
	v_dual_mov_b32 v28, 0 :: v_dual_add_nc_u32 v27, v27, v1
	s_waitcnt lgkmcnt(0)
	v_mov_b32_e32 v29, 0
	s_mov_b32 s11, exec_lo
	s_delay_alu instid0(VALU_DEP_2)
	v_cmp_le_u32_e32 vcc_lo, s36, v27
	v_cmpx_gt_u32_e64 s36, v27
	s_cbranch_execz .LBB26_22
; %bb.21:                               ;   in Loop: Header=BB26_20 Depth=2
	global_load_u8 v28, v2, s[30:31]
.LBB26_22:                              ;   in Loop: Header=BB26_20 Depth=2
	s_or_b32 exec_lo, exec_lo, s11
	s_waitcnt vmcnt(0)
	v_bfe_i32 v30, v4, 0, 8
	s_delay_alu instid0(VALU_DEP_1) | instskip(NEXT) | instid1(VALU_DEP_1)
	v_add_nc_u32_e32 v30, 0x80, v30
	v_and_b32_e32 v30, v30, v23
	s_delay_alu instid0(VALU_DEP_1) | instskip(NEXT) | instid1(VALU_DEP_1)
	v_cmp_eq_u32_e64 s10, v30, v24
	s_cmp_lg_u32 s10, 0
	s_cselect_b32 s11, -1, 0
	s_delay_alu instid0(SALU_CYCLE_1) | instskip(NEXT) | instid1(SALU_CYCLE_1)
	s_and_b32 s11, s2, s11
	s_and_saveexec_b32 s13, s11
	s_cbranch_execz .LBB26_26
; %bb.23:                               ;   in Loop: Header=BB26_20 Depth=2
	s_mov_b32 s16, exec_lo
	s_bcnt1_i32_b32 s14, s10
	v_mbcnt_lo_u32_b32 v29, s16, 0
	s_mov_b32 s15, exec_lo
                                        ; implicit-def: $vgpr30
	s_delay_alu instid0(VALU_DEP_1)
	v_cmpx_eq_u32_e32 0, v29
	s_cbranch_execz .LBB26_25
; %bb.24:                               ;   in Loop: Header=BB26_20 Depth=2
	s_bcnt1_i32_b32 s11, s16
	s_delay_alu instid0(SALU_CYCLE_1) | instskip(NEXT) | instid1(SALU_CYCLE_1)
	s_mul_i32 s11, s14, s11
	v_mov_b32_e32 v30, s11
	ds_add_rtn_u32 v30, v22, v30 offset:4104
.LBB26_25:                              ;   in Loop: Header=BB26_20 Depth=2
	s_or_b32 exec_lo, exec_lo, s15
	s_waitcnt lgkmcnt(0)
	v_readfirstlane_b32 s11, v30
	s_delay_alu instid0(VALU_DEP_1)
	v_mad_u32_u24 v29, s14, v29, s11
.LBB26_26:                              ;   in Loop: Header=BB26_20 Depth=2
	s_or_b32 exec_lo, exec_lo, s13
	ds_bpermute_b32 v29, v22, v29
	s_and_b32 s11, exec_lo, vcc_lo
	s_delay_alu instid0(SALU_CYCLE_1)
	s_or_b32 s12, s11, s12
	s_and_saveexec_b32 s11, s10
	s_cbranch_execz .LBB26_19
; %bb.27:                               ;   in Loop: Header=BB26_20 Depth=2
	v_and_b32_e32 v30, s10, v11
	s_waitcnt lgkmcnt(0)
	s_delay_alu instid0(VALU_DEP_1)
	v_bcnt_u32_b32 v29, v30, v29
	ds_store_b8 v29, v4
	s_branch .LBB26_19
.LBB26_28:                              ;   in Loop: Header=BB26_15 Depth=1
	s_mov_b32 s78, -1
	s_mov_b32 s10, 0
.LBB26_29:                              ;   in Loop: Header=BB26_15 Depth=1
	s_and_b32 vcc_lo, exec_lo, s78
	s_cbranch_vccz .LBB26_40
.LBB26_30:                              ;   in Loop: Header=BB26_15 Depth=1
	v_mov_b32_e32 v1, 0
	s_and_saveexec_b32 s10, s4
	s_cbranch_execz .LBB26_32
; %bb.31:                               ;   in Loop: Header=BB26_15 Depth=1
	global_load_u8 v1, v[5:6], off
.LBB26_32:                              ;   in Loop: Header=BB26_15 Depth=1
	s_or_b32 exec_lo, exec_lo, s10
	s_and_saveexec_b32 s11, s4
	s_cbranch_execz .LBB26_37
; %bb.33:                               ;   in Loop: Header=BB26_15 Depth=1
	global_load_u16 v2, v22, s[38:39]
	v_mov_b32_e32 v27, v0
	s_mov_b32 s12, 0
	s_waitcnt vmcnt(0)
	v_add_nc_u32_e32 v3, v0, v2
	v_mul_lo_u32 v4, s34, v2
	s_delay_alu instid0(VALU_DEP_2)
	v_mul_lo_u32 v3, s34, v3
	s_branch .LBB26_35
	.p2align	6
.LBB26_34:                              ;   in Loop: Header=BB26_35 Depth=2
	s_or_b32 exec_lo, exec_lo, s13
	ds_store_b8 v27, v1
	v_add_nc_u32_e32 v3, v3, v4
	s_waitcnt vmcnt(0)
	v_mov_b32_e32 v1, v29
	v_mov_b32_e32 v27, v28
	s_and_b32 s10, exec_lo, vcc_lo
	s_delay_alu instid0(SALU_CYCLE_1) | instskip(NEXT) | instid1(SALU_CYCLE_1)
	s_or_b32 s12, s10, s12
	s_and_not1_b32 exec_lo, exec_lo, s12
	s_cbranch_execz .LBB26_37
.LBB26_35:                              ;   Parent Loop BB26_15 Depth=1
                                        ; =>  This Inner Loop Header: Depth=2
	v_dual_mov_b32 v29, 0 :: v_dual_add_nc_u32 v28, v27, v2
	s_mov_b32 s13, exec_lo
	s_delay_alu instid0(VALU_DEP_1)
	v_cmp_le_u32_e32 vcc_lo, s36, v28
	v_cmpx_gt_u32_e64 s36, v28
	s_cbranch_execz .LBB26_34
; %bb.36:                               ;   in Loop: Header=BB26_35 Depth=2
	global_load_u8 v29, v3, s[30:31]
	s_branch .LBB26_34
.LBB26_37:                              ;   in Loop: Header=BB26_15 Depth=1
	s_or_b32 exec_lo, exec_lo, s11
	s_waitcnt vmcnt(0) lgkmcnt(0)
	s_barrier
	buffer_gl0_inv
	s_and_saveexec_b32 s10, s5
	s_cbranch_execz .LBB26_39
; %bb.38:                               ;   in Loop: Header=BB26_15 Depth=1
	v_mov_b32_e32 v1, s36
	ds_store_b32 v22, v1 offset:4096
.LBB26_39:                              ;   in Loop: Header=BB26_15 Depth=1
	s_or_b32 exec_lo, exec_lo, s10
	s_mov_b32 s10, -1
	s_waitcnt lgkmcnt(0)
	s_barrier
                                        ; implicit-def: $sgpr78
.LBB26_40:                              ;   in Loop: Header=BB26_15 Depth=1
	s_and_b32 vcc_lo, exec_lo, s10
	s_cbranch_vccz .LBB26_42
; %bb.41:                               ;   in Loop: Header=BB26_15 Depth=1
	buffer_gl0_inv
	ds_load_b32 v1, v22 offset:4096
	s_waitcnt lgkmcnt(0)
	v_readfirstlane_b32 s78, v1
.LBB26_42:                              ;   in Loop: Header=BB26_15 Depth=1
	s_delay_alu instid0(VALU_DEP_1)
	s_cmp_lt_i32 s78, 1
	s_cbranch_scc0 .LBB26_46
; %bb.43:                               ;   in Loop: Header=BB26_15 Depth=1
	v_dual_mov_b32 v1, 0 :: v_dual_mov_b32 v2, 0
	v_dual_mov_b32 v3, 0 :: v_dual_mov_b32 v4, 0
	s_mov_b32 s80, 0
	s_and_saveexec_b32 s79, s7
	s_cbranch_execnz .LBB26_47
; %bb.44:                               ;   in Loop: Header=BB26_15 Depth=1
	s_or_b32 exec_lo, exec_lo, s79
	v_mov_b32_e32 v30, 0
	s_and_saveexec_b32 s10, s8
	s_cbranch_execnz .LBB26_50
.LBB26_45:                              ;   in Loop: Header=BB26_15 Depth=1
	s_or_b32 exec_lo, exec_lo, s10
	s_and_saveexec_b32 s14, s8
	s_cbranch_execnz .LBB26_51
	s_branch .LBB26_56
.LBB26_46:                              ;   in Loop: Header=BB26_15 Depth=1
                                        ; implicit-def: $vgpr4
	s_cbranch_execnz .LBB26_57
	s_branch .LBB26_66
.LBB26_47:                              ;   in Loop: Header=BB26_15 Depth=1
	v_mov_b32_e32 v27, v13
	s_and_b32 s81, s71, 0xfe
	s_mov_b32 s82, 0
	s_mov_b32 s83, 0
	;; [unrolled: 1-line block ×5, first 2 shown]
.LBB26_48:                              ;   Parent Loop BB26_15 Depth=1
                                        ; =>  This Inner Loop Header: Depth=2
	v_add_nc_u32_e32 v1, s82, v19
	v_add_nc_u32_e32 v2, s82, v9
	;; [unrolled: 1-line block ×5, first 2 shown]
	s_clause 0x3
	global_load_i8 v1, v1, s[30:31]
	global_load_i8 v2, v2, s[30:31]
	;; [unrolled: 1-line block ×4, first 2 shown]
	s_add_i32 s82, s82, s66
	v_cmp_le_u32_e32 vcc_lo, s63, v27
	s_waitcnt vmcnt(3)
	v_add_nc_u32_e32 v1, 0x80, v1
	s_waitcnt vmcnt(2)
	v_add_nc_u32_e32 v2, 0x80, v2
	;; [unrolled: 2-line block ×4, first 2 shown]
	v_and_b32_e32 v28, v1, v23
	v_bfe_u32 v1, v1, s81, 2
	v_and_b32_e32 v29, v2, v23
	v_bfe_u32 v2, v2, s81, 2
	v_and_b32_e32 v30, v3, v23
	v_bfe_u32 v3, v3, s81, 2
	v_cmp_eq_u32_e64 s10, v28, v24
	v_cmp_eq_u32_e64 s14, 0, v1
	v_and_b32_e32 v31, v4, v23
	v_bfe_u32 v4, v4, s81, 2
	v_cmp_eq_u32_e64 s11, v29, v24
	v_cmp_eq_u32_e64 s15, 0, v2
	;; [unrolled: 1-line block ×4, first 2 shown]
	s_and_b32 s14, s10, s14
	v_cmp_eq_u32_e64 s13, v31, v24
	v_cmp_eq_u32_e64 s17, 0, v4
	;; [unrolled: 1-line block ×5, first 2 shown]
	v_cndmask_b32_e64 v1, 0, 1, s14
	s_and_b32 s14, s11, s15
	v_cmp_eq_u32_e64 s19, 1, v2
	v_cmp_eq_u32_e64 s23, 2, v2
	v_cmp_eq_u32_e64 s27, 3, v2
	v_cndmask_b32_e64 v2, 0, 1, s14
	s_and_b32 s14, s12, s16
	v_cmp_eq_u32_e64 s20, 1, v3
	v_cmp_eq_u32_e64 s24, 2, v3
	v_cmp_eq_u32_e64 s28, 3, v3
	;; [unrolled: 5-line block ×3, first 2 shown]
	v_cndmask_b32_e64 v4, 0, 1, s14
	s_and_b32 s14, s10, s18
	s_delay_alu instid0(SALU_CYCLE_1) | instskip(SKIP_1) | instid1(SALU_CYCLE_1)
	v_cndmask_b32_e64 v28, 0, 1, s14
	s_and_b32 s14, s11, s19
	v_cndmask_b32_e64 v29, 0, 1, s14
	s_and_b32 s14, s12, s20
	s_delay_alu instid0(SALU_CYCLE_1) | instskip(SKIP_1) | instid1(VALU_DEP_2)
	v_cndmask_b32_e64 v30, 0, 1, s14
	s_and_b32 s14, s13, s21
	v_cmp_ne_u32_e64 s15, 0, v29
	v_cndmask_b32_e64 v31, 0, 1, s14
	s_and_b32 s14, s10, s22
	s_and_b32 s10, s10, s26
	v_cndmask_b32_e64 v32, 0, 1, s14
	s_and_b32 s14, s11, s23
	v_cndmask_b32_e64 v36, 0, 1, s10
	;; [unrolled: 2-line block ×7, first 2 shown]
	v_cndmask_b32_e64 v39, 0, 1, s10
	v_cmp_ne_u32_e64 s10, 0, v1
	v_cmp_ne_u32_e64 s14, 0, v28
	;; [unrolled: 1-line block ×11, first 2 shown]
	s_bcnt1_i32_b32 s10, s10
	s_bcnt1_i32_b32 s14, s14
	;; [unrolled: 1-line block ×4, first 2 shown]
	v_cmp_ne_u32_e64 s13, 0, v4
	v_cmp_ne_u32_e64 s17, 0, v31
	;; [unrolled: 1-line block ×4, first 2 shown]
	s_bcnt1_i32_b32 s11, s11
	s_bcnt1_i32_b32 s15, s15
	s_bcnt1_i32_b32 s19, s19
	s_bcnt1_i32_b32 s23, s23
	s_add_i32 s10, s10, s86
	s_add_i32 s14, s14, s85
	s_add_i32 s18, s18, s84
	s_add_i32 s22, s22, s83
	s_bcnt1_i32_b32 s12, s12
	s_bcnt1_i32_b32 s16, s16
	s_bcnt1_i32_b32 s20, s20
	s_bcnt1_i32_b32 s24, s24
	s_add_i32 s10, s10, s11
	s_add_i32 s11, s14, s15
	s_add_i32 s14, s18, s19
	s_add_i32 s15, s22, s23
	;; [unrolled: 8-line block ×3, first 2 shown]
	s_add_i32 s86, s10, s13
	s_add_i32 s85, s11, s17
	;; [unrolled: 1-line block ×4, first 2 shown]
	v_mov_b32_e32 v3, s84
	v_dual_mov_b32 v1, s86 :: v_dual_mov_b32 v2, s85
	v_mov_b32_e32 v4, s83
	s_or_b32 s80, vcc_lo, s80
	s_delay_alu instid0(SALU_CYCLE_1)
	s_and_not1_b32 exec_lo, exec_lo, s80
	s_cbranch_execnz .LBB26_48
; %bb.49:                               ;   in Loop: Header=BB26_15 Depth=1
	s_or_b32 exec_lo, exec_lo, s80
	s_delay_alu instid0(SALU_CYCLE_1)
	s_or_b32 exec_lo, exec_lo, s79
	v_mov_b32_e32 v30, 0
	s_and_saveexec_b32 s10, s8
	s_cbranch_execz .LBB26_45
.LBB26_50:                              ;   in Loop: Header=BB26_15 Depth=1
	global_load_u8 v30, v[7:8], off
	s_or_b32 exec_lo, exec_lo, s10
	s_and_saveexec_b32 s14, s8
	s_cbranch_execz .LBB26_56
.LBB26_51:                              ;   in Loop: Header=BB26_15 Depth=1
	v_dual_mov_b32 v27, v20 :: v_dual_mov_b32 v28, v17
	s_and_b32 s16, s71, 0xfe
	s_mov_b32 s15, 0
	s_branch .LBB26_53
.LBB26_52:                              ;   in Loop: Header=BB26_53 Depth=2
	s_or_b32 exec_lo, exec_lo, s11
	s_waitcnt vmcnt(0)
	v_bfe_i32 v30, v30, 0, 8
	s_and_b32 s11, exec_lo, vcc_lo
	v_add_nc_u32_e32 v27, s35, v27
	s_or_b32 s15, s11, s15
	s_delay_alu instid0(VALU_DEP_2) | instskip(NEXT) | instid1(VALU_DEP_1)
	v_add_nc_u32_e32 v30, 0x80, v30
	v_and_b32_e32 v31, v30, v23
	v_bfe_u32 v30, v30, s16, 2
	s_delay_alu instid0(VALU_DEP_2) | instskip(NEXT) | instid1(VALU_DEP_2)
	v_cmp_eq_u32_e32 vcc_lo, v31, v24
	v_cmp_eq_u32_e64 s10, 0, v30
	v_cmp_eq_u32_e64 s11, 1, v30
	;; [unrolled: 1-line block ×4, first 2 shown]
	s_delay_alu instid0(VALU_DEP_4) | instskip(NEXT) | instid1(SALU_CYCLE_1)
	s_and_b32 s10, vcc_lo, s10
	v_cndmask_b32_e64 v30, 0, 1, s10
	s_and_b32 s10, vcc_lo, s11
	s_delay_alu instid0(SALU_CYCLE_1) | instskip(SKIP_1) | instid1(SALU_CYCLE_1)
	v_cndmask_b32_e64 v31, 0, 1, s10
	s_and_b32 s10, vcc_lo, s12
	v_cndmask_b32_e64 v32, 0, 1, s10
	s_and_b32 s10, vcc_lo, s13
	v_cmp_ne_u32_e32 vcc_lo, 0, v30
	v_mov_b32_e32 v30, v29
	v_cndmask_b32_e64 v33, 0, 1, s10
	v_cmp_ne_u32_e64 s10, 0, v31
	v_cmp_ne_u32_e64 s11, 0, v32
	s_bcnt1_i32_b32 s13, vcc_lo
	s_delay_alu instid0(VALU_DEP_3) | instskip(NEXT) | instid1(VALU_DEP_3)
	v_cmp_ne_u32_e64 s12, 0, v33
	s_bcnt1_i32_b32 s10, s10
	s_delay_alu instid0(VALU_DEP_2)
	s_bcnt1_i32_b32 s11, s11
	v_add_nc_u32_e32 v1, s13, v1
	v_add_nc_u32_e32 v2, s10, v2
	s_bcnt1_i32_b32 s12, s12
	v_add_nc_u32_e32 v3, s11, v3
	v_add_nc_u32_e32 v4, s12, v4
	s_and_not1_b32 exec_lo, exec_lo, s15
	s_cbranch_execz .LBB26_55
.LBB26_53:                              ;   Parent Loop BB26_15 Depth=1
                                        ; =>  This Inner Loop Header: Depth=2
	s_delay_alu instid0(VALU_DEP_1) | instskip(SKIP_1) | instid1(VALU_DEP_1)
	v_dual_mov_b32 v29, 0 :: v_dual_add_nc_u32 v28, s33, v28
	s_mov_b32 s11, exec_lo
	v_cmp_le_u32_e32 vcc_lo, s36, v28
	v_cmpx_gt_u32_e64 s36, v28
	s_cbranch_execz .LBB26_52
; %bb.54:                               ;   in Loop: Header=BB26_53 Depth=2
	global_load_u8 v29, v27, s[30:31]
	s_branch .LBB26_52
.LBB26_55:                              ;   in Loop: Header=BB26_15 Depth=1
	s_or_b32 exec_lo, exec_lo, s15
.LBB26_56:                              ;   in Loop: Header=BB26_15 Depth=1
	s_delay_alu instid0(SALU_CYCLE_1)
	s_or_b32 exec_lo, exec_lo, s14
	s_branch .LBB26_66
.LBB26_57:                              ;   in Loop: Header=BB26_15 Depth=1
	s_mul_hi_u32 s10, s78, s61
	v_dual_mov_b32 v1, 0 :: v_dual_mov_b32 v2, 0
	s_mul_i32 s10, s10, s53
	v_dual_mov_b32 v3, 0 :: v_dual_mov_b32 v4, 0
	s_sub_i32 s10, s78, s10
	s_mov_b32 s81, 0
	s_sub_i32 s11, s10, s53
	s_cmp_ge_u32 s10, s53
	s_mov_b32 s80, exec_lo
	s_cselect_b32 s10, s11, s10
	s_delay_alu instid0(SALU_CYCLE_1) | instskip(SKIP_2) | instid1(SALU_CYCLE_1)
	s_sub_i32 s11, s10, s53
	s_cmp_ge_u32 s10, s53
	s_cselect_b32 s10, s11, s10
	s_sub_i32 s79, s78, s10
	s_delay_alu instid0(SALU_CYCLE_1)
	v_cmpx_gt_u32_e64 s79, v13
	s_cbranch_execz .LBB26_61
; %bb.58:                               ;   in Loop: Header=BB26_15 Depth=1
	v_mov_b32_e32 v27, v13
	s_and_b32 s82, s71, 0xfe
	s_mov_b32 s83, 0
	s_mov_b32 s84, 0
	;; [unrolled: 1-line block ×4, first 2 shown]
.LBB26_59:                              ;   Parent Loop BB26_15 Depth=1
                                        ; =>  This Inner Loop Header: Depth=2
	ds_load_b32 v1, v27
	s_waitcnt lgkmcnt(0)
	v_bfe_i32 v2, v1, 0, 8
	v_bfe_i32 v3, v1, 8, 8
	;; [unrolled: 1-line block ×3, first 2 shown]
	v_ashrrev_i32_e32 v1, 24, v1
	s_delay_alu instid0(VALU_DEP_4) | instskip(NEXT) | instid1(VALU_DEP_4)
	v_add_nc_u32_e32 v2, 0x80, v2
	v_add_nc_u32_e32 v3, 0x80, v3
	s_delay_alu instid0(VALU_DEP_4) | instskip(NEXT) | instid1(VALU_DEP_4)
	v_add_nc_u32_e32 v4, 0x80, v4
	v_add_nc_u32_e32 v1, 0x80, v1
	s_delay_alu instid0(VALU_DEP_4)
	v_and_b32_e32 v28, v2, v23
	v_bfe_u32 v2, v2, s82, 2
	v_and_b32_e32 v29, v3, v23
	v_bfe_u32 v3, v3, s82, 2
	s_waitcnt vmcnt(0)
	v_and_b32_e32 v30, v4, v23
	v_bfe_u32 v4, v4, s82, 2
	v_cmp_eq_u32_e64 s10, v28, v24
	v_cmp_eq_u32_e64 s14, 0, v2
	v_and_b32_e32 v31, v1, v23
	v_bfe_u32 v1, v1, s82, 2
	v_cmp_eq_u32_e64 s11, v29, v24
	v_cmp_eq_u32_e64 s15, 0, v3
	;; [unrolled: 1-line block ×4, first 2 shown]
	s_and_b32 s14, s10, s14
	v_cmp_eq_u32_e64 s13, v31, v24
	v_cmp_eq_u32_e64 s17, 0, v1
	;; [unrolled: 1-line block ×5, first 2 shown]
	v_cndmask_b32_e64 v1, 0, 1, s14
	s_and_b32 s14, s11, s15
	v_cmp_eq_u32_e64 s18, 1, v2
	v_cmp_eq_u32_e64 s22, 2, v2
	v_cmp_eq_u32_e64 s26, 3, v2
	v_cndmask_b32_e64 v2, 0, 1, s14
	s_and_b32 s14, s12, s16
	v_cmp_eq_u32_e64 s19, 1, v3
	v_cmp_eq_u32_e64 s23, 2, v3
	v_cmp_eq_u32_e64 s27, 3, v3
	;; [unrolled: 5-line block ×3, first 2 shown]
	v_cndmask_b32_e64 v4, 0, 1, s14
	s_and_b32 s14, s10, s18
	s_delay_alu instid0(SALU_CYCLE_1) | instskip(SKIP_1) | instid1(SALU_CYCLE_1)
	v_cndmask_b32_e64 v28, 0, 1, s14
	s_and_b32 s14, s11, s19
	v_cndmask_b32_e64 v29, 0, 1, s14
	s_and_b32 s14, s12, s20
	s_delay_alu instid0(SALU_CYCLE_1) | instskip(SKIP_1) | instid1(VALU_DEP_2)
	v_cndmask_b32_e64 v30, 0, 1, s14
	s_and_b32 s14, s13, s21
	v_cmp_ne_u32_e64 s15, 0, v29
	v_cndmask_b32_e64 v31, 0, 1, s14
	s_and_b32 s14, s10, s22
	s_and_b32 s10, s10, s26
	v_cndmask_b32_e64 v32, 0, 1, s14
	s_and_b32 s14, s11, s23
	v_cndmask_b32_e64 v36, 0, 1, s10
	;; [unrolled: 2-line block ×7, first 2 shown]
	v_cndmask_b32_e64 v39, 0, 1, s10
	v_cmp_ne_u32_e64 s10, 0, v1
	v_cmp_ne_u32_e64 s14, 0, v28
	;; [unrolled: 1-line block ×6, first 2 shown]
	s_bcnt1_i32_b32 s10, s10
	s_bcnt1_i32_b32 s14, s14
	v_cmp_ne_u32_e64 s17, 0, v31
	v_cmp_ne_u32_e64 s19, 0, v33
	;; [unrolled: 1-line block ×3, first 2 shown]
	s_bcnt1_i32_b32 s11, s11
	s_bcnt1_i32_b32 s15, s15
	s_add_i32 s10, s10, s86
	s_add_i32 s14, s14, s85
	v_cmp_ne_u32_e64 s12, 0, v3
	v_cmp_ne_u32_e64 s20, 0, v34
	;; [unrolled: 1-line block ×3, first 2 shown]
	s_bcnt1_i32_b32 s16, s16
	s_add_i32 s10, s10, s11
	s_add_i32 s11, s14, s15
	s_bcnt1_i32_b32 s18, s18
	s_bcnt1_i32_b32 s22, s22
	v_cmp_ne_u32_e64 s13, 0, v4
	v_cmp_ne_u32_e64 s21, 0, v35
	v_cmp_ne_u32_e64 s25, 0, v39
	s_bcnt1_i32_b32 s17, s17
	s_add_i32 s11, s11, s16
	s_bcnt1_i32_b32 s19, s19
	s_bcnt1_i32_b32 s23, s23
	s_add_i32 s18, s18, s84
	s_add_i32 s22, s22, s83
	;; [unrolled: 1-line block ×3, first 2 shown]
	s_delay_alu instid0(SALU_CYCLE_1)
	v_dual_mov_b32 v2, s85 :: v_dual_add_nc_u32 v27, s53, v27
	s_bcnt1_i32_b32 s12, s12
	s_bcnt1_i32_b32 s20, s20
	;; [unrolled: 1-line block ×3, first 2 shown]
	s_add_i32 s14, s18, s19
	s_add_i32 s15, s22, s23
	s_bcnt1_i32_b32 s13, s13
	s_bcnt1_i32_b32 s21, s21
	;; [unrolled: 1-line block ×3, first 2 shown]
	s_add_i32 s10, s10, s12
	s_add_i32 s12, s14, s20
	;; [unrolled: 1-line block ×3, first 2 shown]
	v_cmp_le_u32_e32 vcc_lo, s79, v27
	s_add_i32 s86, s10, s13
	s_add_i32 s84, s12, s21
	;; [unrolled: 1-line block ×3, first 2 shown]
	v_mov_b32_e32 v1, s86
	v_dual_mov_b32 v3, s84 :: v_dual_mov_b32 v4, s83
	s_or_b32 s81, vcc_lo, s81
	s_delay_alu instid0(SALU_CYCLE_1)
	s_and_not1_b32 exec_lo, exec_lo, s81
	s_cbranch_execnz .LBB26_59
; %bb.60:                               ;   in Loop: Header=BB26_15 Depth=1
	s_or_b32 exec_lo, exec_lo, s81
.LBB26_61:                              ;   in Loop: Header=BB26_15 Depth=1
	s_delay_alu instid0(SALU_CYCLE_1) | instskip(SKIP_2) | instid1(VALU_DEP_1)
	s_or_b32 exec_lo, exec_lo, s80
	v_add_nc_u32_e32 v27, s79, v0
	s_mov_b32 s15, exec_lo
	v_cmpx_gt_u32_e64 s78, v27
	s_cbranch_execz .LBB26_65
; %bb.62:                               ;   in Loop: Header=BB26_15 Depth=1
	s_and_b32 s17, s71, 0xfe
	s_mov_b32 s16, 0
.LBB26_63:                              ;   Parent Loop BB26_15 Depth=1
                                        ; =>  This Inner Loop Header: Depth=2
	ds_load_i8 v28, v27
	v_add_nc_u32_e32 v27, s33, v27
	s_delay_alu instid0(VALU_DEP_1) | instskip(SKIP_2) | instid1(VALU_DEP_1)
	v_cmp_le_u32_e32 vcc_lo, s78, v27
	s_waitcnt lgkmcnt(0)
	v_add_nc_u32_e32 v28, 0x80, v28
	v_and_b32_e32 v29, v28, v23
	v_bfe_u32 v28, v28, s17, 2
	s_delay_alu instid0(VALU_DEP_2) | instskip(NEXT) | instid1(VALU_DEP_2)
	v_cmp_eq_u32_e64 s10, v29, v24
	v_cmp_eq_u32_e64 s11, 0, v28
	;; [unrolled: 1-line block ×5, first 2 shown]
	s_delay_alu instid0(VALU_DEP_4) | instskip(NEXT) | instid1(SALU_CYCLE_1)
	s_and_b32 s11, s10, s11
	v_cndmask_b32_e64 v28, 0, 1, s11
	s_and_b32 s11, s10, s12
	s_delay_alu instid0(SALU_CYCLE_1)
	v_cndmask_b32_e64 v29, 0, 1, s11
	s_and_b32 s11, s10, s13
	s_and_b32 s10, s10, s14
	s_waitcnt vmcnt(0)
	v_cndmask_b32_e64 v30, 0, 1, s11
	v_cndmask_b32_e64 v31, 0, 1, s10
	v_cmp_ne_u32_e64 s10, 0, v28
	v_cmp_ne_u32_e64 s11, 0, v29
	s_delay_alu instid0(VALU_DEP_4) | instskip(NEXT) | instid1(VALU_DEP_4)
	v_cmp_ne_u32_e64 s12, 0, v30
	v_cmp_ne_u32_e64 s13, 0, v31
	s_delay_alu instid0(VALU_DEP_4) | instskip(NEXT) | instid1(VALU_DEP_3)
	s_bcnt1_i32_b32 s10, s10
	s_bcnt1_i32_b32 s11, s11
	v_add_nc_u32_e32 v1, s10, v1
	s_bcnt1_i32_b32 s12, s12
	s_bcnt1_i32_b32 s13, s13
	v_add_nc_u32_e32 v2, s11, v2
	v_add_nc_u32_e32 v3, s12, v3
	;; [unrolled: 1-line block ×3, first 2 shown]
	s_or_b32 s16, vcc_lo, s16
	s_delay_alu instid0(SALU_CYCLE_1)
	s_and_not1_b32 exec_lo, exec_lo, s16
	s_cbranch_execnz .LBB26_63
; %bb.64:                               ;   in Loop: Header=BB26_15 Depth=1
	s_or_b32 exec_lo, exec_lo, s16
.LBB26_65:                              ;   in Loop: Header=BB26_15 Depth=1
	s_delay_alu instid0(SALU_CYCLE_1)
	s_or_b32 exec_lo, exec_lo, s15
.LBB26_66:                              ;   in Loop: Header=BB26_15 Depth=1
	s_lshl_b32 s10, s67, 7
	s_and_saveexec_b32 s11, s2
	s_cbranch_execz .LBB26_68
; %bb.67:                               ;   in Loop: Header=BB26_15 Depth=1
	v_or_b32_e32 v27, s10, v16
	s_delay_alu instid0(VALU_DEP_1)
	v_lshlrev_b32_e32 v27, 2, v27
	ds_store_b128 v27, v[1:4] offset:3072
.LBB26_68:                              ;   in Loop: Header=BB26_15 Depth=1
	s_or_b32 exec_lo, exec_lo, s11
	s_waitcnt vmcnt(0) lgkmcnt(0)
	s_barrier
	buffer_gl0_inv
	s_and_saveexec_b32 s11, s52
	s_cbranch_execz .LBB26_78
; %bb.69:                               ;   in Loop: Header=BB26_15 Depth=1
	v_mov_b32_e32 v1, 0
	s_and_not1_b32 vcc_lo, exec_lo, s55
	s_cbranch_vccnz .LBB26_77
; %bb.70:                               ;   in Loop: Header=BB26_15 Depth=1
	v_mov_b32_e32 v1, 0
	s_and_not1_b32 vcc_lo, exec_lo, s58
	s_mov_b32 s12, 0
	s_cbranch_vccnz .LBB26_74
; %bb.71:                               ;   in Loop: Header=BB26_15 Depth=1
	v_lshl_add_u32 v2, s67, 9, v21
	v_mov_b32_e32 v1, 0
	.p2align	6
.LBB26_72:                              ;   Parent Loop BB26_15 Depth=1
                                        ; =>  This Inner Loop Header: Depth=2
	ds_load_2addr_b32 v[3:4], v2 offset1:4
	ds_load_2addr_b32 v[27:28], v2 offset0:8 offset1:12
	ds_load_2addr_b32 v[29:30], v2 offset0:16 offset1:20
	ds_load_2addr_b32 v[31:32], v2 offset0:24 offset1:28
	v_add_nc_u32_e32 v2, 0x80, v2
	s_add_i32 s12, s12, 8
	s_delay_alu instid0(SALU_CYCLE_1) | instskip(SKIP_3) | instid1(VALU_DEP_1)
	s_cmp_eq_u32 s59, s12
	s_waitcnt lgkmcnt(3)
	v_add3_u32 v1, v3, v1, v4
	s_waitcnt lgkmcnt(2)
	v_add3_u32 v1, v27, v1, v28
	s_waitcnt lgkmcnt(1)
	s_delay_alu instid0(VALU_DEP_1) | instskip(SKIP_1) | instid1(VALU_DEP_1)
	v_add3_u32 v1, v29, v1, v30
	s_waitcnt lgkmcnt(0)
	v_add3_u32 v1, v31, v1, v32
	s_cbranch_scc0 .LBB26_72
; %bb.73:                               ;   in Loop: Header=BB26_15 Depth=1
	s_mov_b32 s12, s59
.LBB26_74:                              ;   in Loop: Header=BB26_15 Depth=1
	s_and_not1_b32 vcc_lo, exec_lo, s60
	s_cbranch_vccnz .LBB26_77
; %bb.75:                               ;   in Loop: Header=BB26_15 Depth=1
	s_lshl_b32 s13, s67, 9
	s_lshl_b32 s12, s12, 4
	s_delay_alu instid0(SALU_CYCLE_1)
	v_add3_u32 v2, s13, s12, v21
	s_mov_b32 s12, s57
.LBB26_76:                              ;   Parent Loop BB26_15 Depth=1
                                        ; =>  This Inner Loop Header: Depth=2
	ds_load_b32 v3, v2
	v_add_nc_u32_e32 v2, 16, v2
	s_add_i32 s12, s12, -1
	s_delay_alu instid0(SALU_CYCLE_1)
	s_cmp_lg_u32 s12, 0
	s_waitcnt lgkmcnt(0)
	v_add_nc_u32_e32 v1, v3, v1
	s_cbranch_scc1 .LBB26_76
.LBB26_77:                              ;   in Loop: Header=BB26_15 Depth=1
	v_add_lshl_u32 v2, s10, v12, 2
	ds_store_b32 v2, v1 offset:3072
.LBB26_78:                              ;   in Loop: Header=BB26_15 Depth=1
	s_or_b32 exec_lo, exec_lo, s11
	s_lshl_b32 s10, s10, 2
	s_waitcnt lgkmcnt(0)
	v_mov_b32_e32 v1, s10
	s_barrier
	buffer_gl0_inv
	s_and_b32 s17, s71, 0xfe
	v_cmp_eq_u32_e64 s10, 1, v26
	ds_load_b128 v[1:4], v1 offset:3072
	s_lshl_b32 s13, 3, s17
	s_and_not1_b32 vcc_lo, exec_lo, s51
	s_not_b32 s14, s13
	s_waitcnt lgkmcnt(0)
	v_readfirstlane_b32 s12, v1
	v_readfirstlane_b32 s16, v2
	;; [unrolled: 1-line block ×4, first 2 shown]
	s_cbranch_vccnz .LBB26_91
; %bb.79:                               ;   in Loop: Header=BB26_15 Depth=1
	s_cmp_eq_u32 s12, 1
	v_dual_mov_b32 v1, v24 :: v_dual_mov_b32 v2, v23
	v_mov_b32_e32 v3, v25
	s_cselect_b32 s11, -1, 0
	s_mov_b32 s26, -1
	s_and_b32 s25, s11, s10
                                        ; implicit-def: $sgpr15
                                        ; implicit-def: $sgpr22
                                        ; implicit-def: $sgpr21
	s_delay_alu instid0(SALU_CYCLE_1)
	s_and_saveexec_b32 s20, s25
	s_cbranch_execz .LBB26_110
; %bb.80:                               ;   in Loop: Header=BB26_15 Depth=1
	ds_load_b32 v1, v22 offset:4096
	s_waitcnt lgkmcnt(0)
	s_barrier
	buffer_gl0_inv
	v_readfirstlane_b32 s15, v1
	s_and_saveexec_b32 s11, s6
	s_cbranch_execz .LBB26_82
; %bb.81:                               ;   in Loop: Header=BB26_15 Depth=1
	ds_store_b8 v0, v15 offset:3072
.LBB26_82:                              ;   in Loop: Header=BB26_15 Depth=1
	s_or_b32 exec_lo, exec_lo, s11
	v_and_b32_e32 v1, s14, v24
	v_or_b32_e32 v2, s13, v23
	s_cmp_eq_u32 s15, 0
	s_waitcnt lgkmcnt(0)
	s_barrier
	buffer_gl0_inv
	s_cbranch_scc1 .LBB26_96
; %bb.83:                               ;   in Loop: Header=BB26_15 Depth=1
	s_add_i32 s11, s15, s56
                                        ; implicit-def: $vgpr3
	s_delay_alu instid0(SALU_CYCLE_1) | instskip(NEXT) | instid1(SALU_CYCLE_1)
	s_mul_hi_u32 s21, s11, s62
	s_mul_i32 s21, s21, s33
	s_delay_alu instid0(SALU_CYCLE_1) | instskip(NEXT) | instid1(SALU_CYCLE_1)
	s_sub_i32 s21, s11, s21
	s_sub_i32 s22, s21, s33
	s_cmp_ge_u32 s21, s33
	s_cselect_b32 s21, s22, s21
	s_delay_alu instid0(SALU_CYCLE_1) | instskip(SKIP_2) | instid1(SALU_CYCLE_1)
	s_sub_i32 s22, s21, s33
	s_cmp_ge_u32 s21, s33
	s_cselect_b32 s21, s22, s21
	s_sub_i32 s22, s11, s21
	s_mov_b32 s11, 0
	s_mov_b32 s21, exec_lo
	v_cmpx_gt_u32_e64 s22, v0
	s_cbranch_execz .LBB26_98
; %bb.84:                               ;   in Loop: Header=BB26_15 Depth=1
	v_mov_b32_e32 v3, v0
	s_mov_b32 s23, 0
                                        ; implicit-def: $sgpr24
	s_set_inst_prefetch_distance 0x1
	s_branch .LBB26_86
	.p2align	6
.LBB26_85:                              ;   in Loop: Header=BB26_86 Depth=2
	s_or_b32 exec_lo, exec_lo, s11
	s_waitcnt lgkmcnt(0)
	s_barrier
	buffer_gl0_inv
	ds_load_u16 v4, v22 offset:3072
	v_add_nc_u32_e32 v3, s33, v3
	s_waitcnt lgkmcnt(0)
	s_barrier
	buffer_gl0_inv
	v_cmp_le_u32_e32 vcc_lo, s22, v3
	v_and_b32_e32 v27, 0xff, v4
	s_delay_alu instid0(VALU_DEP_1) | instskip(NEXT) | instid1(VALU_DEP_1)
	v_cmp_ne_u16_e64 s11, 0, v27
	s_or_b32 s26, vcc_lo, s11
	s_delay_alu instid0(SALU_CYCLE_1) | instskip(NEXT) | instid1(SALU_CYCLE_1)
	s_and_b32 s26, exec_lo, s26
	s_or_b32 s23, s26, s23
	s_and_not1_b32 s24, s24, exec_lo
	s_and_b32 s11, s11, exec_lo
	s_delay_alu instid0(SALU_CYCLE_1)
	s_or_b32 s24, s24, s11
	s_and_not1_b32 exec_lo, exec_lo, s23
	s_cbranch_execz .LBB26_97
.LBB26_86:                              ;   Parent Loop BB26_15 Depth=1
                                        ; =>  This Inner Loop Header: Depth=2
	s_delay_alu instid0(VALU_DEP_1)
	v_cmp_gt_u32_e32 vcc_lo, s15, v3
	v_mov_b32_e32 v4, 0
	s_and_saveexec_b32 s11, vcc_lo
	s_cbranch_execz .LBB26_88
; %bb.87:                               ;   in Loop: Header=BB26_86 Depth=2
	ds_load_u8 v4, v3
.LBB26_88:                              ;   in Loop: Header=BB26_86 Depth=2
	s_or_b32 exec_lo, exec_lo, s11
	s_and_saveexec_b32 s11, vcc_lo
	s_cbranch_execz .LBB26_85
; %bb.89:                               ;   in Loop: Header=BB26_86 Depth=2
	s_waitcnt lgkmcnt(0)
	v_bfe_i32 v27, v4, 0, 8
	s_delay_alu instid0(VALU_DEP_1) | instskip(NEXT) | instid1(VALU_DEP_1)
	v_add_nc_u32_e32 v27, 0x80, v27
	v_and_b32_e32 v27, v27, v2
	s_delay_alu instid0(VALU_DEP_1)
	v_cmp_eq_u32_e32 vcc_lo, v27, v1
	s_and_b32 exec_lo, exec_lo, vcc_lo
	s_cbranch_execz .LBB26_85
; %bb.90:                               ;   in Loop: Header=BB26_86 Depth=2
	v_lshlrev_b16 v4, 8, v4
	s_delay_alu instid0(VALU_DEP_1)
	v_or_b32_e32 v4, 1, v4
	ds_store_b16 v22, v4 offset:3072
	s_branch .LBB26_85
.LBB26_91:                              ;   in Loop: Header=BB26_15 Depth=1
	s_mov_b32 s20, 0
	s_mov_b32 s11, 0
                                        ; implicit-def: $sgpr21
                                        ; implicit-def: $sgpr22
                                        ; implicit-def: $sgpr15
                                        ; implicit-def: $vgpr27
                                        ; implicit-def: $vgpr4
                                        ; implicit-def: $vgpr1
                                        ; implicit-def: $vgpr2
                                        ; implicit-def: $vgpr3
	s_cbranch_execnz .LBB26_246
.LBB26_92:                              ;   in Loop: Header=BB26_15 Depth=1
	s_mov_b32 s23, s15
	s_mov_b32 s24, s15
	s_and_saveexec_b32 s10, s20
	s_cbranch_execnz .LBB26_408
	s_branch .LBB26_409
.LBB26_93:                              ;   in Loop: Header=BB26_15 Depth=1
	s_or_b32 exec_lo, exec_lo, s12
	s_waitcnt lgkmcnt(0)
	s_barrier
	buffer_gl0_inv
	s_and_saveexec_b32 s10, s5
	s_cbranch_execz .LBB26_95
; %bb.94:                               ;   in Loop: Header=BB26_15 Depth=1
	ds_load_b32 v1, v22 offset:4104
	s_waitcnt lgkmcnt(0)
	ds_store_b32 v22, v1 offset:4096
.LBB26_95:                              ;   in Loop: Header=BB26_15 Depth=1
	s_or_b32 exec_lo, exec_lo, s10
	s_waitcnt lgkmcnt(0)
	s_mov_b32 s10, -1
	s_barrier
	s_and_b32 vcc_lo, exec_lo, s78
	s_cbranch_vccnz .LBB26_30
	s_branch .LBB26_40
.LBB26_96:                              ;   in Loop: Header=BB26_15 Depth=1
	s_mov_b32 s15, -1
	s_mov_b32 s11, 0
                                        ; implicit-def: $sgpr21
                                        ; implicit-def: $vgpr3
	s_mov_b32 s22, s15
	s_cbranch_execnz .LBB26_99
	s_branch .LBB26_109
.LBB26_97:                              ;   in Loop: Header=BB26_15 Depth=1
	s_set_inst_prefetch_distance 0x2
	s_or_b32 exec_lo, exec_lo, s23
	v_lshrrev_b16 v3, 8, v4
	s_and_b32 s11, s24, exec_lo
.LBB26_98:                              ;   in Loop: Header=BB26_15 Depth=1
	s_or_b32 exec_lo, exec_lo, s21
	s_mov_b32 s21, -1
	s_mov_b32 s15, 0
	s_delay_alu instid0(SALU_CYCLE_1)
	s_mov_b32 s22, s15
	s_branch .LBB26_109
.LBB26_99:                              ;   in Loop: Header=BB26_15 Depth=1
	s_mov_b32 s11, 0
                                        ; implicit-def: $vgpr3
	s_and_saveexec_b32 s15, s9
	s_cbranch_execz .LBB26_108
; %bb.100:                              ;   in Loop: Header=BB26_15 Depth=1
	v_dual_mov_b32 v3, v14 :: v_dual_mov_b32 v4, v0
	s_mov_b32 s21, 0
                                        ; implicit-def: $sgpr22
	s_set_inst_prefetch_distance 0x1
	s_branch .LBB26_102
	.p2align	6
.LBB26_101:                             ;   in Loop: Header=BB26_102 Depth=2
	s_or_b32 exec_lo, exec_lo, s11
	s_waitcnt vmcnt(0) lgkmcnt(0)
	s_barrier
	buffer_gl0_inv
	ds_load_u16 v27, v22 offset:3072
	v_add_nc_u32_e32 v4, s33, v4
	v_add_nc_u32_e32 v3, s35, v3
	s_waitcnt lgkmcnt(0)
	s_barrier
	buffer_gl0_inv
	v_cmp_le_u32_e32 vcc_lo, s64, v4
	v_and_b32_e32 v28, 0xff, v27
	s_delay_alu instid0(VALU_DEP_1) | instskip(NEXT) | instid1(VALU_DEP_1)
	v_cmp_ne_u16_e64 s11, 0, v28
	s_or_b32 s23, vcc_lo, s11
	s_delay_alu instid0(SALU_CYCLE_1) | instskip(NEXT) | instid1(SALU_CYCLE_1)
	s_and_b32 s23, exec_lo, s23
	s_or_b32 s21, s23, s21
	s_and_not1_b32 s22, s22, exec_lo
	s_and_b32 s11, s11, exec_lo
	s_delay_alu instid0(SALU_CYCLE_1)
	s_or_b32 s22, s22, s11
	s_and_not1_b32 exec_lo, exec_lo, s21
	s_cbranch_execz .LBB26_107
.LBB26_102:                             ;   Parent Loop BB26_15 Depth=1
                                        ; =>  This Inner Loop Header: Depth=2
	s_delay_alu instid0(VALU_DEP_1)
	v_cmp_gt_u32_e32 vcc_lo, s36, v4
	v_mov_b32_e32 v27, 0
	s_and_saveexec_b32 s11, vcc_lo
	s_cbranch_execz .LBB26_104
; %bb.103:                              ;   in Loop: Header=BB26_102 Depth=2
	global_load_u8 v27, v3, s[30:31]
.LBB26_104:                             ;   in Loop: Header=BB26_102 Depth=2
	s_or_b32 exec_lo, exec_lo, s11
	s_and_saveexec_b32 s11, vcc_lo
	s_cbranch_execz .LBB26_101
; %bb.105:                              ;   in Loop: Header=BB26_102 Depth=2
	s_waitcnt vmcnt(0)
	v_bfe_i32 v28, v27, 0, 8
	s_delay_alu instid0(VALU_DEP_1) | instskip(NEXT) | instid1(VALU_DEP_1)
	v_add_nc_u32_e32 v28, 0x80, v28
	v_and_b32_e32 v28, v28, v2
	s_delay_alu instid0(VALU_DEP_1)
	v_cmp_eq_u32_e32 vcc_lo, v28, v1
	s_and_b32 exec_lo, exec_lo, vcc_lo
	s_cbranch_execz .LBB26_101
; %bb.106:                              ;   in Loop: Header=BB26_102 Depth=2
	v_lshlrev_b16 v27, 8, v27
	s_delay_alu instid0(VALU_DEP_1)
	v_or_b32_e32 v27, 1, v27
	ds_store_b16 v22, v27 offset:3072
	s_branch .LBB26_101
.LBB26_107:                             ;   in Loop: Header=BB26_15 Depth=1
	s_set_inst_prefetch_distance 0x2
	s_or_b32 exec_lo, exec_lo, s21
	v_lshrrev_b16 v3, 8, v27
	s_and_b32 s11, s22, exec_lo
.LBB26_108:                             ;   in Loop: Header=BB26_15 Depth=1
	s_or_b32 exec_lo, exec_lo, s15
	s_mov_b32 s22, -1
	s_mov_b32 s15, 0
	s_mov_b32 s21, 0
.LBB26_109:                             ;   in Loop: Header=BB26_15 Depth=1
	s_or_not1_b32 s26, s11, exec_lo
.LBB26_110:                             ;   in Loop: Header=BB26_15 Depth=1
	s_or_b32 exec_lo, exec_lo, s20
	s_mov_b32 s23, 0
	s_mov_b32 s20, 0
	;; [unrolled: 1-line block ×3, first 2 shown]
                                        ; implicit-def: $vgpr27
                                        ; implicit-def: $vgpr4
	s_and_saveexec_b32 s24, s26
	s_cbranch_execz .LBB26_245
; %bb.111:                              ;   in Loop: Header=BB26_15 Depth=1
	v_dual_mov_b32 v4, 1 :: v_dual_mov_b32 v27, 1
	s_xor_b32 s25, s25, -1
	s_delay_alu instid0(SALU_CYCLE_1)
	s_and_saveexec_b32 s11, s25
	s_cbranch_execz .LBB26_121
; %bb.112:                              ;   in Loop: Header=BB26_15 Depth=1
	s_mov_b32 s25, exec_lo
                                        ; implicit-def: $sgpr26
                                        ; implicit-def: $sgpr20
	v_cmpx_ge_u32_e64 s12, v26
	s_xor_b32 s25, exec_lo, s25
	s_cbranch_execz .LBB26_118
; %bb.113:                              ;   in Loop: Header=BB26_15 Depth=1
	ds_load_b32 v4, v22 offset:4096
	s_waitcnt lgkmcnt(0)
	v_cmp_ne_u32_e32 vcc_lo, 0, v4
	s_cbranch_vccnz .LBB26_117
; %bb.114:                              ;   in Loop: Header=BB26_15 Depth=1
	s_and_saveexec_b32 s20, s5
	s_cbranch_execz .LBB26_116
; %bb.115:                              ;   in Loop: Header=BB26_15 Depth=1
	v_mov_b32_e32 v4, s12
	ds_store_b32 v22, v4 offset:4100
.LBB26_116:                             ;   in Loop: Header=BB26_15 Depth=1
	s_or_b32 exec_lo, exec_lo, s20
	s_waitcnt lgkmcnt(0)
	s_barrier
	buffer_gl0_inv
.LBB26_117:                             ;   in Loop: Header=BB26_15 Depth=1
	v_and_b32_e32 v1, s14, v1
	v_or_b32_e32 v2, s13, v2
	s_mov_b32 s20, 0
	s_mov_b32 s26, 8
.LBB26_118:                             ;   in Loop: Header=BB26_15 Depth=1
	s_or_saveexec_b32 s25, s25
	v_dual_mov_b32 v27, s26 :: v_dual_mov_b32 v4, v26
	s_xor_b32 exec_lo, exec_lo, s25
; %bb.119:                              ;   in Loop: Header=BB26_15 Depth=1
	v_subrev_nc_u32_e32 v4, s12, v26
	v_mov_b32_e32 v27, 0
	s_or_b32 s20, s20, exec_lo
; %bb.120:                              ;   in Loop: Header=BB26_15 Depth=1
	s_or_b32 exec_lo, exec_lo, s25
	s_delay_alu instid0(SALU_CYCLE_1)
	s_and_b32 s20, s20, exec_lo
.LBB26_121:                             ;   in Loop: Header=BB26_15 Depth=1
	s_or_b32 exec_lo, exec_lo, s11
	s_mov_b32 s11, -1
                                        ; implicit-def: $sgpr25
                                        ; implicit-def: $sgpr27
                                        ; implicit-def: $sgpr28
	s_and_saveexec_b32 s26, s20
	s_delay_alu instid0(SALU_CYCLE_1)
	s_xor_b32 s20, exec_lo, s26
	s_cbranch_execz .LBB26_242
; %bb.122:                              ;   in Loop: Header=BB26_15 Depth=1
	v_cmp_eq_u32_e32 vcc_lo, 1, v4
	s_cmp_eq_u32 s16, 1
                                        ; implicit-def: $sgpr25
                                        ; implicit-def: $sgpr27
                                        ; implicit-def: $sgpr26
	s_cselect_b32 s11, -1, 0
	s_delay_alu instid0(SALU_CYCLE_1)
	s_and_b32 s29, s11, vcc_lo
	s_mov_b32 s11, -1
	s_and_saveexec_b32 s28, s29
	s_cbranch_execz .LBB26_148
; %bb.123:                              ;   in Loop: Header=BB26_15 Depth=1
	ds_load_b32 v3, v22 offset:4096
	s_waitcnt lgkmcnt(0)
	s_barrier
	buffer_gl0_inv
	v_readfirstlane_b32 s25, v3
	s_and_saveexec_b32 s11, s6
	s_cbranch_execz .LBB26_125
; %bb.124:                              ;   in Loop: Header=BB26_15 Depth=1
	ds_store_b8 v0, v15 offset:3072
.LBB26_125:                             ;   in Loop: Header=BB26_15 Depth=1
	s_or_b32 exec_lo, exec_lo, s11
	s_lshl_b32 s11, 1, s17
	v_or_b32_e32 v2, s13, v2
	v_and_or_b32 v1, v1, s14, s11
	s_cmp_eq_u32 s25, 0
	s_waitcnt lgkmcnt(0)
	s_barrier
	buffer_gl0_inv
	s_cbranch_scc1 .LBB26_134
; %bb.126:                              ;   in Loop: Header=BB26_15 Depth=1
	s_add_i32 s11, s25, s56
                                        ; implicit-def: $vgpr3
	s_delay_alu instid0(SALU_CYCLE_1) | instskip(NEXT) | instid1(SALU_CYCLE_1)
	s_mul_hi_u32 s26, s11, s62
	s_mul_i32 s26, s26, s33
	s_delay_alu instid0(SALU_CYCLE_1) | instskip(NEXT) | instid1(SALU_CYCLE_1)
	s_sub_i32 s26, s11, s26
	s_sub_i32 s27, s26, s33
	s_cmp_ge_u32 s26, s33
	s_cselect_b32 s26, s27, s26
	s_delay_alu instid0(SALU_CYCLE_1) | instskip(SKIP_2) | instid1(SALU_CYCLE_1)
	s_sub_i32 s27, s26, s33
	s_cmp_ge_u32 s26, s33
	s_cselect_b32 s26, s27, s26
	s_sub_i32 s27, s11, s26
	s_mov_b32 s11, 0
	s_mov_b32 s26, exec_lo
	v_cmpx_gt_u32_e64 s27, v0
	s_cbranch_execz .LBB26_136
; %bb.127:                              ;   in Loop: Header=BB26_15 Depth=1
	v_mov_b32_e32 v3, v0
	s_mov_b32 s78, 0
                                        ; implicit-def: $sgpr79
	s_set_inst_prefetch_distance 0x1
	s_branch .LBB26_129
	.p2align	6
.LBB26_128:                             ;   in Loop: Header=BB26_129 Depth=2
	s_or_b32 exec_lo, exec_lo, s11
	s_waitcnt lgkmcnt(0)
	s_barrier
	buffer_gl0_inv
	ds_load_u16 v27, v22 offset:3072
	v_add_nc_u32_e32 v3, s33, v3
	s_waitcnt lgkmcnt(0)
	s_barrier
	buffer_gl0_inv
	v_cmp_le_u32_e32 vcc_lo, s27, v3
	v_and_b32_e32 v28, 0xff, v27
	s_delay_alu instid0(VALU_DEP_1) | instskip(NEXT) | instid1(VALU_DEP_1)
	v_cmp_ne_u16_e64 s11, 0, v28
	s_or_b32 s80, vcc_lo, s11
	s_delay_alu instid0(SALU_CYCLE_1) | instskip(NEXT) | instid1(SALU_CYCLE_1)
	s_and_b32 s80, exec_lo, s80
	s_or_b32 s78, s80, s78
	s_and_not1_b32 s79, s79, exec_lo
	s_and_b32 s11, s11, exec_lo
	s_delay_alu instid0(SALU_CYCLE_1)
	s_or_b32 s79, s79, s11
	s_and_not1_b32 exec_lo, exec_lo, s78
	s_cbranch_execz .LBB26_135
.LBB26_129:                             ;   Parent Loop BB26_15 Depth=1
                                        ; =>  This Inner Loop Header: Depth=2
	s_delay_alu instid0(VALU_DEP_1)
	v_cmp_gt_u32_e32 vcc_lo, s25, v3
	v_mov_b32_e32 v27, 0
	s_and_saveexec_b32 s11, vcc_lo
	s_cbranch_execz .LBB26_131
; %bb.130:                              ;   in Loop: Header=BB26_129 Depth=2
	ds_load_u8 v27, v3
.LBB26_131:                             ;   in Loop: Header=BB26_129 Depth=2
	s_or_b32 exec_lo, exec_lo, s11
	s_and_saveexec_b32 s11, vcc_lo
	s_cbranch_execz .LBB26_128
; %bb.132:                              ;   in Loop: Header=BB26_129 Depth=2
	s_waitcnt lgkmcnt(0)
	v_bfe_i32 v28, v27, 0, 8
	s_delay_alu instid0(VALU_DEP_1) | instskip(NEXT) | instid1(VALU_DEP_1)
	v_add_nc_u32_e32 v28, 0x80, v28
	v_and_b32_e32 v28, v28, v2
	s_delay_alu instid0(VALU_DEP_1)
	v_cmp_eq_u32_e32 vcc_lo, v28, v1
	s_and_b32 exec_lo, exec_lo, vcc_lo
	s_cbranch_execz .LBB26_128
; %bb.133:                              ;   in Loop: Header=BB26_129 Depth=2
	v_lshlrev_b16 v27, 8, v27
	s_delay_alu instid0(VALU_DEP_1)
	v_or_b32_e32 v27, 1, v27
	ds_store_b16 v22, v27 offset:3072
	s_branch .LBB26_128
.LBB26_134:                             ;   in Loop: Header=BB26_15 Depth=1
	s_mov_b32 s25, -1
	s_mov_b32 s11, 0
                                        ; implicit-def: $sgpr26
                                        ; implicit-def: $vgpr3
	s_mov_b32 s27, s25
	s_cbranch_execnz .LBB26_137
	s_branch .LBB26_147
.LBB26_135:                             ;   in Loop: Header=BB26_15 Depth=1
	s_set_inst_prefetch_distance 0x2
	s_or_b32 exec_lo, exec_lo, s78
	v_lshrrev_b16 v3, 8, v27
	s_and_b32 s11, s79, exec_lo
.LBB26_136:                             ;   in Loop: Header=BB26_15 Depth=1
	s_or_b32 exec_lo, exec_lo, s26
	s_mov_b32 s26, -1
	s_mov_b32 s25, 0
	s_delay_alu instid0(SALU_CYCLE_1)
	s_mov_b32 s27, s25
	s_branch .LBB26_147
.LBB26_137:                             ;   in Loop: Header=BB26_15 Depth=1
	s_mov_b32 s11, 0
                                        ; implicit-def: $vgpr3
	s_and_saveexec_b32 s25, s9
	s_cbranch_execz .LBB26_146
; %bb.138:                              ;   in Loop: Header=BB26_15 Depth=1
	v_mov_b32_e32 v3, v14
	v_mov_b32_e32 v27, v0
	s_mov_b32 s26, 0
                                        ; implicit-def: $sgpr27
	s_set_inst_prefetch_distance 0x1
	s_branch .LBB26_140
	.p2align	6
.LBB26_139:                             ;   in Loop: Header=BB26_140 Depth=2
	s_or_b32 exec_lo, exec_lo, s11
	s_waitcnt vmcnt(0) lgkmcnt(0)
	s_barrier
	buffer_gl0_inv
	ds_load_u16 v28, v22 offset:3072
	v_add_nc_u32_e32 v27, s33, v27
	v_add_nc_u32_e32 v3, s35, v3
	s_waitcnt lgkmcnt(0)
	s_barrier
	buffer_gl0_inv
	v_cmp_le_u32_e32 vcc_lo, s64, v27
	v_and_b32_e32 v29, 0xff, v28
	s_delay_alu instid0(VALU_DEP_1) | instskip(NEXT) | instid1(VALU_DEP_1)
	v_cmp_ne_u16_e64 s11, 0, v29
	s_or_b32 s78, vcc_lo, s11
	s_delay_alu instid0(SALU_CYCLE_1) | instskip(NEXT) | instid1(SALU_CYCLE_1)
	s_and_b32 s78, exec_lo, s78
	s_or_b32 s26, s78, s26
	s_and_not1_b32 s27, s27, exec_lo
	s_and_b32 s11, s11, exec_lo
	s_delay_alu instid0(SALU_CYCLE_1)
	s_or_b32 s27, s27, s11
	s_and_not1_b32 exec_lo, exec_lo, s26
	s_cbranch_execz .LBB26_145
.LBB26_140:                             ;   Parent Loop BB26_15 Depth=1
                                        ; =>  This Inner Loop Header: Depth=2
	s_delay_alu instid0(VALU_DEP_1)
	v_cmp_gt_u32_e32 vcc_lo, s36, v27
	v_mov_b32_e32 v28, 0
	s_and_saveexec_b32 s11, vcc_lo
	s_cbranch_execz .LBB26_142
; %bb.141:                              ;   in Loop: Header=BB26_140 Depth=2
	global_load_u8 v28, v3, s[30:31]
.LBB26_142:                             ;   in Loop: Header=BB26_140 Depth=2
	s_or_b32 exec_lo, exec_lo, s11
	s_and_saveexec_b32 s11, vcc_lo
	s_cbranch_execz .LBB26_139
; %bb.143:                              ;   in Loop: Header=BB26_140 Depth=2
	s_waitcnt vmcnt(0)
	v_bfe_i32 v29, v28, 0, 8
	s_delay_alu instid0(VALU_DEP_1) | instskip(NEXT) | instid1(VALU_DEP_1)
	v_add_nc_u32_e32 v29, 0x80, v29
	v_and_b32_e32 v29, v29, v2
	s_delay_alu instid0(VALU_DEP_1)
	v_cmp_eq_u32_e32 vcc_lo, v29, v1
	s_and_b32 exec_lo, exec_lo, vcc_lo
	s_cbranch_execz .LBB26_139
; %bb.144:                              ;   in Loop: Header=BB26_140 Depth=2
	v_lshlrev_b16 v28, 8, v28
	s_delay_alu instid0(VALU_DEP_1)
	v_or_b32_e32 v28, 1, v28
	ds_store_b16 v22, v28 offset:3072
	s_branch .LBB26_139
.LBB26_145:                             ;   in Loop: Header=BB26_15 Depth=1
	s_set_inst_prefetch_distance 0x2
	s_or_b32 exec_lo, exec_lo, s26
	v_lshrrev_b16 v3, 8, v28
	s_and_b32 s11, s27, exec_lo
.LBB26_146:                             ;   in Loop: Header=BB26_15 Depth=1
	s_or_b32 exec_lo, exec_lo, s25
	s_mov_b32 s27, -1
	s_mov_b32 s25, 0
	s_mov_b32 s26, 0
.LBB26_147:                             ;   in Loop: Header=BB26_15 Depth=1
	s_or_not1_b32 s11, s11, exec_lo
.LBB26_148:                             ;   in Loop: Header=BB26_15 Depth=1
	s_or_b32 exec_lo, exec_lo, s28
	s_mov_b32 s78, 0
                                        ; implicit-def: $vgpr27
	s_and_saveexec_b32 s28, s11
	s_cbranch_execz .LBB26_241
; %bb.149:                              ;   in Loop: Header=BB26_15 Depth=1
	v_dual_mov_b32 v28, 1 :: v_dual_mov_b32 v27, 1
	s_xor_b32 s29, s29, -1
	s_mov_b32 s79, 0
	s_and_saveexec_b32 s11, s29
	s_cbranch_execz .LBB26_159
; %bb.150:                              ;   in Loop: Header=BB26_15 Depth=1
	s_mov_b32 s78, exec_lo
                                        ; implicit-def: $sgpr79
                                        ; implicit-def: $sgpr29
	v_cmpx_ge_u32_e64 s16, v4
	s_xor_b32 s78, exec_lo, s78
	s_cbranch_execz .LBB26_156
; %bb.151:                              ;   in Loop: Header=BB26_15 Depth=1
	ds_load_b32 v27, v22 offset:4096
	s_waitcnt lgkmcnt(0)
	v_cmp_ne_u32_e32 vcc_lo, 0, v27
	s_cbranch_vccnz .LBB26_155
; %bb.152:                              ;   in Loop: Header=BB26_15 Depth=1
	s_and_saveexec_b32 s29, s5
	s_cbranch_execz .LBB26_154
; %bb.153:                              ;   in Loop: Header=BB26_15 Depth=1
	v_mov_b32_e32 v27, s16
	ds_store_b32 v22, v27 offset:4100
.LBB26_154:                             ;   in Loop: Header=BB26_15 Depth=1
	s_or_b32 exec_lo, exec_lo, s29
	s_waitcnt lgkmcnt(0)
	s_barrier
	buffer_gl0_inv
.LBB26_155:                             ;   in Loop: Header=BB26_15 Depth=1
	s_lshl_b32 s29, 1, s17
	v_or_b32_e32 v2, s13, v2
	v_and_or_b32 v1, v1, s14, s29
	s_mov_b32 s29, 0
	s_mov_b32 s79, 8
.LBB26_156:                             ;   in Loop: Header=BB26_15 Depth=1
	s_or_saveexec_b32 s78, s78
	v_mov_b32_e32 v27, s79
	s_xor_b32 exec_lo, exec_lo, s78
; %bb.157:                              ;   in Loop: Header=BB26_15 Depth=1
	v_subrev_nc_u32_e32 v4, s16, v4
	v_mov_b32_e32 v27, 0
	s_or_b32 s29, s29, exec_lo
; %bb.158:                              ;   in Loop: Header=BB26_15 Depth=1
	s_or_b32 exec_lo, exec_lo, s78
	s_delay_alu instid0(VALU_DEP_2)
	v_mov_b32_e32 v28, v4
	s_and_b32 s79, s29, exec_lo
.LBB26_159:                             ;   in Loop: Header=BB26_15 Depth=1
	s_or_b32 exec_lo, exec_lo, s11
	s_mov_b32 s11, -1
                                        ; implicit-def: $sgpr78
                                        ; implicit-def: $sgpr80
                                        ; implicit-def: $sgpr81
	s_and_saveexec_b32 s29, s79
	s_cbranch_execz .LBB26_240
; %bb.160:                              ;   in Loop: Header=BB26_15 Depth=1
	v_cmp_eq_u32_e32 vcc_lo, 1, v28
	s_cmp_eq_u32 s18, 1
                                        ; implicit-def: $sgpr78
                                        ; implicit-def: $sgpr80
                                        ; implicit-def: $sgpr79
	s_cselect_b32 s11, -1, 0
	s_delay_alu instid0(SALU_CYCLE_1)
	s_and_b32 s82, s11, vcc_lo
	s_mov_b32 s11, -1
	s_and_saveexec_b32 s81, s82
	s_cbranch_execz .LBB26_186
; %bb.161:                              ;   in Loop: Header=BB26_15 Depth=1
	ds_load_b32 v3, v22 offset:4096
	s_waitcnt lgkmcnt(0)
	s_barrier
	buffer_gl0_inv
	v_readfirstlane_b32 s78, v3
	s_and_saveexec_b32 s11, s6
	s_cbranch_execz .LBB26_163
; %bb.162:                              ;   in Loop: Header=BB26_15 Depth=1
	ds_store_b8 v0, v15 offset:3072
.LBB26_163:                             ;   in Loop: Header=BB26_15 Depth=1
	s_or_b32 exec_lo, exec_lo, s11
	s_lshl_b32 s11, 2, s17
	v_or_b32_e32 v2, s13, v2
	v_and_or_b32 v1, v1, s14, s11
	s_cmp_eq_u32 s78, 0
	s_waitcnt lgkmcnt(0)
	s_barrier
	buffer_gl0_inv
	s_cbranch_scc1 .LBB26_172
; %bb.164:                              ;   in Loop: Header=BB26_15 Depth=1
	s_add_i32 s11, s78, s56
                                        ; implicit-def: $vgpr3
	s_delay_alu instid0(SALU_CYCLE_1) | instskip(NEXT) | instid1(SALU_CYCLE_1)
	s_mul_hi_u32 s79, s11, s62
	s_mul_i32 s79, s79, s33
	s_delay_alu instid0(SALU_CYCLE_1) | instskip(NEXT) | instid1(SALU_CYCLE_1)
	s_sub_i32 s79, s11, s79
	s_sub_i32 s80, s79, s33
	s_cmp_ge_u32 s79, s33
	s_cselect_b32 s79, s80, s79
	s_delay_alu instid0(SALU_CYCLE_1) | instskip(SKIP_2) | instid1(SALU_CYCLE_1)
	s_sub_i32 s80, s79, s33
	s_cmp_ge_u32 s79, s33
	s_cselect_b32 s79, s80, s79
	s_sub_i32 s80, s11, s79
	s_mov_b32 s11, 0
	s_mov_b32 s79, exec_lo
	v_cmpx_gt_u32_e64 s80, v0
	s_cbranch_execz .LBB26_174
; %bb.165:                              ;   in Loop: Header=BB26_15 Depth=1
	v_mov_b32_e32 v3, v0
	s_mov_b32 s83, 0
                                        ; implicit-def: $sgpr84
	s_set_inst_prefetch_distance 0x1
	s_branch .LBB26_167
	.p2align	6
.LBB26_166:                             ;   in Loop: Header=BB26_167 Depth=2
	s_or_b32 exec_lo, exec_lo, s11
	s_waitcnt lgkmcnt(0)
	s_barrier
	buffer_gl0_inv
	ds_load_u16 v4, v22 offset:3072
	v_add_nc_u32_e32 v3, s33, v3
	s_waitcnt lgkmcnt(0)
	s_barrier
	buffer_gl0_inv
	v_cmp_le_u32_e32 vcc_lo, s80, v3
	v_and_b32_e32 v27, 0xff, v4
	s_delay_alu instid0(VALU_DEP_1) | instskip(NEXT) | instid1(VALU_DEP_1)
	v_cmp_ne_u16_e64 s11, 0, v27
	s_or_b32 s85, vcc_lo, s11
	s_delay_alu instid0(SALU_CYCLE_1) | instskip(NEXT) | instid1(SALU_CYCLE_1)
	s_and_b32 s85, exec_lo, s85
	s_or_b32 s83, s85, s83
	s_and_not1_b32 s84, s84, exec_lo
	s_and_b32 s11, s11, exec_lo
	s_delay_alu instid0(SALU_CYCLE_1)
	s_or_b32 s84, s84, s11
	s_and_not1_b32 exec_lo, exec_lo, s83
	s_cbranch_execz .LBB26_173
.LBB26_167:                             ;   Parent Loop BB26_15 Depth=1
                                        ; =>  This Inner Loop Header: Depth=2
	s_delay_alu instid0(VALU_DEP_1)
	v_cmp_gt_u32_e32 vcc_lo, s78, v3
	v_mov_b32_e32 v4, 0
	s_and_saveexec_b32 s11, vcc_lo
	s_cbranch_execz .LBB26_169
; %bb.168:                              ;   in Loop: Header=BB26_167 Depth=2
	ds_load_u8 v4, v3
.LBB26_169:                             ;   in Loop: Header=BB26_167 Depth=2
	s_or_b32 exec_lo, exec_lo, s11
	s_and_saveexec_b32 s11, vcc_lo
	s_cbranch_execz .LBB26_166
; %bb.170:                              ;   in Loop: Header=BB26_167 Depth=2
	s_waitcnt lgkmcnt(0)
	v_bfe_i32 v27, v4, 0, 8
	s_delay_alu instid0(VALU_DEP_1) | instskip(NEXT) | instid1(VALU_DEP_1)
	v_add_nc_u32_e32 v27, 0x80, v27
	v_and_b32_e32 v27, v27, v2
	s_delay_alu instid0(VALU_DEP_1)
	v_cmp_eq_u32_e32 vcc_lo, v27, v1
	s_and_b32 exec_lo, exec_lo, vcc_lo
	s_cbranch_execz .LBB26_166
; %bb.171:                              ;   in Loop: Header=BB26_167 Depth=2
	v_lshlrev_b16 v4, 8, v4
	s_delay_alu instid0(VALU_DEP_1)
	v_or_b32_e32 v4, 1, v4
	ds_store_b16 v22, v4 offset:3072
	s_branch .LBB26_166
.LBB26_172:                             ;   in Loop: Header=BB26_15 Depth=1
	s_mov_b32 s78, -1
	s_mov_b32 s11, 0
                                        ; implicit-def: $sgpr79
                                        ; implicit-def: $vgpr3
	s_mov_b32 s80, s78
	s_cbranch_execnz .LBB26_175
	s_branch .LBB26_185
.LBB26_173:                             ;   in Loop: Header=BB26_15 Depth=1
	s_set_inst_prefetch_distance 0x2
	s_or_b32 exec_lo, exec_lo, s83
	v_lshrrev_b16 v3, 8, v4
	s_and_b32 s11, s84, exec_lo
.LBB26_174:                             ;   in Loop: Header=BB26_15 Depth=1
	s_or_b32 exec_lo, exec_lo, s79
	s_mov_b32 s79, -1
	s_mov_b32 s78, 0
	s_delay_alu instid0(SALU_CYCLE_1)
	s_mov_b32 s80, s78
	s_branch .LBB26_185
.LBB26_175:                             ;   in Loop: Header=BB26_15 Depth=1
	s_mov_b32 s11, 0
                                        ; implicit-def: $vgpr3
	s_and_saveexec_b32 s78, s9
	s_cbranch_execz .LBB26_184
; %bb.176:                              ;   in Loop: Header=BB26_15 Depth=1
	v_dual_mov_b32 v3, v14 :: v_dual_mov_b32 v4, v0
	s_mov_b32 s79, 0
                                        ; implicit-def: $sgpr80
	s_set_inst_prefetch_distance 0x1
	s_branch .LBB26_178
	.p2align	6
.LBB26_177:                             ;   in Loop: Header=BB26_178 Depth=2
	s_or_b32 exec_lo, exec_lo, s11
	s_waitcnt vmcnt(0) lgkmcnt(0)
	s_barrier
	buffer_gl0_inv
	ds_load_u16 v27, v22 offset:3072
	v_add_nc_u32_e32 v4, s33, v4
	v_add_nc_u32_e32 v3, s35, v3
	s_waitcnt lgkmcnt(0)
	s_barrier
	buffer_gl0_inv
	v_cmp_le_u32_e32 vcc_lo, s64, v4
	v_and_b32_e32 v29, 0xff, v27
	s_delay_alu instid0(VALU_DEP_1) | instskip(NEXT) | instid1(VALU_DEP_1)
	v_cmp_ne_u16_e64 s11, 0, v29
	s_or_b32 s83, vcc_lo, s11
	s_delay_alu instid0(SALU_CYCLE_1) | instskip(NEXT) | instid1(SALU_CYCLE_1)
	s_and_b32 s83, exec_lo, s83
	s_or_b32 s79, s83, s79
	s_and_not1_b32 s80, s80, exec_lo
	s_and_b32 s11, s11, exec_lo
	s_delay_alu instid0(SALU_CYCLE_1)
	s_or_b32 s80, s80, s11
	s_and_not1_b32 exec_lo, exec_lo, s79
	s_cbranch_execz .LBB26_183
.LBB26_178:                             ;   Parent Loop BB26_15 Depth=1
                                        ; =>  This Inner Loop Header: Depth=2
	s_delay_alu instid0(VALU_DEP_1)
	v_cmp_gt_u32_e32 vcc_lo, s36, v4
	v_mov_b32_e32 v27, 0
	s_and_saveexec_b32 s11, vcc_lo
	s_cbranch_execz .LBB26_180
; %bb.179:                              ;   in Loop: Header=BB26_178 Depth=2
	global_load_u8 v27, v3, s[30:31]
.LBB26_180:                             ;   in Loop: Header=BB26_178 Depth=2
	s_or_b32 exec_lo, exec_lo, s11
	s_and_saveexec_b32 s11, vcc_lo
	s_cbranch_execz .LBB26_177
; %bb.181:                              ;   in Loop: Header=BB26_178 Depth=2
	s_waitcnt vmcnt(0)
	v_bfe_i32 v29, v27, 0, 8
	s_delay_alu instid0(VALU_DEP_1) | instskip(NEXT) | instid1(VALU_DEP_1)
	v_add_nc_u32_e32 v29, 0x80, v29
	v_and_b32_e32 v29, v29, v2
	s_delay_alu instid0(VALU_DEP_1)
	v_cmp_eq_u32_e32 vcc_lo, v29, v1
	s_and_b32 exec_lo, exec_lo, vcc_lo
	s_cbranch_execz .LBB26_177
; %bb.182:                              ;   in Loop: Header=BB26_178 Depth=2
	v_lshlrev_b16 v27, 8, v27
	s_delay_alu instid0(VALU_DEP_1)
	v_or_b32_e32 v27, 1, v27
	ds_store_b16 v22, v27 offset:3072
	s_branch .LBB26_177
.LBB26_183:                             ;   in Loop: Header=BB26_15 Depth=1
	s_set_inst_prefetch_distance 0x2
	s_or_b32 exec_lo, exec_lo, s79
	v_lshrrev_b16 v3, 8, v27
	s_and_b32 s11, s80, exec_lo
.LBB26_184:                             ;   in Loop: Header=BB26_15 Depth=1
	s_or_b32 exec_lo, exec_lo, s78
	s_mov_b32 s80, -1
	s_mov_b32 s78, 0
	s_mov_b32 s79, 0
.LBB26_185:                             ;   in Loop: Header=BB26_15 Depth=1
	s_or_not1_b32 s11, s11, exec_lo
.LBB26_186:                             ;   in Loop: Header=BB26_15 Depth=1
	s_or_b32 exec_lo, exec_lo, s81
	s_mov_b32 s83, 0
                                        ; implicit-def: $vgpr27
	s_and_saveexec_b32 s81, s11
	s_cbranch_execz .LBB26_239
; %bb.187:                              ;   in Loop: Header=BB26_15 Depth=1
	v_dual_mov_b32 v4, 1 :: v_dual_mov_b32 v27, 1
	s_xor_b32 s82, s82, -1
	s_mov_b32 s84, 0
	s_and_saveexec_b32 s11, s82
	s_cbranch_execz .LBB26_197
; %bb.188:                              ;   in Loop: Header=BB26_15 Depth=1
	s_mov_b32 s83, exec_lo
                                        ; implicit-def: $sgpr84
                                        ; implicit-def: $sgpr82
	v_cmpx_ge_u32_e64 s18, v28
	s_xor_b32 s83, exec_lo, s83
	s_cbranch_execz .LBB26_194
; %bb.189:                              ;   in Loop: Header=BB26_15 Depth=1
	ds_load_b32 v4, v22 offset:4096
	s_waitcnt lgkmcnt(0)
	v_cmp_ne_u32_e32 vcc_lo, 0, v4
	s_cbranch_vccnz .LBB26_193
; %bb.190:                              ;   in Loop: Header=BB26_15 Depth=1
	s_and_saveexec_b32 s82, s5
	s_cbranch_execz .LBB26_192
; %bb.191:                              ;   in Loop: Header=BB26_15 Depth=1
	v_mov_b32_e32 v4, s18
	ds_store_b32 v22, v4 offset:4100
.LBB26_192:                             ;   in Loop: Header=BB26_15 Depth=1
	s_or_b32 exec_lo, exec_lo, s82
	s_waitcnt lgkmcnt(0)
	s_barrier
	buffer_gl0_inv
.LBB26_193:                             ;   in Loop: Header=BB26_15 Depth=1
	s_lshl_b32 s82, 2, s17
	v_or_b32_e32 v2, s13, v2
	v_and_or_b32 v1, v1, s14, s82
	s_mov_b32 s82, 0
	s_mov_b32 s84, 8
.LBB26_194:                             ;   in Loop: Header=BB26_15 Depth=1
	s_or_saveexec_b32 s83, s83
	v_mov_b32_e32 v27, s84
	s_xor_b32 exec_lo, exec_lo, s83
; %bb.195:                              ;   in Loop: Header=BB26_15 Depth=1
	v_subrev_nc_u32_e32 v28, s18, v28
	v_mov_b32_e32 v27, 0
	s_or_b32 s82, s82, exec_lo
; %bb.196:                              ;   in Loop: Header=BB26_15 Depth=1
	s_or_b32 exec_lo, exec_lo, s83
	s_delay_alu instid0(VALU_DEP_2)
	v_mov_b32_e32 v4, v28
	s_and_b32 s84, s82, exec_lo
.LBB26_197:                             ;   in Loop: Header=BB26_15 Depth=1
	s_or_b32 exec_lo, exec_lo, s11
	s_mov_b32 s83, -1
                                        ; implicit-def: $sgpr11
                                        ; implicit-def: $sgpr86
                                        ; implicit-def: $sgpr85
	s_and_saveexec_b32 s82, s84
	s_cbranch_execz .LBB26_238
; %bb.198:                              ;   in Loop: Header=BB26_15 Depth=1
	v_cmp_eq_u32_e32 vcc_lo, 1, v4
	s_cmp_eq_u32 s19, 1
	s_mov_b32 s87, -1
	s_cselect_b32 s11, -1, 0
                                        ; implicit-def: $sgpr86
                                        ; implicit-def: $sgpr85
	s_delay_alu instid0(SALU_CYCLE_1) | instskip(NEXT) | instid1(SALU_CYCLE_1)
	s_and_b32 s83, s11, vcc_lo
                                        ; implicit-def: $sgpr11
	s_and_saveexec_b32 s84, s83
	s_cbranch_execz .LBB26_225
; %bb.199:                              ;   in Loop: Header=BB26_15 Depth=1
	ds_load_b32 v3, v22 offset:4096
	s_waitcnt lgkmcnt(0)
	s_barrier
	buffer_gl0_inv
	v_readfirstlane_b32 s85, v3
	s_and_saveexec_b32 s11, s6
	s_cbranch_execz .LBB26_201
; %bb.200:                              ;   in Loop: Header=BB26_15 Depth=1
	ds_store_b8 v0, v15 offset:3072
.LBB26_201:                             ;   in Loop: Header=BB26_15 Depth=1
	s_or_b32 exec_lo, exec_lo, s11
	v_or_b32_e32 v1, s13, v1
	v_or_b32_e32 v2, s13, v2
	s_cmp_eq_u32 s85, 0
	s_waitcnt lgkmcnt(0)
	s_barrier
	buffer_gl0_inv
	s_cbranch_scc1 .LBB26_210
; %bb.202:                              ;   in Loop: Header=BB26_15 Depth=1
	s_add_i32 s11, s85, s56
                                        ; implicit-def: $vgpr3
	s_delay_alu instid0(SALU_CYCLE_1) | instskip(NEXT) | instid1(SALU_CYCLE_1)
	s_mul_hi_u32 s86, s11, s62
	s_mul_i32 s86, s86, s33
	s_delay_alu instid0(SALU_CYCLE_1) | instskip(NEXT) | instid1(SALU_CYCLE_1)
	s_sub_i32 s86, s11, s86
	s_sub_i32 s87, s86, s33
	s_cmp_ge_u32 s86, s33
	s_cselect_b32 s86, s87, s86
	s_delay_alu instid0(SALU_CYCLE_1)
	s_sub_i32 s87, s86, s33
	s_cmp_ge_u32 s86, s33
	s_cselect_b32 s86, s87, s86
	s_mov_b32 s87, 0
	s_sub_i32 s88, s11, s86
	s_mov_b32 s86, exec_lo
	v_cmpx_gt_u32_e64 s88, v0
	s_cbranch_execz .LBB26_212
; %bb.203:                              ;   in Loop: Header=BB26_15 Depth=1
	v_mov_b32_e32 v3, v0
                                        ; implicit-def: $sgpr89
	s_set_inst_prefetch_distance 0x1
	s_branch .LBB26_205
	.p2align	6
.LBB26_204:                             ;   in Loop: Header=BB26_205 Depth=2
	s_or_b32 exec_lo, exec_lo, s11
	s_waitcnt lgkmcnt(0)
	s_barrier
	buffer_gl0_inv
	ds_load_u16 v27, v22 offset:3072
	v_add_nc_u32_e32 v3, s33, v3
	s_waitcnt lgkmcnt(0)
	s_barrier
	buffer_gl0_inv
	v_cmp_le_u32_e32 vcc_lo, s88, v3
	v_and_b32_e32 v28, 0xff, v27
	s_delay_alu instid0(VALU_DEP_1) | instskip(NEXT) | instid1(VALU_DEP_1)
	v_cmp_ne_u16_e64 s11, 0, v28
	s_or_b32 s90, vcc_lo, s11
	s_delay_alu instid0(SALU_CYCLE_1) | instskip(NEXT) | instid1(SALU_CYCLE_1)
	s_and_b32 s90, exec_lo, s90
	s_or_b32 s87, s90, s87
	s_and_not1_b32 s89, s89, exec_lo
	s_and_b32 s11, s11, exec_lo
	s_delay_alu instid0(SALU_CYCLE_1)
	s_or_b32 s89, s89, s11
	s_and_not1_b32 exec_lo, exec_lo, s87
	s_cbranch_execz .LBB26_211
.LBB26_205:                             ;   Parent Loop BB26_15 Depth=1
                                        ; =>  This Inner Loop Header: Depth=2
	s_delay_alu instid0(VALU_DEP_1)
	v_cmp_gt_u32_e32 vcc_lo, s85, v3
	v_mov_b32_e32 v27, 0
	s_and_saveexec_b32 s11, vcc_lo
	s_cbranch_execz .LBB26_207
; %bb.206:                              ;   in Loop: Header=BB26_205 Depth=2
	ds_load_u8 v27, v3
.LBB26_207:                             ;   in Loop: Header=BB26_205 Depth=2
	s_or_b32 exec_lo, exec_lo, s11
	s_and_saveexec_b32 s11, vcc_lo
	s_cbranch_execz .LBB26_204
; %bb.208:                              ;   in Loop: Header=BB26_205 Depth=2
	s_waitcnt lgkmcnt(0)
	v_bfe_i32 v28, v27, 0, 8
	s_delay_alu instid0(VALU_DEP_1) | instskip(NEXT) | instid1(VALU_DEP_1)
	v_add_nc_u32_e32 v28, 0x80, v28
	v_and_b32_e32 v28, v28, v2
	s_delay_alu instid0(VALU_DEP_1)
	v_cmp_eq_u32_e32 vcc_lo, v28, v1
	s_and_b32 exec_lo, exec_lo, vcc_lo
	s_cbranch_execz .LBB26_204
; %bb.209:                              ;   in Loop: Header=BB26_205 Depth=2
	v_lshlrev_b16 v27, 8, v27
	s_delay_alu instid0(VALU_DEP_1)
	v_or_b32_e32 v27, 1, v27
	ds_store_b16 v22, v27 offset:3072
	s_branch .LBB26_204
.LBB26_210:                             ;   in Loop: Header=BB26_15 Depth=1
	s_mov_b32 s11, -1
	s_mov_b32 s87, 0
                                        ; implicit-def: $sgpr85
                                        ; implicit-def: $vgpr3
	s_branch .LBB26_213
.LBB26_211:                             ;   in Loop: Header=BB26_15 Depth=1
	s_set_inst_prefetch_distance 0x2
	s_or_b32 exec_lo, exec_lo, s87
	v_lshrrev_b16 v3, 8, v27
	s_and_b32 s87, s89, exec_lo
.LBB26_212:                             ;   in Loop: Header=BB26_15 Depth=1
	s_or_b32 exec_lo, exec_lo, s86
	s_mov_b32 s85, -1
	s_mov_b32 s11, 0
.LBB26_213:                             ;   in Loop: Header=BB26_15 Depth=1
	s_delay_alu instid0(SALU_CYCLE_1)
	s_and_b32 vcc_lo, exec_lo, s11
	s_mov_b32 s86, s11
	s_cbranch_vccz .LBB26_224
; %bb.214:                              ;   in Loop: Header=BB26_15 Depth=1
	s_mov_b32 s87, 0
                                        ; implicit-def: $vgpr3
	s_and_saveexec_b32 s85, s9
	s_cbranch_execz .LBB26_223
; %bb.215:                              ;   in Loop: Header=BB26_15 Depth=1
	v_mov_b32_e32 v3, v14
	v_mov_b32_e32 v27, v0
	s_mov_b32 s86, 0
                                        ; implicit-def: $sgpr87
	s_set_inst_prefetch_distance 0x1
	s_branch .LBB26_217
	.p2align	6
.LBB26_216:                             ;   in Loop: Header=BB26_217 Depth=2
	s_or_b32 exec_lo, exec_lo, s11
	s_waitcnt vmcnt(0) lgkmcnt(0)
	s_barrier
	buffer_gl0_inv
	ds_load_u16 v28, v22 offset:3072
	v_add_nc_u32_e32 v27, s33, v27
	v_add_nc_u32_e32 v3, s35, v3
	s_waitcnt lgkmcnt(0)
	s_barrier
	buffer_gl0_inv
	v_cmp_le_u32_e32 vcc_lo, s64, v27
	v_and_b32_e32 v29, 0xff, v28
	s_delay_alu instid0(VALU_DEP_1) | instskip(NEXT) | instid1(VALU_DEP_1)
	v_cmp_ne_u16_e64 s11, 0, v29
	s_or_b32 s88, vcc_lo, s11
	s_delay_alu instid0(SALU_CYCLE_1) | instskip(NEXT) | instid1(SALU_CYCLE_1)
	s_and_b32 s88, exec_lo, s88
	s_or_b32 s86, s88, s86
	s_and_not1_b32 s87, s87, exec_lo
	s_and_b32 s11, s11, exec_lo
	s_delay_alu instid0(SALU_CYCLE_1)
	s_or_b32 s87, s87, s11
	s_and_not1_b32 exec_lo, exec_lo, s86
	s_cbranch_execz .LBB26_222
.LBB26_217:                             ;   Parent Loop BB26_15 Depth=1
                                        ; =>  This Inner Loop Header: Depth=2
	s_delay_alu instid0(VALU_DEP_1)
	v_cmp_gt_u32_e32 vcc_lo, s36, v27
	v_mov_b32_e32 v28, 0
	s_and_saveexec_b32 s11, vcc_lo
	s_cbranch_execz .LBB26_219
; %bb.218:                              ;   in Loop: Header=BB26_217 Depth=2
	global_load_u8 v28, v3, s[30:31]
.LBB26_219:                             ;   in Loop: Header=BB26_217 Depth=2
	s_or_b32 exec_lo, exec_lo, s11
	s_and_saveexec_b32 s11, vcc_lo
	s_cbranch_execz .LBB26_216
; %bb.220:                              ;   in Loop: Header=BB26_217 Depth=2
	s_waitcnt vmcnt(0)
	v_bfe_i32 v29, v28, 0, 8
	s_delay_alu instid0(VALU_DEP_1) | instskip(NEXT) | instid1(VALU_DEP_1)
	v_add_nc_u32_e32 v29, 0x80, v29
	v_and_b32_e32 v29, v29, v2
	s_delay_alu instid0(VALU_DEP_1)
	v_cmp_eq_u32_e32 vcc_lo, v29, v1
	s_and_b32 exec_lo, exec_lo, vcc_lo
	s_cbranch_execz .LBB26_216
; %bb.221:                              ;   in Loop: Header=BB26_217 Depth=2
	v_lshlrev_b16 v28, 8, v28
	s_delay_alu instid0(VALU_DEP_1)
	v_or_b32_e32 v28, 1, v28
	ds_store_b16 v22, v28 offset:3072
	s_branch .LBB26_216
.LBB26_222:                             ;   in Loop: Header=BB26_15 Depth=1
	s_set_inst_prefetch_distance 0x2
	s_or_b32 exec_lo, exec_lo, s86
	v_lshrrev_b16 v3, 8, v28
	s_and_b32 s87, s87, exec_lo
.LBB26_223:                             ;   in Loop: Header=BB26_15 Depth=1
	s_or_b32 exec_lo, exec_lo, s85
	s_mov_b32 s86, -1
	s_mov_b32 s11, 0
	s_mov_b32 s85, 0
.LBB26_224:                             ;   in Loop: Header=BB26_15 Depth=1
	s_or_not1_b32 s87, s87, exec_lo
.LBB26_225:                             ;   in Loop: Header=BB26_15 Depth=1
	s_or_b32 exec_lo, exec_lo, s84
	s_mov_b32 s88, 0
                                        ; implicit-def: $vgpr27
                                        ; implicit-def: $vgpr28
	s_and_saveexec_b32 s84, s87
	s_cbranch_execz .LBB26_237
; %bb.226:                              ;   in Loop: Header=BB26_15 Depth=1
	v_dual_mov_b32 v27, 1 :: v_dual_mov_b32 v28, 1
	s_xor_b32 s87, s83, -1
	s_delay_alu instid0(SALU_CYCLE_1)
	s_and_saveexec_b32 s83, s87
	s_cbranch_execz .LBB26_236
; %bb.227:                              ;   in Loop: Header=BB26_15 Depth=1
	s_mov_b32 s87, exec_lo
                                        ; implicit-def: $sgpr88
	v_cmpx_ge_u32_e64 s19, v4
	s_xor_b32 s87, exec_lo, s87
	s_cbranch_execz .LBB26_233
; %bb.228:                              ;   in Loop: Header=BB26_15 Depth=1
	ds_load_b32 v27, v22 offset:4096
	s_waitcnt lgkmcnt(0)
	v_cmp_ne_u32_e32 vcc_lo, 0, v27
	s_cbranch_vccnz .LBB26_232
; %bb.229:                              ;   in Loop: Header=BB26_15 Depth=1
	s_and_saveexec_b32 s88, s5
	s_cbranch_execz .LBB26_231
; %bb.230:                              ;   in Loop: Header=BB26_15 Depth=1
	v_mov_b32_e32 v27, s19
	ds_store_b32 v22, v27 offset:4100
.LBB26_231:                             ;   in Loop: Header=BB26_15 Depth=1
	s_or_b32 exec_lo, exec_lo, s88
	s_waitcnt lgkmcnt(0)
	s_barrier
	buffer_gl0_inv
.LBB26_232:                             ;   in Loop: Header=BB26_15 Depth=1
	v_or_b32_e32 v1, s13, v1
	v_or_b32_e32 v2, s13, v2
	s_mov_b32 s88, 8
.LBB26_233:                             ;   in Loop: Header=BB26_15 Depth=1
	s_or_saveexec_b32 s87, s87
	v_mov_b32_e32 v27, s88
	s_xor_b32 exec_lo, exec_lo, s87
; %bb.234:                              ;   in Loop: Header=BB26_15 Depth=1
	v_subrev_nc_u32_e32 v4, s19, v4
	v_mov_b32_e32 v27, 8
; %bb.235:                              ;   in Loop: Header=BB26_15 Depth=1
	s_or_b32 exec_lo, exec_lo, s87
	s_delay_alu instid0(VALU_DEP_2)
	v_mov_b32_e32 v28, v4
.LBB26_236:                             ;   in Loop: Header=BB26_15 Depth=1
	s_or_b32 exec_lo, exec_lo, s83
	s_delay_alu instid0(SALU_CYCLE_1)
	s_mov_b32 s88, exec_lo
.LBB26_237:                             ;   in Loop: Header=BB26_15 Depth=1
	s_or_b32 exec_lo, exec_lo, s84
	s_delay_alu instid0(VALU_DEP_1)
	v_mov_b32_e32 v4, v28
	s_or_not1_b32 s83, s88, exec_lo
.LBB26_238:                             ;   in Loop: Header=BB26_15 Depth=1
	s_or_b32 exec_lo, exec_lo, s82
	s_delay_alu instid0(SALU_CYCLE_1)
	s_and_not1_b32 s78, s78, exec_lo
	s_and_b32 s11, s11, exec_lo
	v_mov_b32_e32 v28, v4
	s_or_b32 s78, s78, s11
	s_and_not1_b32 s11, s80, exec_lo
	s_and_b32 s80, s86, exec_lo
	s_and_not1_b32 s79, s79, exec_lo
	s_and_b32 s82, s85, exec_lo
	s_or_b32 s80, s11, s80
	s_or_b32 s79, s79, s82
	s_and_b32 s83, s83, exec_lo
.LBB26_239:                             ;   in Loop: Header=BB26_15 Depth=1
	s_or_b32 exec_lo, exec_lo, s81
	s_delay_alu instid0(SALU_CYCLE_1)
	s_and_b32 s81, s78, exec_lo
	s_and_b32 s80, s80, exec_lo
	;; [unrolled: 1-line block ×3, first 2 shown]
	s_or_not1_b32 s11, s83, exec_lo
.LBB26_240:                             ;   in Loop: Header=BB26_15 Depth=1
	s_or_b32 exec_lo, exec_lo, s29
	s_delay_alu instid0(SALU_CYCLE_1)
	s_and_not1_b32 s25, s25, exec_lo
	s_and_b32 s29, s81, exec_lo
	v_mov_b32_e32 v4, v28
	s_or_b32 s25, s25, s29
	s_and_not1_b32 s27, s27, exec_lo
	s_and_b32 s29, s80, exec_lo
	s_and_not1_b32 s26, s26, exec_lo
	s_and_b32 s78, s78, exec_lo
	s_or_b32 s27, s27, s29
	s_or_b32 s26, s26, s78
	s_and_b32 s78, s11, exec_lo
.LBB26_241:                             ;   in Loop: Header=BB26_15 Depth=1
	s_or_b32 exec_lo, exec_lo, s28
	s_delay_alu instid0(SALU_CYCLE_1)
	s_and_b32 s28, s25, exec_lo
	s_and_b32 s27, s27, exec_lo
	;; [unrolled: 1-line block ×3, first 2 shown]
	s_or_not1_b32 s11, s78, exec_lo
.LBB26_242:                             ;   in Loop: Header=BB26_15 Depth=1
	s_or_b32 exec_lo, exec_lo, s20
	s_mov_b32 s20, 0
	s_mov_b32 s26, 0
	s_and_saveexec_b32 s29, s11
	s_delay_alu instid0(SALU_CYCLE_1)
	s_xor_b32 s29, exec_lo, s29
; %bb.243:                              ;   in Loop: Header=BB26_15 Depth=1
	v_cmp_ne_u32_e32 vcc_lo, 8, v27
	v_cmp_eq_u32_e64 s11, 8, v27
	s_and_not1_b32 s28, s28, exec_lo
	s_and_not1_b32 s27, s27, exec_lo
	s_and_not1_b32 s25, s25, exec_lo
	s_and_b32 s26, vcc_lo, exec_lo
	s_and_b32 s20, s11, exec_lo
; %bb.244:                              ;   in Loop: Header=BB26_15 Depth=1
	s_or_b32 exec_lo, exec_lo, s29
	s_delay_alu instid0(SALU_CYCLE_1)
	s_and_not1_b32 s11, s15, exec_lo
	s_and_b32 s15, s28, exec_lo
	s_and_not1_b32 s21, s21, exec_lo
	s_or_b32 s15, s11, s15
	s_and_not1_b32 s11, s22, exec_lo
	s_and_b32 s22, s27, exec_lo
	s_and_b32 s25, s25, exec_lo
	s_or_b32 s22, s11, s22
	s_or_b32 s21, s21, s25
	s_and_b32 s11, s26, exec_lo
	s_and_b32 s20, s20, exec_lo
.LBB26_245:                             ;   in Loop: Header=BB26_15 Depth=1
	s_or_b32 exec_lo, exec_lo, s24
	s_delay_alu instid0(SALU_CYCLE_1)
	s_and_b32 vcc_lo, exec_lo, s23
	s_cbranch_vccz .LBB26_92
.LBB26_246:                             ;   in Loop: Header=BB26_15 Depth=1
	s_cmp_eq_u32 s19, 1
                                        ; implicit-def: $sgpr23
                                        ; implicit-def: $sgpr24
	s_cselect_b32 s15, -1, 0
	s_delay_alu instid0(SALU_CYCLE_1)
	s_and_b32 s22, s15, s10
	s_mov_b32 s10, -1
                                        ; implicit-def: $sgpr15
	s_and_saveexec_b32 s21, s22
	s_cbranch_execz .LBB26_272
; %bb.247:                              ;   in Loop: Header=BB26_15 Depth=1
	ds_load_b32 v1, v22 offset:4096
	s_waitcnt lgkmcnt(0)
	s_barrier
	buffer_gl0_inv
	v_readfirstlane_b32 s15, v1
	s_and_saveexec_b32 s10, s6
	s_cbranch_execz .LBB26_249
; %bb.248:                              ;   in Loop: Header=BB26_15 Depth=1
	ds_store_b8 v0, v15 offset:3072
.LBB26_249:                             ;   in Loop: Header=BB26_15 Depth=1
	s_or_b32 exec_lo, exec_lo, s10
	v_or_b32_e32 v24, s13, v24
	v_or_b32_e32 v23, s13, v23
	s_cmp_eq_u32 s15, 0
	s_waitcnt lgkmcnt(0)
	s_barrier
	buffer_gl0_inv
	s_cbranch_scc1 .LBB26_258
; %bb.250:                              ;   in Loop: Header=BB26_15 Depth=1
	s_add_i32 s10, s15, s56
                                        ; implicit-def: $vgpr25
	s_delay_alu instid0(SALU_CYCLE_1) | instskip(NEXT) | instid1(SALU_CYCLE_1)
	s_mul_hi_u32 s23, s10, s62
	s_mul_i32 s23, s23, s33
	s_delay_alu instid0(SALU_CYCLE_1) | instskip(NEXT) | instid1(SALU_CYCLE_1)
	s_sub_i32 s23, s10, s23
	s_sub_i32 s24, s23, s33
	s_cmp_ge_u32 s23, s33
	s_cselect_b32 s23, s24, s23
	s_delay_alu instid0(SALU_CYCLE_1) | instskip(SKIP_2) | instid1(SALU_CYCLE_1)
	s_sub_i32 s24, s23, s33
	s_cmp_ge_u32 s23, s33
	s_cselect_b32 s23, s24, s23
	s_sub_i32 s24, s10, s23
	s_mov_b32 s10, 0
	s_mov_b32 s23, exec_lo
	v_cmpx_gt_u32_e64 s24, v0
	s_cbranch_execz .LBB26_260
; %bb.251:                              ;   in Loop: Header=BB26_15 Depth=1
	v_mov_b32_e32 v1, v0
	s_mov_b32 s25, 0
                                        ; implicit-def: $sgpr26
	s_set_inst_prefetch_distance 0x1
	s_branch .LBB26_253
	.p2align	6
.LBB26_252:                             ;   in Loop: Header=BB26_253 Depth=2
	s_or_b32 exec_lo, exec_lo, s10
	s_waitcnt lgkmcnt(0)
	s_barrier
	buffer_gl0_inv
	ds_load_u16 v2, v22 offset:3072
	v_add_nc_u32_e32 v1, s33, v1
	s_waitcnt lgkmcnt(0)
	s_barrier
	buffer_gl0_inv
	v_cmp_le_u32_e32 vcc_lo, s24, v1
	v_and_b32_e32 v3, 0xff, v2
	s_delay_alu instid0(VALU_DEP_1) | instskip(NEXT) | instid1(VALU_DEP_1)
	v_cmp_ne_u16_e64 s10, 0, v3
	s_or_b32 s27, vcc_lo, s10
	s_delay_alu instid0(SALU_CYCLE_1) | instskip(NEXT) | instid1(SALU_CYCLE_1)
	s_and_b32 s27, exec_lo, s27
	s_or_b32 s25, s27, s25
	s_and_not1_b32 s26, s26, exec_lo
	s_and_b32 s10, s10, exec_lo
	s_delay_alu instid0(SALU_CYCLE_1)
	s_or_b32 s26, s26, s10
	s_and_not1_b32 exec_lo, exec_lo, s25
	s_cbranch_execz .LBB26_259
.LBB26_253:                             ;   Parent Loop BB26_15 Depth=1
                                        ; =>  This Inner Loop Header: Depth=2
	s_delay_alu instid0(VALU_DEP_1)
	v_cmp_gt_u32_e32 vcc_lo, s15, v1
	v_mov_b32_e32 v2, 0
	s_and_saveexec_b32 s10, vcc_lo
	s_cbranch_execz .LBB26_255
; %bb.254:                              ;   in Loop: Header=BB26_253 Depth=2
	ds_load_u8 v2, v1
.LBB26_255:                             ;   in Loop: Header=BB26_253 Depth=2
	s_or_b32 exec_lo, exec_lo, s10
	s_and_saveexec_b32 s10, vcc_lo
	s_cbranch_execz .LBB26_252
; %bb.256:                              ;   in Loop: Header=BB26_253 Depth=2
	s_waitcnt lgkmcnt(0)
	v_bfe_i32 v3, v2, 0, 8
	s_delay_alu instid0(VALU_DEP_1) | instskip(NEXT) | instid1(VALU_DEP_1)
	v_add_nc_u32_e32 v3, 0x80, v3
	v_and_b32_e32 v3, v3, v23
	s_delay_alu instid0(VALU_DEP_1)
	v_cmp_eq_u32_e32 vcc_lo, v3, v24
	s_and_b32 exec_lo, exec_lo, vcc_lo
	s_cbranch_execz .LBB26_252
; %bb.257:                              ;   in Loop: Header=BB26_253 Depth=2
	v_lshlrev_b16 v2, 8, v2
	s_delay_alu instid0(VALU_DEP_1)
	v_or_b32_e32 v2, 1, v2
	ds_store_b16 v22, v2 offset:3072
	s_branch .LBB26_252
.LBB26_258:                             ;   in Loop: Header=BB26_15 Depth=1
	s_mov_b32 s23, -1
	s_mov_b32 s10, 0
                                        ; implicit-def: $sgpr24
                                        ; implicit-def: $vgpr25
	s_mov_b32 s15, s23
	s_cbranch_execnz .LBB26_261
	s_branch .LBB26_271
.LBB26_259:                             ;   in Loop: Header=BB26_15 Depth=1
	s_set_inst_prefetch_distance 0x2
	s_or_b32 exec_lo, exec_lo, s25
	v_lshrrev_b16 v25, 8, v2
	s_and_b32 s10, s26, exec_lo
.LBB26_260:                             ;   in Loop: Header=BB26_15 Depth=1
	s_or_b32 exec_lo, exec_lo, s23
	s_mov_b32 s23, 0
	s_mov_b32 s24, -1
	s_mov_b32 s15, s23
	s_branch .LBB26_271
.LBB26_261:                             ;   in Loop: Header=BB26_15 Depth=1
	s_mov_b32 s10, 0
                                        ; implicit-def: $vgpr25
	s_and_saveexec_b32 s15, s9
	s_cbranch_execz .LBB26_270
; %bb.262:                              ;   in Loop: Header=BB26_15 Depth=1
	v_dual_mov_b32 v1, v14 :: v_dual_mov_b32 v2, v0
	s_mov_b32 s23, 0
                                        ; implicit-def: $sgpr24
	s_set_inst_prefetch_distance 0x1
	s_branch .LBB26_264
	.p2align	6
.LBB26_263:                             ;   in Loop: Header=BB26_264 Depth=2
	s_or_b32 exec_lo, exec_lo, s10
	s_waitcnt vmcnt(0) lgkmcnt(0)
	s_barrier
	buffer_gl0_inv
	ds_load_u16 v3, v22 offset:3072
	v_add_nc_u32_e32 v2, s33, v2
	v_add_nc_u32_e32 v1, s35, v1
	s_waitcnt lgkmcnt(0)
	s_barrier
	buffer_gl0_inv
	v_cmp_le_u32_e32 vcc_lo, s64, v2
	v_and_b32_e32 v4, 0xff, v3
	s_delay_alu instid0(VALU_DEP_1) | instskip(NEXT) | instid1(VALU_DEP_1)
	v_cmp_ne_u16_e64 s10, 0, v4
	s_or_b32 s25, vcc_lo, s10
	s_delay_alu instid0(SALU_CYCLE_1) | instskip(NEXT) | instid1(SALU_CYCLE_1)
	s_and_b32 s25, exec_lo, s25
	s_or_b32 s23, s25, s23
	s_and_not1_b32 s24, s24, exec_lo
	s_and_b32 s10, s10, exec_lo
	s_delay_alu instid0(SALU_CYCLE_1)
	s_or_b32 s24, s24, s10
	s_and_not1_b32 exec_lo, exec_lo, s23
	s_cbranch_execz .LBB26_269
.LBB26_264:                             ;   Parent Loop BB26_15 Depth=1
                                        ; =>  This Inner Loop Header: Depth=2
	s_delay_alu instid0(VALU_DEP_1)
	v_cmp_gt_u32_e32 vcc_lo, s36, v2
	v_mov_b32_e32 v3, 0
	s_and_saveexec_b32 s10, vcc_lo
	s_cbranch_execz .LBB26_266
; %bb.265:                              ;   in Loop: Header=BB26_264 Depth=2
	global_load_u8 v3, v1, s[30:31]
.LBB26_266:                             ;   in Loop: Header=BB26_264 Depth=2
	s_or_b32 exec_lo, exec_lo, s10
	s_and_saveexec_b32 s10, vcc_lo
	s_cbranch_execz .LBB26_263
; %bb.267:                              ;   in Loop: Header=BB26_264 Depth=2
	s_waitcnt vmcnt(0)
	v_bfe_i32 v4, v3, 0, 8
	s_delay_alu instid0(VALU_DEP_1) | instskip(NEXT) | instid1(VALU_DEP_1)
	v_add_nc_u32_e32 v4, 0x80, v4
	v_and_b32_e32 v4, v4, v23
	s_delay_alu instid0(VALU_DEP_1)
	v_cmp_eq_u32_e32 vcc_lo, v4, v24
	s_and_b32 exec_lo, exec_lo, vcc_lo
	s_cbranch_execz .LBB26_263
; %bb.268:                              ;   in Loop: Header=BB26_264 Depth=2
	v_lshlrev_b16 v3, 8, v3
	s_delay_alu instid0(VALU_DEP_1)
	v_or_b32_e32 v3, 1, v3
	ds_store_b16 v22, v3 offset:3072
	s_branch .LBB26_263
.LBB26_269:                             ;   in Loop: Header=BB26_15 Depth=1
	s_set_inst_prefetch_distance 0x2
	s_or_b32 exec_lo, exec_lo, s23
	v_lshrrev_b16 v25, 8, v3
	s_and_b32 s10, s24, exec_lo
.LBB26_270:                             ;   in Loop: Header=BB26_15 Depth=1
	s_or_b32 exec_lo, exec_lo, s15
	s_mov_b32 s24, 0
	s_mov_b32 s23, -1
	s_mov_b32 s15, 0
.LBB26_271:                             ;   in Loop: Header=BB26_15 Depth=1
	s_or_not1_b32 s10, s10, exec_lo
.LBB26_272:                             ;   in Loop: Header=BB26_15 Depth=1
	s_or_b32 exec_lo, exec_lo, s21
                                        ; implicit-def: $vgpr27
                                        ; implicit-def: $vgpr4
                                        ; implicit-def: $vgpr1
                                        ; implicit-def: $vgpr2
                                        ; implicit-def: $vgpr3
	s_and_saveexec_b32 s21, s10
	s_cbranch_execz .LBB26_407
; %bb.273:                              ;   in Loop: Header=BB26_15 Depth=1
	v_dual_mov_b32 v4, 1 :: v_dual_mov_b32 v27, 1
	s_xor_b32 s22, s22, -1
	s_mov_b32 s28, 0
	s_and_saveexec_b32 s10, s22
	s_cbranch_execz .LBB26_283
; %bb.274:                              ;   in Loop: Header=BB26_15 Depth=1
	s_mov_b32 s25, exec_lo
                                        ; implicit-def: $sgpr26
                                        ; implicit-def: $sgpr22
	v_cmpx_ge_u32_e64 s19, v26
	s_xor_b32 s25, exec_lo, s25
	s_cbranch_execz .LBB26_280
; %bb.275:                              ;   in Loop: Header=BB26_15 Depth=1
	ds_load_b32 v1, v22 offset:4096
	s_waitcnt lgkmcnt(0)
	v_cmp_ne_u32_e32 vcc_lo, 0, v1
	s_cbranch_vccnz .LBB26_279
; %bb.276:                              ;   in Loop: Header=BB26_15 Depth=1
	s_and_saveexec_b32 s22, s5
	s_cbranch_execz .LBB26_278
; %bb.277:                              ;   in Loop: Header=BB26_15 Depth=1
	v_mov_b32_e32 v1, s19
	ds_store_b32 v22, v1 offset:4100
.LBB26_278:                             ;   in Loop: Header=BB26_15 Depth=1
	s_or_b32 exec_lo, exec_lo, s22
	s_waitcnt lgkmcnt(0)
	s_barrier
	buffer_gl0_inv
.LBB26_279:                             ;   in Loop: Header=BB26_15 Depth=1
	v_or_b32_e32 v24, s13, v24
	v_or_b32_e32 v23, s13, v23
	s_mov_b32 s22, 0
	s_mov_b32 s26, 5
.LBB26_280:                             ;   in Loop: Header=BB26_15 Depth=1
	s_or_saveexec_b32 s25, s25
	v_mov_b32_e32 v27, s26
	s_xor_b32 exec_lo, exec_lo, s25
; %bb.281:                              ;   in Loop: Header=BB26_15 Depth=1
	v_subrev_nc_u32_e32 v26, s19, v26
	v_mov_b32_e32 v27, 0
	s_or_b32 s22, s22, exec_lo
; %bb.282:                              ;   in Loop: Header=BB26_15 Depth=1
	s_or_b32 exec_lo, exec_lo, s25
	s_delay_alu instid0(VALU_DEP_2)
	v_mov_b32_e32 v4, v26
	s_and_b32 s28, s22, exec_lo
.LBB26_283:                             ;   in Loop: Header=BB26_15 Depth=1
	s_or_b32 exec_lo, exec_lo, s10
	s_mov_b32 s26, -1
                                        ; implicit-def: $sgpr22
                                        ; implicit-def: $sgpr25
                                        ; implicit-def: $sgpr27
	s_and_saveexec_b32 s10, s28
	s_delay_alu instid0(SALU_CYCLE_1)
	s_xor_b32 s19, exec_lo, s10
	s_cbranch_execz .LBB26_404
; %bb.284:                              ;   in Loop: Header=BB26_15 Depth=1
	v_cmp_eq_u32_e32 vcc_lo, 1, v4
	s_cmp_eq_u32 s18, 1
                                        ; implicit-def: $sgpr22
                                        ; implicit-def: $sgpr25
                                        ; implicit-def: $sgpr26
	s_cselect_b32 s10, -1, 0
	s_delay_alu instid0(SALU_CYCLE_1)
	s_and_b32 s28, s10, vcc_lo
	s_mov_b32 s10, -1
	s_and_saveexec_b32 s27, s28
	s_cbranch_execz .LBB26_310
; %bb.285:                              ;   in Loop: Header=BB26_15 Depth=1
	ds_load_b32 v1, v22 offset:4096
	s_waitcnt lgkmcnt(0)
	s_barrier
	buffer_gl0_inv
	v_readfirstlane_b32 s22, v1
	s_and_saveexec_b32 s10, s6
	s_cbranch_execz .LBB26_287
; %bb.286:                              ;   in Loop: Header=BB26_15 Depth=1
	ds_store_b8 v0, v15 offset:3072
.LBB26_287:                             ;   in Loop: Header=BB26_15 Depth=1
	s_or_b32 exec_lo, exec_lo, s10
	s_lshl_b32 s10, 2, s17
	v_or_b32_e32 v23, s13, v23
	v_and_or_b32 v24, v24, s14, s10
	s_cmp_eq_u32 s22, 0
	s_waitcnt lgkmcnt(0)
	s_barrier
	buffer_gl0_inv
	s_cbranch_scc1 .LBB26_296
; %bb.288:                              ;   in Loop: Header=BB26_15 Depth=1
	s_add_i32 s10, s22, s56
                                        ; implicit-def: $vgpr25
	s_delay_alu instid0(SALU_CYCLE_1) | instskip(NEXT) | instid1(SALU_CYCLE_1)
	s_mul_hi_u32 s25, s10, s62
	s_mul_i32 s25, s25, s33
	s_delay_alu instid0(SALU_CYCLE_1) | instskip(NEXT) | instid1(SALU_CYCLE_1)
	s_sub_i32 s25, s10, s25
	s_sub_i32 s26, s25, s33
	s_cmp_ge_u32 s25, s33
	s_cselect_b32 s25, s26, s25
	s_delay_alu instid0(SALU_CYCLE_1) | instskip(SKIP_2) | instid1(SALU_CYCLE_1)
	s_sub_i32 s26, s25, s33
	s_cmp_ge_u32 s25, s33
	s_cselect_b32 s25, s26, s25
	s_sub_i32 s26, s10, s25
	s_mov_b32 s10, 0
	s_mov_b32 s25, exec_lo
	v_cmpx_gt_u32_e64 s26, v0
	s_cbranch_execz .LBB26_298
; %bb.289:                              ;   in Loop: Header=BB26_15 Depth=1
	v_mov_b32_e32 v1, v0
	s_mov_b32 s29, 0
                                        ; implicit-def: $sgpr78
	s_set_inst_prefetch_distance 0x1
	s_branch .LBB26_291
	.p2align	6
.LBB26_290:                             ;   in Loop: Header=BB26_291 Depth=2
	s_or_b32 exec_lo, exec_lo, s10
	s_waitcnt lgkmcnt(0)
	s_barrier
	buffer_gl0_inv
	ds_load_u16 v2, v22 offset:3072
	v_add_nc_u32_e32 v1, s33, v1
	s_waitcnt lgkmcnt(0)
	s_barrier
	buffer_gl0_inv
	v_cmp_le_u32_e32 vcc_lo, s26, v1
	v_and_b32_e32 v3, 0xff, v2
	s_delay_alu instid0(VALU_DEP_1) | instskip(NEXT) | instid1(VALU_DEP_1)
	v_cmp_ne_u16_e64 s10, 0, v3
	s_or_b32 s79, vcc_lo, s10
	s_delay_alu instid0(SALU_CYCLE_1) | instskip(NEXT) | instid1(SALU_CYCLE_1)
	s_and_b32 s79, exec_lo, s79
	s_or_b32 s29, s79, s29
	s_and_not1_b32 s78, s78, exec_lo
	s_and_b32 s10, s10, exec_lo
	s_delay_alu instid0(SALU_CYCLE_1)
	s_or_b32 s78, s78, s10
	s_and_not1_b32 exec_lo, exec_lo, s29
	s_cbranch_execz .LBB26_297
.LBB26_291:                             ;   Parent Loop BB26_15 Depth=1
                                        ; =>  This Inner Loop Header: Depth=2
	s_delay_alu instid0(VALU_DEP_1)
	v_cmp_gt_u32_e32 vcc_lo, s22, v1
	v_mov_b32_e32 v2, 0
	s_and_saveexec_b32 s10, vcc_lo
	s_cbranch_execz .LBB26_293
; %bb.292:                              ;   in Loop: Header=BB26_291 Depth=2
	ds_load_u8 v2, v1
.LBB26_293:                             ;   in Loop: Header=BB26_291 Depth=2
	s_or_b32 exec_lo, exec_lo, s10
	s_and_saveexec_b32 s10, vcc_lo
	s_cbranch_execz .LBB26_290
; %bb.294:                              ;   in Loop: Header=BB26_291 Depth=2
	s_waitcnt lgkmcnt(0)
	v_bfe_i32 v3, v2, 0, 8
	s_delay_alu instid0(VALU_DEP_1) | instskip(NEXT) | instid1(VALU_DEP_1)
	v_add_nc_u32_e32 v3, 0x80, v3
	v_and_b32_e32 v3, v3, v23
	s_delay_alu instid0(VALU_DEP_1)
	v_cmp_eq_u32_e32 vcc_lo, v3, v24
	s_and_b32 exec_lo, exec_lo, vcc_lo
	s_cbranch_execz .LBB26_290
; %bb.295:                              ;   in Loop: Header=BB26_291 Depth=2
	v_lshlrev_b16 v2, 8, v2
	s_delay_alu instid0(VALU_DEP_1)
	v_or_b32_e32 v2, 1, v2
	ds_store_b16 v22, v2 offset:3072
	s_branch .LBB26_290
.LBB26_296:                             ;   in Loop: Header=BB26_15 Depth=1
	s_mov_b32 s22, -1
	s_mov_b32 s10, 0
                                        ; implicit-def: $sgpr25
                                        ; implicit-def: $vgpr25
	s_mov_b32 s26, s22
	s_cbranch_execnz .LBB26_299
	s_branch .LBB26_309
.LBB26_297:                             ;   in Loop: Header=BB26_15 Depth=1
	s_set_inst_prefetch_distance 0x2
	s_or_b32 exec_lo, exec_lo, s29
	v_lshrrev_b16 v25, 8, v2
	s_and_b32 s10, s78, exec_lo
.LBB26_298:                             ;   in Loop: Header=BB26_15 Depth=1
	s_or_b32 exec_lo, exec_lo, s25
	s_mov_b32 s22, 0
	s_mov_b32 s25, -1
	s_mov_b32 s26, s22
	s_branch .LBB26_309
.LBB26_299:                             ;   in Loop: Header=BB26_15 Depth=1
	s_mov_b32 s10, 0
                                        ; implicit-def: $vgpr25
	s_and_saveexec_b32 s22, s9
	s_cbranch_execz .LBB26_308
; %bb.300:                              ;   in Loop: Header=BB26_15 Depth=1
	v_dual_mov_b32 v1, v14 :: v_dual_mov_b32 v2, v0
	s_mov_b32 s25, 0
                                        ; implicit-def: $sgpr26
	s_set_inst_prefetch_distance 0x1
	s_branch .LBB26_302
	.p2align	6
.LBB26_301:                             ;   in Loop: Header=BB26_302 Depth=2
	s_or_b32 exec_lo, exec_lo, s10
	s_waitcnt vmcnt(0) lgkmcnt(0)
	s_barrier
	buffer_gl0_inv
	ds_load_u16 v3, v22 offset:3072
	v_add_nc_u32_e32 v2, s33, v2
	v_add_nc_u32_e32 v1, s35, v1
	s_waitcnt lgkmcnt(0)
	s_barrier
	buffer_gl0_inv
	v_cmp_le_u32_e32 vcc_lo, s64, v2
	v_and_b32_e32 v25, 0xff, v3
	s_delay_alu instid0(VALU_DEP_1) | instskip(NEXT) | instid1(VALU_DEP_1)
	v_cmp_ne_u16_e64 s10, 0, v25
	s_or_b32 s29, vcc_lo, s10
	s_delay_alu instid0(SALU_CYCLE_1) | instskip(NEXT) | instid1(SALU_CYCLE_1)
	s_and_b32 s29, exec_lo, s29
	s_or_b32 s25, s29, s25
	s_and_not1_b32 s26, s26, exec_lo
	s_and_b32 s10, s10, exec_lo
	s_delay_alu instid0(SALU_CYCLE_1)
	s_or_b32 s26, s26, s10
	s_and_not1_b32 exec_lo, exec_lo, s25
	s_cbranch_execz .LBB26_307
.LBB26_302:                             ;   Parent Loop BB26_15 Depth=1
                                        ; =>  This Inner Loop Header: Depth=2
	s_delay_alu instid0(VALU_DEP_1)
	v_cmp_gt_u32_e32 vcc_lo, s36, v2
	v_mov_b32_e32 v3, 0
	s_and_saveexec_b32 s10, vcc_lo
	s_cbranch_execz .LBB26_304
; %bb.303:                              ;   in Loop: Header=BB26_302 Depth=2
	global_load_u8 v3, v1, s[30:31]
.LBB26_304:                             ;   in Loop: Header=BB26_302 Depth=2
	s_or_b32 exec_lo, exec_lo, s10
	s_and_saveexec_b32 s10, vcc_lo
	s_cbranch_execz .LBB26_301
; %bb.305:                              ;   in Loop: Header=BB26_302 Depth=2
	s_waitcnt vmcnt(0)
	v_bfe_i32 v25, v3, 0, 8
	s_delay_alu instid0(VALU_DEP_1) | instskip(NEXT) | instid1(VALU_DEP_1)
	v_add_nc_u32_e32 v25, 0x80, v25
	v_and_b32_e32 v25, v25, v23
	s_delay_alu instid0(VALU_DEP_1)
	v_cmp_eq_u32_e32 vcc_lo, v25, v24
	s_and_b32 exec_lo, exec_lo, vcc_lo
	s_cbranch_execz .LBB26_301
; %bb.306:                              ;   in Loop: Header=BB26_302 Depth=2
	v_lshlrev_b16 v3, 8, v3
	s_delay_alu instid0(VALU_DEP_1)
	v_or_b32_e32 v3, 1, v3
	ds_store_b16 v22, v3 offset:3072
	s_branch .LBB26_301
.LBB26_307:                             ;   in Loop: Header=BB26_15 Depth=1
	s_set_inst_prefetch_distance 0x2
	s_or_b32 exec_lo, exec_lo, s25
	v_lshrrev_b16 v25, 8, v3
	s_and_b32 s10, s26, exec_lo
.LBB26_308:                             ;   in Loop: Header=BB26_15 Depth=1
	s_or_b32 exec_lo, exec_lo, s22
	s_mov_b32 s25, 0
	s_mov_b32 s22, -1
	s_mov_b32 s26, 0
.LBB26_309:                             ;   in Loop: Header=BB26_15 Depth=1
	s_or_not1_b32 s10, s10, exec_lo
.LBB26_310:                             ;   in Loop: Header=BB26_15 Depth=1
	s_or_b32 exec_lo, exec_lo, s27
	s_mov_b32 s29, 0
                                        ; implicit-def: $vgpr27
	s_and_saveexec_b32 s27, s10
	s_cbranch_execz .LBB26_403
; %bb.311:                              ;   in Loop: Header=BB26_15 Depth=1
	v_mov_b32_e32 v1, 1
	v_mov_b32_e32 v27, 1
	s_xor_b32 s28, s28, -1
	s_mov_b32 s78, 0
	s_and_saveexec_b32 s10, s28
	s_cbranch_execz .LBB26_321
; %bb.312:                              ;   in Loop: Header=BB26_15 Depth=1
	s_mov_b32 s29, exec_lo
                                        ; implicit-def: $sgpr78
                                        ; implicit-def: $sgpr28
	v_cmpx_ge_u32_e64 s18, v4
	s_xor_b32 s29, exec_lo, s29
	s_cbranch_execz .LBB26_318
; %bb.313:                              ;   in Loop: Header=BB26_15 Depth=1
	ds_load_b32 v1, v22 offset:4096
	s_waitcnt lgkmcnt(0)
	v_cmp_ne_u32_e32 vcc_lo, 0, v1
	s_cbranch_vccnz .LBB26_317
; %bb.314:                              ;   in Loop: Header=BB26_15 Depth=1
	s_and_saveexec_b32 s28, s5
	s_cbranch_execz .LBB26_316
; %bb.315:                              ;   in Loop: Header=BB26_15 Depth=1
	v_mov_b32_e32 v1, s18
	ds_store_b32 v22, v1 offset:4100
.LBB26_316:                             ;   in Loop: Header=BB26_15 Depth=1
	s_or_b32 exec_lo, exec_lo, s28
	s_waitcnt lgkmcnt(0)
	s_barrier
	buffer_gl0_inv
.LBB26_317:                             ;   in Loop: Header=BB26_15 Depth=1
	s_lshl_b32 s28, 2, s17
	v_or_b32_e32 v23, s13, v23
	v_and_or_b32 v24, v24, s14, s28
	s_mov_b32 s28, 0
	s_mov_b32 s78, 5
.LBB26_318:                             ;   in Loop: Header=BB26_15 Depth=1
	s_or_saveexec_b32 s29, s29
	v_mov_b32_e32 v27, s78
	s_xor_b32 exec_lo, exec_lo, s29
; %bb.319:                              ;   in Loop: Header=BB26_15 Depth=1
	v_subrev_nc_u32_e32 v4, s18, v4
	v_mov_b32_e32 v27, 0
	s_or_b32 s28, s28, exec_lo
; %bb.320:                              ;   in Loop: Header=BB26_15 Depth=1
	s_or_b32 exec_lo, exec_lo, s29
	s_delay_alu instid0(VALU_DEP_2)
	v_mov_b32_e32 v1, v4
	s_and_b32 s78, s28, exec_lo
.LBB26_321:                             ;   in Loop: Header=BB26_15 Depth=1
	s_or_b32 exec_lo, exec_lo, s10
	s_mov_b32 s10, -1
                                        ; implicit-def: $sgpr28
                                        ; implicit-def: $sgpr29
                                        ; implicit-def: $sgpr79
	s_and_saveexec_b32 s18, s78
	s_cbranch_execz .LBB26_402
; %bb.322:                              ;   in Loop: Header=BB26_15 Depth=1
	v_cmp_eq_u32_e32 vcc_lo, 1, v1
	s_cmp_eq_u32 s16, 1
                                        ; implicit-def: $sgpr28
                                        ; implicit-def: $sgpr29
                                        ; implicit-def: $sgpr78
	s_cselect_b32 s10, -1, 0
	s_delay_alu instid0(SALU_CYCLE_1)
	s_and_b32 s80, s10, vcc_lo
	s_mov_b32 s10, -1
	s_and_saveexec_b32 s79, s80
	s_cbranch_execz .LBB26_348
; %bb.323:                              ;   in Loop: Header=BB26_15 Depth=1
	ds_load_b32 v2, v22 offset:4096
	s_waitcnt lgkmcnt(0)
	s_barrier
	buffer_gl0_inv
	v_readfirstlane_b32 s28, v2
	s_and_saveexec_b32 s10, s6
	s_cbranch_execz .LBB26_325
; %bb.324:                              ;   in Loop: Header=BB26_15 Depth=1
	ds_store_b8 v0, v15 offset:3072
.LBB26_325:                             ;   in Loop: Header=BB26_15 Depth=1
	s_or_b32 exec_lo, exec_lo, s10
	s_lshl_b32 s10, 1, s17
	v_or_b32_e32 v23, s13, v23
	v_and_or_b32 v24, v24, s14, s10
	s_cmp_eq_u32 s28, 0
	s_waitcnt lgkmcnt(0)
	s_barrier
	buffer_gl0_inv
	s_cbranch_scc1 .LBB26_334
; %bb.326:                              ;   in Loop: Header=BB26_15 Depth=1
	s_add_i32 s10, s28, s56
                                        ; implicit-def: $vgpr25
	s_delay_alu instid0(SALU_CYCLE_1) | instskip(NEXT) | instid1(SALU_CYCLE_1)
	s_mul_hi_u32 s29, s10, s62
	s_mul_i32 s29, s29, s33
	s_delay_alu instid0(SALU_CYCLE_1) | instskip(NEXT) | instid1(SALU_CYCLE_1)
	s_sub_i32 s29, s10, s29
	s_sub_i32 s78, s29, s33
	s_cmp_ge_u32 s29, s33
	s_cselect_b32 s29, s78, s29
	s_delay_alu instid0(SALU_CYCLE_1) | instskip(SKIP_2) | instid1(SALU_CYCLE_1)
	s_sub_i32 s78, s29, s33
	s_cmp_ge_u32 s29, s33
	s_cselect_b32 s29, s78, s29
	s_sub_i32 s78, s10, s29
	s_mov_b32 s10, 0
	s_mov_b32 s29, exec_lo
	v_cmpx_gt_u32_e64 s78, v0
	s_cbranch_execz .LBB26_336
; %bb.327:                              ;   in Loop: Header=BB26_15 Depth=1
	v_mov_b32_e32 v2, v0
	s_mov_b32 s81, 0
                                        ; implicit-def: $sgpr82
	s_set_inst_prefetch_distance 0x1
	s_branch .LBB26_329
	.p2align	6
.LBB26_328:                             ;   in Loop: Header=BB26_329 Depth=2
	s_or_b32 exec_lo, exec_lo, s10
	s_waitcnt lgkmcnt(0)
	s_barrier
	buffer_gl0_inv
	ds_load_u16 v3, v22 offset:3072
	v_add_nc_u32_e32 v2, s33, v2
	s_waitcnt lgkmcnt(0)
	s_barrier
	buffer_gl0_inv
	v_cmp_le_u32_e32 vcc_lo, s78, v2
	v_and_b32_e32 v4, 0xff, v3
	s_delay_alu instid0(VALU_DEP_1) | instskip(NEXT) | instid1(VALU_DEP_1)
	v_cmp_ne_u16_e64 s10, 0, v4
	s_or_b32 s83, vcc_lo, s10
	s_delay_alu instid0(SALU_CYCLE_1) | instskip(NEXT) | instid1(SALU_CYCLE_1)
	s_and_b32 s83, exec_lo, s83
	s_or_b32 s81, s83, s81
	s_and_not1_b32 s82, s82, exec_lo
	s_and_b32 s10, s10, exec_lo
	s_delay_alu instid0(SALU_CYCLE_1)
	s_or_b32 s82, s82, s10
	s_and_not1_b32 exec_lo, exec_lo, s81
	s_cbranch_execz .LBB26_335
.LBB26_329:                             ;   Parent Loop BB26_15 Depth=1
                                        ; =>  This Inner Loop Header: Depth=2
	s_delay_alu instid0(VALU_DEP_1)
	v_cmp_gt_u32_e32 vcc_lo, s28, v2
	v_mov_b32_e32 v3, 0
	s_and_saveexec_b32 s10, vcc_lo
	s_cbranch_execz .LBB26_331
; %bb.330:                              ;   in Loop: Header=BB26_329 Depth=2
	ds_load_u8 v3, v2
.LBB26_331:                             ;   in Loop: Header=BB26_329 Depth=2
	s_or_b32 exec_lo, exec_lo, s10
	s_and_saveexec_b32 s10, vcc_lo
	s_cbranch_execz .LBB26_328
; %bb.332:                              ;   in Loop: Header=BB26_329 Depth=2
	s_waitcnt lgkmcnt(0)
	v_bfe_i32 v4, v3, 0, 8
	s_delay_alu instid0(VALU_DEP_1) | instskip(NEXT) | instid1(VALU_DEP_1)
	v_add_nc_u32_e32 v4, 0x80, v4
	v_and_b32_e32 v4, v4, v23
	s_delay_alu instid0(VALU_DEP_1)
	v_cmp_eq_u32_e32 vcc_lo, v4, v24
	s_and_b32 exec_lo, exec_lo, vcc_lo
	s_cbranch_execz .LBB26_328
; %bb.333:                              ;   in Loop: Header=BB26_329 Depth=2
	v_lshlrev_b16 v3, 8, v3
	s_delay_alu instid0(VALU_DEP_1)
	v_or_b32_e32 v3, 1, v3
	ds_store_b16 v22, v3 offset:3072
	s_branch .LBB26_328
.LBB26_334:                             ;   in Loop: Header=BB26_15 Depth=1
	s_mov_b32 s28, -1
	s_mov_b32 s10, 0
                                        ; implicit-def: $sgpr29
                                        ; implicit-def: $vgpr25
	s_mov_b32 s78, s28
	s_cbranch_execnz .LBB26_337
	s_branch .LBB26_347
.LBB26_335:                             ;   in Loop: Header=BB26_15 Depth=1
	s_set_inst_prefetch_distance 0x2
	s_or_b32 exec_lo, exec_lo, s81
	v_lshrrev_b16 v25, 8, v3
	s_and_b32 s10, s82, exec_lo
.LBB26_336:                             ;   in Loop: Header=BB26_15 Depth=1
	s_or_b32 exec_lo, exec_lo, s29
	s_mov_b32 s28, 0
	s_mov_b32 s29, -1
	s_mov_b32 s78, s28
	s_branch .LBB26_347
.LBB26_337:                             ;   in Loop: Header=BB26_15 Depth=1
	s_mov_b32 s10, 0
                                        ; implicit-def: $vgpr25
	s_and_saveexec_b32 s28, s9
	s_cbranch_execz .LBB26_346
; %bb.338:                              ;   in Loop: Header=BB26_15 Depth=1
	v_dual_mov_b32 v2, v14 :: v_dual_mov_b32 v3, v0
	s_mov_b32 s29, 0
                                        ; implicit-def: $sgpr78
	s_set_inst_prefetch_distance 0x1
	s_branch .LBB26_340
	.p2align	6
.LBB26_339:                             ;   in Loop: Header=BB26_340 Depth=2
	s_or_b32 exec_lo, exec_lo, s10
	s_waitcnt vmcnt(0) lgkmcnt(0)
	s_barrier
	buffer_gl0_inv
	ds_load_u16 v4, v22 offset:3072
	v_add_nc_u32_e32 v3, s33, v3
	v_add_nc_u32_e32 v2, s35, v2
	s_waitcnt lgkmcnt(0)
	s_barrier
	buffer_gl0_inv
	v_cmp_le_u32_e32 vcc_lo, s64, v3
	v_and_b32_e32 v25, 0xff, v4
	s_delay_alu instid0(VALU_DEP_1) | instskip(NEXT) | instid1(VALU_DEP_1)
	v_cmp_ne_u16_e64 s10, 0, v25
	s_or_b32 s81, vcc_lo, s10
	s_delay_alu instid0(SALU_CYCLE_1) | instskip(NEXT) | instid1(SALU_CYCLE_1)
	s_and_b32 s81, exec_lo, s81
	s_or_b32 s29, s81, s29
	s_and_not1_b32 s78, s78, exec_lo
	s_and_b32 s10, s10, exec_lo
	s_delay_alu instid0(SALU_CYCLE_1)
	s_or_b32 s78, s78, s10
	s_and_not1_b32 exec_lo, exec_lo, s29
	s_cbranch_execz .LBB26_345
.LBB26_340:                             ;   Parent Loop BB26_15 Depth=1
                                        ; =>  This Inner Loop Header: Depth=2
	s_delay_alu instid0(VALU_DEP_1)
	v_cmp_gt_u32_e32 vcc_lo, s36, v3
	v_mov_b32_e32 v4, 0
	s_and_saveexec_b32 s10, vcc_lo
	s_cbranch_execz .LBB26_342
; %bb.341:                              ;   in Loop: Header=BB26_340 Depth=2
	global_load_u8 v4, v2, s[30:31]
.LBB26_342:                             ;   in Loop: Header=BB26_340 Depth=2
	s_or_b32 exec_lo, exec_lo, s10
	s_and_saveexec_b32 s10, vcc_lo
	s_cbranch_execz .LBB26_339
; %bb.343:                              ;   in Loop: Header=BB26_340 Depth=2
	s_waitcnt vmcnt(0)
	v_bfe_i32 v25, v4, 0, 8
	s_delay_alu instid0(VALU_DEP_1) | instskip(NEXT) | instid1(VALU_DEP_1)
	v_add_nc_u32_e32 v25, 0x80, v25
	v_and_b32_e32 v25, v25, v23
	s_delay_alu instid0(VALU_DEP_1)
	v_cmp_eq_u32_e32 vcc_lo, v25, v24
	s_and_b32 exec_lo, exec_lo, vcc_lo
	s_cbranch_execz .LBB26_339
; %bb.344:                              ;   in Loop: Header=BB26_340 Depth=2
	v_lshlrev_b16 v4, 8, v4
	s_delay_alu instid0(VALU_DEP_1)
	v_or_b32_e32 v4, 1, v4
	ds_store_b16 v22, v4 offset:3072
	s_branch .LBB26_339
.LBB26_345:                             ;   in Loop: Header=BB26_15 Depth=1
	s_set_inst_prefetch_distance 0x2
	s_or_b32 exec_lo, exec_lo, s29
	v_lshrrev_b16 v25, 8, v4
	s_and_b32 s10, s78, exec_lo
.LBB26_346:                             ;   in Loop: Header=BB26_15 Depth=1
	s_or_b32 exec_lo, exec_lo, s28
	s_mov_b32 s29, 0
	s_mov_b32 s28, -1
	s_mov_b32 s78, 0
.LBB26_347:                             ;   in Loop: Header=BB26_15 Depth=1
	s_or_not1_b32 s10, s10, exec_lo
.LBB26_348:                             ;   in Loop: Header=BB26_15 Depth=1
	s_or_b32 exec_lo, exec_lo, s79
	s_mov_b32 s81, 0
                                        ; implicit-def: $vgpr27
	s_and_saveexec_b32 s79, s10
	s_cbranch_execz .LBB26_401
; %bb.349:                              ;   in Loop: Header=BB26_15 Depth=1
	v_dual_mov_b32 v2, 1 :: v_dual_mov_b32 v27, 1
	s_xor_b32 s81, s80, -1
	s_mov_b32 s80, 0
	s_and_saveexec_b32 s10, s81
	s_cbranch_execz .LBB26_359
; %bb.350:                              ;   in Loop: Header=BB26_15 Depth=1
	s_mov_b32 s81, exec_lo
                                        ; implicit-def: $sgpr82
                                        ; implicit-def: $sgpr80
	v_cmpx_ge_u32_e64 s16, v1
	s_xor_b32 s81, exec_lo, s81
	s_cbranch_execz .LBB26_356
; %bb.351:                              ;   in Loop: Header=BB26_15 Depth=1
	ds_load_b32 v2, v22 offset:4096
	s_waitcnt lgkmcnt(0)
	v_cmp_ne_u32_e32 vcc_lo, 0, v2
	s_cbranch_vccnz .LBB26_355
; %bb.352:                              ;   in Loop: Header=BB26_15 Depth=1
	s_and_saveexec_b32 s80, s5
	s_cbranch_execz .LBB26_354
; %bb.353:                              ;   in Loop: Header=BB26_15 Depth=1
	v_mov_b32_e32 v2, s16
	ds_store_b32 v22, v2 offset:4100
.LBB26_354:                             ;   in Loop: Header=BB26_15 Depth=1
	s_or_b32 exec_lo, exec_lo, s80
	s_waitcnt lgkmcnt(0)
	s_barrier
	buffer_gl0_inv
.LBB26_355:                             ;   in Loop: Header=BB26_15 Depth=1
	s_lshl_b32 s17, 1, s17
	v_or_b32_e32 v23, s13, v23
	v_and_or_b32 v24, v24, s14, s17
	s_mov_b32 s80, 0
	s_mov_b32 s82, 5
.LBB26_356:                             ;   in Loop: Header=BB26_15 Depth=1
	s_or_saveexec_b32 s17, s81
	v_mov_b32_e32 v27, s82
	s_xor_b32 exec_lo, exec_lo, s17
; %bb.357:                              ;   in Loop: Header=BB26_15 Depth=1
	v_subrev_nc_u32_e32 v1, s16, v1
	v_mov_b32_e32 v27, 0
	s_or_b32 s80, s80, exec_lo
; %bb.358:                              ;   in Loop: Header=BB26_15 Depth=1
	s_or_b32 exec_lo, exec_lo, s17
	s_delay_alu instid0(VALU_DEP_2)
	v_mov_b32_e32 v2, v1
	s_and_b32 s80, s80, exec_lo
.LBB26_359:                             ;   in Loop: Header=BB26_15 Depth=1
	s_or_b32 exec_lo, exec_lo, s10
	s_mov_b32 s17, -1
                                        ; implicit-def: $sgpr10
                                        ; implicit-def: $sgpr81
                                        ; implicit-def: $sgpr82
	s_and_saveexec_b32 s16, s80
	s_cbranch_execz .LBB26_400
; %bb.360:                              ;   in Loop: Header=BB26_15 Depth=1
	v_cmp_eq_u32_e32 vcc_lo, 1, v2
	s_cmp_eq_u32 s12, 1
	s_mov_b32 s83, -1
	s_cselect_b32 s10, -1, 0
                                        ; implicit-def: $sgpr81
                                        ; implicit-def: $sgpr82
	s_delay_alu instid0(SALU_CYCLE_1) | instskip(NEXT) | instid1(SALU_CYCLE_1)
	s_and_b32 s17, s10, vcc_lo
                                        ; implicit-def: $sgpr10
	s_and_saveexec_b32 s80, s17
	s_cbranch_execz .LBB26_387
; %bb.361:                              ;   in Loop: Header=BB26_15 Depth=1
	ds_load_b32 v1, v22 offset:4096
	s_waitcnt lgkmcnt(0)
	s_barrier
	buffer_gl0_inv
	v_readfirstlane_b32 s81, v1
	s_and_saveexec_b32 s10, s6
	s_cbranch_execz .LBB26_363
; %bb.362:                              ;   in Loop: Header=BB26_15 Depth=1
	ds_store_b8 v0, v15 offset:3072
.LBB26_363:                             ;   in Loop: Header=BB26_15 Depth=1
	s_or_b32 exec_lo, exec_lo, s10
	v_and_b32_e32 v24, s14, v24
	v_or_b32_e32 v23, s13, v23
	s_cmp_eq_u32 s81, 0
	s_waitcnt lgkmcnt(0)
	s_barrier
	buffer_gl0_inv
	s_cbranch_scc1 .LBB26_372
; %bb.364:                              ;   in Loop: Header=BB26_15 Depth=1
	s_add_i32 s10, s81, s56
                                        ; implicit-def: $vgpr25
	s_delay_alu instid0(SALU_CYCLE_1) | instskip(NEXT) | instid1(SALU_CYCLE_1)
	s_mul_hi_u32 s82, s10, s62
	s_mul_i32 s82, s82, s33
	s_delay_alu instid0(SALU_CYCLE_1) | instskip(NEXT) | instid1(SALU_CYCLE_1)
	s_sub_i32 s82, s10, s82
	s_sub_i32 s83, s82, s33
	s_cmp_ge_u32 s82, s33
	s_cselect_b32 s82, s83, s82
	s_delay_alu instid0(SALU_CYCLE_1)
	s_sub_i32 s83, s82, s33
	s_cmp_ge_u32 s82, s33
	s_cselect_b32 s82, s83, s82
	s_mov_b32 s83, 0
	s_sub_i32 s84, s10, s82
	s_mov_b32 s82, exec_lo
	v_cmpx_gt_u32_e64 s84, v0
	s_cbranch_execz .LBB26_374
; %bb.365:                              ;   in Loop: Header=BB26_15 Depth=1
	v_mov_b32_e32 v1, v0
                                        ; implicit-def: $sgpr85
	s_set_inst_prefetch_distance 0x1
	s_branch .LBB26_367
	.p2align	6
.LBB26_366:                             ;   in Loop: Header=BB26_367 Depth=2
	s_or_b32 exec_lo, exec_lo, s10
	s_waitcnt lgkmcnt(0)
	s_barrier
	buffer_gl0_inv
	ds_load_u16 v3, v22 offset:3072
	v_add_nc_u32_e32 v1, s33, v1
	s_waitcnt lgkmcnt(0)
	s_barrier
	buffer_gl0_inv
	v_cmp_le_u32_e32 vcc_lo, s84, v1
	v_and_b32_e32 v4, 0xff, v3
	s_delay_alu instid0(VALU_DEP_1) | instskip(NEXT) | instid1(VALU_DEP_1)
	v_cmp_ne_u16_e64 s10, 0, v4
	s_or_b32 s86, vcc_lo, s10
	s_delay_alu instid0(SALU_CYCLE_1) | instskip(NEXT) | instid1(SALU_CYCLE_1)
	s_and_b32 s86, exec_lo, s86
	s_or_b32 s83, s86, s83
	s_and_not1_b32 s85, s85, exec_lo
	s_and_b32 s10, s10, exec_lo
	s_delay_alu instid0(SALU_CYCLE_1)
	s_or_b32 s85, s85, s10
	s_and_not1_b32 exec_lo, exec_lo, s83
	s_cbranch_execz .LBB26_373
.LBB26_367:                             ;   Parent Loop BB26_15 Depth=1
                                        ; =>  This Inner Loop Header: Depth=2
	s_delay_alu instid0(VALU_DEP_1)
	v_cmp_gt_u32_e32 vcc_lo, s81, v1
	v_mov_b32_e32 v3, 0
	s_and_saveexec_b32 s10, vcc_lo
	s_cbranch_execz .LBB26_369
; %bb.368:                              ;   in Loop: Header=BB26_367 Depth=2
	ds_load_u8 v3, v1
.LBB26_369:                             ;   in Loop: Header=BB26_367 Depth=2
	s_or_b32 exec_lo, exec_lo, s10
	s_and_saveexec_b32 s10, vcc_lo
	s_cbranch_execz .LBB26_366
; %bb.370:                              ;   in Loop: Header=BB26_367 Depth=2
	s_waitcnt lgkmcnt(0)
	v_bfe_i32 v4, v3, 0, 8
	s_delay_alu instid0(VALU_DEP_1) | instskip(NEXT) | instid1(VALU_DEP_1)
	v_add_nc_u32_e32 v4, 0x80, v4
	v_and_b32_e32 v4, v4, v23
	s_delay_alu instid0(VALU_DEP_1)
	v_cmp_eq_u32_e32 vcc_lo, v4, v24
	s_and_b32 exec_lo, exec_lo, vcc_lo
	s_cbranch_execz .LBB26_366
; %bb.371:                              ;   in Loop: Header=BB26_367 Depth=2
	v_lshlrev_b16 v3, 8, v3
	s_delay_alu instid0(VALU_DEP_1)
	v_or_b32_e32 v3, 1, v3
	ds_store_b16 v22, v3 offset:3072
	s_branch .LBB26_366
.LBB26_372:                             ;   in Loop: Header=BB26_15 Depth=1
	s_mov_b32 s10, -1
	s_mov_b32 s83, 0
                                        ; implicit-def: $sgpr81
                                        ; implicit-def: $vgpr25
	s_branch .LBB26_375
.LBB26_373:                             ;   in Loop: Header=BB26_15 Depth=1
	s_set_inst_prefetch_distance 0x2
	s_or_b32 exec_lo, exec_lo, s83
	v_lshrrev_b16 v25, 8, v3
	s_and_b32 s83, s85, exec_lo
.LBB26_374:                             ;   in Loop: Header=BB26_15 Depth=1
	s_or_b32 exec_lo, exec_lo, s82
	s_mov_b32 s10, 0
	s_mov_b32 s81, -1
.LBB26_375:                             ;   in Loop: Header=BB26_15 Depth=1
	s_and_b32 vcc_lo, exec_lo, s10
	s_mov_b32 s82, s10
	s_cbranch_vccz .LBB26_386
; %bb.376:                              ;   in Loop: Header=BB26_15 Depth=1
	s_mov_b32 s83, 0
                                        ; implicit-def: $vgpr25
	s_and_saveexec_b32 s81, s9
	s_cbranch_execz .LBB26_385
; %bb.377:                              ;   in Loop: Header=BB26_15 Depth=1
	v_mov_b32_e32 v1, v14
	v_mov_b32_e32 v3, v0
	s_mov_b32 s82, 0
                                        ; implicit-def: $sgpr83
	s_set_inst_prefetch_distance 0x1
	s_branch .LBB26_379
	.p2align	6
.LBB26_378:                             ;   in Loop: Header=BB26_379 Depth=2
	s_or_b32 exec_lo, exec_lo, s10
	s_waitcnt vmcnt(0) lgkmcnt(0)
	s_barrier
	buffer_gl0_inv
	ds_load_u16 v4, v22 offset:3072
	v_add_nc_u32_e32 v3, s33, v3
	v_add_nc_u32_e32 v1, s35, v1
	s_waitcnt lgkmcnt(0)
	s_barrier
	buffer_gl0_inv
	v_cmp_le_u32_e32 vcc_lo, s64, v3
	v_and_b32_e32 v25, 0xff, v4
	s_delay_alu instid0(VALU_DEP_1) | instskip(NEXT) | instid1(VALU_DEP_1)
	v_cmp_ne_u16_e64 s10, 0, v25
	s_or_b32 s84, vcc_lo, s10
	s_delay_alu instid0(SALU_CYCLE_1) | instskip(NEXT) | instid1(SALU_CYCLE_1)
	s_and_b32 s84, exec_lo, s84
	s_or_b32 s82, s84, s82
	s_and_not1_b32 s83, s83, exec_lo
	s_and_b32 s10, s10, exec_lo
	s_delay_alu instid0(SALU_CYCLE_1)
	s_or_b32 s83, s83, s10
	s_and_not1_b32 exec_lo, exec_lo, s82
	s_cbranch_execz .LBB26_384
.LBB26_379:                             ;   Parent Loop BB26_15 Depth=1
                                        ; =>  This Inner Loop Header: Depth=2
	s_delay_alu instid0(VALU_DEP_1)
	v_cmp_gt_u32_e32 vcc_lo, s36, v3
	v_mov_b32_e32 v4, 0
	s_and_saveexec_b32 s10, vcc_lo
	s_cbranch_execz .LBB26_381
; %bb.380:                              ;   in Loop: Header=BB26_379 Depth=2
	global_load_u8 v4, v1, s[30:31]
.LBB26_381:                             ;   in Loop: Header=BB26_379 Depth=2
	s_or_b32 exec_lo, exec_lo, s10
	s_and_saveexec_b32 s10, vcc_lo
	s_cbranch_execz .LBB26_378
; %bb.382:                              ;   in Loop: Header=BB26_379 Depth=2
	s_waitcnt vmcnt(0)
	v_bfe_i32 v25, v4, 0, 8
	s_delay_alu instid0(VALU_DEP_1) | instskip(NEXT) | instid1(VALU_DEP_1)
	v_add_nc_u32_e32 v25, 0x80, v25
	v_and_b32_e32 v25, v25, v23
	s_delay_alu instid0(VALU_DEP_1)
	v_cmp_eq_u32_e32 vcc_lo, v25, v24
	s_and_b32 exec_lo, exec_lo, vcc_lo
	s_cbranch_execz .LBB26_378
; %bb.383:                              ;   in Loop: Header=BB26_379 Depth=2
	v_lshlrev_b16 v4, 8, v4
	s_delay_alu instid0(VALU_DEP_1)
	v_or_b32_e32 v4, 1, v4
	ds_store_b16 v22, v4 offset:3072
	s_branch .LBB26_378
.LBB26_384:                             ;   in Loop: Header=BB26_15 Depth=1
	s_set_inst_prefetch_distance 0x2
	s_or_b32 exec_lo, exec_lo, s82
	v_lshrrev_b16 v25, 8, v4
	s_and_b32 s83, s83, exec_lo
.LBB26_385:                             ;   in Loop: Header=BB26_15 Depth=1
	s_or_b32 exec_lo, exec_lo, s81
	s_mov_b32 s81, 0
	s_mov_b32 s10, -1
	s_mov_b32 s82, 0
.LBB26_386:                             ;   in Loop: Header=BB26_15 Depth=1
	s_or_not1_b32 s83, s83, exec_lo
.LBB26_387:                             ;   in Loop: Header=BB26_15 Depth=1
	s_or_b32 exec_lo, exec_lo, s80
	s_mov_b32 s84, 0
                                        ; implicit-def: $vgpr27
                                        ; implicit-def: $vgpr1
	s_and_saveexec_b32 s80, s83
	s_cbranch_execz .LBB26_399
; %bb.388:                              ;   in Loop: Header=BB26_15 Depth=1
	v_mov_b32_e32 v27, 1
	v_mov_b32_e32 v1, 1
	s_xor_b32 s83, s17, -1
	s_delay_alu instid0(SALU_CYCLE_1)
	s_and_saveexec_b32 s17, s83
	s_cbranch_execz .LBB26_398
; %bb.389:                              ;   in Loop: Header=BB26_15 Depth=1
	s_mov_b32 s83, exec_lo
                                        ; implicit-def: $sgpr84
	v_cmpx_ge_u32_e64 s12, v2
	s_xor_b32 s83, exec_lo, s83
	s_cbranch_execz .LBB26_395
; %bb.390:                              ;   in Loop: Header=BB26_15 Depth=1
	ds_load_b32 v1, v22 offset:4096
	s_waitcnt lgkmcnt(0)
	v_cmp_ne_u32_e32 vcc_lo, 0, v1
	s_cbranch_vccnz .LBB26_394
; %bb.391:                              ;   in Loop: Header=BB26_15 Depth=1
	s_and_saveexec_b32 s84, s5
	s_cbranch_execz .LBB26_393
; %bb.392:                              ;   in Loop: Header=BB26_15 Depth=1
	v_mov_b32_e32 v1, s12
	ds_store_b32 v22, v1 offset:4100
.LBB26_393:                             ;   in Loop: Header=BB26_15 Depth=1
	s_or_b32 exec_lo, exec_lo, s84
	s_waitcnt lgkmcnt(0)
	s_barrier
	buffer_gl0_inv
.LBB26_394:                             ;   in Loop: Header=BB26_15 Depth=1
	v_and_b32_e32 v24, s14, v24
	v_or_b32_e32 v23, s13, v23
	s_mov_b32 s84, 5
.LBB26_395:                             ;   in Loop: Header=BB26_15 Depth=1
	s_or_saveexec_b32 s13, s83
	v_mov_b32_e32 v27, s84
	s_xor_b32 exec_lo, exec_lo, s13
; %bb.396:                              ;   in Loop: Header=BB26_15 Depth=1
	v_subrev_nc_u32_e32 v2, s12, v2
	v_mov_b32_e32 v27, 5
; %bb.397:                              ;   in Loop: Header=BB26_15 Depth=1
	s_or_b32 exec_lo, exec_lo, s13
	s_delay_alu instid0(VALU_DEP_2)
	v_mov_b32_e32 v1, v2
.LBB26_398:                             ;   in Loop: Header=BB26_15 Depth=1
	s_or_b32 exec_lo, exec_lo, s17
	s_delay_alu instid0(SALU_CYCLE_1)
	s_mov_b32 s84, exec_lo
.LBB26_399:                             ;   in Loop: Header=BB26_15 Depth=1
	s_or_b32 exec_lo, exec_lo, s80
	s_delay_alu instid0(VALU_DEP_1)
	v_mov_b32_e32 v2, v1
	s_or_not1_b32 s17, s84, exec_lo
.LBB26_400:                             ;   in Loop: Header=BB26_15 Depth=1
	s_or_b32 exec_lo, exec_lo, s16
	s_delay_alu instid0(SALU_CYCLE_1)
	s_and_not1_b32 s12, s28, exec_lo
	s_and_b32 s10, s10, exec_lo
	s_and_not1_b32 s13, s78, exec_lo
	s_or_b32 s28, s12, s10
	s_and_not1_b32 s10, s29, exec_lo
	s_and_b32 s12, s81, exec_lo
	s_and_b32 s14, s82, exec_lo
	v_mov_b32_e32 v1, v2
	s_or_b32 s29, s10, s12
	s_or_b32 s78, s13, s14
	s_and_b32 s81, s17, exec_lo
.LBB26_401:                             ;   in Loop: Header=BB26_15 Depth=1
	s_or_b32 exec_lo, exec_lo, s79
	s_delay_alu instid0(SALU_CYCLE_1)
	s_and_b32 s79, s28, exec_lo
	s_and_b32 s29, s29, exec_lo
	;; [unrolled: 1-line block ×3, first 2 shown]
	s_or_not1_b32 s10, s81, exec_lo
.LBB26_402:                             ;   in Loop: Header=BB26_15 Depth=1
	s_or_b32 exec_lo, exec_lo, s18
	s_delay_alu instid0(SALU_CYCLE_1)
	s_and_not1_b32 s12, s22, exec_lo
	s_and_b32 s13, s79, exec_lo
	s_and_not1_b32 s14, s26, exec_lo
	s_or_b32 s22, s12, s13
	s_and_not1_b32 s12, s25, exec_lo
	s_and_b32 s13, s29, exec_lo
	s_and_b32 s16, s28, exec_lo
	v_mov_b32_e32 v4, v1
	s_or_b32 s25, s12, s13
	s_or_b32 s26, s14, s16
	s_and_b32 s29, s10, exec_lo
.LBB26_403:                             ;   in Loop: Header=BB26_15 Depth=1
	s_or_b32 exec_lo, exec_lo, s27
	s_delay_alu instid0(SALU_CYCLE_1)
	s_and_b32 s27, s22, exec_lo
	s_and_b32 s25, s25, exec_lo
	;; [unrolled: 1-line block ×3, first 2 shown]
	s_or_not1_b32 s26, s29, exec_lo
.LBB26_404:                             ;   in Loop: Header=BB26_15 Depth=1
	s_or_b32 exec_lo, exec_lo, s19
	s_mov_b32 s10, s20
	s_mov_b32 s12, s11
	s_and_saveexec_b32 s13, s26
; %bb.405:                              ;   in Loop: Header=BB26_15 Depth=1
	v_cmp_eq_u32_e32 vcc_lo, 5, v27
	v_cmp_ne_u32_e64 s10, 5, v27
	s_and_not1_b32 s12, s11, exec_lo
	s_and_not1_b32 s14, s20, exec_lo
	;; [unrolled: 1-line block ×3, first 2 shown]
	s_and_b32 s16, vcc_lo, exec_lo
	s_and_b32 s10, s10, exec_lo
	s_and_not1_b32 s25, s25, exec_lo
	s_and_not1_b32 s22, s22, exec_lo
	s_or_b32 s12, s12, s10
	s_or_b32 s10, s14, s16
; %bb.406:                              ;   in Loop: Header=BB26_15 Depth=1
	s_or_b32 exec_lo, exec_lo, s13
	s_delay_alu instid0(SALU_CYCLE_1)
	s_and_not1_b32 s13, s23, exec_lo
	s_and_b32 s14, s27, exec_lo
	v_dual_mov_b32 v1, v24 :: v_dual_mov_b32 v2, v23
	s_or_b32 s23, s13, s14
	s_and_not1_b32 s13, s24, exec_lo
	s_and_b32 s14, s25, exec_lo
	v_mov_b32_e32 v3, v25
	s_and_not1_b32 s15, s15, exec_lo
	s_and_b32 s16, s22, exec_lo
	s_or_b32 s24, s13, s14
	s_and_not1_b32 s11, s11, exec_lo
	s_and_b32 s12, s12, exec_lo
	s_and_not1_b32 s13, s20, exec_lo
	s_and_b32 s10, s10, exec_lo
	s_or_b32 s15, s15, s16
	s_or_b32 s11, s11, s12
	s_or_b32 s20, s13, s10
.LBB26_407:                             ;   in Loop: Header=BB26_15 Depth=1
	s_or_b32 exec_lo, exec_lo, s21
	s_mov_b32 s22, s15
	s_mov_b32 s21, s15
	s_and_saveexec_b32 s10, s20
.LBB26_408:                             ;   in Loop: Header=BB26_15 Depth=1
	v_mov_b32_e32 v27, 0
	s_and_not1_b32 s15, s15, exec_lo
	s_and_not1_b32 s23, s23, exec_lo
	;; [unrolled: 1-line block ×5, first 2 shown]
	s_or_b32 s11, s11, exec_lo
.LBB26_409:                             ;   in Loop: Header=BB26_15 Depth=1
	s_or_b32 exec_lo, exec_lo, s10
	s_delay_alu instid0(SALU_CYCLE_1)
	s_and_not1_b32 s10, s77, exec_lo
	s_and_b32 s13, s15, exec_lo
	s_and_not1_b32 s14, s74, exec_lo
	s_or_b32 s77, s10, s13
	s_and_not1_b32 s10, s76, exec_lo
	s_and_b32 s13, s23, exec_lo
	s_and_b32 s15, s24, exec_lo
	s_or_b32 s76, s10, s13
	s_or_b32 s74, s14, s15
	s_and_not1_b32 s10, s75, exec_lo
	s_and_b32 s13, s22, exec_lo
	s_and_not1_b32 s14, s73, exec_lo
	s_and_b32 s15, s21, exec_lo
	s_mov_b32 s12, -1
	s_or_b32 s75, s10, s13
	s_or_b32 s73, s14, s15
                                        ; implicit-def: $vgpr23
                                        ; implicit-def: $vgpr24
                                        ; implicit-def: $vgpr26
                                        ; implicit-def: $vgpr25
	s_and_saveexec_b32 s10, s11
	s_delay_alu instid0(SALU_CYCLE_1)
	s_xor_b32 s10, exec_lo, s10
	s_cbranch_execz .LBB26_14
; %bb.410:                              ;   in Loop: Header=BB26_15 Depth=1
	s_mov_b32 s11, -1
	s_mov_b32 s13, exec_lo
	v_cmpx_eq_u32_e32 0, v27
	s_cbranch_execz .LBB26_13
; %bb.411:                              ;   in Loop: Header=BB26_15 Depth=1
	s_xor_b32 s67, s67, 1
	s_add_i32 s14, s71, -2
	s_cmp_eq_u32 s71, 0
	s_mov_b32 s71, s14
	s_cselect_b32 s11, -1, 0
	s_xor_b32 s12, exec_lo, -1
	s_or_not1_b32 s11, s11, exec_lo
	s_branch .LBB26_13
.LBB26_412:
	s_or_b32 exec_lo, exec_lo, s50
	s_xor_b32 s7, s72, -1
	s_xor_b32 s12, s69, -1
	;; [unrolled: 1-line block ×5, first 2 shown]
	s_mov_b32 s9, 0
	s_and_saveexec_b32 s10, s8
	s_delay_alu instid0(SALU_CYCLE_1)
	s_xor_b32 s8, exec_lo, s10
	s_cbranch_execz .LBB26_469
; %bb.413:
	s_mov_b32 s10, 0
	s_and_saveexec_b32 s9, s11
	s_delay_alu instid0(SALU_CYCLE_1)
	s_xor_b32 s9, exec_lo, s9
	s_cbranch_execz .LBB26_467
; %bb.414:
	;; [unrolled: 6-line block ×4, first 2 shown]
	s_and_saveexec_b32 s7, s6
	s_delay_alu instid0(SALU_CYCLE_1)
	s_xor_b32 s6, exec_lo, s7
; %bb.417:
	v_xor_b32_e32 v3, 0xffffff80, v1
; %bb.418:
	s_or_b32 exec_lo, exec_lo, s6
	s_and_saveexec_b32 s6, s5
	s_cbranch_execz .LBB26_420
; %bb.419:
	v_mov_b32_e32 v1, 0
	ds_store_b32 v1, v1 offset:4108
.LBB26_420:
	s_or_b32 exec_lo, exec_lo, s6
	v_mov_b32_e32 v8, 0
	s_waitcnt lgkmcnt(0)
	s_barrier
	buffer_gl0_inv
	s_and_saveexec_b32 s5, s4
	s_cbranch_execz .LBB26_422
; %bb.421:
	global_load_u8 v8, v[5:6], off
.LBB26_422:
	s_or_b32 exec_lo, exec_lo, s5
	s_clause 0x1
	s_load_b32 s5, s[0:1], 0x1c8
	s_load_b32 s12, s[0:1], 0x2a8
	v_add_nc_u32_e32 v1, s33, v0
	s_mul_i32 s0, s42, s40
	s_add_i32 s13, s36, 31
	s_mul_i32 s1, s49, s48
	s_add_i32 s6, s0, s41
	v_mul_lo_u32 v4, s34, v1
	s_and_not1_b32 s13, s13, 31
	s_add_i32 s0, s1, s43
	s_mov_b32 s1, 0
	s_add_u32 s6, s46, s6
	s_addc_u32 s7, s47, 0
	s_lshl_b64 s[14:15], s[0:1], 3
	s_mov_b32 s0, -1
	s_add_u32 s14, s44, s14
	s_addc_u32 s15, s45, s15
	s_mov_b32 s16, 0
	s_mov_b32 s17, exec_lo
	v_cmpx_gt_u32_e64 s13, v0
	s_cbranch_execz .LBB26_438
; %bb.423:
	v_bfe_i32 v9, v3, 0, 8
	v_mul_lo_u32 v7, s34, v1
	v_dual_mov_b32 v2, 0 :: v_dual_mov_b32 v1, v0
                                        ; implicit-def: $sgpr18
                                        ; implicit-def: $vgpr13
	s_delay_alu instid0(VALU_DEP_3)
	v_add_nc_u32_e32 v9, 0x80, v9
	s_branch .LBB26_425
.LBB26_424:                             ;   in Loop: Header=BB26_425 Depth=1
	s_or_b32 exec_lo, exec_lo, s19
	s_xor_b32 s19, s20, -1
	s_and_b32 s0, exec_lo, s0
	v_dual_mov_b32 v8, v12 :: v_dual_mov_b32 v1, v10
	s_or_b32 s16, s0, s16
	s_and_not1_b32 s0, s18, exec_lo
	s_and_b32 s18, s19, exec_lo
	s_delay_alu instid0(SALU_CYCLE_1)
	s_or_b32 s18, s0, s18
	s_and_not1_b32 exec_lo, exec_lo, s16
	s_cbranch_execz .LBB26_437
.LBB26_425:                             ; =>This Inner Loop Header: Depth=1
	s_delay_alu instid0(VALU_DEP_2) | instskip(SKIP_2) | instid1(VALU_DEP_2)
	v_add_nc_u32_e32 v10, s33, v1
	v_mov_b32_e32 v12, 0
	s_mov_b32 s0, exec_lo
	v_cmpx_gt_u32_e64 s36, v10
	s_cbranch_execz .LBB26_427
; %bb.426:                              ;   in Loop: Header=BB26_425 Depth=1
	global_load_u8 v12, v7, s[30:31]
.LBB26_427:                             ;   in Loop: Header=BB26_425 Depth=1
	s_or_b32 exec_lo, exec_lo, s0
	s_waitcnt vmcnt(0)
	v_bfe_i32 v14, v8, 0, 8
	s_delay_alu instid0(VALU_DEP_1) | instskip(NEXT) | instid1(VALU_DEP_1)
	v_add_nc_u32_e32 v14, 0x80, v14
	v_cmp_gt_u32_e32 vcc_lo, v14, v9
	v_cndmask_b32_e64 v15, 0, 1, vcc_lo
	v_cmp_lt_u32_e32 vcc_lo, v14, v9
	v_cndmask_b32_e64 v14, 0, 1, vcc_lo
	v_cmp_gt_u32_e32 vcc_lo, s36, v1
	s_delay_alu instid0(VALU_DEP_2) | instskip(NEXT) | instid1(VALU_DEP_1)
	v_cndmask_b32_e64 v14, v14, v15, s3
	v_and_b32_e32 v14, 1, v14
	s_delay_alu instid0(VALU_DEP_1) | instskip(NEXT) | instid1(VALU_DEP_1)
	v_cmp_eq_u32_e64 s0, 1, v14
	s_and_b32 s19, vcc_lo, s0
	s_delay_alu instid0(SALU_CYCLE_1) | instskip(NEXT) | instid1(VALU_DEP_1)
	v_cndmask_b32_e64 v14, 0, 1, s19
	v_cmp_ne_u32_e32 vcc_lo, 0, v14
	s_cmp_lg_u32 vcc_lo, 0
	s_cselect_b32 s0, -1, 0
	s_delay_alu instid0(SALU_CYCLE_1) | instskip(NEXT) | instid1(SALU_CYCLE_1)
	s_and_b32 s0, s2, s0
	s_and_saveexec_b32 s20, s0
	s_cbranch_execz .LBB26_431
; %bb.428:                              ;   in Loop: Header=BB26_425 Depth=1
	s_mov_b32 s23, exec_lo
	s_bcnt1_i32_b32 s21, vcc_lo
	s_waitcnt lgkmcnt(0)
	v_mbcnt_lo_u32_b32 v13, s23, 0
	s_mov_b32 s22, exec_lo
                                        ; implicit-def: $vgpr14
	s_delay_alu instid0(VALU_DEP_1)
	v_cmpx_eq_u32_e32 0, v13
	s_cbranch_execz .LBB26_430
; %bb.429:                              ;   in Loop: Header=BB26_425 Depth=1
	s_bcnt1_i32_b32 s0, s23
	s_delay_alu instid0(SALU_CYCLE_1) | instskip(NEXT) | instid1(SALU_CYCLE_1)
	s_mul_i32 s0, s21, s0
	v_mov_b32_e32 v14, s0
	ds_add_rtn_u32 v14, v2, v14 offset:4108
.LBB26_430:                             ;   in Loop: Header=BB26_425 Depth=1
	s_or_b32 exec_lo, exec_lo, s22
	s_waitcnt lgkmcnt(0)
	v_readfirstlane_b32 s0, v14
	s_delay_alu instid0(VALU_DEP_1)
	v_mad_u32_u24 v13, s21, v13, s0
.LBB26_431:                             ;   in Loop: Header=BB26_425 Depth=1
	s_or_b32 exec_lo, exec_lo, s20
	s_waitcnt lgkmcnt(0)
	ds_bpermute_b32 v13, v2, v13
	s_mov_b32 s0, -1
	s_mov_b32 s22, -1
                                        ; implicit-def: $sgpr20
	s_and_saveexec_b32 s21, s19
	s_cbranch_execz .LBB26_435
; %bb.432:                              ;   in Loop: Header=BB26_425 Depth=1
	v_and_b32_e32 v14, vcc_lo, v11
	s_mov_b32 s19, 0
	s_mov_b32 s20, exec_lo
	s_waitcnt lgkmcnt(0)
	s_delay_alu instid0(VALU_DEP_1) | instskip(NEXT) | instid1(VALU_DEP_1)
	v_bcnt_u32_b32 v14, v14, v13
	v_cmpx_gt_u32_e64 s37, v14
	s_cbranch_execz .LBB26_434
; %bb.433:                              ;   in Loop: Header=BB26_425 Depth=1
	v_mul_lo_u32 v15, v14, s12
	v_mov_b32_e32 v16, v2
	v_mul_lo_u32 v17, v14, s5
	s_mov_b32 s19, exec_lo
	s_delay_alu instid0(VALU_DEP_2) | instskip(NEXT) | instid1(VALU_DEP_1)
	v_lshlrev_b64 v[15:16], 3, v[15:16]
	v_add_co_u32 v14, vcc_lo, s14, v15
	s_delay_alu instid0(VALU_DEP_2)
	v_add_co_ci_u32_e32 v15, vcc_lo, s15, v16, vcc_lo
	global_store_b8 v17, v8, s[6:7]
	global_store_b64 v[14:15], v[1:2], off
.LBB26_434:                             ;   in Loop: Header=BB26_425 Depth=1
	s_or_b32 exec_lo, exec_lo, s20
	s_mov_b32 s20, -1
	s_or_not1_b32 s22, s19, exec_lo
.LBB26_435:                             ;   in Loop: Header=BB26_425 Depth=1
	s_or_b32 exec_lo, exec_lo, s21
	s_and_saveexec_b32 s19, s22
	s_cbranch_execz .LBB26_424
; %bb.436:                              ;   in Loop: Header=BB26_425 Depth=1
	v_cmp_le_u32_e32 vcc_lo, s13, v10
	v_add_nc_u32_e32 v7, s35, v7
	s_and_not1_b32 s20, s20, exec_lo
	s_or_not1_b32 s0, vcc_lo, exec_lo
	s_branch .LBB26_424
.LBB26_437:
	s_or_b32 exec_lo, exec_lo, s16
	s_delay_alu instid0(SALU_CYCLE_1)
	s_mov_b32 s16, exec_lo
	s_or_not1_b32 s0, s18, exec_lo
.LBB26_438:
	s_or_b32 exec_lo, exec_lo, s17
	s_and_saveexec_b32 s3, s0
	s_cbranch_execz .LBB26_461
; %bb.439:
	v_mov_b32_e32 v1, 0
	v_mov_b32_e32 v7, 0
	s_waitcnt vmcnt(0) lgkmcnt(0)
	s_waitcnt_vscnt null, 0x0
	s_barrier
	buffer_gl0_inv
	s_and_saveexec_b32 s0, s4
	s_cbranch_execz .LBB26_441
; %bb.440:
	global_load_u8 v7, v[5:6], off
.LBB26_441:
	s_or_b32 exec_lo, exec_lo, s0
	v_and_b32_e32 v2, 0xff, v3
	s_mov_b32 s4, 0
                                        ; implicit-def: $sgpr1
                                        ; implicit-def: $sgpr17
                                        ; implicit-def: $sgpr18
                                        ; implicit-def: $vgpr5
	s_branch .LBB26_444
.LBB26_442:                             ;   in Loop: Header=BB26_444 Depth=1
	s_or_b32 exec_lo, exec_lo, s21
	v_mov_b32_e32 v0, v6
	s_and_not1_b32 s0, s18, exec_lo
	s_and_b32 s18, s23, exec_lo
	s_and_not1_b32 s17, s17, exec_lo
	s_and_b32 s20, s20, exec_lo
	s_or_b32 s18, s0, s18
	s_or_b32 s17, s17, s20
.LBB26_443:                             ;   in Loop: Header=BB26_444 Depth=1
	s_or_b32 exec_lo, exec_lo, s19
	s_xor_b32 s0, s18, -1
	s_and_b32 s19, exec_lo, s17
	s_delay_alu instid0(SALU_CYCLE_1) | instskip(SKIP_2) | instid1(SALU_CYCLE_1)
	s_or_b32 s4, s19, s4
	s_and_not1_b32 s1, s1, exec_lo
	s_and_b32 s0, s0, exec_lo
	s_or_b32 s1, s1, s0
	s_and_not1_b32 exec_lo, exec_lo, s4
	s_cbranch_execz .LBB26_459
.LBB26_444:                             ; =>This Inner Loop Header: Depth=1
	s_or_b32 s18, s18, exec_lo
	s_or_b32 s17, s17, exec_lo
	s_mov_b32 s19, exec_lo
	v_cmpx_gt_u32_e64 s13, v0
	s_cbranch_execz .LBB26_443
; %bb.445:                              ;   in Loop: Header=BB26_444 Depth=1
	v_add_nc_u32_e32 v6, s33, v0
	v_mov_b32_e32 v8, 0
	s_mov_b32 s0, exec_lo
	s_delay_alu instid0(VALU_DEP_2)
	v_cmpx_gt_u32_e64 s36, v6
	s_cbranch_execz .LBB26_447
; %bb.446:                              ;   in Loop: Header=BB26_444 Depth=1
	global_load_u8 v8, v4, s[30:31]
.LBB26_447:                             ;   in Loop: Header=BB26_444 Depth=1
	s_or_b32 exec_lo, exec_lo, s0
	s_waitcnt vmcnt(0)
	v_and_b32_e32 v9, 0xff, v7
	v_cmp_gt_u32_e32 vcc_lo, s36, v0
	s_delay_alu instid0(VALU_DEP_2) | instskip(NEXT) | instid1(VALU_DEP_1)
	v_cmp_eq_u16_e64 s0, v9, v2
	s_and_b32 s21, vcc_lo, s0
	s_delay_alu instid0(SALU_CYCLE_1) | instskip(NEXT) | instid1(VALU_DEP_1)
	v_cndmask_b32_e64 v9, 0, 1, s21
	v_cmp_ne_u32_e32 vcc_lo, 0, v9
	s_cmp_lg_u32 vcc_lo, 0
	s_cselect_b32 s0, -1, 0
	s_delay_alu instid0(SALU_CYCLE_1) | instskip(NEXT) | instid1(SALU_CYCLE_1)
	s_and_b32 s0, s2, s0
	s_and_saveexec_b32 s20, s0
	s_cbranch_execz .LBB26_451
; %bb.448:                              ;   in Loop: Header=BB26_444 Depth=1
	s_mov_b32 s24, exec_lo
	s_bcnt1_i32_b32 s22, vcc_lo
	v_mbcnt_lo_u32_b32 v5, s24, 0
	s_mov_b32 s23, exec_lo
                                        ; implicit-def: $vgpr9
	s_delay_alu instid0(VALU_DEP_1)
	v_cmpx_eq_u32_e32 0, v5
	s_cbranch_execz .LBB26_450
; %bb.449:                              ;   in Loop: Header=BB26_444 Depth=1
	s_bcnt1_i32_b32 s0, s24
	s_delay_alu instid0(SALU_CYCLE_1) | instskip(NEXT) | instid1(SALU_CYCLE_1)
	s_mul_i32 s0, s22, s0
	v_mov_b32_e32 v9, s0
	ds_add_rtn_u32 v9, v1, v9 offset:4108
.LBB26_450:                             ;   in Loop: Header=BB26_444 Depth=1
	s_or_b32 exec_lo, exec_lo, s23
	s_waitcnt lgkmcnt(0)
	v_readfirstlane_b32 s0, v9
	s_delay_alu instid0(VALU_DEP_1)
	v_mad_u32_u24 v5, s22, v5, s0
.LBB26_451:                             ;   in Loop: Header=BB26_444 Depth=1
	s_or_b32 exec_lo, exec_lo, s20
	ds_bpermute_b32 v5, v1, v5
	s_cmp_eq_u32 vcc_lo, 0
	s_mov_b32 s20, -1
	s_cselect_b32 s22, -1, 0
	s_mov_b32 s23, -1
	s_waitcnt lgkmcnt(0)
	v_cmp_gt_u32_e64 s0, s37, v5
	s_delay_alu instid0(VALU_DEP_1) | instskip(SKIP_3) | instid1(SALU_CYCLE_1)
	s_or_b32 s0, s22, s0
	s_mov_b32 s22, -1
	v_cndmask_b32_e64 v7, v7, v8, s0
	s_and_b32 s24, s21, s0
	s_and_saveexec_b32 s21, s24
	s_cbranch_execz .LBB26_457
; %bb.452:                              ;   in Loop: Header=BB26_444 Depth=1
	v_and_b32_e32 v7, vcc_lo, v11
	v_sub_nc_u32_e32 v9, s37, v5
	s_mov_b32 s24, -1
	s_mov_b32 s23, exec_lo
	s_delay_alu instid0(VALU_DEP_2) | instskip(NEXT) | instid1(VALU_DEP_1)
	v_bcnt_u32_b32 v7, v7, 0
	v_cmp_le_u32_e64 s22, v9, v7
	v_cmpx_gt_u32_e64 v9, v7
	s_cbranch_execz .LBB26_456
; %bb.453:                              ;   in Loop: Header=BB26_444 Depth=1
	v_add_nc_u32_e32 v7, v5, v7
	s_delay_alu instid0(VALU_DEP_3) | instskip(SKIP_1) | instid1(VALU_DEP_1)
	s_mov_b32 s25, s22
	s_mov_b32 s24, exec_lo
	v_cmpx_gt_u32_e64 s37, v7
	s_cbranch_execz .LBB26_455
; %bb.454:                              ;   in Loop: Header=BB26_444 Depth=1
	v_mul_lo_u32 v9, v7, s12
	v_mov_b32_e32 v10, v1
	v_mul_lo_u32 v7, v7, s5
	s_or_b32 s25, s22, exec_lo
	s_delay_alu instid0(VALU_DEP_2)
	v_lshlrev_b64 v[9:10], 3, v[9:10]
	global_store_b8 v7, v3, s[6:7]
	v_add_co_u32 v9, vcc_lo, s14, v9
	v_add_co_ci_u32_e32 v10, vcc_lo, s15, v10, vcc_lo
	global_store_b64 v[9:10], v[0:1], off
.LBB26_455:                             ;   in Loop: Header=BB26_444 Depth=1
	s_or_b32 exec_lo, exec_lo, s24
	s_delay_alu instid0(SALU_CYCLE_1)
	s_and_not1_b32 s22, s22, exec_lo
	s_and_b32 s25, s25, exec_lo
	s_xor_b32 s24, exec_lo, -1
	s_or_b32 s22, s22, s25
.LBB26_456:                             ;   in Loop: Header=BB26_444 Depth=1
	s_or_b32 exec_lo, exec_lo, s23
	v_mov_b32_e32 v7, v8
	s_or_not1_b32 s23, s24, exec_lo
	s_or_b32 s0, s0, exec_lo
	s_or_not1_b32 s22, s22, exec_lo
.LBB26_457:                             ;   in Loop: Header=BB26_444 Depth=1
	s_or_b32 exec_lo, exec_lo, s21
	s_and_saveexec_b32 s21, s22
	s_cbranch_execz .LBB26_442
; %bb.458:                              ;   in Loop: Header=BB26_444 Depth=1
	v_add_nc_u32_e32 v4, s35, v4
	s_xor_b32 s0, s0, -1
	s_or_b32 s23, s23, exec_lo
	s_or_not1_b32 s20, s0, exec_lo
	s_branch .LBB26_442
.LBB26_459:
	s_or_b32 exec_lo, exec_lo, s4
	s_mov_b32 s0, 0
	s_and_saveexec_b32 s2, s1
	s_delay_alu instid0(SALU_CYCLE_1)
	s_xor_b32 s1, exec_lo, s2
	s_cbranch_execnz .LBB26_491
.LBB26_460:
	s_or_b32 exec_lo, exec_lo, s1
	s_delay_alu instid0(SALU_CYCLE_1)
	s_and_b32 s1, s0, exec_lo
	s_and_not1_b32 s16, s16, exec_lo
.LBB26_461:
	s_or_b32 exec_lo, exec_lo, s3
	s_and_saveexec_b32 s0, s16
	s_delay_alu instid0(SALU_CYCLE_1)
	s_xor_b32 s0, exec_lo, s0
	s_cbranch_execnz .LBB26_487
.LBB26_462:
	s_or_b32 exec_lo, exec_lo, s0
	s_waitcnt lgkmcnt(0)
	s_and_b32 s12, s1, exec_lo
.LBB26_463:
	s_and_not1_saveexec_b32 s0, s11
	s_cbranch_execnz .LBB26_483
.LBB26_464:
	s_or_b32 exec_lo, exec_lo, s0
	s_delay_alu instid0(SALU_CYCLE_1)
	s_and_b32 s11, s12, exec_lo
.LBB26_465:
	s_and_not1_saveexec_b32 s0, s10
	s_cbranch_execnz .LBB26_479
.LBB26_466:
	s_or_b32 exec_lo, exec_lo, s0
	s_delay_alu instid0(SALU_CYCLE_1)
	s_and_b32 s10, s11, exec_lo
.LBB26_467:
	s_and_not1_saveexec_b32 s0, s9
	s_cbranch_execnz .LBB26_475
.LBB26_468:
	s_or_b32 exec_lo, exec_lo, s0
	s_delay_alu instid0(SALU_CYCLE_1)
	s_and_b32 s9, s10, exec_lo
.LBB26_469:
	s_and_not1_saveexec_b32 s0, s8
	s_cbranch_execnz .LBB26_473
; %bb.470:
	s_or_b32 exec_lo, exec_lo, s0
	s_and_saveexec_b32 s0, s9
.LBB26_471:
	; divergent unreachable
.LBB26_472:
	s_nop 0
	s_sendmsg sendmsg(MSG_DEALLOC_VGPRS)
	s_endpgm
.LBB26_473:
	s_cbranch_execnz .LBB26_477
; %bb.474:
	s_or_b32 s9, s9, exec_lo
	s_or_b32 exec_lo, exec_lo, s0
	s_and_saveexec_b32 s0, s9
	s_cbranch_execnz .LBB26_471
	s_branch .LBB26_472
.LBB26_475:
	s_cbranch_execnz .LBB26_481
; %bb.476:
	s_or_b32 s10, s10, exec_lo
	s_branch .LBB26_468
.LBB26_477:
	s_trap 2
	s_sendmsg_rtn_b32 s0, sendmsg(MSG_RTN_GET_DOORBELL)
	s_mov_b32 ttmp2, m0
	s_waitcnt lgkmcnt(0)
	s_and_b32 s0, s0, 0x3ff
	s_delay_alu instid0(SALU_CYCLE_1) | instskip(NEXT) | instid1(SALU_CYCLE_1)
	s_bitset1_b32 s0, 10
	s_mov_b32 m0, s0
	s_sendmsg sendmsg(MSG_INTERRUPT)
	s_mov_b32 m0, ttmp2
.LBB26_478:                             ; =>This Inner Loop Header: Depth=1
	s_sethalt 5
	s_branch .LBB26_478
.LBB26_479:
	s_cbranch_execnz .LBB26_485
; %bb.480:
	s_or_b32 s11, s11, exec_lo
	s_branch .LBB26_466
.LBB26_481:
	s_trap 2
	s_sendmsg_rtn_b32 s0, sendmsg(MSG_RTN_GET_DOORBELL)
	s_mov_b32 ttmp2, m0
	s_waitcnt lgkmcnt(0)
	s_and_b32 s0, s0, 0x3ff
	s_delay_alu instid0(SALU_CYCLE_1) | instskip(NEXT) | instid1(SALU_CYCLE_1)
	s_bitset1_b32 s0, 10
	s_mov_b32 m0, s0
	s_sendmsg sendmsg(MSG_INTERRUPT)
	s_mov_b32 m0, ttmp2
.LBB26_482:                             ; =>This Inner Loop Header: Depth=1
	s_sethalt 5
	s_branch .LBB26_482
.LBB26_483:
	s_cbranch_execnz .LBB26_489
; %bb.484:
	s_or_b32 s12, s12, exec_lo
	s_branch .LBB26_464
.LBB26_485:
	s_trap 2
	s_sendmsg_rtn_b32 s0, sendmsg(MSG_RTN_GET_DOORBELL)
	s_mov_b32 ttmp2, m0
	s_waitcnt lgkmcnt(0)
	s_and_b32 s0, s0, 0x3ff
	s_delay_alu instid0(SALU_CYCLE_1) | instskip(NEXT) | instid1(SALU_CYCLE_1)
	s_bitset1_b32 s0, 10
	s_mov_b32 m0, s0
	s_sendmsg sendmsg(MSG_INTERRUPT)
	s_mov_b32 m0, ttmp2
.LBB26_486:                             ; =>This Inner Loop Header: Depth=1
	s_sethalt 5
	s_branch .LBB26_486
.LBB26_487:
	s_cbranch_execnz .LBB26_493
; %bb.488:
	s_or_b32 s1, s1, exec_lo
	s_branch .LBB26_462
.LBB26_489:
	s_trap 2
	s_sendmsg_rtn_b32 s0, sendmsg(MSG_RTN_GET_DOORBELL)
	s_mov_b32 ttmp2, m0
	s_waitcnt lgkmcnt(0)
	s_and_b32 s0, s0, 0x3ff
	s_delay_alu instid0(SALU_CYCLE_1) | instskip(NEXT) | instid1(SALU_CYCLE_1)
	s_bitset1_b32 s0, 10
	s_mov_b32 m0, s0
	s_sendmsg sendmsg(MSG_INTERRUPT)
	s_mov_b32 m0, ttmp2
.LBB26_490:                             ; =>This Inner Loop Header: Depth=1
	s_sethalt 5
	s_branch .LBB26_490
.LBB26_491:
	s_cbranch_execnz .LBB26_495
; %bb.492:
	s_mov_b32 s0, exec_lo
	s_branch .LBB26_460
.LBB26_493:
	s_trap 2
	s_sendmsg_rtn_b32 s0, sendmsg(MSG_RTN_GET_DOORBELL)
	s_mov_b32 ttmp2, m0
	s_waitcnt lgkmcnt(0)
	s_and_b32 s0, s0, 0x3ff
	s_delay_alu instid0(SALU_CYCLE_1) | instskip(NEXT) | instid1(SALU_CYCLE_1)
	s_bitset1_b32 s0, 10
	s_mov_b32 m0, s0
	s_sendmsg sendmsg(MSG_INTERRUPT)
	s_mov_b32 m0, ttmp2
.LBB26_494:                             ; =>This Inner Loop Header: Depth=1
	s_sethalt 5
	s_branch .LBB26_494
.LBB26_495:
	s_trap 2
	s_sendmsg_rtn_b32 s0, sendmsg(MSG_RTN_GET_DOORBELL)
	s_mov_b32 ttmp2, m0
	s_waitcnt lgkmcnt(0)
	s_and_b32 s0, s0, 0x3ff
	s_delay_alu instid0(SALU_CYCLE_1) | instskip(NEXT) | instid1(SALU_CYCLE_1)
	s_bitset1_b32 s0, 10
	s_mov_b32 m0, s0
	s_sendmsg sendmsg(MSG_INTERRUPT)
	s_mov_b32 m0, ttmp2
.LBB26_496:                             ; =>This Inner Loop Header: Depth=1
	s_sethalt 5
	s_branch .LBB26_496
	.section	.rodata,"a",@progbits
	.p2align	6, 0x0
	.amdhsa_kernel _ZN2at6native6sbtopk10gatherTopKIajLin1ELb0EEEvNS_4cuda6detail10TensorInfoIKT_T0_EES8_S8_bS8_S8_NS5_IS6_S8_EES8_NS5_IlS8_EES8_PS6_
		.amdhsa_group_segment_fixed_size 4112
		.amdhsa_private_segment_fixed_size 0
		.amdhsa_kernarg_size 952
		.amdhsa_user_sgpr_count 13
		.amdhsa_user_sgpr_dispatch_ptr 0
		.amdhsa_user_sgpr_queue_ptr 0
		.amdhsa_user_sgpr_kernarg_segment_ptr 1
		.amdhsa_user_sgpr_dispatch_id 0
		.amdhsa_user_sgpr_private_segment_size 0
		.amdhsa_wavefront_size32 1
		.amdhsa_uses_dynamic_stack 0
		.amdhsa_enable_private_segment 0
		.amdhsa_system_sgpr_workgroup_id_x 1
		.amdhsa_system_sgpr_workgroup_id_y 1
		.amdhsa_system_sgpr_workgroup_id_z 1
		.amdhsa_system_sgpr_workgroup_info 0
		.amdhsa_system_vgpr_workitem_id 0
		.amdhsa_next_free_vgpr 40
		.amdhsa_next_free_sgpr 91
		.amdhsa_reserve_vcc 1
		.amdhsa_float_round_mode_32 0
		.amdhsa_float_round_mode_16_64 0
		.amdhsa_float_denorm_mode_32 3
		.amdhsa_float_denorm_mode_16_64 3
		.amdhsa_dx10_clamp 1
		.amdhsa_ieee_mode 1
		.amdhsa_fp16_overflow 0
		.amdhsa_workgroup_processor_mode 1
		.amdhsa_memory_ordered 1
		.amdhsa_forward_progress 0
		.amdhsa_shared_vgpr_count 0
		.amdhsa_exception_fp_ieee_invalid_op 0
		.amdhsa_exception_fp_denorm_src 0
		.amdhsa_exception_fp_ieee_div_zero 0
		.amdhsa_exception_fp_ieee_overflow 0
		.amdhsa_exception_fp_ieee_underflow 0
		.amdhsa_exception_fp_ieee_inexact 0
		.amdhsa_exception_int_div_zero 0
	.end_amdhsa_kernel
	.section	.text._ZN2at6native6sbtopk10gatherTopKIajLin1ELb0EEEvNS_4cuda6detail10TensorInfoIKT_T0_EES8_S8_bS8_S8_NS5_IS6_S8_EES8_NS5_IlS8_EES8_PS6_,"axG",@progbits,_ZN2at6native6sbtopk10gatherTopKIajLin1ELb0EEEvNS_4cuda6detail10TensorInfoIKT_T0_EES8_S8_bS8_S8_NS5_IS6_S8_EES8_NS5_IlS8_EES8_PS6_,comdat
.Lfunc_end26:
	.size	_ZN2at6native6sbtopk10gatherTopKIajLin1ELb0EEEvNS_4cuda6detail10TensorInfoIKT_T0_EES8_S8_bS8_S8_NS5_IS6_S8_EES8_NS5_IlS8_EES8_PS6_, .Lfunc_end26-_ZN2at6native6sbtopk10gatherTopKIajLin1ELb0EEEvNS_4cuda6detail10TensorInfoIKT_T0_EES8_S8_bS8_S8_NS5_IS6_S8_EES8_NS5_IlS8_EES8_PS6_
                                        ; -- End function
	.section	.AMDGPU.csdata,"",@progbits
; Kernel info:
; codeLenInByte = 16036
; NumSgprs: 93
; NumVgprs: 40
; ScratchSize: 0
; MemoryBound: 0
; FloatMode: 240
; IeeeMode: 1
; LDSByteSize: 4112 bytes/workgroup (compile time only)
; SGPRBlocks: 11
; VGPRBlocks: 4
; NumSGPRsForWavesPerEU: 93
; NumVGPRsForWavesPerEU: 40
; Occupancy: 16
; WaveLimiterHint : 1
; COMPUTE_PGM_RSRC2:SCRATCH_EN: 0
; COMPUTE_PGM_RSRC2:USER_SGPR: 13
; COMPUTE_PGM_RSRC2:TRAP_HANDLER: 0
; COMPUTE_PGM_RSRC2:TGID_X_EN: 1
; COMPUTE_PGM_RSRC2:TGID_Y_EN: 1
; COMPUTE_PGM_RSRC2:TGID_Z_EN: 1
; COMPUTE_PGM_RSRC2:TIDIG_COMP_CNT: 0
	.section	.text._ZN2at6native6mbtopk23computeBlockDigitCountsIijjLi1EEEvNS_4cuda6detail10TensorInfoIKT_T0_EEjPjjS8_iijT1_PSB_Ps,"axG",@progbits,_ZN2at6native6mbtopk23computeBlockDigitCountsIijjLi1EEEvNS_4cuda6detail10TensorInfoIKT_T0_EEjPjjS8_iijT1_PSB_Ps,comdat
	.protected	_ZN2at6native6mbtopk23computeBlockDigitCountsIijjLi1EEEvNS_4cuda6detail10TensorInfoIKT_T0_EEjPjjS8_iijT1_PSB_Ps ; -- Begin function _ZN2at6native6mbtopk23computeBlockDigitCountsIijjLi1EEEvNS_4cuda6detail10TensorInfoIKT_T0_EEjPjjS8_iijT1_PSB_Ps
	.globl	_ZN2at6native6mbtopk23computeBlockDigitCountsIijjLi1EEEvNS_4cuda6detail10TensorInfoIKT_T0_EEjPjjS8_iijT1_PSB_Ps
	.p2align	8
	.type	_ZN2at6native6mbtopk23computeBlockDigitCountsIijjLi1EEEvNS_4cuda6detail10TensorInfoIKT_T0_EEjPjjS8_iijT1_PSB_Ps,@function
_ZN2at6native6mbtopk23computeBlockDigitCountsIijjLi1EEEvNS_4cuda6detail10TensorInfoIKT_T0_EEjPjjS8_iijT1_PSB_Ps: ; @_ZN2at6native6mbtopk23computeBlockDigitCountsIijjLi1EEEvNS_4cuda6detail10TensorInfoIKT_T0_EEjPjjS8_iijT1_PSB_Ps
; %bb.0:
	s_clause 0x2
	s_load_b64 s[2:3], s[0:1], 0xf8
	s_load_b128 s[8:11], s[0:1], 0xe8
	s_load_b64 s[4:5], s[0:1], 0x110
	s_waitcnt lgkmcnt(0)
	v_cvt_f32_u32_e32 v1, s2
	s_sub_i32 s7, 0, s2
	s_mul_i32 s5, s5, s15
	s_delay_alu instid0(SALU_CYCLE_1) | instskip(NEXT) | instid1(VALU_DEP_1)
	s_add_i32 s5, s5, s14
	v_rcp_iflag_f32_e32 v1, v1
	s_mul_i32 s16, s5, s4
	s_delay_alu instid0(SALU_CYCLE_1) | instskip(SKIP_3) | instid1(VALU_DEP_1)
	s_add_i32 s16, s16, s13
	s_mov_b32 s13, 0
	s_waitcnt_depctr 0xfff
	v_mul_f32_e32 v1, 0x4f7ffffe, v1
	v_cvt_u32_f32_e32 v1, v1
	s_delay_alu instid0(VALU_DEP_1) | instskip(NEXT) | instid1(VALU_DEP_1)
	v_readfirstlane_b32 s6, v1
	s_mul_i32 s7, s7, s6
	s_delay_alu instid0(SALU_CYCLE_1) | instskip(NEXT) | instid1(SALU_CYCLE_1)
	s_mul_hi_u32 s4, s6, s7
	s_add_i32 s6, s6, s4
	s_delay_alu instid0(SALU_CYCLE_1) | instskip(NEXT) | instid1(SALU_CYCLE_1)
	s_mul_hi_u32 s4, s16, s6
	s_mul_i32 s5, s4, s2
	s_add_i32 s6, s4, 1
	s_sub_i32 s5, s16, s5
	s_delay_alu instid0(SALU_CYCLE_1)
	s_sub_i32 s7, s5, s2
	s_cmp_ge_u32 s5, s2
	s_cselect_b32 s4, s6, s4
	s_cselect_b32 s5, s7, s5
	s_add_i32 s6, s4, 1
	s_cmp_ge_u32 s5, s2
	s_cselect_b32 s12, s6, s4
	s_delay_alu instid0(SALU_CYCLE_1)
	s_cmp_ge_u32 s12, s8
	s_cbranch_scc1 .LBB27_29
; %bb.1:
	s_load_b128 s[4:7], s[0:1], 0x100
	s_lshl_b64 s[14:15], s[12:13], 2
	v_cmp_gt_u32_e32 vcc_lo, 0x100, v0
	v_lshlrev_b32_e32 v3, 2, v0
	s_waitcnt lgkmcnt(0)
	s_add_u32 s14, s4, s14
	s_addc_u32 s15, s5, s15
	s_and_saveexec_b32 s4, vcc_lo
	s_cbranch_execz .LBB27_3
; %bb.2:
	v_mov_b32_e32 v1, 0
	ds_store_b32 v3, v1
.LBB27_3:
	s_or_b32 exec_lo, exec_lo, s4
	s_load_b32 s8, s[0:1], 0xd8
	s_mul_i32 s4, s12, s2
	s_waitcnt lgkmcnt(0)
	s_sub_i32 s4, s16, s4
	s_barrier
	s_mul_i32 s5, s11, s4
	s_add_i32 s4, s4, 1
	s_lshl_b32 s13, s5, 8
	buffer_gl0_inv
	s_sub_i32 s5, s8, s13
	s_delay_alu instid0(SALU_CYCLE_1) | instskip(SKIP_3) | instid1(VALU_DEP_1)
	s_add_u32 s5, s5, 0xff
	s_addc_u32 s17, 0, 0
	s_cmp_lt_u32 s4, s2
	v_alignbit_b32 v1, s17, s5, 8
	v_readfirstlane_b32 s5, v1
	s_delay_alu instid0(VALU_DEP_1)
	s_cselect_b32 s11, s11, s5
	s_mov_b32 s5, 0
	s_cmp_lt_i32 s11, 1
	s_cbranch_scc1 .LBB27_25
; %bb.4:
	s_clause 0x1
	s_load_b32 s2, s[0:1], 0x6c
	s_load_b64 s[18:19], s[0:1], 0x0
	s_load_b32 s1, s[14:15], 0x0
	s_waitcnt lgkmcnt(0)
	s_mul_i32 s4, s2, s12
	s_delay_alu instid0(SALU_CYCLE_1) | instskip(NEXT) | instid1(SALU_CYCLE_1)
	s_lshl_b64 s[14:15], s[4:5], 2
	s_add_u32 s2, s18, s14
	s_addc_u32 s4, s19, s15
	s_and_b32 s10, s10, 0xff
	s_cmp_lt_u32 s11, 4
	s_cbranch_scc1 .LBB27_19
; %bb.5:
	v_add_nc_u32_e32 v1, s13, v0
	s_and_b32 s5, s11, 0x7ffffffc
	s_lshl_b32 s12, s9, 10
	s_mov_b32 s14, 0
	s_mov_b32 s15, 0
	v_dual_mov_b32 v9, 1 :: v_dual_add_nc_u32 v2, 0x200, v1
	s_delay_alu instid0(VALU_DEP_1) | instskip(SKIP_4) | instid1(VALU_DEP_3)
	v_mul_lo_u32 v6, s9, v2
	v_mov_b32_e32 v2, 0
	v_add_nc_u32_e32 v4, 0x300, v1
	v_add_nc_u32_e32 v7, 0x100, v1
	v_mul_lo_u32 v8, s9, v1
	v_mul_lo_u32 v5, s9, v4
	s_delay_alu instid0(VALU_DEP_3)
	v_mul_lo_u32 v7, s9, v7
	s_branch .LBB27_7
.LBB27_6:                               ;   in Loop: Header=BB27_7 Depth=1
	s_or_b32 exec_lo, exec_lo, s17
	v_add_nc_u32_e32 v4, 0x400, v4
	s_add_i32 s15, s15, 4
	s_add_i32 s14, s14, s12
	s_cmp_eq_u32 s5, s15
	s_cbranch_scc1 .LBB27_19
.LBB27_7:                               ; =>This Inner Loop Header: Depth=1
	v_add_nc_u32_e32 v1, 0xfffffd00, v4
	s_mov_b32 s17, exec_lo
	s_delay_alu instid0(VALU_DEP_1)
	v_cmpx_gt_u32_e64 s8, v1
	s_cbranch_execz .LBB27_10
; %bb.8:                                ;   in Loop: Header=BB27_7 Depth=1
	v_add_nc_u32_e32 v1, s14, v8
	s_delay_alu instid0(VALU_DEP_1) | instskip(NEXT) | instid1(VALU_DEP_1)
	v_lshlrev_b64 v[10:11], 2, v[1:2]
	v_add_co_u32 v10, s0, s2, v10
	s_delay_alu instid0(VALU_DEP_1) | instskip(SKIP_3) | instid1(VALU_DEP_1)
	v_add_co_ci_u32_e64 v11, s0, s4, v11, s0
	global_load_b32 v1, v[10:11], off
	s_waitcnt vmcnt(0)
	v_xor_b32_e32 v1, 0x80000000, v1
	v_xor_b32_e32 v10, s1, v1
	s_delay_alu instid0(VALU_DEP_1) | instskip(NEXT) | instid1(VALU_DEP_1)
	v_and_b32_e32 v10, s3, v10
	v_cmp_eq_u32_e64 s0, 0, v10
	s_delay_alu instid0(VALU_DEP_1)
	s_and_b32 exec_lo, exec_lo, s0
	s_cbranch_execz .LBB27_10
; %bb.9:                                ;   in Loop: Header=BB27_7 Depth=1
	v_bfe_u32 v1, v1, s10, 8
	s_delay_alu instid0(VALU_DEP_1)
	v_lshlrev_b32_e32 v1, 2, v1
	ds_add_u32 v1, v9
.LBB27_10:                              ;   in Loop: Header=BB27_7 Depth=1
	s_or_b32 exec_lo, exec_lo, s17
	v_add_nc_u32_e32 v1, 0xfffffe00, v4
	s_mov_b32 s17, exec_lo
	s_delay_alu instid0(VALU_DEP_1)
	v_cmpx_gt_u32_e64 s8, v1
	s_cbranch_execz .LBB27_13
; %bb.11:                               ;   in Loop: Header=BB27_7 Depth=1
	v_add_nc_u32_e32 v1, s14, v7
	s_delay_alu instid0(VALU_DEP_1) | instskip(NEXT) | instid1(VALU_DEP_1)
	v_lshlrev_b64 v[10:11], 2, v[1:2]
	v_add_co_u32 v10, s0, s2, v10
	s_delay_alu instid0(VALU_DEP_1) | instskip(SKIP_3) | instid1(VALU_DEP_1)
	v_add_co_ci_u32_e64 v11, s0, s4, v11, s0
	global_load_b32 v1, v[10:11], off
	s_waitcnt vmcnt(0)
	v_xor_b32_e32 v1, 0x80000000, v1
	v_xor_b32_e32 v10, s1, v1
	s_delay_alu instid0(VALU_DEP_1) | instskip(NEXT) | instid1(VALU_DEP_1)
	v_and_b32_e32 v10, s3, v10
	v_cmp_eq_u32_e64 s0, 0, v10
	s_delay_alu instid0(VALU_DEP_1)
	s_and_b32 exec_lo, exec_lo, s0
	s_cbranch_execz .LBB27_13
; %bb.12:                               ;   in Loop: Header=BB27_7 Depth=1
	v_bfe_u32 v1, v1, s10, 8
	s_delay_alu instid0(VALU_DEP_1)
	v_lshlrev_b32_e32 v1, 2, v1
	ds_add_u32 v1, v9
.LBB27_13:                              ;   in Loop: Header=BB27_7 Depth=1
	s_or_b32 exec_lo, exec_lo, s17
	v_add_nc_u32_e32 v1, 0xffffff00, v4
	s_mov_b32 s17, exec_lo
	s_delay_alu instid0(VALU_DEP_1)
	v_cmpx_gt_u32_e64 s8, v1
	s_cbranch_execz .LBB27_16
; %bb.14:                               ;   in Loop: Header=BB27_7 Depth=1
	v_add_nc_u32_e32 v1, s14, v6
	s_delay_alu instid0(VALU_DEP_1) | instskip(NEXT) | instid1(VALU_DEP_1)
	v_lshlrev_b64 v[10:11], 2, v[1:2]
	v_add_co_u32 v10, s0, s2, v10
	s_delay_alu instid0(VALU_DEP_1) | instskip(SKIP_3) | instid1(VALU_DEP_1)
	v_add_co_ci_u32_e64 v11, s0, s4, v11, s0
	global_load_b32 v1, v[10:11], off
	s_waitcnt vmcnt(0)
	v_xor_b32_e32 v1, 0x80000000, v1
	v_xor_b32_e32 v10, s1, v1
	s_delay_alu instid0(VALU_DEP_1) | instskip(NEXT) | instid1(VALU_DEP_1)
	v_and_b32_e32 v10, s3, v10
	v_cmp_eq_u32_e64 s0, 0, v10
	s_delay_alu instid0(VALU_DEP_1)
	s_and_b32 exec_lo, exec_lo, s0
	s_cbranch_execz .LBB27_16
; %bb.15:                               ;   in Loop: Header=BB27_7 Depth=1
	v_bfe_u32 v1, v1, s10, 8
	s_delay_alu instid0(VALU_DEP_1)
	v_lshlrev_b32_e32 v1, 2, v1
	ds_add_u32 v1, v9
.LBB27_16:                              ;   in Loop: Header=BB27_7 Depth=1
	s_or_b32 exec_lo, exec_lo, s17
	s_delay_alu instid0(SALU_CYCLE_1)
	s_mov_b32 s17, exec_lo
	v_cmpx_gt_u32_e64 s8, v4
	s_cbranch_execz .LBB27_6
; %bb.17:                               ;   in Loop: Header=BB27_7 Depth=1
	v_add_nc_u32_e32 v1, s14, v5
	s_delay_alu instid0(VALU_DEP_1) | instskip(NEXT) | instid1(VALU_DEP_1)
	v_lshlrev_b64 v[10:11], 2, v[1:2]
	v_add_co_u32 v10, s0, s2, v10
	s_delay_alu instid0(VALU_DEP_1) | instskip(SKIP_3) | instid1(VALU_DEP_1)
	v_add_co_ci_u32_e64 v11, s0, s4, v11, s0
	global_load_b32 v1, v[10:11], off
	s_waitcnt vmcnt(0)
	v_xor_b32_e32 v1, 0x80000000, v1
	v_xor_b32_e32 v10, s1, v1
	s_delay_alu instid0(VALU_DEP_1) | instskip(NEXT) | instid1(VALU_DEP_1)
	v_and_b32_e32 v10, s3, v10
	v_cmp_eq_u32_e64 s0, 0, v10
	s_delay_alu instid0(VALU_DEP_1)
	s_and_b32 exec_lo, exec_lo, s0
	s_cbranch_execz .LBB27_6
; %bb.18:                               ;   in Loop: Header=BB27_7 Depth=1
	v_bfe_u32 v1, v1, s10, 8
	s_delay_alu instid0(VALU_DEP_1)
	v_lshlrev_b32_e32 v1, 2, v1
	ds_add_u32 v1, v9
	s_branch .LBB27_6
.LBB27_19:
	s_and_b32 s11, s11, 3
	s_delay_alu instid0(SALU_CYCLE_1)
	s_cmp_eq_u32 s11, 0
	s_cbranch_scc1 .LBB27_25
; %bb.20:
	s_lshl_b32 s0, s5, 8
	v_dual_mov_b32 v2, 0 :: v_dual_mov_b32 v5, 1
	v_add3_u32 v4, s0, s13, v0
	s_lshl_b32 s5, s9, 8
	s_delay_alu instid0(VALU_DEP_1)
	v_mul_lo_u32 v1, s9, v4
	s_set_inst_prefetch_distance 0x1
	s_branch .LBB27_22
	.p2align	6
.LBB27_21:                              ;   in Loop: Header=BB27_22 Depth=1
	s_or_b32 exec_lo, exec_lo, s9
	s_delay_alu instid0(VALU_DEP_2) | instskip(SKIP_2) | instid1(SALU_CYCLE_1)
	v_add_nc_u32_e32 v1, s5, v1
	v_add_nc_u32_e32 v4, 0x100, v4
	s_add_i32 s11, s11, -1
	s_cmp_lg_u32 s11, 0
	s_cbranch_scc0 .LBB27_25
.LBB27_22:                              ; =>This Inner Loop Header: Depth=1
	s_mov_b32 s9, exec_lo
	v_cmpx_gt_u32_e64 s8, v4
	s_cbranch_execz .LBB27_21
; %bb.23:                               ;   in Loop: Header=BB27_22 Depth=1
	s_delay_alu instid0(VALU_DEP_2) | instskip(NEXT) | instid1(VALU_DEP_1)
	v_lshlrev_b64 v[6:7], 2, v[1:2]
	v_add_co_u32 v6, s0, s2, v6
	s_delay_alu instid0(VALU_DEP_1) | instskip(SKIP_3) | instid1(VALU_DEP_1)
	v_add_co_ci_u32_e64 v7, s0, s4, v7, s0
	global_load_b32 v6, v[6:7], off
	s_waitcnt vmcnt(0)
	v_xor_b32_e32 v6, 0x80000000, v6
	v_xor_b32_e32 v7, s1, v6
	s_delay_alu instid0(VALU_DEP_1) | instskip(NEXT) | instid1(VALU_DEP_1)
	v_and_b32_e32 v7, s3, v7
	v_cmp_eq_u32_e64 s0, 0, v7
	s_delay_alu instid0(VALU_DEP_1)
	s_and_b32 exec_lo, exec_lo, s0
	s_cbranch_execz .LBB27_21
; %bb.24:                               ;   in Loop: Header=BB27_22 Depth=1
	v_bfe_u32 v6, v6, s10, 8
	s_delay_alu instid0(VALU_DEP_1)
	v_lshlrev_b32_e32 v6, 2, v6
	ds_add_u32 v6, v5
	s_branch .LBB27_21
.LBB27_25:
	s_set_inst_prefetch_distance 0x2
	v_mov_b32_e32 v1, 0
	s_waitcnt lgkmcnt(0)
	s_barrier
	buffer_gl0_inv
	s_and_saveexec_b32 s0, vcc_lo
	s_cbranch_execz .LBB27_27
; %bb.26:
	ds_load_b32 v1, v3
.LBB27_27:
	s_or_b32 exec_lo, exec_lo, s0
	s_and_saveexec_b32 s0, vcc_lo
	s_cbranch_execz .LBB27_29
; %bb.28:
	v_lshl_or_b32 v2, s16, 8, v0
	v_mov_b32_e32 v3, 0
	s_delay_alu instid0(VALU_DEP_1) | instskip(NEXT) | instid1(VALU_DEP_1)
	v_lshlrev_b64 v[2:3], 1, v[2:3]
	v_add_co_u32 v2, vcc_lo, s6, v2
	s_delay_alu instid0(VALU_DEP_2)
	v_add_co_ci_u32_e32 v3, vcc_lo, s7, v3, vcc_lo
	s_waitcnt lgkmcnt(0)
	global_store_b16 v[2:3], v1, off
.LBB27_29:
	s_nop 0
	s_sendmsg sendmsg(MSG_DEALLOC_VGPRS)
	s_endpgm
	.section	.rodata,"a",@progbits
	.p2align	6, 0x0
	.amdhsa_kernel _ZN2at6native6mbtopk23computeBlockDigitCountsIijjLi1EEEvNS_4cuda6detail10TensorInfoIKT_T0_EEjPjjS8_iijT1_PSB_Ps
		.amdhsa_group_segment_fixed_size 1024
		.amdhsa_private_segment_fixed_size 0
		.amdhsa_kernarg_size 528
		.amdhsa_user_sgpr_count 13
		.amdhsa_user_sgpr_dispatch_ptr 0
		.amdhsa_user_sgpr_queue_ptr 0
		.amdhsa_user_sgpr_kernarg_segment_ptr 1
		.amdhsa_user_sgpr_dispatch_id 0
		.amdhsa_user_sgpr_private_segment_size 0
		.amdhsa_wavefront_size32 1
		.amdhsa_uses_dynamic_stack 0
		.amdhsa_enable_private_segment 0
		.amdhsa_system_sgpr_workgroup_id_x 1
		.amdhsa_system_sgpr_workgroup_id_y 1
		.amdhsa_system_sgpr_workgroup_id_z 1
		.amdhsa_system_sgpr_workgroup_info 0
		.amdhsa_system_vgpr_workitem_id 0
		.amdhsa_next_free_vgpr 12
		.amdhsa_next_free_sgpr 20
		.amdhsa_reserve_vcc 1
		.amdhsa_float_round_mode_32 0
		.amdhsa_float_round_mode_16_64 0
		.amdhsa_float_denorm_mode_32 3
		.amdhsa_float_denorm_mode_16_64 3
		.amdhsa_dx10_clamp 1
		.amdhsa_ieee_mode 1
		.amdhsa_fp16_overflow 0
		.amdhsa_workgroup_processor_mode 1
		.amdhsa_memory_ordered 1
		.amdhsa_forward_progress 0
		.amdhsa_shared_vgpr_count 0
		.amdhsa_exception_fp_ieee_invalid_op 0
		.amdhsa_exception_fp_denorm_src 0
		.amdhsa_exception_fp_ieee_div_zero 0
		.amdhsa_exception_fp_ieee_overflow 0
		.amdhsa_exception_fp_ieee_underflow 0
		.amdhsa_exception_fp_ieee_inexact 0
		.amdhsa_exception_int_div_zero 0
	.end_amdhsa_kernel
	.section	.text._ZN2at6native6mbtopk23computeBlockDigitCountsIijjLi1EEEvNS_4cuda6detail10TensorInfoIKT_T0_EEjPjjS8_iijT1_PSB_Ps,"axG",@progbits,_ZN2at6native6mbtopk23computeBlockDigitCountsIijjLi1EEEvNS_4cuda6detail10TensorInfoIKT_T0_EEjPjjS8_iijT1_PSB_Ps,comdat
.Lfunc_end27:
	.size	_ZN2at6native6mbtopk23computeBlockDigitCountsIijjLi1EEEvNS_4cuda6detail10TensorInfoIKT_T0_EEjPjjS8_iijT1_PSB_Ps, .Lfunc_end27-_ZN2at6native6mbtopk23computeBlockDigitCountsIijjLi1EEEvNS_4cuda6detail10TensorInfoIKT_T0_EEjPjjS8_iijT1_PSB_Ps
                                        ; -- End function
	.section	.AMDGPU.csdata,"",@progbits
; Kernel info:
; codeLenInByte = 1436
; NumSgprs: 22
; NumVgprs: 12
; ScratchSize: 0
; MemoryBound: 0
; FloatMode: 240
; IeeeMode: 1
; LDSByteSize: 1024 bytes/workgroup (compile time only)
; SGPRBlocks: 2
; VGPRBlocks: 1
; NumSGPRsForWavesPerEU: 22
; NumVGPRsForWavesPerEU: 12
; Occupancy: 16
; WaveLimiterHint : 1
; COMPUTE_PGM_RSRC2:SCRATCH_EN: 0
; COMPUTE_PGM_RSRC2:USER_SGPR: 13
; COMPUTE_PGM_RSRC2:TRAP_HANDLER: 0
; COMPUTE_PGM_RSRC2:TGID_X_EN: 1
; COMPUTE_PGM_RSRC2:TGID_Y_EN: 1
; COMPUTE_PGM_RSRC2:TGID_Z_EN: 1
; COMPUTE_PGM_RSRC2:TIDIG_COMP_CNT: 0
	.section	.text._ZN2at6native6mbtopk29computeBlockwiseWithinKCountsIjiEEvPT_PsPjjibS6_PT0_S6_S4_S6_j,"axG",@progbits,_ZN2at6native6mbtopk29computeBlockwiseWithinKCountsIjiEEvPT_PsPjjibS6_PT0_S6_S4_S6_j,comdat
	.protected	_ZN2at6native6mbtopk29computeBlockwiseWithinKCountsIjiEEvPT_PsPjjibS6_PT0_S6_S4_S6_j ; -- Begin function _ZN2at6native6mbtopk29computeBlockwiseWithinKCountsIjiEEvPT_PsPjjibS6_PT0_S6_S4_S6_j
	.globl	_ZN2at6native6mbtopk29computeBlockwiseWithinKCountsIjiEEvPT_PsPjjibS6_PT0_S6_S4_S6_j
	.p2align	8
	.type	_ZN2at6native6mbtopk29computeBlockwiseWithinKCountsIjiEEvPT_PsPjjibS6_PT0_S6_S4_S6_j,@function
_ZN2at6native6mbtopk29computeBlockwiseWithinKCountsIjiEEvPT_PsPjjibS6_PT0_S6_S4_S6_j: ; @_ZN2at6native6mbtopk29computeBlockwiseWithinKCountsIjiEEvPT_PsPjjibS6_PT0_S6_S4_S6_j
; %bb.0:
	s_clause 0x2
	s_load_b128 s[16:19], s[0:1], 0x18
	s_load_b64 s[2:3], s[0:1], 0x58
	s_load_b32 s4, s[0:1], 0x50
	s_waitcnt lgkmcnt(0)
	v_cvt_f32_u32_e32 v1, s16
	s_mul_i32 s3, s3, s15
	s_delay_alu instid0(SALU_CYCLE_1) | instskip(NEXT) | instid1(VALU_DEP_1)
	s_add_i32 s3, s3, s14
	v_rcp_iflag_f32_e32 v1, v1
	s_mul_i32 s2, s3, s2
	s_delay_alu instid0(SALU_CYCLE_1) | instskip(NEXT) | instid1(SALU_CYCLE_1)
	s_add_i32 s20, s2, s13
	s_cmp_ge_u32 s20, s4
	s_waitcnt_depctr 0xfff
	v_mul_f32_e32 v1, 0x4f7ffffe, v1
	s_delay_alu instid0(VALU_DEP_1) | instskip(NEXT) | instid1(VALU_DEP_1)
	v_cvt_u32_f32_e32 v1, v1
	v_readfirstlane_b32 s2, v1
	s_cbranch_scc1 .LBB28_37
; %bb.1:
	s_sub_i32 s3, 0, s16
	s_mov_b32 s21, 0
	s_delay_alu instid0(VALU_DEP_1)
	s_mul_i32 s3, s3, s2
	s_mov_b32 s27, s21
	s_mul_hi_u32 s3, s2, s3
	v_cmp_gt_u32_e32 vcc_lo, 0x100, v0
	s_add_i32 s4, s2, s3
	s_clause 0x1
	s_load_b64 s[2:3], s[0:1], 0x10
	s_load_b128 s[12:15], s[0:1], 0x0
	s_mul_hi_u32 s4, s20, s4
	s_delay_alu instid0(SALU_CYCLE_1) | instskip(SKIP_2) | instid1(SALU_CYCLE_1)
	s_mul_i32 s5, s4, s16
	s_add_i32 s6, s4, 1
	s_sub_i32 s5, s20, s5
	s_sub_i32 s7, s5, s16
	s_cmp_ge_u32 s5, s16
	s_cselect_b32 s4, s6, s4
	s_cselect_b32 s5, s7, s5
	s_add_i32 s6, s4, 1
	s_cmp_ge_u32 s5, s16
	s_cselect_b32 s26, s6, s4
	s_delay_alu instid0(SALU_CYCLE_1)
	s_lshl_b64 s[22:23], s[26:27], 2
	s_waitcnt lgkmcnt(0)
	s_add_u32 s4, s2, s22
	s_addc_u32 s5, s3, s23
	s_and_saveexec_b32 s3, vcc_lo
	s_cbranch_execz .LBB28_8
; %bb.2:
	s_mul_i32 s2, s26, s16
	s_mov_b32 s7, s21
	s_lshl_b32 s6, s2, 8
	v_lshlrev_b32_e32 v1, 1, v0
	s_lshl_b64 s[6:7], s[6:7], 1
	v_mov_b32_e32 v3, 0
	s_add_u32 s2, s14, s6
	s_addc_u32 s6, s15, s7
	v_add_co_u32 v1, s2, s2, v1
	s_delay_alu instid0(VALU_DEP_1)
	v_add_co_ci_u32_e64 v2, null, s6, 0, s2
	s_cmp_lt_u32 s16, 4
	s_cbranch_scc1 .LBB28_38
; %bb.3:
	v_mov_b32_e32 v3, 0
	s_mov_b32 s6, 0
	.p2align	6
.LBB28_4:                               ; =>This Inner Loop Header: Depth=1
	s_clause 0x3
	global_load_i16 v4, v[1:2], off
	global_load_i16 v5, v[1:2], off offset:512
	global_load_i16 v6, v[1:2], off offset:1024
	;; [unrolled: 1-line block ×3, first 2 shown]
	v_add_co_u32 v1, s2, 0x800, v1
	s_delay_alu instid0(VALU_DEP_1)
	v_add_co_ci_u32_e64 v2, s2, 0, v2, s2
	s_add_i32 s2, s6, 7
	s_add_i32 s6, s6, 4
	s_cmp_ge_u32 s2, s16
	s_waitcnt vmcnt(2)
	v_add3_u32 v3, v3, v4, v5
	s_waitcnt vmcnt(0)
	s_delay_alu instid0(VALU_DEP_1)
	v_add3_u32 v3, v3, v6, v7
	s_cbranch_scc0 .LBB28_4
; %bb.5:
	s_cmp_ge_u32 s6, s16
	s_cbranch_scc1 .LBB28_7
.LBB28_6:                               ; =>This Inner Loop Header: Depth=1
	global_load_i16 v4, v[1:2], off
	v_add_co_u32 v1, s2, 0x200, v1
	s_delay_alu instid0(VALU_DEP_1) | instskip(SKIP_1) | instid1(SALU_CYCLE_1)
	v_add_co_ci_u32_e64 v2, s2, 0, v2, s2
	s_add_i32 s6, s6, 1
	s_cmp_lt_u32 s6, s16
	s_waitcnt vmcnt(0)
	v_add_nc_u32_e32 v3, v3, v4
	s_cbranch_scc1 .LBB28_6
.LBB28_7:
	v_lshlrev_b32_e32 v1, 2, v0
	ds_store_b32 v1, v3 offset:1056
.LBB28_8:
	s_or_b32 exec_lo, exec_lo, s3
	s_load_b32 s19, s[4:5], 0x0
	v_mov_b32_e32 v4, 0
	s_waitcnt lgkmcnt(0)
	s_barrier
	buffer_gl0_inv
	s_and_saveexec_b32 s2, vcc_lo
	s_cbranch_execz .LBB28_10
; %bb.9:
	v_lshlrev_b32_e32 v1, 2, v0
	ds_load_b32 v4, v1 offset:1056
.LBB28_10:
	s_or_b32 exec_lo, exec_lo, s2
	v_lshrrev_b32_e32 v2, 5, v0
	v_cmp_gt_u32_e64 s2, 32, v0
	v_mbcnt_lo_u32_b32 v1, -1, 0
	s_delay_alu instid0(VALU_DEP_3)
	v_add_lshl_u32 v3, v2, v0, 2
	s_waitcnt lgkmcnt(0)
	ds_store_b32 v3, v4
	s_waitcnt lgkmcnt(0)
	s_barrier
	buffer_gl0_inv
	s_and_saveexec_b32 s4, s2
	s_cbranch_execz .LBB28_12
; %bb.11:
	v_and_b32_e32 v5, 0xfc, v0
	s_delay_alu instid0(VALU_DEP_1)
	v_lshl_or_b32 v13, v0, 5, v5
	ds_load_2addr_b32 v[5:6], v13 offset1:1
	ds_load_2addr_b32 v[7:8], v13 offset0:2 offset1:3
	ds_load_2addr_b32 v[9:10], v13 offset0:4 offset1:5
	;; [unrolled: 1-line block ×3, first 2 shown]
	; wave barrier
	s_waitcnt lgkmcnt(3)
	v_add_nc_u32_e32 v6, v6, v5
	s_waitcnt lgkmcnt(2)
	s_delay_alu instid0(VALU_DEP_1) | instskip(SKIP_2) | instid1(VALU_DEP_2)
	v_add3_u32 v6, v6, v7, v8
	v_and_b32_e32 v7, 15, v1
	s_waitcnt lgkmcnt(1)
	v_add3_u32 v6, v6, v9, v10
	s_delay_alu instid0(VALU_DEP_2) | instskip(SKIP_2) | instid1(VALU_DEP_3)
	v_cmp_ne_u32_e64 s3, 0, v7
	v_bfe_i32 v9, v1, 4, 1
	s_waitcnt lgkmcnt(0)
	v_add3_u32 v6, v6, v11, v12
	s_delay_alu instid0(VALU_DEP_1) | instskip(NEXT) | instid1(VALU_DEP_1)
	v_mov_b32_dpp v8, v6 row_shr:1 row_mask:0xf bank_mask:0xf
	v_cndmask_b32_e64 v8, 0, v8, s3
	v_cmp_lt_u32_e64 s3, 1, v7
	s_delay_alu instid0(VALU_DEP_2) | instskip(NEXT) | instid1(VALU_DEP_1)
	v_add_nc_u32_e32 v6, v8, v6
	v_mov_b32_dpp v8, v6 row_shr:2 row_mask:0xf bank_mask:0xf
	s_delay_alu instid0(VALU_DEP_1) | instskip(SKIP_1) | instid1(VALU_DEP_2)
	v_cndmask_b32_e64 v8, 0, v8, s3
	v_cmp_lt_u32_e64 s3, 3, v7
	v_add_nc_u32_e32 v6, v6, v8
	s_delay_alu instid0(VALU_DEP_1) | instskip(NEXT) | instid1(VALU_DEP_1)
	v_mov_b32_dpp v8, v6 row_shr:4 row_mask:0xf bank_mask:0xf
	v_cndmask_b32_e64 v8, 0, v8, s3
	v_cmp_lt_u32_e64 s3, 7, v7
	s_delay_alu instid0(VALU_DEP_2) | instskip(NEXT) | instid1(VALU_DEP_1)
	v_add_nc_u32_e32 v6, v6, v8
	v_mov_b32_dpp v8, v6 row_shr:8 row_mask:0xf bank_mask:0xf
	s_delay_alu instid0(VALU_DEP_1) | instskip(SKIP_1) | instid1(VALU_DEP_2)
	v_cndmask_b32_e64 v7, 0, v8, s3
	v_add_nc_u32_e32 v8, -1, v1
	v_add_nc_u32_e32 v6, v6, v7
	s_delay_alu instid0(VALU_DEP_2) | instskip(SKIP_3) | instid1(VALU_DEP_2)
	v_cmp_gt_i32_e64 s3, 0, v8
	ds_swizzle_b32 v7, v6 offset:swizzle(BROADCAST,32,15)
	v_cndmask_b32_e64 v8, v8, v1, s3
	v_cmp_eq_u32_e64 s3, 0, v0
	v_lshlrev_b32_e32 v8, 2, v8
	s_waitcnt lgkmcnt(0)
	v_and_b32_e32 v7, v9, v7
	s_delay_alu instid0(VALU_DEP_1) | instskip(SKIP_3) | instid1(VALU_DEP_1)
	v_add_nc_u32_e32 v6, v6, v7
	ds_bpermute_b32 v6, v8, v6
	s_waitcnt lgkmcnt(0)
	v_add_nc_u32_e32 v5, v6, v5
	v_cndmask_b32_e64 v10, v5, v4, s3
	ds_store_b32 v13, v10
	; wave barrier
	ds_load_2addr_b32 v[4:5], v13 offset0:1 offset1:2
	ds_load_2addr_b32 v[6:7], v13 offset0:3 offset1:4
	ds_load_2addr_b32 v[8:9], v13 offset0:5 offset1:6
	ds_load_b32 v11, v13 offset:28
	s_waitcnt lgkmcnt(3)
	v_add_nc_u32_e32 v4, v4, v10
	s_delay_alu instid0(VALU_DEP_1) | instskip(SKIP_1) | instid1(VALU_DEP_1)
	v_add_nc_u32_e32 v5, v5, v4
	s_waitcnt lgkmcnt(2)
	v_add_nc_u32_e32 v6, v6, v5
	s_delay_alu instid0(VALU_DEP_1) | instskip(SKIP_1) | instid1(VALU_DEP_1)
	v_add_nc_u32_e32 v7, v7, v6
	;; [unrolled: 4-line block ×3, first 2 shown]
	s_waitcnt lgkmcnt(0)
	v_add_nc_u32_e32 v10, v11, v9
	ds_store_2addr_b32 v13, v4, v5 offset0:1 offset1:2
	ds_store_2addr_b32 v13, v6, v7 offset0:3 offset1:4
	;; [unrolled: 1-line block ×3, first 2 shown]
	ds_store_b32 v13, v10 offset:28
.LBB28_12:
	s_or_b32 exec_lo, exec_lo, s4
	s_waitcnt lgkmcnt(0)
	s_barrier
	buffer_gl0_inv
	ds_load_b32 v4, v3
	s_waitcnt lgkmcnt(0)
	s_barrier
	buffer_gl0_inv
	s_and_saveexec_b32 s3, vcc_lo
	s_cbranch_execz .LBB28_14
; %bb.13:
	v_lshlrev_b32_e32 v3, 2, v0
	ds_store_b32 v3, v4 offset:1056
.LBB28_14:
	s_or_b32 exec_lo, exec_lo, s3
	s_clause 0x1
	s_load_b256 s[4:11], s[0:1], 0x28
	s_load_b64 s[24:25], s[0:1], 0x48
	s_waitcnt lgkmcnt(0)
	s_barrier
	buffer_gl0_inv
	s_and_saveexec_b32 s1, vcc_lo
	s_cbranch_execz .LBB28_20
; %bb.15:
	v_mov_b32_e32 v3, 0
	s_mov_b32 s0, exec_lo
	v_cmpx_ne_u32_e32 0, v0
	s_cbranch_execz .LBB28_17
; %bb.16:
	v_lshlrev_b32_e32 v3, 2, v0
	ds_load_b32 v3, v3 offset:1052
.LBB28_17:
	s_or_b32 exec_lo, exec_lo, s0
	s_waitcnt lgkmcnt(0)
	v_cmp_gt_u32_e32 vcc_lo, s19, v3
	v_cmp_le_u32_e64 s0, s19, v4
	s_delay_alu instid0(VALU_DEP_1) | instskip(NEXT) | instid1(SALU_CYCLE_1)
	s_and_b32 s0, vcc_lo, s0
	s_and_b32 exec_lo, exec_lo, s0
	s_cbranch_execz .LBB28_20
; %bb.18:
	s_add_u32 s12, s12, s22
	s_addc_u32 s13, s13, s23
	s_lshl_b32 s0, 0xff, s17
	s_delay_alu instid0(SALU_CYCLE_1) | instskip(SKIP_2) | instid1(SALU_CYCLE_1)
	v_not_b32_e32 v6, s0
	v_mov_b32_e32 v4, 0
	s_mul_i32 s0, s26, s16
	s_cmp_lg_u32 s20, s0
	global_load_b32 v5, v4, s[12:13]
	s_waitcnt vmcnt(0)
	v_and_b32_e32 v5, v5, v6
	s_delay_alu instid0(VALU_DEP_1)
	v_lshl_or_b32 v5, v0, s17, v5
	ds_store_b32 v4, v5 offset:2112
	s_cbranch_scc1 .LBB28_20
; %bb.19:
	s_add_u32 s10, s10, s22
	s_addc_u32 s11, s11, s23
	v_sub_nc_u32_e32 v3, s19, v3
	v_xor_b32_e32 v6, 0x80000000, v5
	s_cmp_gt_i32 s17, 0
	s_cselect_b32 vcc_lo, -1, 0
	s_delay_alu instid0(SALU_CYCLE_1) | instskip(NEXT) | instid1(VALU_DEP_1)
	s_and_b32 s0, vcc_lo, exec_lo
	v_cndmask_b32_e32 v3, v6, v3, vcc_lo
	s_cselect_b32 s0, s8, s6
	s_cselect_b32 s3, s9, s7
	s_add_u32 s6, s0, s22
	s_addc_u32 s7, s3, s23
	s_clause 0x1
	global_store_b32 v4, v5, s[10:11]
	global_store_b32 v4, v3, s[6:7]
.LBB28_20:
	s_or_b32 exec_lo, exec_lo, s1
	v_mov_b32_e32 v3, 0
	s_waitcnt lgkmcnt(0)
	s_waitcnt_vscnt null, 0x0
	s_barrier
	buffer_gl0_inv
	s_bitcmp0_b32 s18, 0
	ds_load_b32 v3, v3 offset:2112
	s_mov_b32 s6, 0
	s_waitcnt lgkmcnt(0)
	v_lshrrev_b32_e32 v3, s17, v3
	s_delay_alu instid0(VALU_DEP_1)
	v_and_b32_e32 v3, 0xff, v3
	s_cbranch_scc0 .LBB28_22
; %bb.21:
	v_and_b32_e32 v4, 0xe0, v0
	s_delay_alu instid0(VALU_DEP_2) | instskip(NEXT) | instid1(VALU_DEP_2)
	v_cmp_lt_u32_e64 s0, v0, v3
	v_cmp_lt_u32_e32 vcc_lo, v4, v3
	s_delay_alu instid0(VALU_DEP_2)
	s_and_b32 s1, s0, exec_lo
	s_and_b32 s3, vcc_lo, exec_lo
	s_and_not1_b32 vcc_lo, exec_lo, s6
	s_cbranch_vccz .LBB28_23
	s_branch .LBB28_24
.LBB28_22:
                                        ; implicit-def: $sgpr1
                                        ; implicit-def: $sgpr3
.LBB28_23:
	v_or_b32_e32 v4, 31, v0
	s_delay_alu instid0(VALU_DEP_2) | instskip(SKIP_2) | instid1(VALU_DEP_2)
	v_cmp_gt_u32_e32 vcc_lo, v0, v3
	s_and_not1_b32 s1, s1, exec_lo
	s_and_not1_b32 s3, s3, exec_lo
	v_cmp_gt_u32_e64 s0, v4, v3
	s_and_b32 s6, vcc_lo, exec_lo
	s_delay_alu instid0(SALU_CYCLE_1) | instskip(NEXT) | instid1(VALU_DEP_1)
	s_or_b32 s1, s1, s6
	s_and_b32 s0, s0, exec_lo
	s_delay_alu instid0(SALU_CYCLE_1)
	s_or_b32 s3, s3, s0
.LBB28_24:
	v_mov_b32_e32 v3, 0
	s_and_saveexec_b32 s0, s3
	s_cbranch_execz .LBB28_28
; %bb.25:
	v_mov_b32_e32 v3, 0
	s_and_saveexec_b32 s3, s1
	s_cbranch_execz .LBB28_27
; %bb.26:
	s_lshl_b32 s6, s20, 8
	s_mov_b32 s7, 0
	v_lshlrev_b32_e32 v3, 1, v0
	s_lshl_b64 s[6:7], s[6:7], 1
	s_delay_alu instid0(SALU_CYCLE_1)
	s_add_u32 s6, s14, s6
	s_addc_u32 s7, s15, s7
	global_load_i16 v3, v3, s[6:7]
.LBB28_27:
	s_or_b32 exec_lo, exec_lo, s3
	v_cmp_gt_u32_e32 vcc_lo, 16, v1
	v_cndmask_b32_e64 v4, 0, 1, vcc_lo
	v_cmp_gt_u32_e32 vcc_lo, 24, v1
	s_delay_alu instid0(VALU_DEP_2) | instskip(SKIP_2) | instid1(VALU_DEP_3)
	v_lshlrev_b32_e32 v4, 4, v4
	v_cndmask_b32_e64 v5, 0, 1, vcc_lo
	v_cmp_gt_u32_e32 vcc_lo, 28, v1
	v_add_lshl_u32 v4, v4, v1, 2
	s_delay_alu instid0(VALU_DEP_3)
	v_lshlrev_b32_e32 v5, 3, v5
	s_waitcnt vmcnt(0)
	ds_bpermute_b32 v4, v4, v3
	v_add_lshl_u32 v5, v5, v1, 2
	s_waitcnt lgkmcnt(0)
	v_add_nc_u32_e32 v3, v4, v3
	ds_bpermute_b32 v4, v5, v3
	v_cndmask_b32_e64 v5, 0, 1, vcc_lo
	v_cmp_gt_u32_e32 vcc_lo, 30, v1
	s_delay_alu instid0(VALU_DEP_2) | instskip(NEXT) | instid1(VALU_DEP_1)
	v_lshlrev_b32_e32 v5, 2, v5
	v_add_lshl_u32 v5, v5, v1, 2
	s_waitcnt lgkmcnt(0)
	v_add_nc_u32_e32 v3, v4, v3
	ds_bpermute_b32 v4, v5, v3
	v_cndmask_b32_e64 v5, 0, 1, vcc_lo
	v_cmp_ne_u32_e32 vcc_lo, 31, v1
	s_delay_alu instid0(VALU_DEP_2) | instskip(NEXT) | instid1(VALU_DEP_1)
	v_lshlrev_b32_e32 v5, 1, v5
	v_add_lshl_u32 v5, v5, v1, 2
	s_waitcnt lgkmcnt(0)
	v_add_nc_u32_e32 v3, v4, v3
	ds_bpermute_b32 v4, v5, v3
	v_add_co_ci_u32_e32 v5, vcc_lo, 0, v1, vcc_lo
	s_waitcnt lgkmcnt(0)
	v_add_nc_u32_e32 v3, v4, v3
	s_delay_alu instid0(VALU_DEP_2)
	v_lshlrev_b32_e32 v4, 2, v5
	ds_bpermute_b32 v4, v4, v3
	s_waitcnt lgkmcnt(0)
	v_add_nc_u32_e32 v3, v4, v3
.LBB28_28:
	s_or_b32 exec_lo, exec_lo, s0
	v_and_b32_e32 v4, 31, v0
	s_mov_b32 s0, exec_lo
	s_delay_alu instid0(VALU_DEP_1)
	v_cmpx_eq_u32_e32 0, v4
	s_cbranch_execz .LBB28_30
; %bb.29:
	v_lshlrev_b32_e32 v2, 2, v2
	ds_store_b32 v2, v3 offset:2080
.LBB28_30:
	s_or_b32 exec_lo, exec_lo, s0
	s_waitcnt lgkmcnt(0)
	s_barrier
	buffer_gl0_inv
	s_and_saveexec_b32 s0, s2
	s_cbranch_execz .LBB28_37
; %bb.31:
	v_mov_b32_e32 v2, 0
	s_mov_b32 s0, exec_lo
	v_cmpx_gt_u32_e32 8, v0
	s_cbranch_execz .LBB28_33
; %bb.32:
	v_lshlrev_b32_e32 v2, 2, v0
	ds_load_b32 v2, v2 offset:2080
.LBB28_33:
	s_or_b32 exec_lo, exec_lo, s0
	v_cmp_gt_u32_e32 vcc_lo, 28, v1
	s_mov_b32 s0, exec_lo
	v_cndmask_b32_e64 v3, 0, 1, vcc_lo
	v_cmp_gt_u32_e32 vcc_lo, 30, v1
	s_delay_alu instid0(VALU_DEP_2) | instskip(SKIP_2) | instid1(VALU_DEP_3)
	v_lshlrev_b32_e32 v3, 2, v3
	v_cndmask_b32_e64 v4, 0, 1, vcc_lo
	v_cmp_ne_u32_e32 vcc_lo, 31, v1
	v_add_lshl_u32 v3, v3, v1, 2
	s_delay_alu instid0(VALU_DEP_3)
	v_lshlrev_b32_e32 v4, 1, v4
	s_waitcnt lgkmcnt(0)
	ds_bpermute_b32 v3, v3, v2
	v_add_lshl_u32 v4, v4, v1, 2
	s_waitcnt lgkmcnt(0)
	v_add_nc_u32_e32 v2, v3, v2
	ds_bpermute_b32 v3, v4, v2
	v_add_co_ci_u32_e32 v4, vcc_lo, 0, v1, vcc_lo
	s_waitcnt lgkmcnt(0)
	v_add_nc_u32_e32 v1, v3, v2
	s_delay_alu instid0(VALU_DEP_2)
	v_lshlrev_b32_e32 v2, 2, v4
	ds_bpermute_b32 v2, v2, v1
	v_cmpx_eq_u32_e32 0, v0
	s_cbranch_execz .LBB28_35
; %bb.34:
	s_lshl_b64 s[2:3], s[20:21], 2
	v_mov_b32_e32 v3, 0
	s_add_u32 s2, s4, s2
	s_addc_u32 s3, s5, s3
	global_load_b32 v4, v3, s[2:3]
	s_waitcnt vmcnt(0) lgkmcnt(0)
	v_add3_u32 v1, v2, v1, v4
	global_store_b32 v3, v1, s[2:3]
.LBB28_35:
	s_or_b32 exec_lo, exec_lo, s0
	v_or_b32_e32 v0, s17, v0
	s_delay_alu instid0(VALU_DEP_1)
	v_cmp_eq_u32_e32 vcc_lo, 0, v0
	s_and_b32 exec_lo, exec_lo, vcc_lo
	s_cbranch_execz .LBB28_37
; %bb.36:
	v_mov_b32_e32 v0, 0
	s_lshl_b32 s0, s20, 8
	s_mov_b32 s1, 0
	s_delay_alu instid0(SALU_CYCLE_1)
	s_lshl_b64 s[0:1], s[0:1], 1
	ds_load_b32 v1, v0 offset:2112
	s_add_u32 s0, s14, s0
	s_addc_u32 s1, s15, s1
	s_waitcnt lgkmcnt(0)
	v_and_b32_e32 v1, 0xff, v1
	s_delay_alu instid0(VALU_DEP_1) | instskip(SKIP_2) | instid1(SALU_CYCLE_1)
	v_lshlrev_b32_e32 v1, 1, v1
	global_load_i16 v1, v1, s[0:1]
	s_lshl_b64 s[0:1], s[20:21], 2
	s_add_u32 s0, s24, s0
	s_addc_u32 s1, s25, s1
	s_waitcnt vmcnt(0)
	global_store_b32 v0, v1, s[0:1]
.LBB28_37:
	s_nop 0
	s_sendmsg sendmsg(MSG_DEALLOC_VGPRS)
	s_endpgm
.LBB28_38:
	s_mov_b32 s6, s21
	s_delay_alu instid0(SALU_CYCLE_1)
	s_cmp_ge_u32 s6, s16
	s_cbranch_scc0 .LBB28_6
	s_branch .LBB28_7
	.section	.rodata,"a",@progbits
	.p2align	6, 0x0
	.amdhsa_kernel _ZN2at6native6mbtopk29computeBlockwiseWithinKCountsIjiEEvPT_PsPjjibS6_PT0_S6_S4_S6_j
		.amdhsa_group_segment_fixed_size 2116
		.amdhsa_private_segment_fixed_size 0
		.amdhsa_kernarg_size 344
		.amdhsa_user_sgpr_count 13
		.amdhsa_user_sgpr_dispatch_ptr 0
		.amdhsa_user_sgpr_queue_ptr 0
		.amdhsa_user_sgpr_kernarg_segment_ptr 1
		.amdhsa_user_sgpr_dispatch_id 0
		.amdhsa_user_sgpr_private_segment_size 0
		.amdhsa_wavefront_size32 1
		.amdhsa_uses_dynamic_stack 0
		.amdhsa_enable_private_segment 0
		.amdhsa_system_sgpr_workgroup_id_x 1
		.amdhsa_system_sgpr_workgroup_id_y 1
		.amdhsa_system_sgpr_workgroup_id_z 1
		.amdhsa_system_sgpr_workgroup_info 0
		.amdhsa_system_vgpr_workitem_id 0
		.amdhsa_next_free_vgpr 14
		.amdhsa_next_free_sgpr 28
		.amdhsa_reserve_vcc 1
		.amdhsa_float_round_mode_32 0
		.amdhsa_float_round_mode_16_64 0
		.amdhsa_float_denorm_mode_32 3
		.amdhsa_float_denorm_mode_16_64 3
		.amdhsa_dx10_clamp 1
		.amdhsa_ieee_mode 1
		.amdhsa_fp16_overflow 0
		.amdhsa_workgroup_processor_mode 1
		.amdhsa_memory_ordered 1
		.amdhsa_forward_progress 0
		.amdhsa_shared_vgpr_count 0
		.amdhsa_exception_fp_ieee_invalid_op 0
		.amdhsa_exception_fp_denorm_src 0
		.amdhsa_exception_fp_ieee_div_zero 0
		.amdhsa_exception_fp_ieee_overflow 0
		.amdhsa_exception_fp_ieee_underflow 0
		.amdhsa_exception_fp_ieee_inexact 0
		.amdhsa_exception_int_div_zero 0
	.end_amdhsa_kernel
	.section	.text._ZN2at6native6mbtopk29computeBlockwiseWithinKCountsIjiEEvPT_PsPjjibS6_PT0_S6_S4_S6_j,"axG",@progbits,_ZN2at6native6mbtopk29computeBlockwiseWithinKCountsIjiEEvPT_PsPjjibS6_PT0_S6_S4_S6_j,comdat
.Lfunc_end28:
	.size	_ZN2at6native6mbtopk29computeBlockwiseWithinKCountsIjiEEvPT_PsPjjibS6_PT0_S6_S4_S6_j, .Lfunc_end28-_ZN2at6native6mbtopk29computeBlockwiseWithinKCountsIjiEEvPT_PsPjjibS6_PT0_S6_S4_S6_j
                                        ; -- End function
	.section	.AMDGPU.csdata,"",@progbits
; Kernel info:
; codeLenInByte = 2244
; NumSgprs: 30
; NumVgprs: 14
; ScratchSize: 0
; MemoryBound: 0
; FloatMode: 240
; IeeeMode: 1
; LDSByteSize: 2116 bytes/workgroup (compile time only)
; SGPRBlocks: 3
; VGPRBlocks: 1
; NumSGPRsForWavesPerEU: 30
; NumVGPRsForWavesPerEU: 14
; Occupancy: 16
; WaveLimiterHint : 1
; COMPUTE_PGM_RSRC2:SCRATCH_EN: 0
; COMPUTE_PGM_RSRC2:USER_SGPR: 13
; COMPUTE_PGM_RSRC2:TRAP_HANDLER: 0
; COMPUTE_PGM_RSRC2:TGID_X_EN: 1
; COMPUTE_PGM_RSRC2:TGID_Y_EN: 1
; COMPUTE_PGM_RSRC2:TGID_Z_EN: 1
; COMPUTE_PGM_RSRC2:TIDIG_COMP_CNT: 0
	.section	.text._ZN2at6native6mbtopk10gatherTopKIijLi1EEEvNS_4cuda6detail10TensorInfoIKT_T0_EES8_S8_bjS8_NS5_IS6_S8_EES8_NS5_IlS8_EES8_jjPS6_PjSD_j,"axG",@progbits,_ZN2at6native6mbtopk10gatherTopKIijLi1EEEvNS_4cuda6detail10TensorInfoIKT_T0_EES8_S8_bjS8_NS5_IS6_S8_EES8_NS5_IlS8_EES8_jjPS6_PjSD_j,comdat
	.protected	_ZN2at6native6mbtopk10gatherTopKIijLi1EEEvNS_4cuda6detail10TensorInfoIKT_T0_EES8_S8_bjS8_NS5_IS6_S8_EES8_NS5_IlS8_EES8_jjPS6_PjSD_j ; -- Begin function _ZN2at6native6mbtopk10gatherTopKIijLi1EEEvNS_4cuda6detail10TensorInfoIKT_T0_EES8_S8_bjS8_NS5_IS6_S8_EES8_NS5_IlS8_EES8_jjPS6_PjSD_j
	.globl	_ZN2at6native6mbtopk10gatherTopKIijLi1EEEvNS_4cuda6detail10TensorInfoIKT_T0_EES8_S8_bjS8_NS5_IS6_S8_EES8_NS5_IlS8_EES8_jjPS6_PjSD_j
	.p2align	8
	.type	_ZN2at6native6mbtopk10gatherTopKIijLi1EEEvNS_4cuda6detail10TensorInfoIKT_T0_EES8_S8_bjS8_NS5_IS6_S8_EES8_NS5_IlS8_EES8_jjPS6_PjSD_j,@function
_ZN2at6native6mbtopk10gatherTopKIijLi1EEEvNS_4cuda6detail10TensorInfoIKT_T0_EES8_S8_bjS8_NS5_IS6_S8_EES8_NS5_IlS8_EES8_jjPS6_PjSD_j: ; @_ZN2at6native6mbtopk10gatherTopKIijLi1EEEvNS_4cuda6detail10TensorInfoIKT_T0_EES8_S8_bjS8_NS5_IS6_S8_EES8_NS5_IlS8_EES8_jjPS6_PjSD_j
; %bb.0:
	s_clause 0x1
	s_load_b64 s[2:3], s[0:1], 0x2d8
	s_load_b32 s4, s[0:1], 0x2d0
	s_waitcnt lgkmcnt(0)
	s_mul_i32 s3, s3, s15
	s_delay_alu instid0(SALU_CYCLE_1) | instskip(NEXT) | instid1(SALU_CYCLE_1)
	s_add_i32 s3, s3, s14
	s_mul_i32 s2, s3, s2
	s_delay_alu instid0(SALU_CYCLE_1) | instskip(NEXT) | instid1(SALU_CYCLE_1)
	s_add_i32 s2, s2, s13
	s_cmp_ge_u32 s2, s4
	s_cbranch_scc1 .LBB29_40
; %bb.1:
	s_load_b256 s[4:11], s[0:1], 0x2a8
	s_mov_b32 s23, 0
	s_waitcnt lgkmcnt(0)
	v_cvt_f32_u32_e32 v1, s6
	s_sub_i32 s7, 0, s6
	s_delay_alu instid0(VALU_DEP_1) | instskip(SKIP_2) | instid1(VALU_DEP_1)
	v_rcp_iflag_f32_e32 v1, v1
	s_waitcnt_depctr 0xfff
	v_mul_f32_e32 v1, 0x4f7ffffe, v1
	v_cvt_u32_f32_e32 v1, v1
	s_delay_alu instid0(VALU_DEP_1) | instskip(NEXT) | instid1(VALU_DEP_1)
	v_readfirstlane_b32 s3, v1
	s_mul_i32 s7, s7, s3
	s_delay_alu instid0(SALU_CYCLE_1) | instskip(NEXT) | instid1(SALU_CYCLE_1)
	s_mul_hi_u32 s7, s3, s7
	s_add_i32 s3, s3, s7
	s_delay_alu instid0(SALU_CYCLE_1) | instskip(NEXT) | instid1(SALU_CYCLE_1)
	s_mul_hi_u32 s3, s2, s3
	s_mul_i32 s7, s3, s6
	s_add_i32 s12, s3, 1
	s_sub_i32 s7, s2, s7
	s_delay_alu instid0(SALU_CYCLE_1)
	s_sub_i32 s13, s7, s6
	s_cmp_ge_u32 s7, s6
	s_cselect_b32 s3, s12, s3
	s_cselect_b32 s7, s13, s7
	s_add_i32 s12, s3, 1
	s_cmp_ge_u32 s7, s6
	s_cselect_b32 s22, s12, s3
	s_delay_alu instid0(SALU_CYCLE_1)
	s_mul_i32 s12, s22, s6
	s_lshl_b64 s[14:15], s[22:23], 2
	s_sub_i32 s7, s2, s12
	s_add_u32 s2, s8, s14
	s_addc_u32 s3, s9, s15
	s_clause 0x2
	s_load_b64 s[16:17], s[0:1], 0x1d0
	s_load_b64 s[18:19], s[0:1], 0xf0
	;; [unrolled: 1-line block ×3, first 2 shown]
	s_load_b32 s28, s[2:3], 0x0
	v_cmp_ne_u32_e64 s2, 0, v0
	v_cmp_eq_u32_e64 s3, 0, v0
	s_delay_alu instid0(VALU_DEP_1)
	s_and_saveexec_b32 s29, s3
	s_cbranch_execz .LBB29_17
; %bb.2:
	s_load_b64 s[8:9], s[0:1], 0x2c8
	s_mov_b32 s13, s23
	s_delay_alu instid0(SALU_CYCLE_1) | instskip(NEXT) | instid1(SALU_CYCLE_1)
	s_lshl_b64 s[24:25], s[12:13], 2
	s_add_u32 s12, s10, s24
	s_addc_u32 s13, s11, s25
	s_waitcnt lgkmcnt(0)
	s_add_u32 s14, s8, s24
	s_addc_u32 s15, s9, s25
	s_cmp_lt_u32 s6, 4
	s_cbranch_scc1 .LBB29_14
; %bb.3:
	s_mov_b32 s30, s23
	s_mov_b32 s31, s23
	;; [unrolled: 1-line block ×3, first 2 shown]
.LBB29_4:                               ; =>This Inner Loop Header: Depth=1
	s_add_u32 s12, s10, s24
	s_addc_u32 s13, s11, s25
	s_add_u32 s26, s8, s24
	s_load_b128 s[12:15], s[12:13], 0x0
	s_addc_u32 s27, s9, s25
	s_cmp_ge_u32 s33, s7
	s_cbranch_scc0 .LBB29_11
; %bb.5:                                ;   in Loop: Header=BB29_4 Depth=1
	s_add_i32 s34, s33, 1
	s_delay_alu instid0(SALU_CYCLE_1)
	s_cmp_ge_u32 s34, s7
	s_cbranch_scc0 .LBB29_12
.LBB29_6:                               ;   in Loop: Header=BB29_4 Depth=1
	s_add_i32 s34, s34, 1
	s_delay_alu instid0(SALU_CYCLE_1)
	s_cmp_ge_u32 s34, s7
	s_cbranch_scc0 .LBB29_13
.LBB29_7:                               ;   in Loop: Header=BB29_4 Depth=1
	s_add_i32 s34, s34, 1
	s_delay_alu instid0(SALU_CYCLE_1)
	s_cmp_ge_u32 s34, s7
	s_cbranch_scc1 .LBB29_9
.LBB29_8:                               ;   in Loop: Header=BB29_4 Depth=1
	s_load_b32 s26, s[26:27], 0xc
	s_waitcnt lgkmcnt(0)
	s_add_i32 s23, s23, s15
	s_add_i32 s30, s26, s30
.LBB29_9:                               ;   in Loop: Header=BB29_4 Depth=1
	s_waitcnt lgkmcnt(0)
	s_add_i32 s12, s12, s31
	s_delay_alu instid0(SALU_CYCLE_1) | instskip(NEXT) | instid1(SALU_CYCLE_1)
	s_add_i32 s12, s12, s13
	s_add_i32 s12, s12, s14
	s_delay_alu instid0(SALU_CYCLE_1)
	s_add_i32 s31, s12, s15
	s_add_u32 s10, s10, 16
	s_addc_u32 s11, s11, 0
	s_add_u32 s8, s8, 16
	s_addc_u32 s9, s9, 0
	s_add_i32 s27, s34, 4
	s_add_u32 s14, s8, s24
	s_addc_u32 s15, s9, s25
	s_add_u32 s12, s10, s24
	s_addc_u32 s13, s11, s25
	s_add_i32 s26, s34, 1
	s_cmp_ge_u32 s27, s6
	s_cbranch_scc1 .LBB29_15
; %bb.10:                               ;   in Loop: Header=BB29_4 Depth=1
	s_mov_b32 s33, s26
	s_branch .LBB29_4
.LBB29_11:                              ;   in Loop: Header=BB29_4 Depth=1
	s_load_b32 s34, s[26:27], 0x0
	s_waitcnt lgkmcnt(0)
	s_add_i32 s23, s12, s23
	s_add_i32 s30, s34, s30
	;; [unrolled: 1-line block ×3, first 2 shown]
	s_delay_alu instid0(SALU_CYCLE_1)
	s_cmp_ge_u32 s34, s7
	s_cbranch_scc1 .LBB29_6
.LBB29_12:                              ;   in Loop: Header=BB29_4 Depth=1
	s_load_b32 s35, s[26:27], 0x4
	s_waitcnt lgkmcnt(0)
	s_add_i32 s23, s23, s13
	s_add_i32 s30, s35, s30
	s_add_i32 s34, s34, 1
	s_delay_alu instid0(SALU_CYCLE_1)
	s_cmp_ge_u32 s34, s7
	s_cbranch_scc1 .LBB29_7
.LBB29_13:                              ;   in Loop: Header=BB29_4 Depth=1
	s_load_b32 s35, s[26:27], 0x8
	s_waitcnt lgkmcnt(0)
	s_add_i32 s23, s23, s14
	s_add_i32 s30, s35, s30
	;; [unrolled: 1-line block ×3, first 2 shown]
	s_delay_alu instid0(SALU_CYCLE_1)
	s_cmp_ge_u32 s34, s7
	s_cbranch_scc0 .LBB29_8
	s_branch .LBB29_9
.LBB29_14:
	s_mov_b32 s30, 0
	s_mov_b32 s31, 0
	;; [unrolled: 1-line block ×3, first 2 shown]
	s_delay_alu instid0(SALU_CYCLE_1)
	s_cmp_ge_u32 s8, s6
	s_cbranch_scc0 .LBB29_38
	s_branch .LBB29_16
.LBB29_15:
	s_add_i32 s8, s33, 4
	s_delay_alu instid0(SALU_CYCLE_1)
	s_cmp_ge_u32 s8, s6
	s_cbranch_scc0 .LBB29_38
.LBB29_16:
	v_dual_mov_b32 v1, s30 :: v_dual_mov_b32 v2, s31
	v_dual_mov_b32 v3, s23 :: v_dual_mov_b32 v4, 0
	ds_store_b96 v4, v[1:3] offset:1056
.LBB29_17:
	s_or_b32 exec_lo, exec_lo, s29
	s_clause 0x3
	s_load_b32 s12, s[0:1], 0x23c
	s_load_b32 s13, s[0:1], 0x15c
	;; [unrolled: 1-line block ×3, first 2 shown]
	s_load_b128 s[8:11], s[0:1], 0xd8
	s_waitcnt lgkmcnt(0)
	s_mul_i32 s11, s5, s7
	s_add_i32 s7, s7, 1
	s_lshl_b32 s23, s11, 8
	s_barrier
	buffer_gl0_inv
	s_sub_i32 s11, s8, s23
	s_delay_alu instid0(SALU_CYCLE_1) | instskip(SKIP_4) | instid1(VALU_DEP_1)
	s_add_u32 s11, s11, 0xff
	s_addc_u32 s15, 0, 0
	s_cmp_lt_u32 s7, s6
	v_alignbit_b32 v1, s15, s11, 8
	s_mov_b32 s7, 0
	v_readfirstlane_b32 s11, v1
	s_delay_alu instid0(VALU_DEP_1) | instskip(NEXT) | instid1(SALU_CYCLE_1)
	s_cselect_b32 s5, s5, s11
	s_cmp_eq_u32 s5, 0
	s_cbranch_scc1 .LBB29_40
; %bb.18:
	v_mbcnt_lo_u32_b32 v8, -1, 0
	v_mov_b32_e32 v5, 0
	s_mul_i32 s6, s22, s14
	s_mul_i32 s14, s22, s13
	;; [unrolled: 1-line block ×3, first 2 shown]
	v_add_nc_u32_e32 v11, -1, v0
	ds_load_b96 v[1:3], v5 offset:1056
	s_clause 0x1
	s_load_b32 s22, s[0:1], 0xe8
	s_load_b32 s11, s[0:1], 0x1c8
	s_lshl_b64 s[0:1], s[6:7], 2
	s_mov_b32 s15, s7
	v_lshrrev_b32_e32 v4, 5, v0
	s_add_u32 s6, s20, s0
	s_mov_b32 s25, s7
	s_addc_u32 s7, s21, s1
	s_lshl_b64 s[0:1], s[14:15], 2
	v_lshlrev_b32_e32 v9, 3, v0
	v_lshrrev_b32_e32 v10, 2, v0
	s_add_u32 s12, s18, s0
	s_addc_u32 s13, s19, s1
	s_lshl_b64 s[0:1], s[24:25], 3
	v_add_lshl_u32 v6, v4, v0, 2
	s_add_u32 s14, s16, s0
	s_addc_u32 s15, s17, s1
	s_xor_b32 s16, s28, 0x80000000
	v_cmp_gt_u32_e64 s0, 32, v0
	v_add_nc_u32_e32 v12, -1, v8
	s_waitcnt lgkmcnt(0)
	v_add_nc_u32_e32 v7, v1, v2
	v_add_nc_u32_e32 v1, s23, v0
	v_lshrrev_b32_e32 v2, 5, v11
	v_add_lshl_u32 v0, v10, v9, 2
	v_and_b32_e32 v10, 15, v8
	s_bitcmp1_b32 s10, 0
	v_mul_lo_u32 v4, s22, v1
	v_add_lshl_u32 v9, v2, v11, 2
	v_bfe_i32 v11, v8, 4, 1
	s_cselect_b32 s1, -1, 0
	s_lshl_b32 s10, s22, 8
                                        ; implicit-def: $vgpr13
	s_branch .LBB29_21
.LBB29_19:                              ;   in Loop: Header=BB29_21 Depth=1
	s_or_b32 exec_lo, exec_lo, s17
	v_add_nc_u32_e32 v7, v16, v7
.LBB29_20:                              ;   in Loop: Header=BB29_21 Depth=1
	v_add_nc_u32_e32 v3, v15, v3
	v_add_nc_u32_e32 v4, s10, v4
	v_add_nc_u32_e32 v1, 0x100, v1
	s_add_i32 s5, s5, -1
	s_delay_alu instid0(SALU_CYCLE_1)
	s_cmp_lg_u32 s5, 0
	s_cbranch_scc0 .LBB29_40
.LBB29_21:                              ; =>This Inner Loop Header: Depth=1
	v_mov_b32_e32 v2, 0
	v_mov_b32_e32 v14, 0
	s_mov_b32 s17, exec_lo
	v_cmpx_gt_u32_e64 s8, v1
	s_cbranch_execz .LBB29_23
; %bb.22:                               ;   in Loop: Header=BB29_21 Depth=1
	v_lshlrev_b64 v[13:14], 2, v[4:5]
	s_delay_alu instid0(VALU_DEP_1) | instskip(NEXT) | instid1(VALU_DEP_2)
	v_add_co_u32 v13, vcc_lo, s6, v13
	v_add_co_ci_u32_e32 v14, vcc_lo, s7, v14, vcc_lo
	global_load_b32 v13, v[13:14], off
	s_waitcnt vmcnt(0)
	v_xor_b32_e32 v2, 0x80000000, v13
	s_delay_alu instid0(VALU_DEP_1) | instskip(SKIP_4) | instid1(VALU_DEP_2)
	v_cmp_lt_u32_e32 vcc_lo, s16, v2
	v_cndmask_b32_e64 v14, 0, 1, vcc_lo
	v_cmp_gt_u32_e32 vcc_lo, s16, v2
	v_cndmask_b32_e64 v2, 0, 1, vcc_lo
	v_cmp_eq_u32_e32 vcc_lo, s28, v13
	v_cndmask_b32_e64 v2, v2, v14, s1
	v_cndmask_b32_e64 v14, 0, 1, vcc_lo
	s_delay_alu instid0(VALU_DEP_2)
	v_and_b32_e32 v2, 1, v2
.LBB29_23:                              ;   in Loop: Header=BB29_21 Depth=1
	s_or_b32 exec_lo, exec_lo, s17
	ds_store_b32 v6, v2
	s_waitcnt lgkmcnt(0)
	s_waitcnt_vscnt null, 0x0
	s_barrier
	buffer_gl0_inv
	s_and_saveexec_b32 s17, s0
	s_cbranch_execz .LBB29_25
; %bb.24:                               ;   in Loop: Header=BB29_21 Depth=1
	ds_load_2addr_b32 v[15:16], v0 offset1:1
	ds_load_2addr_b32 v[17:18], v0 offset0:2 offset1:3
	ds_load_2addr_b32 v[19:20], v0 offset0:4 offset1:5
	;; [unrolled: 1-line block ×3, first 2 shown]
	v_cmp_ne_u32_e32 vcc_lo, 0, v10
	; wave barrier
	s_waitcnt lgkmcnt(3)
	v_add_nc_u32_e32 v16, v16, v15
	s_waitcnt lgkmcnt(2)
	s_delay_alu instid0(VALU_DEP_1) | instskip(SKIP_1) | instid1(VALU_DEP_1)
	v_add3_u32 v16, v16, v17, v18
	s_waitcnt lgkmcnt(1)
	v_add3_u32 v16, v16, v19, v20
	s_waitcnt lgkmcnt(0)
	s_delay_alu instid0(VALU_DEP_1) | instskip(NEXT) | instid1(VALU_DEP_1)
	v_add3_u32 v16, v16, v21, v22
	v_mov_b32_dpp v17, v16 row_shr:1 row_mask:0xf bank_mask:0xf
	s_delay_alu instid0(VALU_DEP_1) | instskip(SKIP_1) | instid1(VALU_DEP_2)
	v_cndmask_b32_e32 v17, 0, v17, vcc_lo
	v_cmp_lt_u32_e32 vcc_lo, 1, v10
	v_add_nc_u32_e32 v16, v17, v16
	s_delay_alu instid0(VALU_DEP_1) | instskip(NEXT) | instid1(VALU_DEP_1)
	v_mov_b32_dpp v17, v16 row_shr:2 row_mask:0xf bank_mask:0xf
	v_cndmask_b32_e32 v17, 0, v17, vcc_lo
	v_cmp_lt_u32_e32 vcc_lo, 3, v10
	s_delay_alu instid0(VALU_DEP_2) | instskip(NEXT) | instid1(VALU_DEP_1)
	v_add_nc_u32_e32 v16, v16, v17
	v_mov_b32_dpp v17, v16 row_shr:4 row_mask:0xf bank_mask:0xf
	s_delay_alu instid0(VALU_DEP_1) | instskip(SKIP_1) | instid1(VALU_DEP_2)
	v_cndmask_b32_e32 v17, 0, v17, vcc_lo
	v_cmp_lt_u32_e32 vcc_lo, 7, v10
	v_add_nc_u32_e32 v16, v16, v17
	s_delay_alu instid0(VALU_DEP_1) | instskip(NEXT) | instid1(VALU_DEP_1)
	v_mov_b32_dpp v17, v16 row_shr:8 row_mask:0xf bank_mask:0xf
	v_cndmask_b32_e32 v17, 0, v17, vcc_lo
	v_cmp_gt_i32_e32 vcc_lo, 0, v12
	v_cndmask_b32_e32 v18, v12, v8, vcc_lo
	s_delay_alu instid0(VALU_DEP_1) | instskip(NEXT) | instid1(VALU_DEP_4)
	v_lshlrev_b32_e32 v18, 2, v18
	v_add_nc_u32_e32 v16, v16, v17
	ds_swizzle_b32 v17, v16 offset:swizzle(BROADCAST,32,15)
	s_waitcnt lgkmcnt(0)
	v_and_b32_e32 v17, v11, v17
	s_delay_alu instid0(VALU_DEP_1) | instskip(SKIP_3) | instid1(VALU_DEP_1)
	v_add_nc_u32_e32 v16, v16, v17
	ds_bpermute_b32 v16, v18, v16
	s_waitcnt lgkmcnt(0)
	v_add_nc_u32_e32 v15, v16, v15
	v_cndmask_b32_e64 v21, v15, v2, s3
	ds_store_b32 v0, v21
	; wave barrier
	ds_load_2addr_b32 v[15:16], v0 offset0:1 offset1:2
	ds_load_2addr_b32 v[17:18], v0 offset0:3 offset1:4
	;; [unrolled: 1-line block ×3, first 2 shown]
	ds_load_b32 v22, v0 offset:28
	s_waitcnt lgkmcnt(3)
	v_add_nc_u32_e32 v15, v15, v21
	s_delay_alu instid0(VALU_DEP_1) | instskip(SKIP_1) | instid1(VALU_DEP_1)
	v_add_nc_u32_e32 v16, v16, v15
	s_waitcnt lgkmcnt(2)
	v_add_nc_u32_e32 v17, v17, v16
	s_delay_alu instid0(VALU_DEP_1) | instskip(SKIP_1) | instid1(VALU_DEP_1)
	v_add_nc_u32_e32 v18, v18, v17
	s_waitcnt lgkmcnt(1)
	v_add_nc_u32_e32 v19, v19, v18
	s_delay_alu instid0(VALU_DEP_1) | instskip(SKIP_1) | instid1(VALU_DEP_1)
	v_add_nc_u32_e32 v20, v20, v19
	s_waitcnt lgkmcnt(0)
	v_add_nc_u32_e32 v21, v22, v20
	ds_store_2addr_b32 v0, v15, v16 offset0:1 offset1:2
	ds_store_2addr_b32 v0, v17, v18 offset0:3 offset1:4
	;; [unrolled: 1-line block ×3, first 2 shown]
	ds_store_b32 v0, v21 offset:28
.LBB29_25:                              ;   in Loop: Header=BB29_21 Depth=1
	s_or_b32 exec_lo, exec_lo, s17
	v_mov_b32_e32 v16, 0
	s_waitcnt lgkmcnt(0)
	s_barrier
	buffer_gl0_inv
	s_and_saveexec_b32 s17, s2
	s_cbranch_execz .LBB29_27
; %bb.26:                               ;   in Loop: Header=BB29_21 Depth=1
	ds_load_b32 v16, v9
.LBB29_27:                              ;   in Loop: Header=BB29_21 Depth=1
	s_or_b32 exec_lo, exec_lo, s17
	ds_load_b32 v15, v5 offset:1048
	s_mov_b32 s17, exec_lo
	s_waitcnt lgkmcnt(0)
	s_barrier
	buffer_gl0_inv
	v_cmpx_ne_u32_e32 0, v2
	s_cbranch_execz .LBB29_29
; %bb.28:                               ;   in Loop: Header=BB29_21 Depth=1
	v_dual_mov_b32 v17, v5 :: v_dual_add_nc_u32 v2, v16, v3
	v_mov_b32_e32 v19, v5
	s_delay_alu instid0(VALU_DEP_2) | instskip(SKIP_2) | instid1(VALU_DEP_3)
	v_mul_lo_u32 v16, v2, s11
	v_mul_lo_u32 v18, v2, s4
	v_mov_b32_e32 v2, v5
	v_lshlrev_b64 v[16:17], 2, v[16:17]
	s_delay_alu instid0(VALU_DEP_3) | instskip(NEXT) | instid1(VALU_DEP_2)
	v_lshlrev_b64 v[18:19], 3, v[18:19]
	v_add_co_u32 v16, vcc_lo, s12, v16
	s_delay_alu instid0(VALU_DEP_3) | instskip(NEXT) | instid1(VALU_DEP_3)
	v_add_co_ci_u32_e32 v17, vcc_lo, s13, v17, vcc_lo
	v_add_co_u32 v18, vcc_lo, s14, v18
	s_delay_alu instid0(VALU_DEP_4)
	v_add_co_ci_u32_e32 v19, vcc_lo, s15, v19, vcc_lo
	global_store_b32 v[16:17], v13, off
	global_store_b64 v[18:19], v[1:2], off
.LBB29_29:                              ;   in Loop: Header=BB29_21 Depth=1
	s_or_b32 exec_lo, exec_lo, s17
	v_cmp_le_u32_e32 vcc_lo, s9, v7
	s_cbranch_vccnz .LBB29_20
; %bb.30:                               ;   in Loop: Header=BB29_21 Depth=1
	ds_store_b32 v6, v14
	s_waitcnt lgkmcnt(0)
	s_waitcnt_vscnt null, 0x0
	s_barrier
	buffer_gl0_inv
	s_and_saveexec_b32 s17, s0
	s_cbranch_execz .LBB29_32
; %bb.31:                               ;   in Loop: Header=BB29_21 Depth=1
	ds_load_2addr_b32 v[16:17], v0 offset1:1
	ds_load_2addr_b32 v[18:19], v0 offset0:2 offset1:3
	ds_load_2addr_b32 v[20:21], v0 offset0:4 offset1:5
	;; [unrolled: 1-line block ×3, first 2 shown]
	v_cmp_ne_u32_e32 vcc_lo, 0, v10
	; wave barrier
	s_waitcnt lgkmcnt(3)
	v_add_nc_u32_e32 v2, v17, v16
	s_waitcnt lgkmcnt(2)
	s_delay_alu instid0(VALU_DEP_1) | instskip(SKIP_1) | instid1(VALU_DEP_1)
	v_add3_u32 v2, v2, v18, v19
	s_waitcnt lgkmcnt(1)
	v_add3_u32 v2, v2, v20, v21
	s_waitcnt lgkmcnt(0)
	s_delay_alu instid0(VALU_DEP_1) | instskip(NEXT) | instid1(VALU_DEP_1)
	v_add3_u32 v2, v2, v22, v23
	v_mov_b32_dpp v17, v2 row_shr:1 row_mask:0xf bank_mask:0xf
	s_delay_alu instid0(VALU_DEP_1) | instskip(SKIP_1) | instid1(VALU_DEP_2)
	v_cndmask_b32_e32 v17, 0, v17, vcc_lo
	v_cmp_lt_u32_e32 vcc_lo, 1, v10
	v_add_nc_u32_e32 v2, v17, v2
	s_delay_alu instid0(VALU_DEP_1) | instskip(NEXT) | instid1(VALU_DEP_1)
	v_mov_b32_dpp v17, v2 row_shr:2 row_mask:0xf bank_mask:0xf
	v_cndmask_b32_e32 v17, 0, v17, vcc_lo
	v_cmp_lt_u32_e32 vcc_lo, 3, v10
	s_delay_alu instid0(VALU_DEP_2) | instskip(NEXT) | instid1(VALU_DEP_1)
	v_add_nc_u32_e32 v2, v2, v17
	v_mov_b32_dpp v17, v2 row_shr:4 row_mask:0xf bank_mask:0xf
	s_delay_alu instid0(VALU_DEP_1) | instskip(SKIP_1) | instid1(VALU_DEP_2)
	v_cndmask_b32_e32 v17, 0, v17, vcc_lo
	v_cmp_lt_u32_e32 vcc_lo, 7, v10
	v_add_nc_u32_e32 v2, v2, v17
	s_delay_alu instid0(VALU_DEP_1) | instskip(NEXT) | instid1(VALU_DEP_1)
	v_mov_b32_dpp v17, v2 row_shr:8 row_mask:0xf bank_mask:0xf
	v_cndmask_b32_e32 v17, 0, v17, vcc_lo
	v_cmp_gt_i32_e32 vcc_lo, 0, v12
	v_cndmask_b32_e32 v18, v12, v8, vcc_lo
	s_delay_alu instid0(VALU_DEP_1) | instskip(NEXT) | instid1(VALU_DEP_4)
	v_lshlrev_b32_e32 v18, 2, v18
	v_add_nc_u32_e32 v2, v2, v17
	ds_swizzle_b32 v17, v2 offset:swizzle(BROADCAST,32,15)
	s_waitcnt lgkmcnt(0)
	v_and_b32_e32 v17, v11, v17
	s_delay_alu instid0(VALU_DEP_1) | instskip(SKIP_3) | instid1(VALU_DEP_1)
	v_add_nc_u32_e32 v2, v2, v17
	ds_bpermute_b32 v2, v18, v2
	s_waitcnt lgkmcnt(0)
	v_add_nc_u32_e32 v2, v2, v16
	v_cndmask_b32_e64 v2, v2, v14, s3
	ds_store_b32 v0, v2
	; wave barrier
	ds_load_2addr_b32 v[16:17], v0 offset0:1 offset1:2
	ds_load_2addr_b32 v[18:19], v0 offset0:3 offset1:4
	;; [unrolled: 1-line block ×3, first 2 shown]
	ds_load_b32 v22, v0 offset:28
	s_waitcnt lgkmcnt(3)
	v_add_nc_u32_e32 v2, v16, v2
	s_delay_alu instid0(VALU_DEP_1) | instskip(SKIP_1) | instid1(VALU_DEP_1)
	v_add_nc_u32_e32 v16, v17, v2
	s_waitcnt lgkmcnt(2)
	v_add_nc_u32_e32 v17, v18, v16
	s_delay_alu instid0(VALU_DEP_1) | instskip(SKIP_1) | instid1(VALU_DEP_1)
	v_add_nc_u32_e32 v18, v19, v17
	;; [unrolled: 4-line block ×3, first 2 shown]
	s_waitcnt lgkmcnt(0)
	v_add_nc_u32_e32 v21, v22, v20
	ds_store_2addr_b32 v0, v2, v16 offset0:1 offset1:2
	ds_store_2addr_b32 v0, v17, v18 offset0:3 offset1:4
	ds_store_2addr_b32 v0, v19, v20 offset0:5 offset1:6
	ds_store_b32 v0, v21 offset:28
.LBB29_32:                              ;   in Loop: Header=BB29_21 Depth=1
	s_or_b32 exec_lo, exec_lo, s17
	v_mov_b32_e32 v2, 0
	s_waitcnt lgkmcnt(0)
	s_barrier
	buffer_gl0_inv
	s_and_saveexec_b32 s17, s2
	s_cbranch_execz .LBB29_34
; %bb.33:                               ;   in Loop: Header=BB29_21 Depth=1
	ds_load_b32 v2, v9
.LBB29_34:                              ;   in Loop: Header=BB29_21 Depth=1
	s_or_b32 exec_lo, exec_lo, s17
	ds_load_b32 v16, v5 offset:1048
	s_mov_b32 s17, exec_lo
	s_waitcnt lgkmcnt(0)
	s_barrier
	buffer_gl0_inv
	v_cmpx_ne_u32_e32 0, v14
	s_cbranch_execz .LBB29_19
; %bb.35:                               ;   in Loop: Header=BB29_21 Depth=1
	v_add_nc_u32_e32 v2, v2, v7
	s_delay_alu instid0(VALU_DEP_1)
	v_cmp_gt_u32_e32 vcc_lo, s9, v2
	s_and_b32 exec_lo, exec_lo, vcc_lo
	s_cbranch_execz .LBB29_19
; %bb.36:                               ;   in Loop: Header=BB29_21 Depth=1
	v_mul_lo_u32 v17, v2, s11
	v_mov_b32_e32 v18, v5
	v_mul_lo_u32 v19, v2, s4
	v_mov_b32_e32 v20, v5
	v_mov_b32_e32 v2, v5
	s_delay_alu instid0(VALU_DEP_4) | instskip(NEXT) | instid1(VALU_DEP_3)
	v_lshlrev_b64 v[17:18], 2, v[17:18]
	v_lshlrev_b64 v[19:20], 3, v[19:20]
	s_delay_alu instid0(VALU_DEP_2) | instskip(NEXT) | instid1(VALU_DEP_3)
	v_add_co_u32 v17, vcc_lo, s12, v17
	v_add_co_ci_u32_e32 v18, vcc_lo, s13, v18, vcc_lo
	s_delay_alu instid0(VALU_DEP_3) | instskip(NEXT) | instid1(VALU_DEP_4)
	v_add_co_u32 v19, vcc_lo, s14, v19
	v_add_co_ci_u32_e32 v20, vcc_lo, s15, v20, vcc_lo
	global_store_b32 v[17:18], v13, off
	global_store_b64 v[19:20], v[1:2], off
	s_branch .LBB29_19
	.p2align	6
.LBB29_37:                              ;   in Loop: Header=BB29_38 Depth=1
	s_add_u32 s12, s12, 4
	s_addc_u32 s13, s13, 0
	s_waitcnt lgkmcnt(0)
	s_add_i32 s31, s9, s31
	s_add_u32 s14, s14, 4
	s_addc_u32 s15, s15, 0
	s_add_i32 s8, s8, 1
	s_delay_alu instid0(SALU_CYCLE_1)
	s_cmp_lt_u32 s8, s6
	s_cbranch_scc0 .LBB29_16
.LBB29_38:                              ; =>This Inner Loop Header: Depth=1
	s_load_b32 s9, s[12:13], 0x0
	s_cmp_ge_u32 s8, s7
	s_cbranch_scc1 .LBB29_37
; %bb.39:                               ;   in Loop: Header=BB29_38 Depth=1
	s_load_b32 s10, s[14:15], 0x0
	s_waitcnt lgkmcnt(0)
	s_add_i32 s23, s9, s23
	s_add_i32 s30, s10, s30
	s_branch .LBB29_37
.LBB29_40:
	s_nop 0
	s_sendmsg sendmsg(MSG_DEALLOC_VGPRS)
	s_endpgm
	.section	.rodata,"a",@progbits
	.p2align	6, 0x0
	.amdhsa_kernel _ZN2at6native6mbtopk10gatherTopKIijLi1EEEvNS_4cuda6detail10TensorInfoIKT_T0_EES8_S8_bjS8_NS5_IS6_S8_EES8_NS5_IlS8_EES8_jjPS6_PjSD_j
		.amdhsa_group_segment_fixed_size 1068
		.amdhsa_private_segment_fixed_size 0
		.amdhsa_kernarg_size 984
		.amdhsa_user_sgpr_count 13
		.amdhsa_user_sgpr_dispatch_ptr 0
		.amdhsa_user_sgpr_queue_ptr 0
		.amdhsa_user_sgpr_kernarg_segment_ptr 1
		.amdhsa_user_sgpr_dispatch_id 0
		.amdhsa_user_sgpr_private_segment_size 0
		.amdhsa_wavefront_size32 1
		.amdhsa_uses_dynamic_stack 0
		.amdhsa_enable_private_segment 0
		.amdhsa_system_sgpr_workgroup_id_x 1
		.amdhsa_system_sgpr_workgroup_id_y 1
		.amdhsa_system_sgpr_workgroup_id_z 1
		.amdhsa_system_sgpr_workgroup_info 0
		.amdhsa_system_vgpr_workitem_id 0
		.amdhsa_next_free_vgpr 24
		.amdhsa_next_free_sgpr 36
		.amdhsa_reserve_vcc 1
		.amdhsa_float_round_mode_32 0
		.amdhsa_float_round_mode_16_64 0
		.amdhsa_float_denorm_mode_32 3
		.amdhsa_float_denorm_mode_16_64 3
		.amdhsa_dx10_clamp 1
		.amdhsa_ieee_mode 1
		.amdhsa_fp16_overflow 0
		.amdhsa_workgroup_processor_mode 1
		.amdhsa_memory_ordered 1
		.amdhsa_forward_progress 0
		.amdhsa_shared_vgpr_count 0
		.amdhsa_exception_fp_ieee_invalid_op 0
		.amdhsa_exception_fp_denorm_src 0
		.amdhsa_exception_fp_ieee_div_zero 0
		.amdhsa_exception_fp_ieee_overflow 0
		.amdhsa_exception_fp_ieee_underflow 0
		.amdhsa_exception_fp_ieee_inexact 0
		.amdhsa_exception_int_div_zero 0
	.end_amdhsa_kernel
	.section	.text._ZN2at6native6mbtopk10gatherTopKIijLi1EEEvNS_4cuda6detail10TensorInfoIKT_T0_EES8_S8_bjS8_NS5_IS6_S8_EES8_NS5_IlS8_EES8_jjPS6_PjSD_j,"axG",@progbits,_ZN2at6native6mbtopk10gatherTopKIijLi1EEEvNS_4cuda6detail10TensorInfoIKT_T0_EES8_S8_bjS8_NS5_IS6_S8_EES8_NS5_IlS8_EES8_jjPS6_PjSD_j,comdat
.Lfunc_end29:
	.size	_ZN2at6native6mbtopk10gatherTopKIijLi1EEEvNS_4cuda6detail10TensorInfoIKT_T0_EES8_S8_bjS8_NS5_IS6_S8_EES8_NS5_IlS8_EES8_jjPS6_PjSD_j, .Lfunc_end29-_ZN2at6native6mbtopk10gatherTopKIijLi1EEEvNS_4cuda6detail10TensorInfoIKT_T0_EES8_S8_bjS8_NS5_IS6_S8_EES8_NS5_IlS8_EES8_jjPS6_PjSD_j
                                        ; -- End function
	.section	.AMDGPU.csdata,"",@progbits
; Kernel info:
; codeLenInByte = 2504
; NumSgprs: 38
; NumVgprs: 24
; ScratchSize: 0
; MemoryBound: 0
; FloatMode: 240
; IeeeMode: 1
; LDSByteSize: 1068 bytes/workgroup (compile time only)
; SGPRBlocks: 4
; VGPRBlocks: 2
; NumSGPRsForWavesPerEU: 38
; NumVGPRsForWavesPerEU: 24
; Occupancy: 16
; WaveLimiterHint : 1
; COMPUTE_PGM_RSRC2:SCRATCH_EN: 0
; COMPUTE_PGM_RSRC2:USER_SGPR: 13
; COMPUTE_PGM_RSRC2:TRAP_HANDLER: 0
; COMPUTE_PGM_RSRC2:TGID_X_EN: 1
; COMPUTE_PGM_RSRC2:TGID_Y_EN: 1
; COMPUTE_PGM_RSRC2:TGID_Z_EN: 1
; COMPUTE_PGM_RSRC2:TIDIG_COMP_CNT: 0
	.section	.text._ZN2at6native6sbtopk10gatherTopKIijLi1ELb0EEEvNS_4cuda6detail10TensorInfoIKT_T0_EES8_S8_bS8_S8_NS5_IS6_S8_EES8_NS5_IlS8_EES8_PS6_,"axG",@progbits,_ZN2at6native6sbtopk10gatherTopKIijLi1ELb0EEEvNS_4cuda6detail10TensorInfoIKT_T0_EES8_S8_bS8_S8_NS5_IS6_S8_EES8_NS5_IlS8_EES8_PS6_,comdat
	.protected	_ZN2at6native6sbtopk10gatherTopKIijLi1ELb0EEEvNS_4cuda6detail10TensorInfoIKT_T0_EES8_S8_bS8_S8_NS5_IS6_S8_EES8_NS5_IlS8_EES8_PS6_ ; -- Begin function _ZN2at6native6sbtopk10gatherTopKIijLi1ELb0EEEvNS_4cuda6detail10TensorInfoIKT_T0_EES8_S8_bS8_S8_NS5_IS6_S8_EES8_NS5_IlS8_EES8_PS6_
	.globl	_ZN2at6native6sbtopk10gatherTopKIijLi1ELb0EEEvNS_4cuda6detail10TensorInfoIKT_T0_EES8_S8_bS8_S8_NS5_IS6_S8_EES8_NS5_IlS8_EES8_PS6_
	.p2align	8
	.type	_ZN2at6native6sbtopk10gatherTopKIijLi1ELb0EEEvNS_4cuda6detail10TensorInfoIKT_T0_EES8_S8_bS8_S8_NS5_IS6_S8_EES8_NS5_IlS8_EES8_PS6_,@function
_ZN2at6native6sbtopk10gatherTopKIijLi1ELb0EEEvNS_4cuda6detail10TensorInfoIKT_T0_EES8_S8_bS8_S8_NS5_IS6_S8_EES8_NS5_IlS8_EES8_PS6_: ; @_ZN2at6native6sbtopk10gatherTopKIijLi1ELb0EEEvNS_4cuda6detail10TensorInfoIKT_T0_EES8_S8_bS8_S8_NS5_IS6_S8_EES8_NS5_IlS8_EES8_PS6_
; %bb.0:
	s_clause 0x1
	s_load_b64 s[4:5], s[0:1], 0x2b8
	s_load_b128 s[36:39], s[0:1], 0xd8
	s_add_u32 s6, s0, 0x2b8
	s_addc_u32 s7, s1, 0
	s_waitcnt lgkmcnt(0)
	s_mul_i32 s2, s5, s15
	s_delay_alu instid0(SALU_CYCLE_1) | instskip(NEXT) | instid1(SALU_CYCLE_1)
	s_add_i32 s2, s2, s14
	s_mul_i32 s45, s2, s4
	s_delay_alu instid0(SALU_CYCLE_1) | instskip(NEXT) | instid1(SALU_CYCLE_1)
	s_add_i32 s45, s45, s13
	s_cmp_ge_u32 s45, s39
	s_cbranch_scc1 .LBB30_466
; %bb.1:
	s_clause 0x4
	s_load_b64 s[34:35], s[0:1], 0x1d0
	s_load_b64 s[40:41], s[0:1], 0xf0
	s_load_b32 s30, s[0:1], 0xe8
	s_load_b32 s8, s[0:1], 0x6c
	s_load_b64 s[2:3], s[0:1], 0x0
	v_cmp_eq_u32_e64 s5, 0, v0
	s_mov_b32 s43, 0
	s_delay_alu instid0(VALU_DEP_1)
	s_and_saveexec_b32 s9, s5
	s_cbranch_execz .LBB30_3
; %bb.2:
	v_dual_mov_b32 v1, 0 :: v_dual_mov_b32 v2, s36
	s_delay_alu instid0(VALU_DEP_1)
	v_mov_b32_e32 v3, v1
	ds_store_b96 v1, v[1:3] offset:4096
.LBB30_3:
	s_or_b32 exec_lo, exec_lo, s9
	s_waitcnt lgkmcnt(0)
	s_barrier
	buffer_gl0_inv
	s_load_b32 s10, s[6:7], 0xc
	s_mul_i32 s42, s8, s45
	v_mbcnt_lo_u32_b32 v17, -1, 0
	s_lshl_b64 s[8:9], s[42:43], 2
	v_cmp_gt_u32_e32 vcc_lo, 32, v0
	s_add_u32 s31, s2, s8
	s_addc_u32 s33, s3, s9
	s_bitcmp1_b32 s38, 0
	v_cmp_gt_i32_e64 s2, 4, v17
	s_cselect_b32 s3, -1, 0
	v_mul_lo_u32 v7, v0, s30
	s_xor_b32 s48, s3, -1
	s_clause 0x1
	s_load_b32 s46, s[0:1], 0x23c
	s_load_b32 s47, s[0:1], 0x15c
	s_and_b32 s49, vcc_lo, s2
	v_dual_mov_b32 v29, 0 :: v_dual_lshlrev_b32 v26, 4, v0
	v_lshl_or_b32 v27, v17, 2, 0xc00
	v_dual_mov_b32 v15, 0 :: v_dual_lshlrev_b32 v24, 2, v7
	v_mov_b32_e32 v28, 0
	s_waitcnt lgkmcnt(0)
	s_and_b32 s42, s10, 0xffff
	s_bfe_u32 s2, s10, 0xb0005
	s_lshl_b32 s50, s42, 2
	s_cmpk_gt_u32 s36, 0x300
	v_cvt_f32_u32_e32 v1, s50
	s_cselect_b32 s51, -1, 0
	s_cmp_gt_u32 s42, 31
	v_cvt_f32_u32_e32 v2, s42
	s_cselect_b32 s52, -1, 0
	v_rcp_iflag_f32_e32 v1, v1
	s_add_i32 s53, s42, -1
	v_lshlrev_b32_e32 v18, 2, v0
	s_add_i32 s9, s53, s36
	s_cmp_lt_u32 s13, s4
	v_rcp_iflag_f32_e32 v2, v2
	s_cselect_b32 s4, 12, 18
	v_mov_b32_e32 v9, 0
	s_add_u32 s38, s6, s4
	s_addc_u32 s39, s7, 0
	s_waitcnt_depctr 0xfff
	v_mul_f32_e32 v1, 0x4f7ffffe, v1
	s_add_i32 s4, s2, -1
	s_bfe_u32 s54, s42, 0x30005
	s_cmp_gt_u32 s4, 6
	v_mad_u64_u32 v[12:13], null, s30, v18, s[30:31]
	v_mul_f32_e32 v2, 0x4f7ffffe, v2
	v_cvt_u32_f32_e32 v1, v1
	s_cselect_b32 s55, -1, 0
	s_and_b32 s56, s2, 0x7f8
	s_cmp_lg_u32 s54, 0
	v_cvt_u32_f32_e32 v2, v2
	v_readfirstlane_b32 s2, v1
	s_cselect_b32 s57, -1, 0
	s_sub_i32 s6, 0, s50
	v_lshrrev_b32_e32 v1, 3, v0
	v_mov_b32_e32 v8, v9
	s_mul_i32 s6, s6, s2
	v_cmp_gt_u32_e64 s4, s36, v0
	s_mul_hi_u32 s6, s2, s6
	v_and_b32_e32 v19, 0x7c, v1
	s_add_i32 s58, s2, s6
	v_cmp_gt_u32_e64 s6, 2, v0
	s_mul_hi_u32 s2, s36, s58
	v_dual_mov_b32 v13, 1 :: v_dual_add_nc_u32 v20, 0xc00, v18
	s_mul_i32 s7, s2, s50
	v_cmp_eq_u32_e64 s2, 0, v17
	s_sub_i32 s7, s36, s7
	s_mul_i32 s44, s30, s42
	s_sub_i32 s8, s7, s50
	s_cmp_ge_u32 s7, s50
	s_mov_b32 s70, 30
	s_cselect_b32 s7, s8, s7
	v_readfirstlane_b32 s8, v2
	s_sub_i32 s10, s7, s50
	s_cmp_ge_u32 s7, s50
	v_lshlrev_b64 v[1:2], v17, -1
	s_cselect_b32 s10, s10, s7
	v_lshlrev_b64 v[2:3], 2, v[7:8]
	s_sub_i32 s59, s36, s10
	s_delay_alu instid0(SALU_CYCLE_1)
	v_dual_mov_b32 v30, s37 :: v_dual_add_nc_u32 v21, s59, v0
	s_sub_i32 s7, 0, s42
	v_not_b32_e32 v16, v1
	s_mul_i32 s7, s7, s8
	v_add_co_u32 v5, vcc_lo, s31, v2
	v_mul_lo_u32 v8, v21, s30
	s_mul_hi_u32 s7, s8, s7
	v_add_co_ci_u32_e32 v6, vcc_lo, s33, v3, vcc_lo
	s_add_i32 s60, s8, s7
	v_or_b32_e32 v3, 3, v18
	s_mul_hi_u32 s7, s9, s60
	s_mov_b32 s65, 0
	s_delay_alu instid0(VALU_DEP_3) | instskip(SKIP_3) | instid1(SALU_CYCLE_1)
	v_lshlrev_b64 v[1:2], 2, v[8:9]
	s_mul_i32 s7, s7, s42
	v_mul_lo_u32 v23, s30, v3
	s_sub_i32 s7, s9, s7
                                        ; implicit-def: $sgpr64
                                        ; implicit-def: $sgpr68
                                        ; implicit-def: $sgpr67
                                        ; implicit-def: $sgpr69
                                        ; implicit-def: $sgpr66
                                        ; implicit-def: $sgpr71
                                        ; implicit-def: $sgpr73
                                        ; implicit-def: $sgpr72
                                        ; implicit-def: $sgpr74
                                        ; implicit-def: $sgpr75
	s_sub_i32 s8, s7, s42
	s_delay_alu instid0(VALU_DEP_2)
	v_add_co_u32 v10, vcc_lo, s31, v1
	v_add3_u32 v1, s42, s36, v0
	s_cmp_ge_u32 s7, s42
	v_add_co_ci_u32_e32 v11, vcc_lo, s33, v2, vcc_lo
	s_cselect_b32 s8, s8, s7
	v_or_b32_e32 v2, 2, v18
	v_subrev_nc_u32_e32 v1, s10, v1
	s_sub_i32 s11, s8, s42
	s_cmp_ge_u32 s8, s42
	v_cmp_gt_u32_e64 s7, s59, v18
	s_cselect_b32 s11, s11, s8
	v_mul_lo_u32 v22, s30, v2
	v_mul_lo_u32 v25, s30, v1
	s_sub_i32 s61, s9, s11
	v_cmp_gt_u32_e64 s8, s36, v21
	v_cmp_gt_u32_e64 s9, s61, v0
	s_lshl_b32 s62, s44, 2
	s_lshl_b32 s63, s42, 4
	s_branch .LBB30_6
.LBB30_4:                               ;   in Loop: Header=BB30_6 Depth=1
	s_or_b32 exec_lo, exec_lo, s13
	v_dual_mov_b32 v28, v4 :: v_dual_mov_b32 v29, v3
	v_dual_mov_b32 v30, v31 :: v_dual_mov_b32 v15, v2
	s_and_not1_b32 s13, s75, exec_lo
	s_and_b32 s12, s12, exec_lo
	s_and_not1_b32 s74, s74, exec_lo
	s_or_b32 s75, s13, s12
	s_and_not1_b32 s72, s72, exec_lo
	s_and_not1_b32 s73, s73, exec_lo
	;; [unrolled: 1-line block ×3, first 2 shown]
	s_or_not1_b32 s12, s11, exec_lo
.LBB30_5:                               ;   in Loop: Header=BB30_6 Depth=1
	s_or_b32 exec_lo, exec_lo, s10
	s_delay_alu instid0(SALU_CYCLE_1) | instskip(NEXT) | instid1(SALU_CYCLE_1)
	s_and_b32 s10, exec_lo, s12
	s_or_b32 s43, s10, s43
	s_and_not1_b32 s10, s66, exec_lo
	s_and_b32 s11, s75, exec_lo
	s_and_not1_b32 s12, s69, exec_lo
	s_or_b32 s66, s10, s11
	s_and_b32 s10, s74, exec_lo
	s_and_not1_b32 s11, s67, exec_lo
	s_and_b32 s13, s72, exec_lo
	s_or_b32 s69, s12, s10
	s_or_b32 s67, s11, s13
	s_and_not1_b32 s10, s68, exec_lo
	s_and_b32 s11, s73, exec_lo
	s_and_not1_b32 s12, s64, exec_lo
	s_and_b32 s13, s71, exec_lo
	s_or_b32 s68, s10, s11
	s_or_b32 s64, s12, s13
	s_and_not1_b32 exec_lo, exec_lo, s43
	s_cbranch_execz .LBB30_406
.LBB30_6:                               ; =>This Loop Header: Depth=1
                                        ;     Child Loop BB30_14 Depth 2
                                        ;     Child Loop BB30_29 Depth 2
	;; [unrolled: 1-line block ×24, first 2 shown]
	ds_load_b64 v[1:2], v9 offset:4096
	s_waitcnt lgkmcnt(0)
	v_readfirstlane_b32 s76, v1
	s_delay_alu instid0(VALU_DEP_1)
	s_cmp_lg_u32 s76, 0
	s_cbranch_scc1 .LBB30_36
; %bb.7:                                ;   in Loop: Header=BB30_6 Depth=1
	s_and_b32 vcc_lo, exec_lo, s51
	s_cbranch_vccz .LBB30_22
; %bb.8:                                ;   in Loop: Header=BB30_6 Depth=1
	v_cmp_gt_u32_e32 vcc_lo, 0x301, v2
	s_mov_b32 s76, 0
	s_mov_b32 s10, 0
	s_cbranch_vccz .LBB30_23
; %bb.9:                                ;   in Loop: Header=BB30_6 Depth=1
	v_mov_b32_e32 v1, 0
	s_and_saveexec_b32 s10, s4
	s_cbranch_execz .LBB30_11
; %bb.10:                               ;   in Loop: Header=BB30_6 Depth=1
	global_load_b32 v1, v[5:6], off
.LBB30_11:                              ;   in Loop: Header=BB30_6 Depth=1
	s_or_b32 exec_lo, exec_lo, s10
	s_and_saveexec_b32 s12, s4
	s_cbranch_execz .LBB30_87
; %bb.12:                               ;   in Loop: Header=BB30_6 Depth=1
	global_load_u16 v2, v9, s[38:39]
	v_mov_b32_e32 v4, v0
	s_mov_b32 s13, 0
	s_waitcnt vmcnt(0)
	v_add_nc_u32_e32 v3, v0, v2
	s_delay_alu instid0(VALU_DEP_1)
	v_mul_lo_u32 v8, s30, v3
	v_mul_lo_u32 v3, s30, v2
	s_branch .LBB30_14
.LBB30_13:                              ;   in Loop: Header=BB30_14 Depth=2
	s_or_b32 exec_lo, exec_lo, s11
	s_waitcnt vmcnt(0)
	v_dual_mov_b32 v1, v14 :: v_dual_add_nc_u32 v8, v8, v3
	s_and_not1_b32 exec_lo, exec_lo, s13
	s_cbranch_execz .LBB30_87
.LBB30_14:                              ;   Parent Loop BB30_6 Depth=1
                                        ; =>  This Inner Loop Header: Depth=2
	s_waitcnt lgkmcnt(0)
	v_dual_mov_b32 v31, 0 :: v_dual_add_nc_u32 v4, v4, v2
	v_mov_b32_e32 v14, 0
	s_mov_b32 s11, exec_lo
	s_delay_alu instid0(VALU_DEP_2)
	v_cmp_le_u32_e32 vcc_lo, s36, v4
	v_cmpx_gt_u32_e64 s36, v4
	s_cbranch_execz .LBB30_16
; %bb.15:                               ;   in Loop: Header=BB30_14 Depth=2
	v_lshlrev_b64 v[32:33], 2, v[8:9]
	s_delay_alu instid0(VALU_DEP_1) | instskip(NEXT) | instid1(VALU_DEP_1)
	v_add_co_u32 v32, s10, s31, v32
	v_add_co_ci_u32_e64 v33, s10, s33, v33, s10
	global_load_b32 v14, v[32:33], off
.LBB30_16:                              ;   in Loop: Header=BB30_14 Depth=2
	s_or_b32 exec_lo, exec_lo, s11
	v_xor_b32_e32 v32, 0x80000000, v1
	s_delay_alu instid0(VALU_DEP_1) | instskip(NEXT) | instid1(VALU_DEP_1)
	v_and_b32_e32 v32, v32, v28
	v_cmp_eq_u32_e64 s10, v32, v29
	s_delay_alu instid0(VALU_DEP_1) | instskip(SKIP_1) | instid1(SALU_CYCLE_1)
	s_cmp_lg_u32 s10, 0
	s_cselect_b32 s11, -1, 0
	s_and_b32 s11, s2, s11
	s_delay_alu instid0(SALU_CYCLE_1)
	s_and_saveexec_b32 s14, s11
	s_cbranch_execz .LBB30_20
; %bb.17:                               ;   in Loop: Header=BB30_14 Depth=2
	s_mov_b32 s17, exec_lo
	s_bcnt1_i32_b32 s15, s10
	v_mbcnt_lo_u32_b32 v31, s17, 0
	s_mov_b32 s16, exec_lo
                                        ; implicit-def: $vgpr32
	s_delay_alu instid0(VALU_DEP_1)
	v_cmpx_eq_u32_e32 0, v31
	s_cbranch_execz .LBB30_19
; %bb.18:                               ;   in Loop: Header=BB30_14 Depth=2
	s_bcnt1_i32_b32 s11, s17
	s_delay_alu instid0(SALU_CYCLE_1) | instskip(NEXT) | instid1(SALU_CYCLE_1)
	s_mul_i32 s11, s15, s11
	v_mov_b32_e32 v32, s11
	ds_add_rtn_u32 v32, v9, v32 offset:4104
.LBB30_19:                              ;   in Loop: Header=BB30_14 Depth=2
	s_or_b32 exec_lo, exec_lo, s16
	s_waitcnt lgkmcnt(0)
	v_readfirstlane_b32 s11, v32
	s_delay_alu instid0(VALU_DEP_1)
	v_mad_u32_u24 v31, s15, v31, s11
.LBB30_20:                              ;   in Loop: Header=BB30_14 Depth=2
	s_or_b32 exec_lo, exec_lo, s14
	ds_bpermute_b32 v31, v9, v31
	s_and_b32 s11, exec_lo, vcc_lo
	s_delay_alu instid0(SALU_CYCLE_1)
	s_or_b32 s13, s11, s13
	s_and_saveexec_b32 s11, s10
	s_cbranch_execz .LBB30_13
; %bb.21:                               ;   in Loop: Header=BB30_14 Depth=2
	v_and_b32_e32 v32, s10, v16
	s_delay_alu instid0(VALU_DEP_1) | instskip(NEXT) | instid1(VALU_DEP_1)
	v_bcnt_u32_b32 v32, v32, 0
	v_lshlrev_b32_e32 v32, 2, v32
	s_waitcnt lgkmcnt(0)
	s_delay_alu instid0(VALU_DEP_1)
	v_lshl_add_u32 v31, v31, 2, v32
	ds_store_b32 v31, v1
	s_branch .LBB30_13
.LBB30_22:                              ;   in Loop: Header=BB30_6 Depth=1
	s_mov_b32 s76, -1
	s_mov_b32 s10, 0
.LBB30_23:                              ;   in Loop: Header=BB30_6 Depth=1
	s_and_b32 vcc_lo, exec_lo, s76
	s_cbranch_vccz .LBB30_34
.LBB30_24:                              ;   in Loop: Header=BB30_6 Depth=1
	v_mov_b32_e32 v1, 0
	s_and_saveexec_b32 s10, s4
	s_cbranch_execz .LBB30_26
; %bb.25:                               ;   in Loop: Header=BB30_6 Depth=1
	global_load_b32 v1, v[5:6], off
.LBB30_26:                              ;   in Loop: Header=BB30_6 Depth=1
	s_or_b32 exec_lo, exec_lo, s10
	s_and_saveexec_b32 s11, s4
	s_cbranch_execz .LBB30_31
; %bb.27:                               ;   in Loop: Header=BB30_6 Depth=1
	global_load_u16 v2, v9, s[38:39]
	s_mov_b32 s12, 0
	v_dual_mov_b32 v14, v18 :: v_dual_mov_b32 v31, v0
	s_waitcnt vmcnt(0)
	v_add_nc_u32_e32 v3, v0, v2
	v_lshlrev_b32_e32 v4, 2, v2
	s_delay_alu instid0(VALU_DEP_2)
	v_mul_lo_u32 v8, s30, v3
	v_mul_lo_u32 v3, s30, v2
	s_set_inst_prefetch_distance 0x1
	s_branch .LBB30_29
	.p2align	6
.LBB30_28:                              ;   in Loop: Header=BB30_29 Depth=2
	s_or_b32 exec_lo, exec_lo, s13
	ds_store_b32 v14, v1
	s_waitcnt vmcnt(0)
	v_dual_mov_b32 v1, v32 :: v_dual_add_nc_u32 v14, v14, v4
	v_add_nc_u32_e32 v8, v8, v3
	s_and_b32 s10, exec_lo, vcc_lo
	s_delay_alu instid0(SALU_CYCLE_1) | instskip(NEXT) | instid1(SALU_CYCLE_1)
	s_or_b32 s12, s10, s12
	s_and_not1_b32 exec_lo, exec_lo, s12
	s_cbranch_execz .LBB30_31
.LBB30_29:                              ;   Parent Loop BB30_6 Depth=1
                                        ; =>  This Inner Loop Header: Depth=2
	v_dual_mov_b32 v32, 0 :: v_dual_add_nc_u32 v31, v31, v2
	s_mov_b32 s13, exec_lo
	s_delay_alu instid0(VALU_DEP_1)
	v_cmp_le_u32_e32 vcc_lo, s36, v31
	v_cmpx_gt_u32_e64 s36, v31
	s_cbranch_execz .LBB30_28
; %bb.30:                               ;   in Loop: Header=BB30_29 Depth=2
	v_lshlrev_b64 v[32:33], 2, v[8:9]
	s_delay_alu instid0(VALU_DEP_1) | instskip(NEXT) | instid1(VALU_DEP_1)
	v_add_co_u32 v32, s10, s31, v32
	v_add_co_ci_u32_e64 v33, s10, s33, v33, s10
	global_load_b32 v32, v[32:33], off
	s_branch .LBB30_28
.LBB30_31:                              ;   in Loop: Header=BB30_6 Depth=1
	s_set_inst_prefetch_distance 0x2
	s_or_b32 exec_lo, exec_lo, s11
	s_waitcnt vmcnt(0) lgkmcnt(0)
	s_barrier
	buffer_gl0_inv
	s_and_saveexec_b32 s10, s5
	s_cbranch_execz .LBB30_33
; %bb.32:                               ;   in Loop: Header=BB30_6 Depth=1
	v_mov_b32_e32 v1, s36
	ds_store_b32 v9, v1 offset:4096
.LBB30_33:                              ;   in Loop: Header=BB30_6 Depth=1
	s_or_b32 exec_lo, exec_lo, s10
	s_mov_b32 s10, -1
	s_waitcnt lgkmcnt(0)
	s_barrier
                                        ; implicit-def: $sgpr76
.LBB30_34:                              ;   in Loop: Header=BB30_6 Depth=1
	s_and_b32 vcc_lo, exec_lo, s10
	s_cbranch_vccz .LBB30_36
; %bb.35:                               ;   in Loop: Header=BB30_6 Depth=1
	buffer_gl0_inv
	ds_load_b32 v1, v9 offset:4096
	s_waitcnt lgkmcnt(0)
	v_readfirstlane_b32 s76, v1
.LBB30_36:                              ;   in Loop: Header=BB30_6 Depth=1
	s_delay_alu instid0(VALU_DEP_1)
	s_cmp_lt_i32 s76, 1
	s_cbranch_scc0 .LBB30_40
; %bb.37:                               ;   in Loop: Header=BB30_6 Depth=1
	v_dual_mov_b32 v1, 0 :: v_dual_mov_b32 v2, 0
	v_dual_mov_b32 v3, 0 :: v_dual_mov_b32 v4, 0
	s_mov_b32 s22, 0
	s_and_saveexec_b32 s21, s7
	s_cbranch_execnz .LBB30_41
; %bb.38:                               ;   in Loop: Header=BB30_6 Depth=1
	s_or_b32 exec_lo, exec_lo, s21
	v_mov_b32_e32 v31, 0
	s_and_saveexec_b32 s10, s8
	s_cbranch_execnz .LBB30_44
.LBB30_39:                              ;   in Loop: Header=BB30_6 Depth=1
	s_or_b32 exec_lo, exec_lo, s10
	s_and_saveexec_b32 s14, s8
	s_cbranch_execnz .LBB30_45
	s_branch .LBB30_50
.LBB30_40:                              ;   in Loop: Header=BB30_6 Depth=1
                                        ; implicit-def: $vgpr4
	s_cbranch_execnz .LBB30_51
	s_branch .LBB30_60
.LBB30_41:                              ;   in Loop: Header=BB30_6 Depth=1
	v_mov_b32_e32 v14, v18
	s_and_b32 s23, s70, 0xfe
	s_mov_b32 s24, 0
	s_mov_b32 s25, 0
	;; [unrolled: 1-line block ×5, first 2 shown]
.LBB30_42:                              ;   Parent Loop BB30_6 Depth=1
                                        ; =>  This Inner Loop Header: Depth=2
	v_add_nc_u32_e32 v8, s24, v24
	v_add_nc_u32_e32 v14, s50, v14
	s_delay_alu instid0(VALU_DEP_2) | instskip(SKIP_1) | instid1(VALU_DEP_1)
	v_lshlrev_b64 v[1:2], 2, v[8:9]
	v_add_nc_u32_e32 v8, s24, v12
	v_lshlrev_b64 v[3:4], 2, v[8:9]
	v_add_nc_u32_e32 v8, s24, v22
	s_delay_alu instid0(VALU_DEP_4) | instskip(SKIP_1) | instid1(VALU_DEP_3)
	v_add_co_u32 v1, vcc_lo, s31, v1
	v_add_co_ci_u32_e32 v2, vcc_lo, s33, v2, vcc_lo
	v_lshlrev_b64 v[31:32], 2, v[8:9]
	v_add_nc_u32_e32 v8, s24, v23
	s_add_i32 s24, s24, s62
	global_load_b32 v33, v[1:2], off
	v_add_co_u32 v1, vcc_lo, s31, v3
	v_add_co_ci_u32_e32 v2, vcc_lo, s33, v4, vcc_lo
	v_add_co_u32 v31, vcc_lo, s31, v31
	v_add_co_ci_u32_e32 v32, vcc_lo, s33, v32, vcc_lo
	v_lshlrev_b64 v[3:4], 2, v[8:9]
	s_clause 0x1
	global_load_b32 v8, v[1:2], off
	global_load_b32 v31, v[31:32], off
	v_add_co_u32 v1, vcc_lo, s31, v3
	v_add_co_ci_u32_e32 v2, vcc_lo, s33, v4, vcc_lo
	v_cmp_le_u32_e32 vcc_lo, s59, v14
	global_load_b32 v1, v[1:2], off
	s_waitcnt vmcnt(3)
	v_xor_b32_e32 v2, 0x80000000, v33
	s_delay_alu instid0(VALU_DEP_1) | instskip(SKIP_3) | instid1(VALU_DEP_3)
	v_and_b32_e32 v3, v2, v28
	v_bfe_u32 v2, v2, s23, 2
	s_waitcnt vmcnt(2)
	v_xor_b32_e32 v4, 0x80000000, v8
	v_cmp_eq_u32_e64 s10, v3, v29
	s_delay_alu instid0(VALU_DEP_3)
	v_cmp_eq_u32_e64 s11, 0, v2
	s_waitcnt vmcnt(1)
	v_xor_b32_e32 v8, 0x80000000, v31
	v_cmp_eq_u32_e64 s12, 1, v2
	v_and_b32_e32 v3, v4, v28
	v_bfe_u32 v4, v4, s23, 2
	v_cmp_eq_u32_e64 s13, 2, v2
	s_and_b32 s11, s10, s11
	v_cmp_eq_u32_e64 s14, 3, v2
	v_cmp_eq_u32_e64 s15, v3, v29
	v_and_b32_e32 v2, v8, v28
	v_bfe_u32 v3, v8, s23, 2
	v_cmp_eq_u32_e64 s16, 0, v4
	v_cndmask_b32_e64 v8, 0, 1, s11
	v_cmp_eq_u32_e64 s11, 1, v4
	s_and_b32 s12, s10, s12
	s_and_b32 s13, s10, s13
	v_cndmask_b32_e64 v31, 0, 1, s12
	v_cmp_eq_u32_e64 s12, 2, v4
	s_waitcnt vmcnt(0)
	v_xor_b32_e32 v1, 0x80000000, v1
	v_cndmask_b32_e64 v32, 0, 1, s13
	s_and_b32 s10, s10, s14
	s_and_b32 s16, s15, s16
	;; [unrolled: 1-line block ×3, first 2 shown]
	v_cmp_eq_u32_e64 s13, 3, v4
	v_cndmask_b32_e64 v4, 0, 1, s10
	v_cmp_eq_u32_e64 s10, v2, v29
	v_cmp_eq_u32_e64 s14, 0, v3
	v_cmp_ne_u32_e64 s17, 0, v8
	v_cndmask_b32_e64 v8, 0, 1, s16
	v_cmp_eq_u32_e64 s16, 1, v3
	v_cmp_ne_u32_e64 s18, 0, v31
	v_cndmask_b32_e64 v31, 0, 1, s11
	v_cmp_eq_u32_e64 s11, 2, v3
	s_and_b32 s12, s15, s12
	v_and_b32_e32 v2, v1, v28
	v_bfe_u32 v1, v1, s23, 2
	v_cmp_ne_u32_e64 s19, 0, v32
	v_cndmask_b32_e64 v32, 0, 1, s12
	v_cmp_eq_u32_e64 s12, 3, v3
	s_and_b32 s13, s15, s13
	s_and_b32 s14, s10, s14
	;; [unrolled: 1-line block ×4, first 2 shown]
	v_cmp_ne_u32_e64 s20, 0, v4
	v_cndmask_b32_e64 v3, 0, 1, s13
	v_cmp_eq_u32_e64 s13, v2, v29
	v_cmp_eq_u32_e64 s15, 0, v1
	s_bcnt1_i32_b32 s29, s17
	v_cmp_ne_u32_e64 s17, 0, v8
	v_cndmask_b32_e64 v2, 0, 1, s14
	v_cmp_eq_u32_e64 s14, 1, v1
	v_cndmask_b32_e64 v4, 0, 1, s16
	v_cmp_eq_u32_e64 s16, 2, v1
	v_cndmask_b32_e64 v8, 0, 1, s11
	v_cmp_eq_u32_e64 s11, 3, v1
	s_and_b32 s10, s10, s12
	s_bcnt1_i32_b32 s79, s20
	v_cndmask_b32_e64 v1, 0, 1, s10
	v_cmp_ne_u32_e64 s20, 0, v3
	s_and_b32 s12, s13, s15
	s_and_b32 s14, s13, s14
	;; [unrolled: 1-line block ×4, first 2 shown]
	v_cmp_ne_u32_e64 s10, 0, v2
	v_cndmask_b32_e64 v2, 0, 1, s12
	v_cmp_ne_u32_e64 s12, 0, v4
	v_cndmask_b32_e64 v3, 0, 1, s14
	v_cndmask_b32_e64 v4, 0, 1, s15
	v_cmp_ne_u32_e64 s15, 0, v1
	v_cndmask_b32_e64 v1, 0, 1, s11
	s_bcnt1_i32_b32 s77, s18
	v_cmp_ne_u32_e64 s18, 0, v31
	s_bcnt1_i32_b32 s78, s19
	v_cmp_ne_u32_e64 s19, 0, v32
	s_add_i32 s25, s79, s25
	v_cmp_ne_u32_e64 s14, 0, v8
	s_bcnt1_i32_b32 s16, s20
	s_bcnt1_i32_b32 s20, s10
	s_add_i32 s16, s25, s16
	v_cmp_ne_u32_e64 s10, 0, v2
	s_bcnt1_i32_b32 s25, s12
	v_cmp_ne_u32_e64 s11, 0, v3
	v_cmp_ne_u32_e64 s12, 0, v4
	;; [unrolled: 1-line block ×3, first 2 shown]
	s_add_i32 s28, s29, s28
	s_add_i32 s27, s77, s27
	;; [unrolled: 1-line block ×3, first 2 shown]
	s_bcnt1_i32_b32 s17, s17
	s_bcnt1_i32_b32 s18, s18
	;; [unrolled: 1-line block ×3, first 2 shown]
	s_add_i32 s17, s28, s17
	s_add_i32 s18, s27, s18
	;; [unrolled: 1-line block ×3, first 2 shown]
	s_bcnt1_i32_b32 s14, s14
	s_bcnt1_i32_b32 s15, s15
	s_add_i32 s17, s17, s20
	s_add_i32 s18, s18, s25
	;; [unrolled: 1-line block ×4, first 2 shown]
	s_bcnt1_i32_b32 s10, s10
	s_bcnt1_i32_b32 s11, s11
	;; [unrolled: 1-line block ×4, first 2 shown]
	s_add_i32 s28, s17, s10
	s_add_i32 s27, s18, s11
	;; [unrolled: 1-line block ×4, first 2 shown]
	s_delay_alu instid0(SALU_CYCLE_1) | instskip(SKIP_2) | instid1(SALU_CYCLE_1)
	v_dual_mov_b32 v1, s28 :: v_dual_mov_b32 v4, s25
	v_dual_mov_b32 v2, s27 :: v_dual_mov_b32 v3, s26
	s_or_b32 s22, vcc_lo, s22
	s_and_not1_b32 exec_lo, exec_lo, s22
	s_cbranch_execnz .LBB30_42
; %bb.43:                               ;   in Loop: Header=BB30_6 Depth=1
	s_or_b32 exec_lo, exec_lo, s22
	s_delay_alu instid0(SALU_CYCLE_1)
	s_or_b32 exec_lo, exec_lo, s21
	v_mov_b32_e32 v31, 0
	s_and_saveexec_b32 s10, s8
	s_cbranch_execz .LBB30_39
.LBB30_44:                              ;   in Loop: Header=BB30_6 Depth=1
	global_load_b32 v31, v[10:11], off
	s_or_b32 exec_lo, exec_lo, s10
	s_and_saveexec_b32 s14, s8
	s_cbranch_execz .LBB30_50
.LBB30_45:                              ;   in Loop: Header=BB30_6 Depth=1
	v_mov_b32_e32 v8, v25
	v_mov_b32_e32 v14, v21
	s_and_b32 s16, s70, 0xfe
	s_mov_b32 s15, 0
	s_branch .LBB30_47
.LBB30_46:                              ;   in Loop: Header=BB30_47 Depth=2
	s_or_b32 exec_lo, exec_lo, s11
	s_waitcnt vmcnt(0)
	v_xor_b32_e32 v31, 0x80000000, v31
	s_and_b32 s11, exec_lo, vcc_lo
	v_add_nc_u32_e32 v8, s44, v8
	s_or_b32 s15, s11, s15
	s_delay_alu instid0(VALU_DEP_2) | instskip(SKIP_1) | instid1(VALU_DEP_2)
	v_and_b32_e32 v33, v31, v28
	v_bfe_u32 v31, v31, s16, 2
	v_cmp_eq_u32_e32 vcc_lo, v33, v29
	s_delay_alu instid0(VALU_DEP_2) | instskip(SKIP_3) | instid1(VALU_DEP_4)
	v_cmp_eq_u32_e64 s10, 0, v31
	v_cmp_eq_u32_e64 s11, 1, v31
	;; [unrolled: 1-line block ×4, first 2 shown]
	s_and_b32 s10, vcc_lo, s10
	s_delay_alu instid0(SALU_CYCLE_1) | instskip(SKIP_1) | instid1(SALU_CYCLE_1)
	v_cndmask_b32_e64 v31, 0, 1, s10
	s_and_b32 s10, vcc_lo, s11
	v_cndmask_b32_e64 v33, 0, 1, s10
	s_and_b32 s10, vcc_lo, s12
	s_delay_alu instid0(SALU_CYCLE_1)
	v_cndmask_b32_e64 v34, 0, 1, s10
	s_and_b32 s10, vcc_lo, s13
	v_cmp_ne_u32_e32 vcc_lo, 0, v31
	v_cndmask_b32_e64 v35, 0, 1, s10
	v_cmp_ne_u32_e64 s10, 0, v33
	v_cmp_ne_u32_e64 s11, 0, v34
	v_mov_b32_e32 v31, v32
	s_bcnt1_i32_b32 s13, vcc_lo
	v_cmp_ne_u32_e64 s12, 0, v35
	s_bcnt1_i32_b32 s10, s10
	s_bcnt1_i32_b32 s11, s11
	v_add_nc_u32_e32 v1, s13, v1
	v_add_nc_u32_e32 v2, s10, v2
	s_bcnt1_i32_b32 s12, s12
	v_add_nc_u32_e32 v3, s11, v3
	v_add_nc_u32_e32 v4, s12, v4
	s_and_not1_b32 exec_lo, exec_lo, s15
	s_cbranch_execz .LBB30_49
.LBB30_47:                              ;   Parent Loop BB30_6 Depth=1
                                        ; =>  This Inner Loop Header: Depth=2
	s_delay_alu instid0(VALU_DEP_1) | instskip(SKIP_2) | instid1(VALU_DEP_2)
	v_add_nc_u32_e32 v14, s42, v14
	v_mov_b32_e32 v32, 0
	s_mov_b32 s11, exec_lo
	v_cmp_le_u32_e32 vcc_lo, s36, v14
	v_cmpx_gt_u32_e64 s36, v14
	s_cbranch_execz .LBB30_46
; %bb.48:                               ;   in Loop: Header=BB30_47 Depth=2
	v_lshlrev_b64 v[32:33], 2, v[8:9]
	s_delay_alu instid0(VALU_DEP_1) | instskip(NEXT) | instid1(VALU_DEP_1)
	v_add_co_u32 v32, s10, s31, v32
	v_add_co_ci_u32_e64 v33, s10, s33, v33, s10
	global_load_b32 v32, v[32:33], off
	s_branch .LBB30_46
.LBB30_49:                              ;   in Loop: Header=BB30_6 Depth=1
	s_or_b32 exec_lo, exec_lo, s15
.LBB30_50:                              ;   in Loop: Header=BB30_6 Depth=1
	s_delay_alu instid0(SALU_CYCLE_1)
	s_or_b32 exec_lo, exec_lo, s14
	s_branch .LBB30_60
.LBB30_51:                              ;   in Loop: Header=BB30_6 Depth=1
	s_mul_hi_u32 s10, s76, s58
	v_dual_mov_b32 v1, 0 :: v_dual_mov_b32 v2, 0
	s_mul_i32 s10, s10, s50
	v_dual_mov_b32 v3, 0 :: v_dual_mov_b32 v4, 0
	s_sub_i32 s10, s76, s10
	s_mov_b32 s79, 0
	s_sub_i32 s11, s10, s50
	s_cmp_ge_u32 s10, s50
	s_mov_b32 s78, exec_lo
	s_cselect_b32 s10, s11, s10
	s_delay_alu instid0(SALU_CYCLE_1) | instskip(SKIP_2) | instid1(SALU_CYCLE_1)
	s_sub_i32 s11, s10, s50
	s_cmp_ge_u32 s10, s50
	s_cselect_b32 s10, s11, s10
	s_sub_i32 s77, s76, s10
	s_delay_alu instid0(SALU_CYCLE_1)
	v_cmpx_gt_u32_e64 s77, v18
	s_cbranch_execz .LBB30_55
; %bb.52:                               ;   in Loop: Header=BB30_6 Depth=1
	v_mov_b32_e32 v8, v26
	v_mov_b32_e32 v14, v18
	s_and_b32 s80, s70, 0xfe
	s_mov_b32 s81, 0
	s_mov_b32 s82, 0
	;; [unrolled: 1-line block ×4, first 2 shown]
.LBB30_53:                              ;   Parent Loop BB30_6 Depth=1
                                        ; =>  This Inner Loop Header: Depth=2
	ds_load_b128 v[1:4], v8
	s_waitcnt lgkmcnt(0)
	v_xor_b32_e32 v1, 0x80000000, v1
	v_xor_b32_e32 v2, 0x80000000, v2
	;; [unrolled: 1-line block ×4, first 2 shown]
	s_waitcnt vmcnt(0)
	v_and_b32_e32 v31, v1, v28
	v_bfe_u32 v1, v1, s80, 2
	v_and_b32_e32 v32, v2, v28
	v_bfe_u32 v2, v2, s80, 2
	;; [unrolled: 2-line block ×3, first 2 shown]
	v_cmp_eq_u32_e64 s10, v31, v29
	v_cmp_eq_u32_e64 s14, 0, v1
	v_and_b32_e32 v34, v4, v28
	v_bfe_u32 v4, v4, s80, 2
	v_cmp_eq_u32_e64 s11, v32, v29
	v_cmp_eq_u32_e64 s15, 0, v2
	v_cmp_eq_u32_e64 s12, v33, v29
	v_cmp_eq_u32_e64 s16, 0, v3
	s_and_b32 s14, s10, s14
	v_cmp_eq_u32_e64 s13, v34, v29
	v_cmp_eq_u32_e64 s17, 0, v4
	;; [unrolled: 1-line block ×5, first 2 shown]
	v_cndmask_b32_e64 v1, 0, 1, s14
	s_and_b32 s14, s11, s15
	v_cmp_eq_u32_e64 s19, 1, v2
	v_cmp_eq_u32_e64 s23, 2, v2
	v_cmp_eq_u32_e64 s27, 3, v2
	v_cndmask_b32_e64 v2, 0, 1, s14
	s_and_b32 s14, s12, s16
	v_cmp_eq_u32_e64 s20, 1, v3
	v_cmp_eq_u32_e64 s24, 2, v3
	v_cmp_eq_u32_e64 s28, 3, v3
	;; [unrolled: 5-line block ×3, first 2 shown]
	v_cndmask_b32_e64 v4, 0, 1, s14
	s_and_b32 s14, s10, s18
	s_delay_alu instid0(SALU_CYCLE_1) | instskip(SKIP_1) | instid1(SALU_CYCLE_1)
	v_cndmask_b32_e64 v31, 0, 1, s14
	s_and_b32 s14, s11, s19
	v_cndmask_b32_e64 v32, 0, 1, s14
	s_and_b32 s14, s12, s20
	s_delay_alu instid0(SALU_CYCLE_1) | instskip(SKIP_1) | instid1(VALU_DEP_2)
	v_cndmask_b32_e64 v33, 0, 1, s14
	s_and_b32 s14, s13, s21
	v_cmp_ne_u32_e64 s15, 0, v32
	v_cndmask_b32_e64 v34, 0, 1, s14
	s_and_b32 s14, s10, s22
	s_and_b32 s10, s10, s26
	v_cndmask_b32_e64 v35, 0, 1, s14
	v_cndmask_b32_e64 v39, 0, 1, s10
	s_and_b32 s10, s11, s27
	s_and_b32 s14, s11, s23
	v_cndmask_b32_e64 v40, 0, 1, s10
	s_and_b32 s10, s12, s28
	v_cndmask_b32_e64 v36, 0, 1, s14
	v_cndmask_b32_e64 v41, 0, 1, s10
	s_and_b32 s10, s13, s29
	s_and_b32 s14, s12, s24
	v_cndmask_b32_e64 v42, 0, 1, s10
	v_cmp_ne_u32_e64 s10, 0, v1
	v_cmp_ne_u32_e64 s11, 0, v2
	v_cndmask_b32_e64 v37, 0, 1, s14
	s_and_b32 s14, s13, s25
	v_cmp_ne_u32_e64 s12, 0, v3
	v_cndmask_b32_e64 v38, 0, 1, s14
	v_cmp_ne_u32_e64 s14, 0, v31
	v_cmp_ne_u32_e64 s18, 0, v35
	;; [unrolled: 1-line block ×3, first 2 shown]
	s_bcnt1_i32_b32 s10, s10
	v_cmp_ne_u32_e64 s13, 0, v4
	v_cmp_ne_u32_e64 s19, 0, v36
	;; [unrolled: 1-line block ×3, first 2 shown]
	s_bcnt1_i32_b32 s11, s11
	s_add_i32 s10, s10, s84
	v_cmp_ne_u32_e64 s16, 0, v33
	v_cmp_ne_u32_e64 s20, 0, v37
	;; [unrolled: 1-line block ×3, first 2 shown]
	s_bcnt1_i32_b32 s12, s12
	s_add_i32 s10, s10, s11
	s_bcnt1_i32_b32 s14, s14
	s_bcnt1_i32_b32 s18, s18
	;; [unrolled: 1-line block ×3, first 2 shown]
	v_cmp_ne_u32_e64 s17, 0, v34
	v_cmp_ne_u32_e64 s21, 0, v38
	;; [unrolled: 1-line block ×3, first 2 shown]
	s_bcnt1_i32_b32 s13, s13
	s_add_i32 s10, s10, s12
	s_bcnt1_i32_b32 s15, s15
	s_bcnt1_i32_b32 s19, s19
	;; [unrolled: 1-line block ×3, first 2 shown]
	s_add_i32 s14, s14, s83
	s_add_i32 s18, s18, s82
	;; [unrolled: 1-line block ×4, first 2 shown]
	s_delay_alu instid0(SALU_CYCLE_1)
	v_dual_mov_b32 v1, s84 :: v_dual_add_nc_u32 v14, s50, v14
	s_bcnt1_i32_b32 s16, s16
	s_bcnt1_i32_b32 s20, s20
	;; [unrolled: 1-line block ×3, first 2 shown]
	s_add_i32 s11, s14, s15
	s_add_i32 s14, s18, s19
	;; [unrolled: 1-line block ×3, first 2 shown]
	s_bcnt1_i32_b32 s17, s17
	s_bcnt1_i32_b32 s21, s21
	;; [unrolled: 1-line block ×3, first 2 shown]
	s_add_i32 s11, s11, s16
	s_add_i32 s12, s14, s20
	;; [unrolled: 1-line block ×3, first 2 shown]
	v_cmp_le_u32_e32 vcc_lo, s77, v14
	s_add_i32 s83, s11, s17
	s_add_i32 s82, s12, s21
	;; [unrolled: 1-line block ×3, first 2 shown]
	v_dual_mov_b32 v3, s82 :: v_dual_add_nc_u32 v8, s63, v8
	v_mov_b32_e32 v2, s83
	v_mov_b32_e32 v4, s81
	s_or_b32 s79, vcc_lo, s79
	s_delay_alu instid0(SALU_CYCLE_1)
	s_and_not1_b32 exec_lo, exec_lo, s79
	s_cbranch_execnz .LBB30_53
; %bb.54:                               ;   in Loop: Header=BB30_6 Depth=1
	s_or_b32 exec_lo, exec_lo, s79
.LBB30_55:                              ;   in Loop: Header=BB30_6 Depth=1
	s_delay_alu instid0(SALU_CYCLE_1) | instskip(SKIP_2) | instid1(VALU_DEP_1)
	s_or_b32 exec_lo, exec_lo, s78
	v_add_nc_u32_e32 v8, s77, v0
	s_mov_b32 s15, exec_lo
	v_cmpx_gt_u32_e64 s76, v8
	s_cbranch_execz .LBB30_59
; %bb.56:                               ;   in Loop: Header=BB30_6 Depth=1
	v_lshlrev_b32_e32 v14, 2, v8
	s_and_b32 s17, s70, 0xfe
	s_mov_b32 s16, 0
.LBB30_57:                              ;   Parent Loop BB30_6 Depth=1
                                        ; =>  This Inner Loop Header: Depth=2
	s_waitcnt vmcnt(0)
	ds_load_b32 v31, v14
	v_add_nc_u32_e32 v8, s42, v8
	v_add_nc_u32_e32 v14, s50, v14
	s_delay_alu instid0(VALU_DEP_2) | instskip(SKIP_2) | instid1(VALU_DEP_1)
	v_cmp_le_u32_e32 vcc_lo, s76, v8
	s_waitcnt lgkmcnt(0)
	v_xor_b32_e32 v31, 0x80000000, v31
	v_and_b32_e32 v32, v31, v28
	v_bfe_u32 v31, v31, s17, 2
	s_delay_alu instid0(VALU_DEP_2) | instskip(NEXT) | instid1(VALU_DEP_2)
	v_cmp_eq_u32_e64 s10, v32, v29
	v_cmp_eq_u32_e64 s11, 0, v31
	;; [unrolled: 1-line block ×5, first 2 shown]
	s_delay_alu instid0(VALU_DEP_4) | instskip(NEXT) | instid1(SALU_CYCLE_1)
	s_and_b32 s11, s10, s11
	v_cndmask_b32_e64 v31, 0, 1, s11
	s_and_b32 s11, s10, s12
	s_delay_alu instid0(SALU_CYCLE_1)
	v_cndmask_b32_e64 v32, 0, 1, s11
	s_and_b32 s11, s10, s13
	s_and_b32 s10, s10, s14
	v_cndmask_b32_e64 v33, 0, 1, s11
	v_cndmask_b32_e64 v34, 0, 1, s10
	v_cmp_ne_u32_e64 s10, 0, v31
	v_cmp_ne_u32_e64 s11, 0, v32
	s_delay_alu instid0(VALU_DEP_4) | instskip(NEXT) | instid1(VALU_DEP_4)
	v_cmp_ne_u32_e64 s12, 0, v33
	v_cmp_ne_u32_e64 s13, 0, v34
	s_delay_alu instid0(VALU_DEP_4) | instskip(NEXT) | instid1(VALU_DEP_3)
	s_bcnt1_i32_b32 s10, s10
	s_bcnt1_i32_b32 s11, s11
	v_add_nc_u32_e32 v1, s10, v1
	s_bcnt1_i32_b32 s12, s12
	s_bcnt1_i32_b32 s13, s13
	v_add_nc_u32_e32 v2, s11, v2
	v_add_nc_u32_e32 v3, s12, v3
	;; [unrolled: 1-line block ×3, first 2 shown]
	s_or_b32 s16, vcc_lo, s16
	s_delay_alu instid0(SALU_CYCLE_1)
	s_and_not1_b32 exec_lo, exec_lo, s16
	s_cbranch_execnz .LBB30_57
; %bb.58:                               ;   in Loop: Header=BB30_6 Depth=1
	s_or_b32 exec_lo, exec_lo, s16
.LBB30_59:                              ;   in Loop: Header=BB30_6 Depth=1
	s_delay_alu instid0(SALU_CYCLE_1)
	s_or_b32 exec_lo, exec_lo, s15
.LBB30_60:                              ;   in Loop: Header=BB30_6 Depth=1
	s_lshl_b32 s10, s65, 7
	s_and_saveexec_b32 s11, s2
	s_cbranch_execz .LBB30_62
; %bb.61:                               ;   in Loop: Header=BB30_6 Depth=1
	v_or_b32_e32 v8, s10, v19
	s_delay_alu instid0(VALU_DEP_1)
	v_lshlrev_b32_e32 v8, 2, v8
	ds_store_b128 v8, v[1:4] offset:3072
.LBB30_62:                              ;   in Loop: Header=BB30_6 Depth=1
	s_or_b32 exec_lo, exec_lo, s11
	s_waitcnt vmcnt(0) lgkmcnt(0)
	s_barrier
	buffer_gl0_inv
	s_and_saveexec_b32 s11, s49
	s_cbranch_execz .LBB30_72
; %bb.63:                               ;   in Loop: Header=BB30_6 Depth=1
	v_mov_b32_e32 v1, 0
	s_and_not1_b32 vcc_lo, exec_lo, s52
	s_cbranch_vccnz .LBB30_71
; %bb.64:                               ;   in Loop: Header=BB30_6 Depth=1
	v_mov_b32_e32 v1, 0
	s_and_not1_b32 vcc_lo, exec_lo, s55
	s_mov_b32 s12, 0
	s_cbranch_vccnz .LBB30_68
; %bb.65:                               ;   in Loop: Header=BB30_6 Depth=1
	v_lshl_add_u32 v2, s65, 9, v27
	v_mov_b32_e32 v1, 0
	.p2align	6
.LBB30_66:                              ;   Parent Loop BB30_6 Depth=1
                                        ; =>  This Inner Loop Header: Depth=2
	ds_load_2addr_b32 v[3:4], v2 offset1:4
	ds_load_2addr_b32 v[31:32], v2 offset0:8 offset1:12
	ds_load_2addr_b32 v[33:34], v2 offset0:16 offset1:20
	;; [unrolled: 1-line block ×3, first 2 shown]
	v_add_nc_u32_e32 v2, 0x80, v2
	s_add_i32 s12, s12, 8
	s_delay_alu instid0(SALU_CYCLE_1) | instskip(SKIP_3) | instid1(VALU_DEP_1)
	s_cmp_eq_u32 s56, s12
	s_waitcnt lgkmcnt(3)
	v_add3_u32 v1, v3, v1, v4
	s_waitcnt lgkmcnt(2)
	v_add3_u32 v1, v31, v1, v32
	s_waitcnt lgkmcnt(1)
	s_delay_alu instid0(VALU_DEP_1) | instskip(SKIP_1) | instid1(VALU_DEP_1)
	v_add3_u32 v1, v33, v1, v34
	s_waitcnt lgkmcnt(0)
	v_add3_u32 v1, v35, v1, v36
	s_cbranch_scc0 .LBB30_66
; %bb.67:                               ;   in Loop: Header=BB30_6 Depth=1
	s_mov_b32 s12, s56
.LBB30_68:                              ;   in Loop: Header=BB30_6 Depth=1
	s_and_not1_b32 vcc_lo, exec_lo, s57
	s_cbranch_vccnz .LBB30_71
; %bb.69:                               ;   in Loop: Header=BB30_6 Depth=1
	s_lshl_b32 s13, s65, 9
	s_lshl_b32 s12, s12, 4
	s_delay_alu instid0(SALU_CYCLE_1)
	v_add3_u32 v2, s13, s12, v27
	s_mov_b32 s12, s54
.LBB30_70:                              ;   Parent Loop BB30_6 Depth=1
                                        ; =>  This Inner Loop Header: Depth=2
	ds_load_b32 v3, v2
	v_add_nc_u32_e32 v2, 16, v2
	s_add_i32 s12, s12, -1
	s_delay_alu instid0(SALU_CYCLE_1)
	s_cmp_lg_u32 s12, 0
	s_waitcnt lgkmcnt(0)
	v_add_nc_u32_e32 v1, v3, v1
	s_cbranch_scc1 .LBB30_70
.LBB30_71:                              ;   in Loop: Header=BB30_6 Depth=1
	v_add_lshl_u32 v2, s10, v17, 2
	ds_store_b32 v2, v1 offset:3072
.LBB30_72:                              ;   in Loop: Header=BB30_6 Depth=1
	s_or_b32 exec_lo, exec_lo, s11
	s_lshl_b32 s10, s10, 2
	s_waitcnt lgkmcnt(0)
	v_mov_b32_e32 v1, s10
	s_barrier
	buffer_gl0_inv
	s_and_b32 s17, s70, 0xfe
	v_cmp_eq_u32_e64 s10, 1, v30
	ds_load_b128 v[1:4], v1 offset:3072
	s_lshl_b32 s13, 3, s17
	s_and_not1_b32 vcc_lo, exec_lo, s48
	s_not_b32 s14, s13
	s_waitcnt lgkmcnt(0)
	v_readfirstlane_b32 s12, v1
	v_readfirstlane_b32 s16, v2
	;; [unrolled: 1-line block ×4, first 2 shown]
	s_cbranch_vccnz .LBB30_85
; %bb.73:                               ;   in Loop: Header=BB30_6 Depth=1
	s_cmp_eq_u32 s12, 1
	v_dual_mov_b32 v3, v29 :: v_dual_mov_b32 v4, v28
	v_mov_b32_e32 v2, v15
	s_cselect_b32 s11, -1, 0
	s_mov_b32 s26, -1
	s_and_b32 s25, s11, s10
                                        ; implicit-def: $sgpr15
                                        ; implicit-def: $sgpr22
                                        ; implicit-def: $sgpr21
	s_delay_alu instid0(SALU_CYCLE_1)
	s_and_saveexec_b32 s20, s25
	s_cbranch_execz .LBB30_104
; %bb.74:                               ;   in Loop: Header=BB30_6 Depth=1
	ds_load_b32 v1, v9 offset:4096
	s_waitcnt lgkmcnt(0)
	s_barrier
	buffer_gl0_inv
	v_readfirstlane_b32 s11, v1
	s_and_saveexec_b32 s15, s6
	s_cbranch_execz .LBB30_76
; %bb.75:                               ;   in Loop: Header=BB30_6 Depth=1
	ds_store_b32 v20, v9
.LBB30_76:                              ;   in Loop: Header=BB30_6 Depth=1
	s_or_b32 exec_lo, exec_lo, s15
	v_and_b32_e32 v3, s14, v29
	v_or_b32_e32 v4, s13, v28
	s_cmp_eq_u32 s11, 0
	s_waitcnt lgkmcnt(0)
	s_barrier
	buffer_gl0_inv
	s_cbranch_scc1 .LBB30_90
; %bb.77:                               ;   in Loop: Header=BB30_6 Depth=1
	s_add_i32 s15, s11, s53
	s_mov_b32 s23, 0
	s_mul_hi_u32 s21, s15, s60
                                        ; implicit-def: $vgpr2
	s_delay_alu instid0(SALU_CYCLE_1) | instskip(NEXT) | instid1(SALU_CYCLE_1)
	s_mul_i32 s21, s21, s42
	s_sub_i32 s21, s15, s21
	s_delay_alu instid0(SALU_CYCLE_1) | instskip(SKIP_2) | instid1(SALU_CYCLE_1)
	s_sub_i32 s22, s21, s42
	s_cmp_ge_u32 s21, s42
	s_cselect_b32 s21, s22, s21
	s_sub_i32 s22, s21, s42
	s_cmp_ge_u32 s21, s42
	s_cselect_b32 s21, s22, s21
	s_delay_alu instid0(SALU_CYCLE_1)
	s_sub_i32 s21, s15, s21
	s_mov_b32 s15, exec_lo
	v_cmpx_gt_u32_e64 s21, v0
	s_cbranch_execz .LBB30_92
; %bb.78:                               ;   in Loop: Header=BB30_6 Depth=1
	v_dual_mov_b32 v8, v18 :: v_dual_mov_b32 v31, v0
	s_mov_b32 s22, 0
                                        ; implicit-def: $sgpr23
	s_set_inst_prefetch_distance 0x1
	s_branch .LBB30_80
	.p2align	6
.LBB30_79:                              ;   in Loop: Header=BB30_80 Depth=2
	s_or_b32 exec_lo, exec_lo, s24
	s_waitcnt lgkmcnt(0)
	s_barrier
	buffer_gl0_inv
	ds_load_b64 v[1:2], v9 offset:3072
	v_add_nc_u32_e32 v31, s42, v31
	v_add_nc_u32_e32 v8, s50, v8
	s_waitcnt lgkmcnt(0)
	s_barrier
	buffer_gl0_inv
	v_cmp_le_u32_e32 vcc_lo, s21, v31
	v_readfirstlane_b32 s24, v1
	s_delay_alu instid0(VALU_DEP_1) | instskip(SKIP_1) | instid1(SALU_CYCLE_1)
	s_cmp_lg_u32 s24, 0
	s_cselect_b32 s24, -1, 0
	s_or_b32 s26, vcc_lo, s24
	s_delay_alu instid0(SALU_CYCLE_1) | instskip(NEXT) | instid1(SALU_CYCLE_1)
	s_and_b32 s26, exec_lo, s26
	s_or_b32 s22, s26, s22
	s_and_not1_b32 s23, s23, exec_lo
	s_and_b32 s24, s24, exec_lo
	s_delay_alu instid0(SALU_CYCLE_1)
	s_or_b32 s23, s23, s24
	s_and_not1_b32 exec_lo, exec_lo, s22
	s_cbranch_execz .LBB30_91
.LBB30_80:                              ;   Parent Loop BB30_6 Depth=1
                                        ; =>  This Inner Loop Header: Depth=2
	s_delay_alu instid0(VALU_DEP_1)
	v_cmp_gt_u32_e32 vcc_lo, s11, v31
	v_mov_b32_e32 v14, 0
	s_and_saveexec_b32 s24, vcc_lo
	s_cbranch_execz .LBB30_82
; %bb.81:                               ;   in Loop: Header=BB30_80 Depth=2
	ds_load_b32 v14, v8
.LBB30_82:                              ;   in Loop: Header=BB30_80 Depth=2
	s_or_b32 exec_lo, exec_lo, s24
	s_and_saveexec_b32 s24, vcc_lo
	s_cbranch_execz .LBB30_79
; %bb.83:                               ;   in Loop: Header=BB30_80 Depth=2
	s_waitcnt lgkmcnt(0)
	v_xor_b32_e32 v1, 0x80000000, v14
	s_delay_alu instid0(VALU_DEP_1) | instskip(NEXT) | instid1(VALU_DEP_1)
	v_and_b32_e32 v1, v1, v4
	v_cmp_eq_u32_e32 vcc_lo, v1, v3
	s_and_b32 exec_lo, exec_lo, vcc_lo
	s_cbranch_execz .LBB30_79
; %bb.84:                               ;   in Loop: Header=BB30_80 Depth=2
	ds_store_b64 v9, v[13:14] offset:3072
	s_branch .LBB30_79
.LBB30_85:                              ;   in Loop: Header=BB30_6 Depth=1
	s_mov_b32 s20, 0
	s_mov_b32 s11, 0
                                        ; implicit-def: $sgpr21
                                        ; implicit-def: $sgpr22
                                        ; implicit-def: $sgpr15
                                        ; implicit-def: $vgpr1
                                        ; implicit-def: $vgpr31
                                        ; implicit-def: $vgpr3
                                        ; implicit-def: $vgpr4
                                        ; implicit-def: $vgpr2
	s_cbranch_execnz .LBB30_240
.LBB30_86:                              ;   in Loop: Header=BB30_6 Depth=1
	s_mov_b32 s23, s15
	s_mov_b32 s24, s15
	s_and_saveexec_b32 s10, s20
	s_cbranch_execnz .LBB30_402
	s_branch .LBB30_403
.LBB30_87:                              ;   in Loop: Header=BB30_6 Depth=1
	s_or_b32 exec_lo, exec_lo, s12
	s_waitcnt vmcnt(0) lgkmcnt(0)
	s_barrier
	buffer_gl0_inv
	s_and_saveexec_b32 s10, s5
	s_cbranch_execz .LBB30_89
; %bb.88:                               ;   in Loop: Header=BB30_6 Depth=1
	ds_load_b32 v1, v9 offset:4104
	s_waitcnt lgkmcnt(0)
	ds_store_b32 v9, v1 offset:4096
.LBB30_89:                              ;   in Loop: Header=BB30_6 Depth=1
	s_or_b32 exec_lo, exec_lo, s10
	s_waitcnt lgkmcnt(0)
	s_mov_b32 s10, -1
	s_barrier
	s_and_b32 vcc_lo, exec_lo, s76
	s_cbranch_vccnz .LBB30_24
	s_branch .LBB30_34
.LBB30_90:                              ;   in Loop: Header=BB30_6 Depth=1
	s_mov_b32 s15, -1
	s_mov_b32 s23, 0
                                        ; implicit-def: $sgpr21
                                        ; implicit-def: $vgpr2
	s_mov_b32 s22, s15
	s_cbranch_execnz .LBB30_93
	s_branch .LBB30_103
.LBB30_91:                              ;   in Loop: Header=BB30_6 Depth=1
	s_set_inst_prefetch_distance 0x2
	s_or_b32 exec_lo, exec_lo, s22
	s_delay_alu instid0(SALU_CYCLE_1)
	s_and_b32 s23, s23, exec_lo
.LBB30_92:                              ;   in Loop: Header=BB30_6 Depth=1
	s_or_b32 exec_lo, exec_lo, s15
	s_mov_b32 s21, -1
	s_mov_b32 s15, 0
	s_delay_alu instid0(SALU_CYCLE_1)
	s_mov_b32 s22, s15
	s_branch .LBB30_103
.LBB30_93:                              ;   in Loop: Header=BB30_6 Depth=1
	s_mov_b32 s23, 0
                                        ; implicit-def: $vgpr2
	s_and_saveexec_b32 s15, s9
	s_cbranch_execz .LBB30_102
; %bb.94:                               ;   in Loop: Header=BB30_6 Depth=1
	v_dual_mov_b32 v8, v7 :: v_dual_mov_b32 v31, v0
	s_mov_b32 s21, 0
                                        ; implicit-def: $sgpr22
	s_set_inst_prefetch_distance 0x1
	s_branch .LBB30_96
	.p2align	6
.LBB30_95:                              ;   in Loop: Header=BB30_96 Depth=2
	s_or_b32 exec_lo, exec_lo, s11
	s_waitcnt vmcnt(0) lgkmcnt(0)
	s_barrier
	buffer_gl0_inv
	ds_load_b64 v[1:2], v9 offset:3072
	v_add_nc_u32_e32 v31, s42, v31
	v_add_nc_u32_e32 v8, s44, v8
	s_waitcnt lgkmcnt(0)
	s_barrier
	buffer_gl0_inv
	v_cmp_le_u32_e32 vcc_lo, s61, v31
	v_readfirstlane_b32 s11, v1
	s_delay_alu instid0(VALU_DEP_1) | instskip(SKIP_1) | instid1(SALU_CYCLE_1)
	s_cmp_lg_u32 s11, 0
	s_cselect_b32 s11, -1, 0
	s_or_b32 s23, vcc_lo, s11
	s_delay_alu instid0(SALU_CYCLE_1) | instskip(NEXT) | instid1(SALU_CYCLE_1)
	s_and_b32 s23, exec_lo, s23
	s_or_b32 s21, s23, s21
	s_and_not1_b32 s22, s22, exec_lo
	s_and_b32 s11, s11, exec_lo
	s_delay_alu instid0(SALU_CYCLE_1)
	s_or_b32 s22, s22, s11
	s_and_not1_b32 exec_lo, exec_lo, s21
	s_cbranch_execz .LBB30_101
.LBB30_96:                              ;   Parent Loop BB30_6 Depth=1
                                        ; =>  This Inner Loop Header: Depth=2
	s_delay_alu instid0(VALU_DEP_1)
	v_cmp_gt_u32_e32 vcc_lo, s36, v31
	v_mov_b32_e32 v14, 0
	s_and_saveexec_b32 s23, vcc_lo
	s_cbranch_execz .LBB30_98
; %bb.97:                               ;   in Loop: Header=BB30_96 Depth=2
	v_lshlrev_b64 v[1:2], 2, v[8:9]
	s_delay_alu instid0(VALU_DEP_1) | instskip(NEXT) | instid1(VALU_DEP_1)
	v_add_co_u32 v1, s11, s31, v1
	v_add_co_ci_u32_e64 v2, s11, s33, v2, s11
	global_load_b32 v14, v[1:2], off
.LBB30_98:                              ;   in Loop: Header=BB30_96 Depth=2
	s_or_b32 exec_lo, exec_lo, s23
	s_and_saveexec_b32 s11, vcc_lo
	s_cbranch_execz .LBB30_95
; %bb.99:                               ;   in Loop: Header=BB30_96 Depth=2
	s_waitcnt vmcnt(0)
	v_xor_b32_e32 v1, 0x80000000, v14
	s_delay_alu instid0(VALU_DEP_1) | instskip(NEXT) | instid1(VALU_DEP_1)
	v_and_b32_e32 v1, v1, v4
	v_cmp_eq_u32_e32 vcc_lo, v1, v3
	s_and_b32 exec_lo, exec_lo, vcc_lo
	s_cbranch_execz .LBB30_95
; %bb.100:                              ;   in Loop: Header=BB30_96 Depth=2
	ds_store_b64 v9, v[13:14] offset:3072
	s_branch .LBB30_95
.LBB30_101:                             ;   in Loop: Header=BB30_6 Depth=1
	s_set_inst_prefetch_distance 0x2
	s_or_b32 exec_lo, exec_lo, s21
	s_delay_alu instid0(SALU_CYCLE_1)
	s_and_b32 s23, s22, exec_lo
.LBB30_102:                             ;   in Loop: Header=BB30_6 Depth=1
	s_or_b32 exec_lo, exec_lo, s15
	s_mov_b32 s22, -1
	s_mov_b32 s15, 0
	s_mov_b32 s21, 0
.LBB30_103:                             ;   in Loop: Header=BB30_6 Depth=1
	s_or_not1_b32 s26, s23, exec_lo
.LBB30_104:                             ;   in Loop: Header=BB30_6 Depth=1
	s_or_b32 exec_lo, exec_lo, s20
	s_mov_b32 s23, 0
	s_mov_b32 s20, 0
	;; [unrolled: 1-line block ×3, first 2 shown]
                                        ; implicit-def: $vgpr1
                                        ; implicit-def: $vgpr31
	s_and_saveexec_b32 s24, s26
	s_cbranch_execz .LBB30_239
; %bb.105:                              ;   in Loop: Header=BB30_6 Depth=1
	v_mov_b32_e32 v31, 1
	v_mov_b32_e32 v1, 1
	s_xor_b32 s25, s25, -1
	s_delay_alu instid0(SALU_CYCLE_1)
	s_and_saveexec_b32 s11, s25
	s_cbranch_execz .LBB30_115
; %bb.106:                              ;   in Loop: Header=BB30_6 Depth=1
	s_mov_b32 s25, exec_lo
                                        ; implicit-def: $sgpr26
                                        ; implicit-def: $sgpr20
	v_cmpx_ge_u32_e64 s12, v30
	s_xor_b32 s25, exec_lo, s25
	s_cbranch_execz .LBB30_112
; %bb.107:                              ;   in Loop: Header=BB30_6 Depth=1
	ds_load_b32 v1, v9 offset:4096
	s_waitcnt lgkmcnt(0)
	v_cmp_ne_u32_e32 vcc_lo, 0, v1
	s_cbranch_vccnz .LBB30_111
; %bb.108:                              ;   in Loop: Header=BB30_6 Depth=1
	s_and_saveexec_b32 s20, s5
	s_cbranch_execz .LBB30_110
; %bb.109:                              ;   in Loop: Header=BB30_6 Depth=1
	v_mov_b32_e32 v1, s12
	ds_store_b32 v9, v1 offset:4100
.LBB30_110:                             ;   in Loop: Header=BB30_6 Depth=1
	s_or_b32 exec_lo, exec_lo, s20
	s_waitcnt lgkmcnt(0)
	s_barrier
	buffer_gl0_inv
.LBB30_111:                             ;   in Loop: Header=BB30_6 Depth=1
	v_and_b32_e32 v3, s14, v3
	v_or_b32_e32 v4, s13, v4
	s_mov_b32 s20, 0
	s_mov_b32 s26, 8
.LBB30_112:                             ;   in Loop: Header=BB30_6 Depth=1
	s_or_saveexec_b32 s25, s25
	v_mov_b32_e32 v1, s26
	v_mov_b32_e32 v31, v30
	s_xor_b32 exec_lo, exec_lo, s25
; %bb.113:                              ;   in Loop: Header=BB30_6 Depth=1
	v_subrev_nc_u32_e32 v31, s12, v30
	v_mov_b32_e32 v1, 0
	s_or_b32 s20, s20, exec_lo
; %bb.114:                              ;   in Loop: Header=BB30_6 Depth=1
	s_or_b32 exec_lo, exec_lo, s25
	s_delay_alu instid0(SALU_CYCLE_1)
	s_and_b32 s20, s20, exec_lo
.LBB30_115:                             ;   in Loop: Header=BB30_6 Depth=1
	s_or_b32 exec_lo, exec_lo, s11
	s_mov_b32 s11, -1
                                        ; implicit-def: $sgpr25
                                        ; implicit-def: $sgpr27
                                        ; implicit-def: $sgpr28
	s_and_saveexec_b32 s26, s20
	s_delay_alu instid0(SALU_CYCLE_1)
	s_xor_b32 s20, exec_lo, s26
	s_cbranch_execz .LBB30_236
; %bb.116:                              ;   in Loop: Header=BB30_6 Depth=1
	v_cmp_eq_u32_e32 vcc_lo, 1, v31
	s_cmp_eq_u32 s16, 1
                                        ; implicit-def: $sgpr25
                                        ; implicit-def: $sgpr27
                                        ; implicit-def: $sgpr26
	s_cselect_b32 s11, -1, 0
	s_delay_alu instid0(SALU_CYCLE_1)
	s_and_b32 s29, s11, vcc_lo
	s_mov_b32 s11, -1
	s_and_saveexec_b32 s28, s29
	s_cbranch_execz .LBB30_142
; %bb.117:                              ;   in Loop: Header=BB30_6 Depth=1
	ds_load_b32 v1, v9 offset:4096
	s_waitcnt lgkmcnt(0)
	s_barrier
	buffer_gl0_inv
	v_readfirstlane_b32 s11, v1
	s_and_saveexec_b32 s25, s6
	s_cbranch_execz .LBB30_119
; %bb.118:                              ;   in Loop: Header=BB30_6 Depth=1
	ds_store_b32 v20, v9
.LBB30_119:                             ;   in Loop: Header=BB30_6 Depth=1
	s_or_b32 exec_lo, exec_lo, s25
	s_lshl_b32 s25, 1, s17
	v_or_b32_e32 v4, s13, v4
	v_and_or_b32 v3, v3, s14, s25
	s_cmp_eq_u32 s11, 0
	s_waitcnt lgkmcnt(0)
	s_barrier
	buffer_gl0_inv
	s_cbranch_scc1 .LBB30_128
; %bb.120:                              ;   in Loop: Header=BB30_6 Depth=1
	s_add_i32 s25, s11, s53
	s_mov_b32 s76, 0
	s_mul_hi_u32 s26, s25, s60
                                        ; implicit-def: $vgpr2
	s_delay_alu instid0(SALU_CYCLE_1) | instskip(NEXT) | instid1(SALU_CYCLE_1)
	s_mul_i32 s26, s26, s42
	s_sub_i32 s26, s25, s26
	s_delay_alu instid0(SALU_CYCLE_1) | instskip(SKIP_2) | instid1(SALU_CYCLE_1)
	s_sub_i32 s27, s26, s42
	s_cmp_ge_u32 s26, s42
	s_cselect_b32 s26, s27, s26
	s_sub_i32 s27, s26, s42
	s_cmp_ge_u32 s26, s42
	s_cselect_b32 s26, s27, s26
	s_delay_alu instid0(SALU_CYCLE_1)
	s_sub_i32 s26, s25, s26
	s_mov_b32 s25, exec_lo
	v_cmpx_gt_u32_e64 s26, v0
	s_cbranch_execz .LBB30_130
; %bb.121:                              ;   in Loop: Header=BB30_6 Depth=1
	v_mov_b32_e32 v8, v18
	v_mov_b32_e32 v32, v0
	s_mov_b32 s27, 0
                                        ; implicit-def: $sgpr76
	s_set_inst_prefetch_distance 0x1
	s_branch .LBB30_123
	.p2align	6
.LBB30_122:                             ;   in Loop: Header=BB30_123 Depth=2
	s_or_b32 exec_lo, exec_lo, s77
	s_waitcnt lgkmcnt(0)
	s_barrier
	buffer_gl0_inv
	ds_load_b64 v[1:2], v9 offset:3072
	v_add_nc_u32_e32 v32, s42, v32
	v_add_nc_u32_e32 v8, s50, v8
	s_waitcnt lgkmcnt(0)
	s_barrier
	buffer_gl0_inv
	v_cmp_le_u32_e32 vcc_lo, s26, v32
	v_readfirstlane_b32 s77, v1
	s_delay_alu instid0(VALU_DEP_1) | instskip(SKIP_1) | instid1(SALU_CYCLE_1)
	s_cmp_lg_u32 s77, 0
	s_cselect_b32 s77, -1, 0
	s_or_b32 s78, vcc_lo, s77
	s_delay_alu instid0(SALU_CYCLE_1) | instskip(NEXT) | instid1(SALU_CYCLE_1)
	s_and_b32 s78, exec_lo, s78
	s_or_b32 s27, s78, s27
	s_and_not1_b32 s76, s76, exec_lo
	s_and_b32 s77, s77, exec_lo
	s_delay_alu instid0(SALU_CYCLE_1)
	s_or_b32 s76, s76, s77
	s_and_not1_b32 exec_lo, exec_lo, s27
	s_cbranch_execz .LBB30_129
.LBB30_123:                             ;   Parent Loop BB30_6 Depth=1
                                        ; =>  This Inner Loop Header: Depth=2
	s_delay_alu instid0(VALU_DEP_1)
	v_cmp_gt_u32_e32 vcc_lo, s11, v32
	v_mov_b32_e32 v14, 0
	s_and_saveexec_b32 s77, vcc_lo
	s_cbranch_execz .LBB30_125
; %bb.124:                              ;   in Loop: Header=BB30_123 Depth=2
	ds_load_b32 v14, v8
.LBB30_125:                             ;   in Loop: Header=BB30_123 Depth=2
	s_or_b32 exec_lo, exec_lo, s77
	s_and_saveexec_b32 s77, vcc_lo
	s_cbranch_execz .LBB30_122
; %bb.126:                              ;   in Loop: Header=BB30_123 Depth=2
	s_waitcnt lgkmcnt(0)
	v_xor_b32_e32 v1, 0x80000000, v14
	s_delay_alu instid0(VALU_DEP_1) | instskip(NEXT) | instid1(VALU_DEP_1)
	v_and_b32_e32 v1, v1, v4
	v_cmp_eq_u32_e32 vcc_lo, v1, v3
	s_and_b32 exec_lo, exec_lo, vcc_lo
	s_cbranch_execz .LBB30_122
; %bb.127:                              ;   in Loop: Header=BB30_123 Depth=2
	ds_store_b64 v9, v[13:14] offset:3072
	s_branch .LBB30_122
.LBB30_128:                             ;   in Loop: Header=BB30_6 Depth=1
	s_mov_b32 s25, -1
	s_mov_b32 s76, 0
                                        ; implicit-def: $sgpr26
                                        ; implicit-def: $vgpr2
	s_mov_b32 s27, s25
	s_cbranch_execnz .LBB30_131
	s_branch .LBB30_141
.LBB30_129:                             ;   in Loop: Header=BB30_6 Depth=1
	s_set_inst_prefetch_distance 0x2
	s_or_b32 exec_lo, exec_lo, s27
	s_delay_alu instid0(SALU_CYCLE_1)
	s_and_b32 s76, s76, exec_lo
.LBB30_130:                             ;   in Loop: Header=BB30_6 Depth=1
	s_or_b32 exec_lo, exec_lo, s25
	s_mov_b32 s26, -1
	s_mov_b32 s25, 0
	s_delay_alu instid0(SALU_CYCLE_1)
	s_mov_b32 s27, s25
	s_branch .LBB30_141
.LBB30_131:                             ;   in Loop: Header=BB30_6 Depth=1
	s_mov_b32 s76, 0
                                        ; implicit-def: $vgpr2
	s_and_saveexec_b32 s25, s9
	s_cbranch_execz .LBB30_140
; %bb.132:                              ;   in Loop: Header=BB30_6 Depth=1
	v_mov_b32_e32 v8, v7
	v_mov_b32_e32 v32, v0
	s_mov_b32 s26, 0
                                        ; implicit-def: $sgpr27
	s_set_inst_prefetch_distance 0x1
	s_branch .LBB30_134
	.p2align	6
.LBB30_133:                             ;   in Loop: Header=BB30_134 Depth=2
	s_or_b32 exec_lo, exec_lo, s11
	s_waitcnt vmcnt(0) lgkmcnt(0)
	s_barrier
	buffer_gl0_inv
	ds_load_b64 v[1:2], v9 offset:3072
	v_add_nc_u32_e32 v32, s42, v32
	v_add_nc_u32_e32 v8, s44, v8
	s_waitcnt lgkmcnt(0)
	s_barrier
	buffer_gl0_inv
	v_cmp_le_u32_e32 vcc_lo, s61, v32
	v_readfirstlane_b32 s11, v1
	s_delay_alu instid0(VALU_DEP_1) | instskip(SKIP_1) | instid1(SALU_CYCLE_1)
	s_cmp_lg_u32 s11, 0
	s_cselect_b32 s11, -1, 0
	s_or_b32 s76, vcc_lo, s11
	s_delay_alu instid0(SALU_CYCLE_1) | instskip(NEXT) | instid1(SALU_CYCLE_1)
	s_and_b32 s76, exec_lo, s76
	s_or_b32 s26, s76, s26
	s_and_not1_b32 s27, s27, exec_lo
	s_and_b32 s11, s11, exec_lo
	s_delay_alu instid0(SALU_CYCLE_1)
	s_or_b32 s27, s27, s11
	s_and_not1_b32 exec_lo, exec_lo, s26
	s_cbranch_execz .LBB30_139
.LBB30_134:                             ;   Parent Loop BB30_6 Depth=1
                                        ; =>  This Inner Loop Header: Depth=2
	s_delay_alu instid0(VALU_DEP_1)
	v_cmp_gt_u32_e32 vcc_lo, s36, v32
	v_mov_b32_e32 v14, 0
	s_and_saveexec_b32 s76, vcc_lo
	s_cbranch_execz .LBB30_136
; %bb.135:                              ;   in Loop: Header=BB30_134 Depth=2
	v_lshlrev_b64 v[1:2], 2, v[8:9]
	s_delay_alu instid0(VALU_DEP_1) | instskip(NEXT) | instid1(VALU_DEP_1)
	v_add_co_u32 v1, s11, s31, v1
	v_add_co_ci_u32_e64 v2, s11, s33, v2, s11
	global_load_b32 v14, v[1:2], off
.LBB30_136:                             ;   in Loop: Header=BB30_134 Depth=2
	s_or_b32 exec_lo, exec_lo, s76
	s_and_saveexec_b32 s11, vcc_lo
	s_cbranch_execz .LBB30_133
; %bb.137:                              ;   in Loop: Header=BB30_134 Depth=2
	s_waitcnt vmcnt(0)
	v_xor_b32_e32 v1, 0x80000000, v14
	s_delay_alu instid0(VALU_DEP_1) | instskip(NEXT) | instid1(VALU_DEP_1)
	v_and_b32_e32 v1, v1, v4
	v_cmp_eq_u32_e32 vcc_lo, v1, v3
	s_and_b32 exec_lo, exec_lo, vcc_lo
	s_cbranch_execz .LBB30_133
; %bb.138:                              ;   in Loop: Header=BB30_134 Depth=2
	ds_store_b64 v9, v[13:14] offset:3072
	s_branch .LBB30_133
.LBB30_139:                             ;   in Loop: Header=BB30_6 Depth=1
	s_set_inst_prefetch_distance 0x2
	s_or_b32 exec_lo, exec_lo, s26
	s_delay_alu instid0(SALU_CYCLE_1)
	s_and_b32 s76, s27, exec_lo
.LBB30_140:                             ;   in Loop: Header=BB30_6 Depth=1
	s_or_b32 exec_lo, exec_lo, s25
	s_mov_b32 s27, -1
	s_mov_b32 s25, 0
	s_mov_b32 s26, 0
.LBB30_141:                             ;   in Loop: Header=BB30_6 Depth=1
	s_or_not1_b32 s11, s76, exec_lo
.LBB30_142:                             ;   in Loop: Header=BB30_6 Depth=1
	s_or_b32 exec_lo, exec_lo, s28
	s_mov_b32 s76, 0
                                        ; implicit-def: $vgpr1
	s_and_saveexec_b32 s28, s11
	s_cbranch_execz .LBB30_235
; %bb.143:                              ;   in Loop: Header=BB30_6 Depth=1
	v_dual_mov_b32 v32, 1 :: v_dual_mov_b32 v1, 1
	s_xor_b32 s29, s29, -1
	s_mov_b32 s77, 0
	s_and_saveexec_b32 s11, s29
	s_cbranch_execz .LBB30_153
; %bb.144:                              ;   in Loop: Header=BB30_6 Depth=1
	s_mov_b32 s76, exec_lo
                                        ; implicit-def: $sgpr77
                                        ; implicit-def: $sgpr29
	v_cmpx_ge_u32_e64 s16, v31
	s_xor_b32 s76, exec_lo, s76
	s_cbranch_execz .LBB30_150
; %bb.145:                              ;   in Loop: Header=BB30_6 Depth=1
	ds_load_b32 v1, v9 offset:4096
	s_waitcnt lgkmcnt(0)
	v_cmp_ne_u32_e32 vcc_lo, 0, v1
	s_cbranch_vccnz .LBB30_149
; %bb.146:                              ;   in Loop: Header=BB30_6 Depth=1
	s_and_saveexec_b32 s29, s5
	s_cbranch_execz .LBB30_148
; %bb.147:                              ;   in Loop: Header=BB30_6 Depth=1
	v_mov_b32_e32 v1, s16
	ds_store_b32 v9, v1 offset:4100
.LBB30_148:                             ;   in Loop: Header=BB30_6 Depth=1
	s_or_b32 exec_lo, exec_lo, s29
	s_waitcnt lgkmcnt(0)
	s_barrier
	buffer_gl0_inv
.LBB30_149:                             ;   in Loop: Header=BB30_6 Depth=1
	s_lshl_b32 s29, 1, s17
	v_or_b32_e32 v4, s13, v4
	v_and_or_b32 v3, v3, s14, s29
	s_mov_b32 s29, 0
	s_mov_b32 s77, 8
.LBB30_150:                             ;   in Loop: Header=BB30_6 Depth=1
	s_or_saveexec_b32 s76, s76
	v_mov_b32_e32 v1, s77
	s_xor_b32 exec_lo, exec_lo, s76
; %bb.151:                              ;   in Loop: Header=BB30_6 Depth=1
	v_subrev_nc_u32_e32 v31, s16, v31
	v_mov_b32_e32 v1, 0
	s_or_b32 s29, s29, exec_lo
; %bb.152:                              ;   in Loop: Header=BB30_6 Depth=1
	s_or_b32 exec_lo, exec_lo, s76
	s_delay_alu instid0(VALU_DEP_2)
	v_mov_b32_e32 v32, v31
	s_and_b32 s77, s29, exec_lo
.LBB30_153:                             ;   in Loop: Header=BB30_6 Depth=1
	s_or_b32 exec_lo, exec_lo, s11
	s_mov_b32 s11, -1
                                        ; implicit-def: $sgpr76
                                        ; implicit-def: $sgpr78
                                        ; implicit-def: $sgpr79
	s_and_saveexec_b32 s29, s77
	s_cbranch_execz .LBB30_234
; %bb.154:                              ;   in Loop: Header=BB30_6 Depth=1
	v_cmp_eq_u32_e32 vcc_lo, 1, v32
	s_cmp_eq_u32 s18, 1
                                        ; implicit-def: $sgpr76
                                        ; implicit-def: $sgpr78
                                        ; implicit-def: $sgpr77
	s_cselect_b32 s11, -1, 0
	s_delay_alu instid0(SALU_CYCLE_1)
	s_and_b32 s80, s11, vcc_lo
	s_mov_b32 s11, -1
	s_and_saveexec_b32 s79, s80
	s_cbranch_execz .LBB30_180
; %bb.155:                              ;   in Loop: Header=BB30_6 Depth=1
	ds_load_b32 v1, v9 offset:4096
	s_waitcnt lgkmcnt(0)
	s_barrier
	buffer_gl0_inv
	v_readfirstlane_b32 s11, v1
	s_and_saveexec_b32 s76, s6
	s_cbranch_execz .LBB30_157
; %bb.156:                              ;   in Loop: Header=BB30_6 Depth=1
	ds_store_b32 v20, v9
.LBB30_157:                             ;   in Loop: Header=BB30_6 Depth=1
	s_or_b32 exec_lo, exec_lo, s76
	s_lshl_b32 s76, 2, s17
	v_or_b32_e32 v4, s13, v4
	v_and_or_b32 v3, v3, s14, s76
	s_cmp_eq_u32 s11, 0
	s_waitcnt lgkmcnt(0)
	s_barrier
	buffer_gl0_inv
	s_cbranch_scc1 .LBB30_166
; %bb.158:                              ;   in Loop: Header=BB30_6 Depth=1
	s_add_i32 s76, s11, s53
	s_mov_b32 s81, 0
	s_mul_hi_u32 s77, s76, s60
                                        ; implicit-def: $vgpr2
	s_delay_alu instid0(SALU_CYCLE_1) | instskip(NEXT) | instid1(SALU_CYCLE_1)
	s_mul_i32 s77, s77, s42
	s_sub_i32 s77, s76, s77
	s_delay_alu instid0(SALU_CYCLE_1) | instskip(SKIP_2) | instid1(SALU_CYCLE_1)
	s_sub_i32 s78, s77, s42
	s_cmp_ge_u32 s77, s42
	s_cselect_b32 s77, s78, s77
	s_sub_i32 s78, s77, s42
	s_cmp_ge_u32 s77, s42
	s_cselect_b32 s77, s78, s77
	s_delay_alu instid0(SALU_CYCLE_1)
	s_sub_i32 s77, s76, s77
	s_mov_b32 s76, exec_lo
	v_cmpx_gt_u32_e64 s77, v0
	s_cbranch_execz .LBB30_168
; %bb.159:                              ;   in Loop: Header=BB30_6 Depth=1
	v_dual_mov_b32 v8, v18 :: v_dual_mov_b32 v31, v0
	s_mov_b32 s78, 0
                                        ; implicit-def: $sgpr81
	s_set_inst_prefetch_distance 0x1
	s_branch .LBB30_161
	.p2align	6
.LBB30_160:                             ;   in Loop: Header=BB30_161 Depth=2
	s_or_b32 exec_lo, exec_lo, s82
	s_waitcnt lgkmcnt(0)
	s_barrier
	buffer_gl0_inv
	ds_load_b64 v[1:2], v9 offset:3072
	v_add_nc_u32_e32 v31, s42, v31
	v_add_nc_u32_e32 v8, s50, v8
	s_waitcnt lgkmcnt(0)
	s_barrier
	buffer_gl0_inv
	v_cmp_le_u32_e32 vcc_lo, s77, v31
	v_readfirstlane_b32 s82, v1
	s_delay_alu instid0(VALU_DEP_1) | instskip(SKIP_1) | instid1(SALU_CYCLE_1)
	s_cmp_lg_u32 s82, 0
	s_cselect_b32 s82, -1, 0
	s_or_b32 s83, vcc_lo, s82
	s_delay_alu instid0(SALU_CYCLE_1) | instskip(NEXT) | instid1(SALU_CYCLE_1)
	s_and_b32 s83, exec_lo, s83
	s_or_b32 s78, s83, s78
	s_and_not1_b32 s81, s81, exec_lo
	s_and_b32 s82, s82, exec_lo
	s_delay_alu instid0(SALU_CYCLE_1)
	s_or_b32 s81, s81, s82
	s_and_not1_b32 exec_lo, exec_lo, s78
	s_cbranch_execz .LBB30_167
.LBB30_161:                             ;   Parent Loop BB30_6 Depth=1
                                        ; =>  This Inner Loop Header: Depth=2
	s_delay_alu instid0(VALU_DEP_1)
	v_cmp_gt_u32_e32 vcc_lo, s11, v31
	v_mov_b32_e32 v14, 0
	s_and_saveexec_b32 s82, vcc_lo
	s_cbranch_execz .LBB30_163
; %bb.162:                              ;   in Loop: Header=BB30_161 Depth=2
	ds_load_b32 v14, v8
.LBB30_163:                             ;   in Loop: Header=BB30_161 Depth=2
	s_or_b32 exec_lo, exec_lo, s82
	s_and_saveexec_b32 s82, vcc_lo
	s_cbranch_execz .LBB30_160
; %bb.164:                              ;   in Loop: Header=BB30_161 Depth=2
	s_waitcnt lgkmcnt(0)
	v_xor_b32_e32 v1, 0x80000000, v14
	s_delay_alu instid0(VALU_DEP_1) | instskip(NEXT) | instid1(VALU_DEP_1)
	v_and_b32_e32 v1, v1, v4
	v_cmp_eq_u32_e32 vcc_lo, v1, v3
	s_and_b32 exec_lo, exec_lo, vcc_lo
	s_cbranch_execz .LBB30_160
; %bb.165:                              ;   in Loop: Header=BB30_161 Depth=2
	ds_store_b64 v9, v[13:14] offset:3072
	s_branch .LBB30_160
.LBB30_166:                             ;   in Loop: Header=BB30_6 Depth=1
	s_mov_b32 s76, -1
	s_mov_b32 s81, 0
                                        ; implicit-def: $sgpr77
                                        ; implicit-def: $vgpr2
	s_mov_b32 s78, s76
	s_cbranch_execnz .LBB30_169
	s_branch .LBB30_179
.LBB30_167:                             ;   in Loop: Header=BB30_6 Depth=1
	s_set_inst_prefetch_distance 0x2
	s_or_b32 exec_lo, exec_lo, s78
	s_delay_alu instid0(SALU_CYCLE_1)
	s_and_b32 s81, s81, exec_lo
.LBB30_168:                             ;   in Loop: Header=BB30_6 Depth=1
	s_or_b32 exec_lo, exec_lo, s76
	s_mov_b32 s77, -1
	s_mov_b32 s76, 0
	s_delay_alu instid0(SALU_CYCLE_1)
	s_mov_b32 s78, s76
	s_branch .LBB30_179
.LBB30_169:                             ;   in Loop: Header=BB30_6 Depth=1
	s_mov_b32 s81, 0
                                        ; implicit-def: $vgpr2
	s_and_saveexec_b32 s76, s9
	s_cbranch_execz .LBB30_178
; %bb.170:                              ;   in Loop: Header=BB30_6 Depth=1
	v_dual_mov_b32 v8, v7 :: v_dual_mov_b32 v31, v0
	s_mov_b32 s77, 0
                                        ; implicit-def: $sgpr78
	s_set_inst_prefetch_distance 0x1
	s_branch .LBB30_172
	.p2align	6
.LBB30_171:                             ;   in Loop: Header=BB30_172 Depth=2
	s_or_b32 exec_lo, exec_lo, s11
	s_waitcnt vmcnt(0) lgkmcnt(0)
	s_barrier
	buffer_gl0_inv
	ds_load_b64 v[1:2], v9 offset:3072
	v_add_nc_u32_e32 v31, s42, v31
	v_add_nc_u32_e32 v8, s44, v8
	s_waitcnt lgkmcnt(0)
	s_barrier
	buffer_gl0_inv
	v_cmp_le_u32_e32 vcc_lo, s61, v31
	v_readfirstlane_b32 s11, v1
	s_delay_alu instid0(VALU_DEP_1) | instskip(SKIP_1) | instid1(SALU_CYCLE_1)
	s_cmp_lg_u32 s11, 0
	s_cselect_b32 s11, -1, 0
	s_or_b32 s81, vcc_lo, s11
	s_delay_alu instid0(SALU_CYCLE_1) | instskip(NEXT) | instid1(SALU_CYCLE_1)
	s_and_b32 s81, exec_lo, s81
	s_or_b32 s77, s81, s77
	s_and_not1_b32 s78, s78, exec_lo
	s_and_b32 s11, s11, exec_lo
	s_delay_alu instid0(SALU_CYCLE_1)
	s_or_b32 s78, s78, s11
	s_and_not1_b32 exec_lo, exec_lo, s77
	s_cbranch_execz .LBB30_177
.LBB30_172:                             ;   Parent Loop BB30_6 Depth=1
                                        ; =>  This Inner Loop Header: Depth=2
	s_delay_alu instid0(VALU_DEP_1)
	v_cmp_gt_u32_e32 vcc_lo, s36, v31
	v_mov_b32_e32 v14, 0
	s_and_saveexec_b32 s81, vcc_lo
	s_cbranch_execz .LBB30_174
; %bb.173:                              ;   in Loop: Header=BB30_172 Depth=2
	v_lshlrev_b64 v[1:2], 2, v[8:9]
	s_delay_alu instid0(VALU_DEP_1) | instskip(NEXT) | instid1(VALU_DEP_1)
	v_add_co_u32 v1, s11, s31, v1
	v_add_co_ci_u32_e64 v2, s11, s33, v2, s11
	global_load_b32 v14, v[1:2], off
.LBB30_174:                             ;   in Loop: Header=BB30_172 Depth=2
	s_or_b32 exec_lo, exec_lo, s81
	s_and_saveexec_b32 s11, vcc_lo
	s_cbranch_execz .LBB30_171
; %bb.175:                              ;   in Loop: Header=BB30_172 Depth=2
	s_waitcnt vmcnt(0)
	v_xor_b32_e32 v1, 0x80000000, v14
	s_delay_alu instid0(VALU_DEP_1) | instskip(NEXT) | instid1(VALU_DEP_1)
	v_and_b32_e32 v1, v1, v4
	v_cmp_eq_u32_e32 vcc_lo, v1, v3
	s_and_b32 exec_lo, exec_lo, vcc_lo
	s_cbranch_execz .LBB30_171
; %bb.176:                              ;   in Loop: Header=BB30_172 Depth=2
	ds_store_b64 v9, v[13:14] offset:3072
	s_branch .LBB30_171
.LBB30_177:                             ;   in Loop: Header=BB30_6 Depth=1
	s_set_inst_prefetch_distance 0x2
	s_or_b32 exec_lo, exec_lo, s77
	s_delay_alu instid0(SALU_CYCLE_1)
	s_and_b32 s81, s78, exec_lo
.LBB30_178:                             ;   in Loop: Header=BB30_6 Depth=1
	s_or_b32 exec_lo, exec_lo, s76
	s_mov_b32 s78, -1
	s_mov_b32 s76, 0
	s_mov_b32 s77, 0
.LBB30_179:                             ;   in Loop: Header=BB30_6 Depth=1
	s_or_not1_b32 s11, s81, exec_lo
.LBB30_180:                             ;   in Loop: Header=BB30_6 Depth=1
	s_or_b32 exec_lo, exec_lo, s79
	s_mov_b32 s81, 0
                                        ; implicit-def: $vgpr1
	s_and_saveexec_b32 s79, s11
	s_cbranch_execz .LBB30_233
; %bb.181:                              ;   in Loop: Header=BB30_6 Depth=1
	v_mov_b32_e32 v31, 1
	v_mov_b32_e32 v1, 1
	s_xor_b32 s80, s80, -1
	s_mov_b32 s82, 0
	s_and_saveexec_b32 s11, s80
	s_cbranch_execz .LBB30_191
; %bb.182:                              ;   in Loop: Header=BB30_6 Depth=1
	s_mov_b32 s81, exec_lo
                                        ; implicit-def: $sgpr82
                                        ; implicit-def: $sgpr80
	v_cmpx_ge_u32_e64 s18, v32
	s_xor_b32 s81, exec_lo, s81
	s_cbranch_execz .LBB30_188
; %bb.183:                              ;   in Loop: Header=BB30_6 Depth=1
	ds_load_b32 v1, v9 offset:4096
	s_waitcnt lgkmcnt(0)
	v_cmp_ne_u32_e32 vcc_lo, 0, v1
	s_cbranch_vccnz .LBB30_187
; %bb.184:                              ;   in Loop: Header=BB30_6 Depth=1
	s_and_saveexec_b32 s80, s5
	s_cbranch_execz .LBB30_186
; %bb.185:                              ;   in Loop: Header=BB30_6 Depth=1
	v_mov_b32_e32 v1, s18
	ds_store_b32 v9, v1 offset:4100
.LBB30_186:                             ;   in Loop: Header=BB30_6 Depth=1
	s_or_b32 exec_lo, exec_lo, s80
	s_waitcnt lgkmcnt(0)
	s_barrier
	buffer_gl0_inv
.LBB30_187:                             ;   in Loop: Header=BB30_6 Depth=1
	s_lshl_b32 s80, 2, s17
	v_or_b32_e32 v4, s13, v4
	v_and_or_b32 v3, v3, s14, s80
	s_mov_b32 s80, 0
	s_mov_b32 s82, 8
.LBB30_188:                             ;   in Loop: Header=BB30_6 Depth=1
	s_or_saveexec_b32 s81, s81
	v_mov_b32_e32 v1, s82
	s_xor_b32 exec_lo, exec_lo, s81
; %bb.189:                              ;   in Loop: Header=BB30_6 Depth=1
	v_subrev_nc_u32_e32 v32, s18, v32
	v_mov_b32_e32 v1, 0
	s_or_b32 s80, s80, exec_lo
; %bb.190:                              ;   in Loop: Header=BB30_6 Depth=1
	s_or_b32 exec_lo, exec_lo, s81
	s_delay_alu instid0(VALU_DEP_2)
	v_mov_b32_e32 v31, v32
	s_and_b32 s82, s80, exec_lo
.LBB30_191:                             ;   in Loop: Header=BB30_6 Depth=1
	s_or_b32 exec_lo, exec_lo, s11
	s_mov_b32 s81, -1
                                        ; implicit-def: $sgpr11
                                        ; implicit-def: $sgpr84
                                        ; implicit-def: $sgpr83
	s_and_saveexec_b32 s80, s82
	s_cbranch_execz .LBB30_232
; %bb.192:                              ;   in Loop: Header=BB30_6 Depth=1
	v_cmp_eq_u32_e32 vcc_lo, 1, v31
	s_cmp_eq_u32 s19, 1
	s_mov_b32 s85, -1
	s_cselect_b32 s11, -1, 0
                                        ; implicit-def: $sgpr84
                                        ; implicit-def: $sgpr83
	s_delay_alu instid0(SALU_CYCLE_1) | instskip(NEXT) | instid1(SALU_CYCLE_1)
	s_and_b32 s81, s11, vcc_lo
                                        ; implicit-def: $sgpr11
	s_and_saveexec_b32 s82, s81
	s_cbranch_execz .LBB30_219
; %bb.193:                              ;   in Loop: Header=BB30_6 Depth=1
	ds_load_b32 v1, v9 offset:4096
	s_waitcnt lgkmcnt(0)
	s_barrier
	buffer_gl0_inv
	v_readfirstlane_b32 s11, v1
	s_and_saveexec_b32 s83, s6
	s_cbranch_execz .LBB30_195
; %bb.194:                              ;   in Loop: Header=BB30_6 Depth=1
	ds_store_b32 v20, v9
.LBB30_195:                             ;   in Loop: Header=BB30_6 Depth=1
	s_or_b32 exec_lo, exec_lo, s83
	v_or_b32_e32 v3, s13, v3
	v_or_b32_e32 v4, s13, v4
	s_cmp_eq_u32 s11, 0
	s_waitcnt lgkmcnt(0)
	s_barrier
	buffer_gl0_inv
	s_cbranch_scc1 .LBB30_204
; %bb.196:                              ;   in Loop: Header=BB30_6 Depth=1
	s_add_i32 s83, s11, s53
                                        ; implicit-def: $vgpr2
	s_delay_alu instid0(SALU_CYCLE_1) | instskip(NEXT) | instid1(SALU_CYCLE_1)
	s_mul_hi_u32 s84, s83, s60
	s_mul_i32 s84, s84, s42
	s_delay_alu instid0(SALU_CYCLE_1) | instskip(NEXT) | instid1(SALU_CYCLE_1)
	s_sub_i32 s84, s83, s84
	s_sub_i32 s85, s84, s42
	s_cmp_ge_u32 s84, s42
	s_cselect_b32 s84, s85, s84
	s_delay_alu instid0(SALU_CYCLE_1)
	s_sub_i32 s85, s84, s42
	s_cmp_ge_u32 s84, s42
	s_cselect_b32 s84, s85, s84
	s_mov_b32 s85, 0
	s_sub_i32 s84, s83, s84
	s_mov_b32 s83, exec_lo
	v_cmpx_gt_u32_e64 s84, v0
	s_cbranch_execz .LBB30_206
; %bb.197:                              ;   in Loop: Header=BB30_6 Depth=1
	v_mov_b32_e32 v8, v18
	v_mov_b32_e32 v32, v0
                                        ; implicit-def: $sgpr86
	s_set_inst_prefetch_distance 0x1
	s_branch .LBB30_199
	.p2align	6
.LBB30_198:                             ;   in Loop: Header=BB30_199 Depth=2
	s_or_b32 exec_lo, exec_lo, s87
	s_waitcnt lgkmcnt(0)
	s_barrier
	buffer_gl0_inv
	ds_load_b64 v[1:2], v9 offset:3072
	v_add_nc_u32_e32 v32, s42, v32
	v_add_nc_u32_e32 v8, s50, v8
	s_waitcnt lgkmcnt(0)
	s_barrier
	buffer_gl0_inv
	v_cmp_le_u32_e32 vcc_lo, s84, v32
	v_readfirstlane_b32 s87, v1
	s_delay_alu instid0(VALU_DEP_1) | instskip(SKIP_1) | instid1(SALU_CYCLE_1)
	s_cmp_lg_u32 s87, 0
	s_cselect_b32 s87, -1, 0
	s_or_b32 s88, vcc_lo, s87
	s_delay_alu instid0(SALU_CYCLE_1) | instskip(NEXT) | instid1(SALU_CYCLE_1)
	s_and_b32 s88, exec_lo, s88
	s_or_b32 s85, s88, s85
	s_and_not1_b32 s86, s86, exec_lo
	s_and_b32 s87, s87, exec_lo
	s_delay_alu instid0(SALU_CYCLE_1)
	s_or_b32 s86, s86, s87
	s_and_not1_b32 exec_lo, exec_lo, s85
	s_cbranch_execz .LBB30_205
.LBB30_199:                             ;   Parent Loop BB30_6 Depth=1
                                        ; =>  This Inner Loop Header: Depth=2
	s_delay_alu instid0(VALU_DEP_1)
	v_cmp_gt_u32_e32 vcc_lo, s11, v32
	v_mov_b32_e32 v14, 0
	s_and_saveexec_b32 s87, vcc_lo
	s_cbranch_execz .LBB30_201
; %bb.200:                              ;   in Loop: Header=BB30_199 Depth=2
	ds_load_b32 v14, v8
.LBB30_201:                             ;   in Loop: Header=BB30_199 Depth=2
	s_or_b32 exec_lo, exec_lo, s87
	s_and_saveexec_b32 s87, vcc_lo
	s_cbranch_execz .LBB30_198
; %bb.202:                              ;   in Loop: Header=BB30_199 Depth=2
	s_waitcnt lgkmcnt(0)
	v_xor_b32_e32 v1, 0x80000000, v14
	s_delay_alu instid0(VALU_DEP_1) | instskip(NEXT) | instid1(VALU_DEP_1)
	v_and_b32_e32 v1, v1, v4
	v_cmp_eq_u32_e32 vcc_lo, v1, v3
	s_and_b32 exec_lo, exec_lo, vcc_lo
	s_cbranch_execz .LBB30_198
; %bb.203:                              ;   in Loop: Header=BB30_199 Depth=2
	ds_store_b64 v9, v[13:14] offset:3072
	s_branch .LBB30_198
.LBB30_204:                             ;   in Loop: Header=BB30_6 Depth=1
	s_mov_b32 s11, -1
	s_mov_b32 s85, 0
                                        ; implicit-def: $sgpr83
                                        ; implicit-def: $vgpr2
	s_branch .LBB30_207
.LBB30_205:                             ;   in Loop: Header=BB30_6 Depth=1
	s_set_inst_prefetch_distance 0x2
	s_or_b32 exec_lo, exec_lo, s85
	s_delay_alu instid0(SALU_CYCLE_1)
	s_and_b32 s85, s86, exec_lo
.LBB30_206:                             ;   in Loop: Header=BB30_6 Depth=1
	s_or_b32 exec_lo, exec_lo, s83
	s_mov_b32 s83, -1
	s_mov_b32 s11, 0
.LBB30_207:                             ;   in Loop: Header=BB30_6 Depth=1
	s_delay_alu instid0(SALU_CYCLE_1)
	s_and_b32 vcc_lo, exec_lo, s11
	s_mov_b32 s84, s11
	s_cbranch_vccz .LBB30_218
; %bb.208:                              ;   in Loop: Header=BB30_6 Depth=1
	s_mov_b32 s85, 0
                                        ; implicit-def: $vgpr2
	s_and_saveexec_b32 s83, s9
	s_cbranch_execz .LBB30_217
; %bb.209:                              ;   in Loop: Header=BB30_6 Depth=1
	v_mov_b32_e32 v8, v7
	v_mov_b32_e32 v32, v0
	s_mov_b32 s84, 0
                                        ; implicit-def: $sgpr85
	s_set_inst_prefetch_distance 0x1
	s_branch .LBB30_211
	.p2align	6
.LBB30_210:                             ;   in Loop: Header=BB30_211 Depth=2
	s_or_b32 exec_lo, exec_lo, s11
	s_waitcnt vmcnt(0) lgkmcnt(0)
	s_barrier
	buffer_gl0_inv
	ds_load_b64 v[1:2], v9 offset:3072
	v_add_nc_u32_e32 v32, s42, v32
	v_add_nc_u32_e32 v8, s44, v8
	s_waitcnt lgkmcnt(0)
	s_barrier
	buffer_gl0_inv
	v_cmp_le_u32_e32 vcc_lo, s61, v32
	v_readfirstlane_b32 s11, v1
	s_delay_alu instid0(VALU_DEP_1) | instskip(SKIP_1) | instid1(SALU_CYCLE_1)
	s_cmp_lg_u32 s11, 0
	s_cselect_b32 s11, -1, 0
	s_or_b32 s86, vcc_lo, s11
	s_delay_alu instid0(SALU_CYCLE_1) | instskip(NEXT) | instid1(SALU_CYCLE_1)
	s_and_b32 s86, exec_lo, s86
	s_or_b32 s84, s86, s84
	s_and_not1_b32 s85, s85, exec_lo
	s_and_b32 s11, s11, exec_lo
	s_delay_alu instid0(SALU_CYCLE_1)
	s_or_b32 s85, s85, s11
	s_and_not1_b32 exec_lo, exec_lo, s84
	s_cbranch_execz .LBB30_216
.LBB30_211:                             ;   Parent Loop BB30_6 Depth=1
                                        ; =>  This Inner Loop Header: Depth=2
	s_delay_alu instid0(VALU_DEP_1)
	v_cmp_gt_u32_e32 vcc_lo, s36, v32
	v_mov_b32_e32 v14, 0
	s_and_saveexec_b32 s86, vcc_lo
	s_cbranch_execz .LBB30_213
; %bb.212:                              ;   in Loop: Header=BB30_211 Depth=2
	v_lshlrev_b64 v[1:2], 2, v[8:9]
	s_delay_alu instid0(VALU_DEP_1) | instskip(NEXT) | instid1(VALU_DEP_1)
	v_add_co_u32 v1, s11, s31, v1
	v_add_co_ci_u32_e64 v2, s11, s33, v2, s11
	global_load_b32 v14, v[1:2], off
.LBB30_213:                             ;   in Loop: Header=BB30_211 Depth=2
	s_or_b32 exec_lo, exec_lo, s86
	s_and_saveexec_b32 s11, vcc_lo
	s_cbranch_execz .LBB30_210
; %bb.214:                              ;   in Loop: Header=BB30_211 Depth=2
	s_waitcnt vmcnt(0)
	v_xor_b32_e32 v1, 0x80000000, v14
	s_delay_alu instid0(VALU_DEP_1) | instskip(NEXT) | instid1(VALU_DEP_1)
	v_and_b32_e32 v1, v1, v4
	v_cmp_eq_u32_e32 vcc_lo, v1, v3
	s_and_b32 exec_lo, exec_lo, vcc_lo
	s_cbranch_execz .LBB30_210
; %bb.215:                              ;   in Loop: Header=BB30_211 Depth=2
	ds_store_b64 v9, v[13:14] offset:3072
	s_branch .LBB30_210
.LBB30_216:                             ;   in Loop: Header=BB30_6 Depth=1
	s_set_inst_prefetch_distance 0x2
	s_or_b32 exec_lo, exec_lo, s84
	s_delay_alu instid0(SALU_CYCLE_1)
	s_and_b32 s85, s85, exec_lo
.LBB30_217:                             ;   in Loop: Header=BB30_6 Depth=1
	s_or_b32 exec_lo, exec_lo, s83
	s_mov_b32 s84, -1
	s_mov_b32 s11, 0
	s_mov_b32 s83, 0
.LBB30_218:                             ;   in Loop: Header=BB30_6 Depth=1
	s_or_not1_b32 s85, s85, exec_lo
.LBB30_219:                             ;   in Loop: Header=BB30_6 Depth=1
	s_or_b32 exec_lo, exec_lo, s82
	s_mov_b32 s86, 0
                                        ; implicit-def: $vgpr1
                                        ; implicit-def: $vgpr8
	s_and_saveexec_b32 s82, s85
	s_cbranch_execz .LBB30_231
; %bb.220:                              ;   in Loop: Header=BB30_6 Depth=1
	v_dual_mov_b32 v1, 1 :: v_dual_mov_b32 v8, 1
	s_xor_b32 s85, s81, -1
	s_delay_alu instid0(SALU_CYCLE_1)
	s_and_saveexec_b32 s81, s85
	s_cbranch_execz .LBB30_230
; %bb.221:                              ;   in Loop: Header=BB30_6 Depth=1
	s_mov_b32 s85, exec_lo
                                        ; implicit-def: $sgpr86
	v_cmpx_ge_u32_e64 s19, v31
	s_xor_b32 s85, exec_lo, s85
	s_cbranch_execz .LBB30_227
; %bb.222:                              ;   in Loop: Header=BB30_6 Depth=1
	ds_load_b32 v1, v9 offset:4096
	s_waitcnt lgkmcnt(0)
	v_cmp_ne_u32_e32 vcc_lo, 0, v1
	s_cbranch_vccnz .LBB30_226
; %bb.223:                              ;   in Loop: Header=BB30_6 Depth=1
	s_and_saveexec_b32 s86, s5
	s_cbranch_execz .LBB30_225
; %bb.224:                              ;   in Loop: Header=BB30_6 Depth=1
	v_mov_b32_e32 v1, s19
	ds_store_b32 v9, v1 offset:4100
.LBB30_225:                             ;   in Loop: Header=BB30_6 Depth=1
	s_or_b32 exec_lo, exec_lo, s86
	s_waitcnt lgkmcnt(0)
	s_barrier
	buffer_gl0_inv
.LBB30_226:                             ;   in Loop: Header=BB30_6 Depth=1
	v_or_b32_e32 v3, s13, v3
	v_or_b32_e32 v4, s13, v4
	s_mov_b32 s86, 8
.LBB30_227:                             ;   in Loop: Header=BB30_6 Depth=1
	s_or_saveexec_b32 s85, s85
	v_mov_b32_e32 v1, s86
	s_xor_b32 exec_lo, exec_lo, s85
; %bb.228:                              ;   in Loop: Header=BB30_6 Depth=1
	v_subrev_nc_u32_e32 v31, s19, v31
	v_mov_b32_e32 v1, 8
; %bb.229:                              ;   in Loop: Header=BB30_6 Depth=1
	s_or_b32 exec_lo, exec_lo, s85
	s_delay_alu instid0(VALU_DEP_2)
	v_mov_b32_e32 v8, v31
.LBB30_230:                             ;   in Loop: Header=BB30_6 Depth=1
	s_or_b32 exec_lo, exec_lo, s81
	s_delay_alu instid0(SALU_CYCLE_1)
	s_mov_b32 s86, exec_lo
.LBB30_231:                             ;   in Loop: Header=BB30_6 Depth=1
	s_or_b32 exec_lo, exec_lo, s82
	s_delay_alu instid0(VALU_DEP_1)
	v_mov_b32_e32 v31, v8
	s_or_not1_b32 s81, s86, exec_lo
.LBB30_232:                             ;   in Loop: Header=BB30_6 Depth=1
	s_or_b32 exec_lo, exec_lo, s80
	s_delay_alu instid0(SALU_CYCLE_1)
	s_and_not1_b32 s76, s76, exec_lo
	s_and_b32 s11, s11, exec_lo
	v_mov_b32_e32 v32, v31
	s_or_b32 s76, s76, s11
	s_and_not1_b32 s11, s78, exec_lo
	s_and_b32 s78, s84, exec_lo
	s_and_not1_b32 s77, s77, exec_lo
	s_and_b32 s80, s83, exec_lo
	s_or_b32 s78, s11, s78
	s_or_b32 s77, s77, s80
	s_and_b32 s81, s81, exec_lo
.LBB30_233:                             ;   in Loop: Header=BB30_6 Depth=1
	s_or_b32 exec_lo, exec_lo, s79
	s_delay_alu instid0(SALU_CYCLE_1)
	s_and_b32 s79, s76, exec_lo
	s_and_b32 s78, s78, exec_lo
	;; [unrolled: 1-line block ×3, first 2 shown]
	s_or_not1_b32 s11, s81, exec_lo
.LBB30_234:                             ;   in Loop: Header=BB30_6 Depth=1
	s_or_b32 exec_lo, exec_lo, s29
	s_delay_alu instid0(SALU_CYCLE_1)
	s_and_not1_b32 s25, s25, exec_lo
	s_and_b32 s29, s79, exec_lo
	v_mov_b32_e32 v31, v32
	s_or_b32 s25, s25, s29
	s_and_not1_b32 s27, s27, exec_lo
	s_and_b32 s29, s78, exec_lo
	s_and_not1_b32 s26, s26, exec_lo
	s_and_b32 s76, s76, exec_lo
	s_or_b32 s27, s27, s29
	s_or_b32 s26, s26, s76
	s_and_b32 s76, s11, exec_lo
.LBB30_235:                             ;   in Loop: Header=BB30_6 Depth=1
	s_or_b32 exec_lo, exec_lo, s28
	s_delay_alu instid0(SALU_CYCLE_1)
	s_and_b32 s28, s25, exec_lo
	s_and_b32 s27, s27, exec_lo
	;; [unrolled: 1-line block ×3, first 2 shown]
	s_or_not1_b32 s11, s76, exec_lo
.LBB30_236:                             ;   in Loop: Header=BB30_6 Depth=1
	s_or_b32 exec_lo, exec_lo, s20
	s_mov_b32 s20, 0
	s_mov_b32 s26, 0
	s_and_saveexec_b32 s29, s11
	s_delay_alu instid0(SALU_CYCLE_1)
	s_xor_b32 s29, exec_lo, s29
; %bb.237:                              ;   in Loop: Header=BB30_6 Depth=1
	v_cmp_ne_u32_e32 vcc_lo, 8, v1
	v_cmp_eq_u32_e64 s11, 8, v1
	s_and_not1_b32 s28, s28, exec_lo
	s_and_not1_b32 s27, s27, exec_lo
	;; [unrolled: 1-line block ×3, first 2 shown]
	s_and_b32 s26, vcc_lo, exec_lo
	s_and_b32 s20, s11, exec_lo
; %bb.238:                              ;   in Loop: Header=BB30_6 Depth=1
	s_or_b32 exec_lo, exec_lo, s29
	s_delay_alu instid0(SALU_CYCLE_1)
	s_and_not1_b32 s11, s15, exec_lo
	s_and_b32 s15, s28, exec_lo
	s_and_not1_b32 s21, s21, exec_lo
	s_or_b32 s15, s11, s15
	s_and_not1_b32 s11, s22, exec_lo
	s_and_b32 s22, s27, exec_lo
	s_and_b32 s25, s25, exec_lo
	s_or_b32 s22, s11, s22
	s_or_b32 s21, s21, s25
	s_and_b32 s11, s26, exec_lo
	s_and_b32 s20, s20, exec_lo
.LBB30_239:                             ;   in Loop: Header=BB30_6 Depth=1
	s_or_b32 exec_lo, exec_lo, s24
	s_delay_alu instid0(SALU_CYCLE_1)
	s_and_b32 vcc_lo, exec_lo, s23
	s_cbranch_vccz .LBB30_86
.LBB30_240:                             ;   in Loop: Header=BB30_6 Depth=1
	s_cmp_eq_u32 s19, 1
                                        ; implicit-def: $sgpr23
                                        ; implicit-def: $sgpr24
	s_cselect_b32 s15, -1, 0
	s_delay_alu instid0(SALU_CYCLE_1)
	s_and_b32 s22, s15, s10
	s_mov_b32 s10, -1
                                        ; implicit-def: $sgpr15
	s_and_saveexec_b32 s21, s22
	s_cbranch_execz .LBB30_266
; %bb.241:                              ;   in Loop: Header=BB30_6 Depth=1
	ds_load_b32 v1, v9 offset:4096
	s_waitcnt lgkmcnt(0)
	s_barrier
	buffer_gl0_inv
	v_readfirstlane_b32 s10, v1
	s_and_saveexec_b32 s15, s6
	s_cbranch_execz .LBB30_243
; %bb.242:                              ;   in Loop: Header=BB30_6 Depth=1
	ds_store_b32 v20, v9
.LBB30_243:                             ;   in Loop: Header=BB30_6 Depth=1
	s_or_b32 exec_lo, exec_lo, s15
	v_or_b32_e32 v29, s13, v29
	v_or_b32_e32 v28, s13, v28
	s_cmp_eq_u32 s10, 0
	s_waitcnt lgkmcnt(0)
	s_barrier
	buffer_gl0_inv
	s_cbranch_scc1 .LBB30_252
; %bb.244:                              ;   in Loop: Header=BB30_6 Depth=1
	s_add_i32 s15, s10, s53
	s_mov_b32 s25, 0
	s_mul_hi_u32 s23, s15, s60
                                        ; implicit-def: $vgpr15
	s_delay_alu instid0(SALU_CYCLE_1) | instskip(NEXT) | instid1(SALU_CYCLE_1)
	s_mul_i32 s23, s23, s42
	s_sub_i32 s23, s15, s23
	s_delay_alu instid0(SALU_CYCLE_1) | instskip(SKIP_2) | instid1(SALU_CYCLE_1)
	s_sub_i32 s24, s23, s42
	s_cmp_ge_u32 s23, s42
	s_cselect_b32 s23, s24, s23
	s_sub_i32 s24, s23, s42
	s_cmp_ge_u32 s23, s42
	s_cselect_b32 s23, s24, s23
	s_delay_alu instid0(SALU_CYCLE_1)
	s_sub_i32 s23, s15, s23
	s_mov_b32 s15, exec_lo
	v_cmpx_gt_u32_e64 s23, v0
	s_cbranch_execz .LBB30_254
; %bb.245:                              ;   in Loop: Header=BB30_6 Depth=1
	v_dual_mov_b32 v1, v18 :: v_dual_mov_b32 v2, v0
	s_mov_b32 s24, 0
                                        ; implicit-def: $sgpr25
	s_set_inst_prefetch_distance 0x1
	s_branch .LBB30_247
	.p2align	6
.LBB30_246:                             ;   in Loop: Header=BB30_247 Depth=2
	s_or_b32 exec_lo, exec_lo, s26
	s_waitcnt lgkmcnt(0)
	s_barrier
	buffer_gl0_inv
	ds_load_b64 v[14:15], v9 offset:3072
	v_add_nc_u32_e32 v2, s42, v2
	v_add_nc_u32_e32 v1, s50, v1
	s_waitcnt lgkmcnt(0)
	s_barrier
	buffer_gl0_inv
	v_cmp_le_u32_e32 vcc_lo, s23, v2
	v_readfirstlane_b32 s26, v14
	s_delay_alu instid0(VALU_DEP_1) | instskip(SKIP_1) | instid1(SALU_CYCLE_1)
	s_cmp_lg_u32 s26, 0
	s_cselect_b32 s26, -1, 0
	s_or_b32 s27, vcc_lo, s26
	s_delay_alu instid0(SALU_CYCLE_1) | instskip(NEXT) | instid1(SALU_CYCLE_1)
	s_and_b32 s27, exec_lo, s27
	s_or_b32 s24, s27, s24
	s_and_not1_b32 s25, s25, exec_lo
	s_and_b32 s26, s26, exec_lo
	s_delay_alu instid0(SALU_CYCLE_1)
	s_or_b32 s25, s25, s26
	s_and_not1_b32 exec_lo, exec_lo, s24
	s_cbranch_execz .LBB30_253
.LBB30_247:                             ;   Parent Loop BB30_6 Depth=1
                                        ; =>  This Inner Loop Header: Depth=2
	s_delay_alu instid0(VALU_DEP_1)
	v_cmp_gt_u32_e32 vcc_lo, s10, v2
	v_mov_b32_e32 v14, 0
	s_and_saveexec_b32 s26, vcc_lo
	s_cbranch_execz .LBB30_249
; %bb.248:                              ;   in Loop: Header=BB30_247 Depth=2
	ds_load_b32 v14, v1
.LBB30_249:                             ;   in Loop: Header=BB30_247 Depth=2
	s_or_b32 exec_lo, exec_lo, s26
	s_and_saveexec_b32 s26, vcc_lo
	s_cbranch_execz .LBB30_246
; %bb.250:                              ;   in Loop: Header=BB30_247 Depth=2
	s_waitcnt lgkmcnt(0)
	v_xor_b32_e32 v3, 0x80000000, v14
	s_delay_alu instid0(VALU_DEP_1) | instskip(NEXT) | instid1(VALU_DEP_1)
	v_and_b32_e32 v3, v3, v28
	v_cmp_eq_u32_e32 vcc_lo, v3, v29
	s_and_b32 exec_lo, exec_lo, vcc_lo
	s_cbranch_execz .LBB30_246
; %bb.251:                              ;   in Loop: Header=BB30_247 Depth=2
	ds_store_b64 v9, v[13:14] offset:3072
	s_branch .LBB30_246
.LBB30_252:                             ;   in Loop: Header=BB30_6 Depth=1
	s_mov_b32 s23, -1
	s_mov_b32 s25, 0
                                        ; implicit-def: $sgpr24
                                        ; implicit-def: $vgpr15
	s_mov_b32 s15, s23
	s_cbranch_execnz .LBB30_255
	s_branch .LBB30_265
.LBB30_253:                             ;   in Loop: Header=BB30_6 Depth=1
	s_set_inst_prefetch_distance 0x2
	s_or_b32 exec_lo, exec_lo, s24
	s_delay_alu instid0(SALU_CYCLE_1)
	s_and_b32 s25, s25, exec_lo
.LBB30_254:                             ;   in Loop: Header=BB30_6 Depth=1
	s_or_b32 exec_lo, exec_lo, s15
	s_mov_b32 s23, 0
	s_mov_b32 s24, -1
	s_mov_b32 s15, s23
	s_branch .LBB30_265
.LBB30_255:                             ;   in Loop: Header=BB30_6 Depth=1
	s_mov_b32 s25, 0
                                        ; implicit-def: $vgpr15
	s_and_saveexec_b32 s15, s9
	s_cbranch_execz .LBB30_264
; %bb.256:                              ;   in Loop: Header=BB30_6 Depth=1
	v_dual_mov_b32 v8, v7 :: v_dual_mov_b32 v1, v0
	s_mov_b32 s23, 0
                                        ; implicit-def: $sgpr24
	s_set_inst_prefetch_distance 0x1
	s_branch .LBB30_258
	.p2align	6
.LBB30_257:                             ;   in Loop: Header=BB30_258 Depth=2
	s_or_b32 exec_lo, exec_lo, s10
	s_waitcnt vmcnt(0) lgkmcnt(0)
	s_barrier
	buffer_gl0_inv
	ds_load_b64 v[14:15], v9 offset:3072
	v_add_nc_u32_e32 v1, s42, v1
	v_add_nc_u32_e32 v8, s44, v8
	s_waitcnt lgkmcnt(0)
	s_barrier
	buffer_gl0_inv
	v_cmp_le_u32_e32 vcc_lo, s61, v1
	v_readfirstlane_b32 s10, v14
	s_delay_alu instid0(VALU_DEP_1) | instskip(SKIP_1) | instid1(SALU_CYCLE_1)
	s_cmp_lg_u32 s10, 0
	s_cselect_b32 s10, -1, 0
	s_or_b32 s25, vcc_lo, s10
	s_delay_alu instid0(SALU_CYCLE_1) | instskip(NEXT) | instid1(SALU_CYCLE_1)
	s_and_b32 s25, exec_lo, s25
	s_or_b32 s23, s25, s23
	s_and_not1_b32 s24, s24, exec_lo
	s_and_b32 s10, s10, exec_lo
	s_delay_alu instid0(SALU_CYCLE_1)
	s_or_b32 s24, s24, s10
	s_and_not1_b32 exec_lo, exec_lo, s23
	s_cbranch_execz .LBB30_263
.LBB30_258:                             ;   Parent Loop BB30_6 Depth=1
                                        ; =>  This Inner Loop Header: Depth=2
	s_delay_alu instid0(VALU_DEP_1)
	v_cmp_gt_u32_e32 vcc_lo, s36, v1
	v_mov_b32_e32 v14, 0
	s_and_saveexec_b32 s25, vcc_lo
	s_cbranch_execz .LBB30_260
; %bb.259:                              ;   in Loop: Header=BB30_258 Depth=2
	v_lshlrev_b64 v[2:3], 2, v[8:9]
	s_delay_alu instid0(VALU_DEP_1) | instskip(NEXT) | instid1(VALU_DEP_1)
	v_add_co_u32 v2, s10, s31, v2
	v_add_co_ci_u32_e64 v3, s10, s33, v3, s10
	global_load_b32 v14, v[2:3], off
.LBB30_260:                             ;   in Loop: Header=BB30_258 Depth=2
	s_or_b32 exec_lo, exec_lo, s25
	s_and_saveexec_b32 s10, vcc_lo
	s_cbranch_execz .LBB30_257
; %bb.261:                              ;   in Loop: Header=BB30_258 Depth=2
	s_waitcnt vmcnt(0)
	v_xor_b32_e32 v2, 0x80000000, v14
	s_delay_alu instid0(VALU_DEP_1) | instskip(NEXT) | instid1(VALU_DEP_1)
	v_and_b32_e32 v2, v2, v28
	v_cmp_eq_u32_e32 vcc_lo, v2, v29
	s_and_b32 exec_lo, exec_lo, vcc_lo
	s_cbranch_execz .LBB30_257
; %bb.262:                              ;   in Loop: Header=BB30_258 Depth=2
	ds_store_b64 v9, v[13:14] offset:3072
	s_branch .LBB30_257
.LBB30_263:                             ;   in Loop: Header=BB30_6 Depth=1
	s_set_inst_prefetch_distance 0x2
	s_or_b32 exec_lo, exec_lo, s23
	s_delay_alu instid0(SALU_CYCLE_1)
	s_and_b32 s25, s24, exec_lo
.LBB30_264:                             ;   in Loop: Header=BB30_6 Depth=1
	s_or_b32 exec_lo, exec_lo, s15
	s_mov_b32 s24, 0
	s_mov_b32 s23, -1
	s_mov_b32 s15, 0
.LBB30_265:                             ;   in Loop: Header=BB30_6 Depth=1
	s_or_not1_b32 s10, s25, exec_lo
.LBB30_266:                             ;   in Loop: Header=BB30_6 Depth=1
	s_or_b32 exec_lo, exec_lo, s21
                                        ; implicit-def: $vgpr1
                                        ; implicit-def: $vgpr31
                                        ; implicit-def: $vgpr3
                                        ; implicit-def: $vgpr4
                                        ; implicit-def: $vgpr2
	s_and_saveexec_b32 s21, s10
	s_cbranch_execz .LBB30_401
; %bb.267:                              ;   in Loop: Header=BB30_6 Depth=1
	v_mov_b32_e32 v31, 1
	v_mov_b32_e32 v1, 1
	s_xor_b32 s22, s22, -1
	s_mov_b32 s28, 0
	s_and_saveexec_b32 s10, s22
	s_cbranch_execz .LBB30_277
; %bb.268:                              ;   in Loop: Header=BB30_6 Depth=1
	s_mov_b32 s25, exec_lo
                                        ; implicit-def: $sgpr26
                                        ; implicit-def: $sgpr22
	v_cmpx_ge_u32_e64 s19, v30
	s_xor_b32 s25, exec_lo, s25
	s_cbranch_execz .LBB30_274
; %bb.269:                              ;   in Loop: Header=BB30_6 Depth=1
	ds_load_b32 v1, v9 offset:4096
	s_waitcnt lgkmcnt(0)
	v_cmp_ne_u32_e32 vcc_lo, 0, v1
	s_cbranch_vccnz .LBB30_273
; %bb.270:                              ;   in Loop: Header=BB30_6 Depth=1
	s_and_saveexec_b32 s22, s5
	s_cbranch_execz .LBB30_272
; %bb.271:                              ;   in Loop: Header=BB30_6 Depth=1
	v_mov_b32_e32 v1, s19
	ds_store_b32 v9, v1 offset:4100
.LBB30_272:                             ;   in Loop: Header=BB30_6 Depth=1
	s_or_b32 exec_lo, exec_lo, s22
	s_waitcnt lgkmcnt(0)
	s_barrier
	buffer_gl0_inv
.LBB30_273:                             ;   in Loop: Header=BB30_6 Depth=1
	v_or_b32_e32 v29, s13, v29
	v_or_b32_e32 v28, s13, v28
	s_mov_b32 s22, 0
	s_mov_b32 s26, 5
.LBB30_274:                             ;   in Loop: Header=BB30_6 Depth=1
	s_or_saveexec_b32 s25, s25
	v_mov_b32_e32 v1, s26
	s_xor_b32 exec_lo, exec_lo, s25
; %bb.275:                              ;   in Loop: Header=BB30_6 Depth=1
	v_subrev_nc_u32_e32 v30, s19, v30
	v_mov_b32_e32 v1, 0
	s_or_b32 s22, s22, exec_lo
; %bb.276:                              ;   in Loop: Header=BB30_6 Depth=1
	s_or_b32 exec_lo, exec_lo, s25
	s_delay_alu instid0(VALU_DEP_2)
	v_mov_b32_e32 v31, v30
	s_and_b32 s28, s22, exec_lo
.LBB30_277:                             ;   in Loop: Header=BB30_6 Depth=1
	s_or_b32 exec_lo, exec_lo, s10
	s_mov_b32 s26, -1
                                        ; implicit-def: $sgpr22
                                        ; implicit-def: $sgpr25
                                        ; implicit-def: $sgpr27
	s_and_saveexec_b32 s10, s28
	s_delay_alu instid0(SALU_CYCLE_1)
	s_xor_b32 s19, exec_lo, s10
	s_cbranch_execz .LBB30_398
; %bb.278:                              ;   in Loop: Header=BB30_6 Depth=1
	v_cmp_eq_u32_e32 vcc_lo, 1, v31
	s_cmp_eq_u32 s18, 1
                                        ; implicit-def: $sgpr22
                                        ; implicit-def: $sgpr25
                                        ; implicit-def: $sgpr26
	s_cselect_b32 s10, -1, 0
	s_delay_alu instid0(SALU_CYCLE_1)
	s_and_b32 s28, s10, vcc_lo
	s_mov_b32 s10, -1
	s_and_saveexec_b32 s27, s28
	s_cbranch_execz .LBB30_304
; %bb.279:                              ;   in Loop: Header=BB30_6 Depth=1
	ds_load_b32 v1, v9 offset:4096
	s_waitcnt lgkmcnt(0)
	s_barrier
	buffer_gl0_inv
	v_readfirstlane_b32 s10, v1
	s_and_saveexec_b32 s22, s6
	s_cbranch_execz .LBB30_281
; %bb.280:                              ;   in Loop: Header=BB30_6 Depth=1
	ds_store_b32 v20, v9
.LBB30_281:                             ;   in Loop: Header=BB30_6 Depth=1
	s_or_b32 exec_lo, exec_lo, s22
	s_lshl_b32 s22, 2, s17
	v_or_b32_e32 v28, s13, v28
	v_and_or_b32 v29, v29, s14, s22
	s_cmp_eq_u32 s10, 0
	s_waitcnt lgkmcnt(0)
	s_barrier
	buffer_gl0_inv
	s_cbranch_scc1 .LBB30_290
; %bb.282:                              ;   in Loop: Header=BB30_6 Depth=1
	s_add_i32 s22, s10, s53
	s_mov_b32 s29, 0
	s_mul_hi_u32 s25, s22, s60
                                        ; implicit-def: $vgpr15
	s_delay_alu instid0(SALU_CYCLE_1) | instskip(NEXT) | instid1(SALU_CYCLE_1)
	s_mul_i32 s25, s25, s42
	s_sub_i32 s25, s22, s25
	s_delay_alu instid0(SALU_CYCLE_1) | instskip(SKIP_2) | instid1(SALU_CYCLE_1)
	s_sub_i32 s26, s25, s42
	s_cmp_ge_u32 s25, s42
	s_cselect_b32 s25, s26, s25
	s_sub_i32 s26, s25, s42
	s_cmp_ge_u32 s25, s42
	s_cselect_b32 s25, s26, s25
	s_delay_alu instid0(SALU_CYCLE_1)
	s_sub_i32 s25, s22, s25
	s_mov_b32 s22, exec_lo
	v_cmpx_gt_u32_e64 s25, v0
	s_cbranch_execz .LBB30_292
; %bb.283:                              ;   in Loop: Header=BB30_6 Depth=1
	v_dual_mov_b32 v1, v18 :: v_dual_mov_b32 v2, v0
	s_mov_b32 s26, 0
                                        ; implicit-def: $sgpr29
	s_set_inst_prefetch_distance 0x1
	s_branch .LBB30_285
	.p2align	6
.LBB30_284:                             ;   in Loop: Header=BB30_285 Depth=2
	s_or_b32 exec_lo, exec_lo, s76
	s_waitcnt lgkmcnt(0)
	s_barrier
	buffer_gl0_inv
	ds_load_b64 v[14:15], v9 offset:3072
	v_add_nc_u32_e32 v2, s42, v2
	v_add_nc_u32_e32 v1, s50, v1
	s_waitcnt lgkmcnt(0)
	s_barrier
	buffer_gl0_inv
	v_cmp_le_u32_e32 vcc_lo, s25, v2
	v_readfirstlane_b32 s76, v14
	s_delay_alu instid0(VALU_DEP_1) | instskip(SKIP_1) | instid1(SALU_CYCLE_1)
	s_cmp_lg_u32 s76, 0
	s_cselect_b32 s76, -1, 0
	s_or_b32 s77, vcc_lo, s76
	s_delay_alu instid0(SALU_CYCLE_1) | instskip(NEXT) | instid1(SALU_CYCLE_1)
	s_and_b32 s77, exec_lo, s77
	s_or_b32 s26, s77, s26
	s_and_not1_b32 s29, s29, exec_lo
	s_and_b32 s76, s76, exec_lo
	s_delay_alu instid0(SALU_CYCLE_1)
	s_or_b32 s29, s29, s76
	s_and_not1_b32 exec_lo, exec_lo, s26
	s_cbranch_execz .LBB30_291
.LBB30_285:                             ;   Parent Loop BB30_6 Depth=1
                                        ; =>  This Inner Loop Header: Depth=2
	s_delay_alu instid0(VALU_DEP_1)
	v_cmp_gt_u32_e32 vcc_lo, s10, v2
	v_mov_b32_e32 v14, 0
	s_and_saveexec_b32 s76, vcc_lo
	s_cbranch_execz .LBB30_287
; %bb.286:                              ;   in Loop: Header=BB30_285 Depth=2
	ds_load_b32 v14, v1
.LBB30_287:                             ;   in Loop: Header=BB30_285 Depth=2
	s_or_b32 exec_lo, exec_lo, s76
	s_and_saveexec_b32 s76, vcc_lo
	s_cbranch_execz .LBB30_284
; %bb.288:                              ;   in Loop: Header=BB30_285 Depth=2
	s_waitcnt lgkmcnt(0)
	v_xor_b32_e32 v3, 0x80000000, v14
	s_delay_alu instid0(VALU_DEP_1) | instskip(NEXT) | instid1(VALU_DEP_1)
	v_and_b32_e32 v3, v3, v28
	v_cmp_eq_u32_e32 vcc_lo, v3, v29
	s_and_b32 exec_lo, exec_lo, vcc_lo
	s_cbranch_execz .LBB30_284
; %bb.289:                              ;   in Loop: Header=BB30_285 Depth=2
	ds_store_b64 v9, v[13:14] offset:3072
	s_branch .LBB30_284
.LBB30_290:                             ;   in Loop: Header=BB30_6 Depth=1
	s_mov_b32 s22, -1
	s_mov_b32 s29, 0
                                        ; implicit-def: $sgpr25
                                        ; implicit-def: $vgpr15
	s_mov_b32 s26, s22
	s_cbranch_execnz .LBB30_293
	s_branch .LBB30_303
.LBB30_291:                             ;   in Loop: Header=BB30_6 Depth=1
	s_set_inst_prefetch_distance 0x2
	s_or_b32 exec_lo, exec_lo, s26
	s_delay_alu instid0(SALU_CYCLE_1)
	s_and_b32 s29, s29, exec_lo
.LBB30_292:                             ;   in Loop: Header=BB30_6 Depth=1
	s_or_b32 exec_lo, exec_lo, s22
	s_mov_b32 s22, 0
	s_mov_b32 s25, -1
	s_mov_b32 s26, s22
	s_branch .LBB30_303
.LBB30_293:                             ;   in Loop: Header=BB30_6 Depth=1
	s_mov_b32 s29, 0
                                        ; implicit-def: $vgpr15
	s_and_saveexec_b32 s22, s9
	s_cbranch_execz .LBB30_302
; %bb.294:                              ;   in Loop: Header=BB30_6 Depth=1
	v_dual_mov_b32 v8, v7 :: v_dual_mov_b32 v1, v0
	s_mov_b32 s25, 0
                                        ; implicit-def: $sgpr26
	s_set_inst_prefetch_distance 0x1
	s_branch .LBB30_296
	.p2align	6
.LBB30_295:                             ;   in Loop: Header=BB30_296 Depth=2
	s_or_b32 exec_lo, exec_lo, s10
	s_waitcnt vmcnt(0) lgkmcnt(0)
	s_barrier
	buffer_gl0_inv
	ds_load_b64 v[14:15], v9 offset:3072
	v_add_nc_u32_e32 v1, s42, v1
	v_add_nc_u32_e32 v8, s44, v8
	s_waitcnt lgkmcnt(0)
	s_barrier
	buffer_gl0_inv
	v_cmp_le_u32_e32 vcc_lo, s61, v1
	v_readfirstlane_b32 s10, v14
	s_delay_alu instid0(VALU_DEP_1) | instskip(SKIP_1) | instid1(SALU_CYCLE_1)
	s_cmp_lg_u32 s10, 0
	s_cselect_b32 s10, -1, 0
	s_or_b32 s29, vcc_lo, s10
	s_delay_alu instid0(SALU_CYCLE_1) | instskip(NEXT) | instid1(SALU_CYCLE_1)
	s_and_b32 s29, exec_lo, s29
	s_or_b32 s25, s29, s25
	s_and_not1_b32 s26, s26, exec_lo
	s_and_b32 s10, s10, exec_lo
	s_delay_alu instid0(SALU_CYCLE_1)
	s_or_b32 s26, s26, s10
	s_and_not1_b32 exec_lo, exec_lo, s25
	s_cbranch_execz .LBB30_301
.LBB30_296:                             ;   Parent Loop BB30_6 Depth=1
                                        ; =>  This Inner Loop Header: Depth=2
	s_delay_alu instid0(VALU_DEP_1)
	v_cmp_gt_u32_e32 vcc_lo, s36, v1
	v_mov_b32_e32 v14, 0
	s_and_saveexec_b32 s29, vcc_lo
	s_cbranch_execz .LBB30_298
; %bb.297:                              ;   in Loop: Header=BB30_296 Depth=2
	v_lshlrev_b64 v[2:3], 2, v[8:9]
	s_delay_alu instid0(VALU_DEP_1) | instskip(NEXT) | instid1(VALU_DEP_1)
	v_add_co_u32 v2, s10, s31, v2
	v_add_co_ci_u32_e64 v3, s10, s33, v3, s10
	global_load_b32 v14, v[2:3], off
.LBB30_298:                             ;   in Loop: Header=BB30_296 Depth=2
	s_or_b32 exec_lo, exec_lo, s29
	s_and_saveexec_b32 s10, vcc_lo
	s_cbranch_execz .LBB30_295
; %bb.299:                              ;   in Loop: Header=BB30_296 Depth=2
	s_waitcnt vmcnt(0)
	v_xor_b32_e32 v2, 0x80000000, v14
	s_delay_alu instid0(VALU_DEP_1) | instskip(NEXT) | instid1(VALU_DEP_1)
	v_and_b32_e32 v2, v2, v28
	v_cmp_eq_u32_e32 vcc_lo, v2, v29
	s_and_b32 exec_lo, exec_lo, vcc_lo
	s_cbranch_execz .LBB30_295
; %bb.300:                              ;   in Loop: Header=BB30_296 Depth=2
	ds_store_b64 v9, v[13:14] offset:3072
	s_branch .LBB30_295
.LBB30_301:                             ;   in Loop: Header=BB30_6 Depth=1
	s_set_inst_prefetch_distance 0x2
	s_or_b32 exec_lo, exec_lo, s25
	s_delay_alu instid0(SALU_CYCLE_1)
	s_and_b32 s29, s26, exec_lo
.LBB30_302:                             ;   in Loop: Header=BB30_6 Depth=1
	s_or_b32 exec_lo, exec_lo, s22
	s_mov_b32 s25, 0
	s_mov_b32 s22, -1
	s_mov_b32 s26, 0
.LBB30_303:                             ;   in Loop: Header=BB30_6 Depth=1
	s_or_not1_b32 s10, s29, exec_lo
.LBB30_304:                             ;   in Loop: Header=BB30_6 Depth=1
	s_or_b32 exec_lo, exec_lo, s27
	s_mov_b32 s29, 0
                                        ; implicit-def: $vgpr1
	s_and_saveexec_b32 s27, s10
	s_cbranch_execz .LBB30_397
; %bb.305:                              ;   in Loop: Header=BB30_6 Depth=1
	v_dual_mov_b32 v2, 1 :: v_dual_mov_b32 v1, 1
	s_xor_b32 s28, s28, -1
	s_mov_b32 s76, 0
	s_and_saveexec_b32 s10, s28
	s_cbranch_execz .LBB30_315
; %bb.306:                              ;   in Loop: Header=BB30_6 Depth=1
	s_mov_b32 s29, exec_lo
                                        ; implicit-def: $sgpr76
                                        ; implicit-def: $sgpr28
	v_cmpx_ge_u32_e64 s18, v31
	s_xor_b32 s29, exec_lo, s29
	s_cbranch_execz .LBB30_312
; %bb.307:                              ;   in Loop: Header=BB30_6 Depth=1
	ds_load_b32 v1, v9 offset:4096
	s_waitcnt lgkmcnt(0)
	v_cmp_ne_u32_e32 vcc_lo, 0, v1
	s_cbranch_vccnz .LBB30_311
; %bb.308:                              ;   in Loop: Header=BB30_6 Depth=1
	s_and_saveexec_b32 s28, s5
	s_cbranch_execz .LBB30_310
; %bb.309:                              ;   in Loop: Header=BB30_6 Depth=1
	v_mov_b32_e32 v1, s18
	ds_store_b32 v9, v1 offset:4100
.LBB30_310:                             ;   in Loop: Header=BB30_6 Depth=1
	s_or_b32 exec_lo, exec_lo, s28
	s_waitcnt lgkmcnt(0)
	s_barrier
	buffer_gl0_inv
.LBB30_311:                             ;   in Loop: Header=BB30_6 Depth=1
	s_lshl_b32 s28, 2, s17
	v_or_b32_e32 v28, s13, v28
	v_and_or_b32 v29, v29, s14, s28
	s_mov_b32 s28, 0
	s_mov_b32 s76, 5
.LBB30_312:                             ;   in Loop: Header=BB30_6 Depth=1
	s_or_saveexec_b32 s29, s29
	v_mov_b32_e32 v1, s76
	s_xor_b32 exec_lo, exec_lo, s29
; %bb.313:                              ;   in Loop: Header=BB30_6 Depth=1
	v_subrev_nc_u32_e32 v31, s18, v31
	v_mov_b32_e32 v1, 0
	s_or_b32 s28, s28, exec_lo
; %bb.314:                              ;   in Loop: Header=BB30_6 Depth=1
	s_or_b32 exec_lo, exec_lo, s29
	s_delay_alu instid0(VALU_DEP_2)
	v_mov_b32_e32 v2, v31
	s_and_b32 s76, s28, exec_lo
.LBB30_315:                             ;   in Loop: Header=BB30_6 Depth=1
	s_or_b32 exec_lo, exec_lo, s10
	s_mov_b32 s10, -1
                                        ; implicit-def: $sgpr28
                                        ; implicit-def: $sgpr29
                                        ; implicit-def: $sgpr77
	s_and_saveexec_b32 s18, s76
	s_cbranch_execz .LBB30_396
; %bb.316:                              ;   in Loop: Header=BB30_6 Depth=1
	v_cmp_eq_u32_e32 vcc_lo, 1, v2
	s_cmp_eq_u32 s16, 1
                                        ; implicit-def: $sgpr28
                                        ; implicit-def: $sgpr29
                                        ; implicit-def: $sgpr76
	s_cselect_b32 s10, -1, 0
	s_delay_alu instid0(SALU_CYCLE_1)
	s_and_b32 s78, s10, vcc_lo
	s_mov_b32 s10, -1
	s_and_saveexec_b32 s77, s78
	s_cbranch_execz .LBB30_342
; %bb.317:                              ;   in Loop: Header=BB30_6 Depth=1
	ds_load_b32 v1, v9 offset:4096
	s_waitcnt lgkmcnt(0)
	s_barrier
	buffer_gl0_inv
	v_readfirstlane_b32 s10, v1
	s_and_saveexec_b32 s28, s6
	s_cbranch_execz .LBB30_319
; %bb.318:                              ;   in Loop: Header=BB30_6 Depth=1
	ds_store_b32 v20, v9
.LBB30_319:                             ;   in Loop: Header=BB30_6 Depth=1
	s_or_b32 exec_lo, exec_lo, s28
	s_lshl_b32 s28, 1, s17
	v_or_b32_e32 v28, s13, v28
	v_and_or_b32 v29, v29, s14, s28
	s_cmp_eq_u32 s10, 0
	s_waitcnt lgkmcnt(0)
	s_barrier
	buffer_gl0_inv
	s_cbranch_scc1 .LBB30_328
; %bb.320:                              ;   in Loop: Header=BB30_6 Depth=1
	s_add_i32 s28, s10, s53
	s_mov_b32 s79, 0
	s_mul_hi_u32 s29, s28, s60
                                        ; implicit-def: $vgpr15
	s_delay_alu instid0(SALU_CYCLE_1) | instskip(NEXT) | instid1(SALU_CYCLE_1)
	s_mul_i32 s29, s29, s42
	s_sub_i32 s29, s28, s29
	s_delay_alu instid0(SALU_CYCLE_1) | instskip(SKIP_2) | instid1(SALU_CYCLE_1)
	s_sub_i32 s76, s29, s42
	s_cmp_ge_u32 s29, s42
	s_cselect_b32 s29, s76, s29
	s_sub_i32 s76, s29, s42
	s_cmp_ge_u32 s29, s42
	s_cselect_b32 s29, s76, s29
	s_delay_alu instid0(SALU_CYCLE_1)
	s_sub_i32 s29, s28, s29
	s_mov_b32 s28, exec_lo
	v_cmpx_gt_u32_e64 s29, v0
	s_cbranch_execz .LBB30_330
; %bb.321:                              ;   in Loop: Header=BB30_6 Depth=1
	v_mov_b32_e32 v1, v18
	v_mov_b32_e32 v3, v0
	s_mov_b32 s76, 0
                                        ; implicit-def: $sgpr79
	s_set_inst_prefetch_distance 0x1
	s_branch .LBB30_323
	.p2align	6
.LBB30_322:                             ;   in Loop: Header=BB30_323 Depth=2
	s_or_b32 exec_lo, exec_lo, s80
	s_waitcnt lgkmcnt(0)
	s_barrier
	buffer_gl0_inv
	ds_load_b64 v[14:15], v9 offset:3072
	v_add_nc_u32_e32 v3, s42, v3
	v_add_nc_u32_e32 v1, s50, v1
	s_waitcnt lgkmcnt(0)
	s_barrier
	buffer_gl0_inv
	v_cmp_le_u32_e32 vcc_lo, s29, v3
	v_readfirstlane_b32 s80, v14
	s_delay_alu instid0(VALU_DEP_1) | instskip(SKIP_1) | instid1(SALU_CYCLE_1)
	s_cmp_lg_u32 s80, 0
	s_cselect_b32 s80, -1, 0
	s_or_b32 s81, vcc_lo, s80
	s_delay_alu instid0(SALU_CYCLE_1) | instskip(NEXT) | instid1(SALU_CYCLE_1)
	s_and_b32 s81, exec_lo, s81
	s_or_b32 s76, s81, s76
	s_and_not1_b32 s79, s79, exec_lo
	s_and_b32 s80, s80, exec_lo
	s_delay_alu instid0(SALU_CYCLE_1)
	s_or_b32 s79, s79, s80
	s_and_not1_b32 exec_lo, exec_lo, s76
	s_cbranch_execz .LBB30_329
.LBB30_323:                             ;   Parent Loop BB30_6 Depth=1
                                        ; =>  This Inner Loop Header: Depth=2
	s_delay_alu instid0(VALU_DEP_1)
	v_cmp_gt_u32_e32 vcc_lo, s10, v3
	v_mov_b32_e32 v14, 0
	s_and_saveexec_b32 s80, vcc_lo
	s_cbranch_execz .LBB30_325
; %bb.324:                              ;   in Loop: Header=BB30_323 Depth=2
	ds_load_b32 v14, v1
.LBB30_325:                             ;   in Loop: Header=BB30_323 Depth=2
	s_or_b32 exec_lo, exec_lo, s80
	s_and_saveexec_b32 s80, vcc_lo
	s_cbranch_execz .LBB30_322
; %bb.326:                              ;   in Loop: Header=BB30_323 Depth=2
	s_waitcnt lgkmcnt(0)
	v_xor_b32_e32 v4, 0x80000000, v14
	s_delay_alu instid0(VALU_DEP_1) | instskip(NEXT) | instid1(VALU_DEP_1)
	v_and_b32_e32 v4, v4, v28
	v_cmp_eq_u32_e32 vcc_lo, v4, v29
	s_and_b32 exec_lo, exec_lo, vcc_lo
	s_cbranch_execz .LBB30_322
; %bb.327:                              ;   in Loop: Header=BB30_323 Depth=2
	ds_store_b64 v9, v[13:14] offset:3072
	s_branch .LBB30_322
.LBB30_328:                             ;   in Loop: Header=BB30_6 Depth=1
	s_mov_b32 s28, -1
	s_mov_b32 s79, 0
                                        ; implicit-def: $sgpr29
                                        ; implicit-def: $vgpr15
	s_mov_b32 s76, s28
	s_cbranch_execnz .LBB30_331
	s_branch .LBB30_341
.LBB30_329:                             ;   in Loop: Header=BB30_6 Depth=1
	s_set_inst_prefetch_distance 0x2
	s_or_b32 exec_lo, exec_lo, s76
	s_delay_alu instid0(SALU_CYCLE_1)
	s_and_b32 s79, s79, exec_lo
.LBB30_330:                             ;   in Loop: Header=BB30_6 Depth=1
	s_or_b32 exec_lo, exec_lo, s28
	s_mov_b32 s28, 0
	s_mov_b32 s29, -1
	s_mov_b32 s76, s28
	s_branch .LBB30_341
.LBB30_331:                             ;   in Loop: Header=BB30_6 Depth=1
	s_mov_b32 s79, 0
                                        ; implicit-def: $vgpr15
	s_and_saveexec_b32 s28, s9
	s_cbranch_execz .LBB30_340
; %bb.332:                              ;   in Loop: Header=BB30_6 Depth=1
	v_dual_mov_b32 v8, v7 :: v_dual_mov_b32 v1, v0
	s_mov_b32 s29, 0
                                        ; implicit-def: $sgpr76
	s_set_inst_prefetch_distance 0x1
	s_branch .LBB30_334
	.p2align	6
.LBB30_333:                             ;   in Loop: Header=BB30_334 Depth=2
	s_or_b32 exec_lo, exec_lo, s10
	s_waitcnt vmcnt(0) lgkmcnt(0)
	s_barrier
	buffer_gl0_inv
	ds_load_b64 v[14:15], v9 offset:3072
	v_add_nc_u32_e32 v1, s42, v1
	v_add_nc_u32_e32 v8, s44, v8
	s_waitcnt lgkmcnt(0)
	s_barrier
	buffer_gl0_inv
	v_cmp_le_u32_e32 vcc_lo, s61, v1
	v_readfirstlane_b32 s10, v14
	s_delay_alu instid0(VALU_DEP_1) | instskip(SKIP_1) | instid1(SALU_CYCLE_1)
	s_cmp_lg_u32 s10, 0
	s_cselect_b32 s10, -1, 0
	s_or_b32 s79, vcc_lo, s10
	s_delay_alu instid0(SALU_CYCLE_1) | instskip(NEXT) | instid1(SALU_CYCLE_1)
	s_and_b32 s79, exec_lo, s79
	s_or_b32 s29, s79, s29
	s_and_not1_b32 s76, s76, exec_lo
	s_and_b32 s10, s10, exec_lo
	s_delay_alu instid0(SALU_CYCLE_1)
	s_or_b32 s76, s76, s10
	s_and_not1_b32 exec_lo, exec_lo, s29
	s_cbranch_execz .LBB30_339
.LBB30_334:                             ;   Parent Loop BB30_6 Depth=1
                                        ; =>  This Inner Loop Header: Depth=2
	s_delay_alu instid0(VALU_DEP_1)
	v_cmp_gt_u32_e32 vcc_lo, s36, v1
	v_mov_b32_e32 v14, 0
	s_and_saveexec_b32 s79, vcc_lo
	s_cbranch_execz .LBB30_336
; %bb.335:                              ;   in Loop: Header=BB30_334 Depth=2
	v_lshlrev_b64 v[3:4], 2, v[8:9]
	s_delay_alu instid0(VALU_DEP_1) | instskip(NEXT) | instid1(VALU_DEP_1)
	v_add_co_u32 v3, s10, s31, v3
	v_add_co_ci_u32_e64 v4, s10, s33, v4, s10
	global_load_b32 v14, v[3:4], off
.LBB30_336:                             ;   in Loop: Header=BB30_334 Depth=2
	s_or_b32 exec_lo, exec_lo, s79
	s_and_saveexec_b32 s10, vcc_lo
	s_cbranch_execz .LBB30_333
; %bb.337:                              ;   in Loop: Header=BB30_334 Depth=2
	s_waitcnt vmcnt(0)
	v_xor_b32_e32 v3, 0x80000000, v14
	s_delay_alu instid0(VALU_DEP_1) | instskip(NEXT) | instid1(VALU_DEP_1)
	v_and_b32_e32 v3, v3, v28
	v_cmp_eq_u32_e32 vcc_lo, v3, v29
	s_and_b32 exec_lo, exec_lo, vcc_lo
	s_cbranch_execz .LBB30_333
; %bb.338:                              ;   in Loop: Header=BB30_334 Depth=2
	ds_store_b64 v9, v[13:14] offset:3072
	s_branch .LBB30_333
.LBB30_339:                             ;   in Loop: Header=BB30_6 Depth=1
	s_set_inst_prefetch_distance 0x2
	s_or_b32 exec_lo, exec_lo, s29
	s_delay_alu instid0(SALU_CYCLE_1)
	s_and_b32 s79, s76, exec_lo
.LBB30_340:                             ;   in Loop: Header=BB30_6 Depth=1
	s_or_b32 exec_lo, exec_lo, s28
	s_mov_b32 s29, 0
	s_mov_b32 s28, -1
	s_mov_b32 s76, 0
.LBB30_341:                             ;   in Loop: Header=BB30_6 Depth=1
	s_or_not1_b32 s10, s79, exec_lo
.LBB30_342:                             ;   in Loop: Header=BB30_6 Depth=1
	s_or_b32 exec_lo, exec_lo, s77
	s_mov_b32 s79, 0
                                        ; implicit-def: $vgpr1
	s_and_saveexec_b32 s77, s10
	s_cbranch_execz .LBB30_395
; %bb.343:                              ;   in Loop: Header=BB30_6 Depth=1
	v_mov_b32_e32 v3, 1
	v_mov_b32_e32 v1, 1
	s_xor_b32 s79, s78, -1
	s_mov_b32 s78, 0
	s_and_saveexec_b32 s10, s79
	s_cbranch_execz .LBB30_353
; %bb.344:                              ;   in Loop: Header=BB30_6 Depth=1
	s_mov_b32 s79, exec_lo
                                        ; implicit-def: $sgpr80
                                        ; implicit-def: $sgpr78
	v_cmpx_ge_u32_e64 s16, v2
	s_xor_b32 s79, exec_lo, s79
	s_cbranch_execz .LBB30_350
; %bb.345:                              ;   in Loop: Header=BB30_6 Depth=1
	ds_load_b32 v1, v9 offset:4096
	s_waitcnt lgkmcnt(0)
	v_cmp_ne_u32_e32 vcc_lo, 0, v1
	s_cbranch_vccnz .LBB30_349
; %bb.346:                              ;   in Loop: Header=BB30_6 Depth=1
	s_and_saveexec_b32 s78, s5
	s_cbranch_execz .LBB30_348
; %bb.347:                              ;   in Loop: Header=BB30_6 Depth=1
	v_mov_b32_e32 v1, s16
	ds_store_b32 v9, v1 offset:4100
.LBB30_348:                             ;   in Loop: Header=BB30_6 Depth=1
	s_or_b32 exec_lo, exec_lo, s78
	s_waitcnt lgkmcnt(0)
	s_barrier
	buffer_gl0_inv
.LBB30_349:                             ;   in Loop: Header=BB30_6 Depth=1
	s_lshl_b32 s17, 1, s17
	v_or_b32_e32 v28, s13, v28
	v_and_or_b32 v29, v29, s14, s17
	s_mov_b32 s78, 0
	s_mov_b32 s80, 5
.LBB30_350:                             ;   in Loop: Header=BB30_6 Depth=1
	s_or_saveexec_b32 s17, s79
	v_mov_b32_e32 v1, s80
	s_xor_b32 exec_lo, exec_lo, s17
; %bb.351:                              ;   in Loop: Header=BB30_6 Depth=1
	v_subrev_nc_u32_e32 v2, s16, v2
	v_mov_b32_e32 v1, 0
	s_or_b32 s78, s78, exec_lo
; %bb.352:                              ;   in Loop: Header=BB30_6 Depth=1
	s_or_b32 exec_lo, exec_lo, s17
	s_delay_alu instid0(VALU_DEP_2)
	v_mov_b32_e32 v3, v2
	s_and_b32 s78, s78, exec_lo
.LBB30_353:                             ;   in Loop: Header=BB30_6 Depth=1
	s_or_b32 exec_lo, exec_lo, s10
	s_mov_b32 s17, -1
                                        ; implicit-def: $sgpr10
                                        ; implicit-def: $sgpr79
                                        ; implicit-def: $sgpr80
	s_and_saveexec_b32 s16, s78
	s_cbranch_execz .LBB30_394
; %bb.354:                              ;   in Loop: Header=BB30_6 Depth=1
	v_cmp_eq_u32_e32 vcc_lo, 1, v3
	s_cmp_eq_u32 s12, 1
	s_mov_b32 s81, -1
	s_cselect_b32 s10, -1, 0
                                        ; implicit-def: $sgpr79
                                        ; implicit-def: $sgpr80
	s_delay_alu instid0(SALU_CYCLE_1) | instskip(NEXT) | instid1(SALU_CYCLE_1)
	s_and_b32 s17, s10, vcc_lo
                                        ; implicit-def: $sgpr10
	s_and_saveexec_b32 s78, s17
	s_cbranch_execz .LBB30_381
; %bb.355:                              ;   in Loop: Header=BB30_6 Depth=1
	ds_load_b32 v1, v9 offset:4096
	s_waitcnt lgkmcnt(0)
	s_barrier
	buffer_gl0_inv
	v_readfirstlane_b32 s10, v1
	s_and_saveexec_b32 s79, s6
	s_cbranch_execz .LBB30_357
; %bb.356:                              ;   in Loop: Header=BB30_6 Depth=1
	ds_store_b32 v20, v9
.LBB30_357:                             ;   in Loop: Header=BB30_6 Depth=1
	s_or_b32 exec_lo, exec_lo, s79
	v_and_b32_e32 v29, s14, v29
	v_or_b32_e32 v28, s13, v28
	s_cmp_eq_u32 s10, 0
	s_waitcnt lgkmcnt(0)
	s_barrier
	buffer_gl0_inv
	s_cbranch_scc1 .LBB30_366
; %bb.358:                              ;   in Loop: Header=BB30_6 Depth=1
	s_add_i32 s79, s10, s53
                                        ; implicit-def: $vgpr15
	s_delay_alu instid0(SALU_CYCLE_1) | instskip(NEXT) | instid1(SALU_CYCLE_1)
	s_mul_hi_u32 s80, s79, s60
	s_mul_i32 s80, s80, s42
	s_delay_alu instid0(SALU_CYCLE_1) | instskip(NEXT) | instid1(SALU_CYCLE_1)
	s_sub_i32 s80, s79, s80
	s_sub_i32 s81, s80, s42
	s_cmp_ge_u32 s80, s42
	s_cselect_b32 s80, s81, s80
	s_delay_alu instid0(SALU_CYCLE_1)
	s_sub_i32 s81, s80, s42
	s_cmp_ge_u32 s80, s42
	s_cselect_b32 s80, s81, s80
	s_mov_b32 s81, 0
	s_sub_i32 s80, s79, s80
	s_mov_b32 s79, exec_lo
	v_cmpx_gt_u32_e64 s80, v0
	s_cbranch_execz .LBB30_368
; %bb.359:                              ;   in Loop: Header=BB30_6 Depth=1
	v_dual_mov_b32 v1, v18 :: v_dual_mov_b32 v2, v0
                                        ; implicit-def: $sgpr82
	s_set_inst_prefetch_distance 0x1
	s_branch .LBB30_361
	.p2align	6
.LBB30_360:                             ;   in Loop: Header=BB30_361 Depth=2
	s_or_b32 exec_lo, exec_lo, s83
	s_waitcnt lgkmcnt(0)
	s_barrier
	buffer_gl0_inv
	ds_load_b64 v[14:15], v9 offset:3072
	v_add_nc_u32_e32 v2, s42, v2
	v_add_nc_u32_e32 v1, s50, v1
	s_waitcnt lgkmcnt(0)
	s_barrier
	buffer_gl0_inv
	v_cmp_le_u32_e32 vcc_lo, s80, v2
	v_readfirstlane_b32 s83, v14
	s_delay_alu instid0(VALU_DEP_1) | instskip(SKIP_1) | instid1(SALU_CYCLE_1)
	s_cmp_lg_u32 s83, 0
	s_cselect_b32 s83, -1, 0
	s_or_b32 s84, vcc_lo, s83
	s_delay_alu instid0(SALU_CYCLE_1) | instskip(NEXT) | instid1(SALU_CYCLE_1)
	s_and_b32 s84, exec_lo, s84
	s_or_b32 s81, s84, s81
	s_and_not1_b32 s82, s82, exec_lo
	s_and_b32 s83, s83, exec_lo
	s_delay_alu instid0(SALU_CYCLE_1)
	s_or_b32 s82, s82, s83
	s_and_not1_b32 exec_lo, exec_lo, s81
	s_cbranch_execz .LBB30_367
.LBB30_361:                             ;   Parent Loop BB30_6 Depth=1
                                        ; =>  This Inner Loop Header: Depth=2
	s_delay_alu instid0(VALU_DEP_1)
	v_cmp_gt_u32_e32 vcc_lo, s10, v2
	v_mov_b32_e32 v14, 0
	s_and_saveexec_b32 s83, vcc_lo
	s_cbranch_execz .LBB30_363
; %bb.362:                              ;   in Loop: Header=BB30_361 Depth=2
	ds_load_b32 v14, v1
.LBB30_363:                             ;   in Loop: Header=BB30_361 Depth=2
	s_or_b32 exec_lo, exec_lo, s83
	s_and_saveexec_b32 s83, vcc_lo
	s_cbranch_execz .LBB30_360
; %bb.364:                              ;   in Loop: Header=BB30_361 Depth=2
	s_waitcnt lgkmcnt(0)
	v_xor_b32_e32 v4, 0x80000000, v14
	s_delay_alu instid0(VALU_DEP_1) | instskip(NEXT) | instid1(VALU_DEP_1)
	v_and_b32_e32 v4, v4, v28
	v_cmp_eq_u32_e32 vcc_lo, v4, v29
	s_and_b32 exec_lo, exec_lo, vcc_lo
	s_cbranch_execz .LBB30_360
; %bb.365:                              ;   in Loop: Header=BB30_361 Depth=2
	ds_store_b64 v9, v[13:14] offset:3072
	s_branch .LBB30_360
.LBB30_366:                             ;   in Loop: Header=BB30_6 Depth=1
	s_mov_b32 s10, -1
	s_mov_b32 s81, 0
                                        ; implicit-def: $sgpr79
                                        ; implicit-def: $vgpr15
	s_branch .LBB30_369
.LBB30_367:                             ;   in Loop: Header=BB30_6 Depth=1
	s_set_inst_prefetch_distance 0x2
	s_or_b32 exec_lo, exec_lo, s81
	s_delay_alu instid0(SALU_CYCLE_1)
	s_and_b32 s81, s82, exec_lo
.LBB30_368:                             ;   in Loop: Header=BB30_6 Depth=1
	s_or_b32 exec_lo, exec_lo, s79
	s_mov_b32 s10, 0
	s_mov_b32 s79, -1
.LBB30_369:                             ;   in Loop: Header=BB30_6 Depth=1
	s_and_b32 vcc_lo, exec_lo, s10
	s_mov_b32 s80, s10
	s_cbranch_vccz .LBB30_380
; %bb.370:                              ;   in Loop: Header=BB30_6 Depth=1
	s_mov_b32 s81, 0
                                        ; implicit-def: $vgpr15
	s_and_saveexec_b32 s79, s9
	s_cbranch_execz .LBB30_379
; %bb.371:                              ;   in Loop: Header=BB30_6 Depth=1
	v_dual_mov_b32 v8, v7 :: v_dual_mov_b32 v1, v0
	s_mov_b32 s80, 0
                                        ; implicit-def: $sgpr81
	s_set_inst_prefetch_distance 0x1
	s_branch .LBB30_373
	.p2align	6
.LBB30_372:                             ;   in Loop: Header=BB30_373 Depth=2
	s_or_b32 exec_lo, exec_lo, s10
	s_waitcnt vmcnt(0) lgkmcnt(0)
	s_barrier
	buffer_gl0_inv
	ds_load_b64 v[14:15], v9 offset:3072
	v_add_nc_u32_e32 v1, s42, v1
	v_add_nc_u32_e32 v8, s44, v8
	s_waitcnt lgkmcnt(0)
	s_barrier
	buffer_gl0_inv
	v_cmp_le_u32_e32 vcc_lo, s61, v1
	v_readfirstlane_b32 s10, v14
	s_delay_alu instid0(VALU_DEP_1) | instskip(SKIP_1) | instid1(SALU_CYCLE_1)
	s_cmp_lg_u32 s10, 0
	s_cselect_b32 s10, -1, 0
	s_or_b32 s82, vcc_lo, s10
	s_delay_alu instid0(SALU_CYCLE_1) | instskip(NEXT) | instid1(SALU_CYCLE_1)
	s_and_b32 s82, exec_lo, s82
	s_or_b32 s80, s82, s80
	s_and_not1_b32 s81, s81, exec_lo
	s_and_b32 s10, s10, exec_lo
	s_delay_alu instid0(SALU_CYCLE_1)
	s_or_b32 s81, s81, s10
	s_and_not1_b32 exec_lo, exec_lo, s80
	s_cbranch_execz .LBB30_378
.LBB30_373:                             ;   Parent Loop BB30_6 Depth=1
                                        ; =>  This Inner Loop Header: Depth=2
	s_delay_alu instid0(VALU_DEP_1)
	v_cmp_gt_u32_e32 vcc_lo, s36, v1
	v_mov_b32_e32 v14, 0
	s_and_saveexec_b32 s82, vcc_lo
	s_cbranch_execz .LBB30_375
; %bb.374:                              ;   in Loop: Header=BB30_373 Depth=2
	v_lshlrev_b64 v[14:15], 2, v[8:9]
	s_delay_alu instid0(VALU_DEP_1) | instskip(NEXT) | instid1(VALU_DEP_1)
	v_add_co_u32 v14, s10, s31, v14
	v_add_co_ci_u32_e64 v15, s10, s33, v15, s10
	global_load_b32 v14, v[14:15], off
.LBB30_375:                             ;   in Loop: Header=BB30_373 Depth=2
	s_or_b32 exec_lo, exec_lo, s82
	s_and_saveexec_b32 s10, vcc_lo
	s_cbranch_execz .LBB30_372
; %bb.376:                              ;   in Loop: Header=BB30_373 Depth=2
	s_waitcnt vmcnt(0)
	v_xor_b32_e32 v2, 0x80000000, v14
	s_delay_alu instid0(VALU_DEP_1) | instskip(NEXT) | instid1(VALU_DEP_1)
	v_and_b32_e32 v2, v2, v28
	v_cmp_eq_u32_e32 vcc_lo, v2, v29
	s_and_b32 exec_lo, exec_lo, vcc_lo
	s_cbranch_execz .LBB30_372
; %bb.377:                              ;   in Loop: Header=BB30_373 Depth=2
	ds_store_b64 v9, v[13:14] offset:3072
	s_branch .LBB30_372
.LBB30_378:                             ;   in Loop: Header=BB30_6 Depth=1
	s_set_inst_prefetch_distance 0x2
	s_or_b32 exec_lo, exec_lo, s80
	s_delay_alu instid0(SALU_CYCLE_1)
	s_and_b32 s81, s81, exec_lo
.LBB30_379:                             ;   in Loop: Header=BB30_6 Depth=1
	s_or_b32 exec_lo, exec_lo, s79
	s_mov_b32 s79, 0
	s_mov_b32 s10, -1
	s_mov_b32 s80, 0
.LBB30_380:                             ;   in Loop: Header=BB30_6 Depth=1
	s_or_not1_b32 s81, s81, exec_lo
.LBB30_381:                             ;   in Loop: Header=BB30_6 Depth=1
	s_or_b32 exec_lo, exec_lo, s78
	s_mov_b32 s82, 0
                                        ; implicit-def: $vgpr1
                                        ; implicit-def: $vgpr2
	s_and_saveexec_b32 s78, s81
	s_cbranch_execz .LBB30_393
; %bb.382:                              ;   in Loop: Header=BB30_6 Depth=1
	v_dual_mov_b32 v1, 1 :: v_dual_mov_b32 v2, 1
	s_xor_b32 s81, s17, -1
	s_delay_alu instid0(SALU_CYCLE_1)
	s_and_saveexec_b32 s17, s81
	s_cbranch_execz .LBB30_392
; %bb.383:                              ;   in Loop: Header=BB30_6 Depth=1
	s_mov_b32 s81, exec_lo
                                        ; implicit-def: $sgpr82
	v_cmpx_ge_u32_e64 s12, v3
	s_xor_b32 s81, exec_lo, s81
	s_cbranch_execz .LBB30_389
; %bb.384:                              ;   in Loop: Header=BB30_6 Depth=1
	ds_load_b32 v1, v9 offset:4096
	s_waitcnt lgkmcnt(0)
	v_cmp_ne_u32_e32 vcc_lo, 0, v1
	s_cbranch_vccnz .LBB30_388
; %bb.385:                              ;   in Loop: Header=BB30_6 Depth=1
	s_and_saveexec_b32 s82, s5
	s_cbranch_execz .LBB30_387
; %bb.386:                              ;   in Loop: Header=BB30_6 Depth=1
	v_mov_b32_e32 v1, s12
	ds_store_b32 v9, v1 offset:4100
.LBB30_387:                             ;   in Loop: Header=BB30_6 Depth=1
	s_or_b32 exec_lo, exec_lo, s82
	s_waitcnt lgkmcnt(0)
	s_barrier
	buffer_gl0_inv
.LBB30_388:                             ;   in Loop: Header=BB30_6 Depth=1
	v_and_b32_e32 v29, s14, v29
	v_or_b32_e32 v28, s13, v28
	s_mov_b32 s82, 5
.LBB30_389:                             ;   in Loop: Header=BB30_6 Depth=1
	s_or_saveexec_b32 s13, s81
	v_mov_b32_e32 v1, s82
	s_xor_b32 exec_lo, exec_lo, s13
; %bb.390:                              ;   in Loop: Header=BB30_6 Depth=1
	v_subrev_nc_u32_e32 v3, s12, v3
	v_mov_b32_e32 v1, 5
; %bb.391:                              ;   in Loop: Header=BB30_6 Depth=1
	s_or_b32 exec_lo, exec_lo, s13
	s_delay_alu instid0(VALU_DEP_2)
	v_mov_b32_e32 v2, v3
.LBB30_392:                             ;   in Loop: Header=BB30_6 Depth=1
	s_or_b32 exec_lo, exec_lo, s17
	s_delay_alu instid0(SALU_CYCLE_1)
	s_mov_b32 s82, exec_lo
.LBB30_393:                             ;   in Loop: Header=BB30_6 Depth=1
	s_or_b32 exec_lo, exec_lo, s78
	s_delay_alu instid0(VALU_DEP_1)
	v_mov_b32_e32 v3, v2
	s_or_not1_b32 s17, s82, exec_lo
.LBB30_394:                             ;   in Loop: Header=BB30_6 Depth=1
	s_or_b32 exec_lo, exec_lo, s16
	s_delay_alu instid0(SALU_CYCLE_1)
	s_and_not1_b32 s12, s28, exec_lo
	s_and_b32 s10, s10, exec_lo
	s_and_not1_b32 s13, s76, exec_lo
	s_or_b32 s28, s12, s10
	s_and_not1_b32 s10, s29, exec_lo
	s_and_b32 s12, s79, exec_lo
	s_and_b32 s14, s80, exec_lo
	v_mov_b32_e32 v2, v3
	s_or_b32 s29, s10, s12
	s_or_b32 s76, s13, s14
	s_and_b32 s79, s17, exec_lo
.LBB30_395:                             ;   in Loop: Header=BB30_6 Depth=1
	s_or_b32 exec_lo, exec_lo, s77
	s_delay_alu instid0(SALU_CYCLE_1)
	s_and_b32 s77, s28, exec_lo
	s_and_b32 s29, s29, exec_lo
	;; [unrolled: 1-line block ×3, first 2 shown]
	s_or_not1_b32 s10, s79, exec_lo
.LBB30_396:                             ;   in Loop: Header=BB30_6 Depth=1
	s_or_b32 exec_lo, exec_lo, s18
	s_delay_alu instid0(SALU_CYCLE_1)
	s_and_not1_b32 s12, s22, exec_lo
	s_and_b32 s13, s77, exec_lo
	s_and_not1_b32 s14, s26, exec_lo
	s_or_b32 s22, s12, s13
	s_and_not1_b32 s12, s25, exec_lo
	s_and_b32 s13, s29, exec_lo
	s_and_b32 s16, s28, exec_lo
	v_mov_b32_e32 v31, v2
	s_or_b32 s25, s12, s13
	s_or_b32 s26, s14, s16
	s_and_b32 s29, s10, exec_lo
.LBB30_397:                             ;   in Loop: Header=BB30_6 Depth=1
	s_or_b32 exec_lo, exec_lo, s27
	s_delay_alu instid0(SALU_CYCLE_1)
	s_and_b32 s27, s22, exec_lo
	s_and_b32 s25, s25, exec_lo
	;; [unrolled: 1-line block ×3, first 2 shown]
	s_or_not1_b32 s26, s29, exec_lo
.LBB30_398:                             ;   in Loop: Header=BB30_6 Depth=1
	s_or_b32 exec_lo, exec_lo, s19
	s_mov_b32 s10, s20
	s_mov_b32 s12, s11
	s_and_saveexec_b32 s13, s26
; %bb.399:                              ;   in Loop: Header=BB30_6 Depth=1
	v_cmp_eq_u32_e32 vcc_lo, 5, v1
	v_cmp_ne_u32_e64 s10, 5, v1
	s_and_not1_b32 s12, s11, exec_lo
	s_and_not1_b32 s14, s20, exec_lo
	;; [unrolled: 1-line block ×3, first 2 shown]
	s_and_b32 s16, vcc_lo, exec_lo
	s_and_b32 s10, s10, exec_lo
	s_and_not1_b32 s25, s25, exec_lo
	s_and_not1_b32 s22, s22, exec_lo
	s_or_b32 s12, s12, s10
	s_or_b32 s10, s14, s16
; %bb.400:                              ;   in Loop: Header=BB30_6 Depth=1
	s_or_b32 exec_lo, exec_lo, s13
	s_delay_alu instid0(SALU_CYCLE_1)
	s_and_not1_b32 s13, s23, exec_lo
	s_and_b32 s14, s27, exec_lo
	v_dual_mov_b32 v3, v29 :: v_dual_mov_b32 v4, v28
	s_or_b32 s23, s13, s14
	s_and_not1_b32 s13, s24, exec_lo
	s_and_b32 s14, s25, exec_lo
	v_mov_b32_e32 v2, v15
	s_and_not1_b32 s15, s15, exec_lo
	s_and_b32 s16, s22, exec_lo
	s_or_b32 s24, s13, s14
	s_and_not1_b32 s11, s11, exec_lo
	s_and_b32 s12, s12, exec_lo
	s_and_not1_b32 s13, s20, exec_lo
	s_and_b32 s10, s10, exec_lo
	s_or_b32 s15, s15, s16
	s_or_b32 s11, s11, s12
	;; [unrolled: 1-line block ×3, first 2 shown]
.LBB30_401:                             ;   in Loop: Header=BB30_6 Depth=1
	s_or_b32 exec_lo, exec_lo, s21
	s_mov_b32 s22, s15
	s_mov_b32 s21, s15
	s_and_saveexec_b32 s10, s20
.LBB30_402:                             ;   in Loop: Header=BB30_6 Depth=1
	v_mov_b32_e32 v1, 0
	s_and_not1_b32 s15, s15, exec_lo
	s_and_not1_b32 s23, s23, exec_lo
	;; [unrolled: 1-line block ×5, first 2 shown]
	s_or_b32 s11, s11, exec_lo
.LBB30_403:                             ;   in Loop: Header=BB30_6 Depth=1
	s_or_b32 exec_lo, exec_lo, s10
	s_delay_alu instid0(SALU_CYCLE_1)
	s_and_not1_b32 s10, s75, exec_lo
	s_and_b32 s13, s15, exec_lo
	s_and_not1_b32 s14, s72, exec_lo
	s_or_b32 s75, s10, s13
	s_and_not1_b32 s10, s74, exec_lo
	s_and_b32 s13, s23, exec_lo
	s_and_b32 s15, s24, exec_lo
	s_or_b32 s74, s10, s13
	s_or_b32 s72, s14, s15
	s_and_not1_b32 s10, s73, exec_lo
	s_and_b32 s13, s22, exec_lo
	s_and_not1_b32 s14, s71, exec_lo
	s_and_b32 s15, s21, exec_lo
	s_mov_b32 s12, -1
	s_or_b32 s73, s10, s13
	s_or_b32 s71, s14, s15
                                        ; implicit-def: $vgpr28
                                        ; implicit-def: $vgpr29
                                        ; implicit-def: $vgpr30
                                        ; implicit-def: $vgpr15
	s_and_saveexec_b32 s10, s11
	s_delay_alu instid0(SALU_CYCLE_1)
	s_xor_b32 s10, exec_lo, s10
	s_cbranch_execz .LBB30_5
; %bb.404:                              ;   in Loop: Header=BB30_6 Depth=1
	s_mov_b32 s11, -1
	s_mov_b32 s13, exec_lo
	v_cmpx_eq_u32_e32 0, v1
	s_cbranch_execz .LBB30_4
; %bb.405:                              ;   in Loop: Header=BB30_6 Depth=1
	s_xor_b32 s65, s65, 1
	s_add_i32 s14, s70, -2
	s_cmp_eq_u32 s70, 0
	s_mov_b32 s70, s14
	s_cselect_b32 s11, -1, 0
	s_xor_b32 s12, exec_lo, -1
	s_or_not1_b32 s11, s11, exec_lo
	s_branch .LBB30_4
.LBB30_406:
	s_or_b32 exec_lo, exec_lo, s43
	s_xor_b32 s9, s69, -1
	s_xor_b32 s12, s67, -1
	;; [unrolled: 1-line block ×5, first 2 shown]
	s_mov_b32 s7, 0
	s_and_saveexec_b32 s8, s6
	s_delay_alu instid0(SALU_CYCLE_1)
	s_xor_b32 s6, exec_lo, s8
	s_cbranch_execz .LBB30_463
; %bb.407:
	s_mov_b32 s8, 0
	s_and_saveexec_b32 s7, s11
	s_delay_alu instid0(SALU_CYCLE_1)
	s_xor_b32 s7, exec_lo, s7
	s_cbranch_execz .LBB30_461
; %bb.408:
	;; [unrolled: 6-line block ×3, first 2 shown]
	s_and_saveexec_b32 s12, s9
	s_delay_alu instid0(SALU_CYCLE_1)
	s_xor_b32 s9, exec_lo, s12
	s_cbranch_execz .LBB30_457
; %bb.410:
	s_and_saveexec_b32 s11, s10
	s_delay_alu instid0(SALU_CYCLE_1)
	s_xor_b32 s10, exec_lo, s11
; %bb.411:
	v_xor_b32_e32 v2, 0x80000000, v3
; %bb.412:
	s_or_b32 exec_lo, exec_lo, s10
	s_and_saveexec_b32 s10, s5
	s_cbranch_execz .LBB30_414
; %bb.413:
	v_mov_b32_e32 v1, 0
	ds_store_b32 v1, v1 offset:4108
.LBB30_414:
	s_or_b32 exec_lo, exec_lo, s10
	v_mov_b32_e32 v4, 0
	s_waitcnt lgkmcnt(0)
	s_barrier
	buffer_gl0_inv
	s_and_saveexec_b32 s5, s4
	s_cbranch_execz .LBB30_416
; %bb.415:
	global_load_b32 v4, v[5:6], off
.LBB30_416:
	s_or_b32 exec_lo, exec_lo, s5
	s_clause 0x1
	s_load_b32 s5, s[0:1], 0x1c8
	s_load_b32 s10, s[0:1], 0x2a8
	v_add_nc_u32_e32 v1, s42, v0
	s_mul_i32 s0, s47, s45
	s_mov_b32 s1, 0
	s_add_i32 s11, s36, 31
	s_lshl_b64 s[12:13], s[0:1], 2
	v_mul_lo_u32 v3, s30, v1
	s_and_not1_b32 s11, s11, 31
	s_mul_i32 s14, s46, s45
	s_mov_b32 s15, s1
	s_add_u32 s12, s40, s12
	s_addc_u32 s13, s41, s13
	s_lshl_b64 s[14:15], s[14:15], 3
	s_mov_b32 s0, -1
	s_add_u32 s14, s34, s14
	s_addc_u32 s15, s35, s15
	s_mov_b32 s16, 0
	s_mov_b32 s17, exec_lo
	v_cmpx_gt_u32_e64 s11, v0
	s_cbranch_execz .LBB30_432
; %bb.417:
	v_mul_lo_u32 v7, s30, v1
	v_xor_b32_e32 v1, 0x80000000, v2
	v_dual_mov_b32 v8, 0 :: v_dual_mov_b32 v9, v0
                                        ; implicit-def: $sgpr18
                                        ; implicit-def: $vgpr12
	s_branch .LBB30_419
.LBB30_418:                             ;   in Loop: Header=BB30_419 Depth=1
	s_or_b32 exec_lo, exec_lo, s19
	s_xor_b32 s19, s21, -1
	s_and_b32 s0, exec_lo, s0
	v_dual_mov_b32 v4, v13 :: v_dual_mov_b32 v9, v11
	s_or_b32 s16, s0, s16
	s_and_not1_b32 s0, s18, exec_lo
	s_and_b32 s18, s19, exec_lo
	s_delay_alu instid0(SALU_CYCLE_1)
	s_or_b32 s18, s0, s18
	s_and_not1_b32 exec_lo, exec_lo, s16
	s_cbranch_execz .LBB30_431
.LBB30_419:                             ; =>This Inner Loop Header: Depth=1
	s_delay_alu instid0(VALU_DEP_1) | instskip(SKIP_2) | instid1(VALU_DEP_2)
	v_add_nc_u32_e32 v11, s42, v9
	v_mov_b32_e32 v13, 0
	s_mov_b32 s0, exec_lo
	v_cmpx_gt_u32_e64 s36, v11
	s_cbranch_execz .LBB30_421
; %bb.420:                              ;   in Loop: Header=BB30_419 Depth=1
	v_lshlrev_b64 v[13:14], 2, v[7:8]
	s_delay_alu instid0(VALU_DEP_1) | instskip(NEXT) | instid1(VALU_DEP_2)
	v_add_co_u32 v13, vcc_lo, s31, v13
	v_add_co_ci_u32_e32 v14, vcc_lo, s33, v14, vcc_lo
	global_load_b32 v13, v[13:14], off
.LBB30_421:                             ;   in Loop: Header=BB30_419 Depth=1
	s_or_b32 exec_lo, exec_lo, s0
	s_waitcnt vmcnt(0)
	v_xor_b32_e32 v10, 0x80000000, v4
	s_delay_alu instid0(VALU_DEP_1) | instskip(SKIP_4) | instid1(VALU_DEP_2)
	v_cmp_gt_u32_e32 vcc_lo, v10, v1
	v_cndmask_b32_e64 v14, 0, 1, vcc_lo
	v_cmp_lt_u32_e32 vcc_lo, v10, v1
	v_cndmask_b32_e64 v10, 0, 1, vcc_lo
	v_cmp_gt_u32_e32 vcc_lo, s36, v9
	v_cndmask_b32_e64 v10, v10, v14, s3
	s_delay_alu instid0(VALU_DEP_1) | instskip(NEXT) | instid1(VALU_DEP_1)
	v_and_b32_e32 v10, 1, v10
	v_cmp_eq_u32_e64 s0, 1, v10
	s_delay_alu instid0(VALU_DEP_1) | instskip(NEXT) | instid1(SALU_CYCLE_1)
	s_and_b32 s20, vcc_lo, s0
	v_cndmask_b32_e64 v10, 0, 1, s20
	s_delay_alu instid0(VALU_DEP_1) | instskip(SKIP_2) | instid1(SALU_CYCLE_1)
	v_cmp_ne_u32_e32 vcc_lo, 0, v10
	s_cmp_lg_u32 vcc_lo, 0
	s_cselect_b32 s0, -1, 0
	s_and_b32 s0, s2, s0
	s_delay_alu instid0(SALU_CYCLE_1)
	s_and_saveexec_b32 s19, s0
	s_cbranch_execz .LBB30_425
; %bb.422:                              ;   in Loop: Header=BB30_419 Depth=1
	s_mov_b32 s23, exec_lo
	s_bcnt1_i32_b32 s21, vcc_lo
	v_mbcnt_lo_u32_b32 v10, s23, 0
	s_mov_b32 s22, exec_lo
                                        ; implicit-def: $vgpr12
	s_delay_alu instid0(VALU_DEP_1)
	v_cmpx_eq_u32_e32 0, v10
	s_cbranch_execz .LBB30_424
; %bb.423:                              ;   in Loop: Header=BB30_419 Depth=1
	s_bcnt1_i32_b32 s0, s23
	s_delay_alu instid0(SALU_CYCLE_1)
	s_mul_i32 s0, s21, s0
	s_waitcnt lgkmcnt(0)
	v_mov_b32_e32 v12, s0
	ds_add_rtn_u32 v12, v8, v12 offset:4108
.LBB30_424:                             ;   in Loop: Header=BB30_419 Depth=1
	s_or_b32 exec_lo, exec_lo, s22
	s_waitcnt lgkmcnt(0)
	v_readfirstlane_b32 s0, v12
	s_delay_alu instid0(VALU_DEP_1)
	v_mad_u32_u24 v12, s21, v10, s0
.LBB30_425:                             ;   in Loop: Header=BB30_419 Depth=1
	s_or_b32 exec_lo, exec_lo, s19
	s_waitcnt lgkmcnt(0)
	ds_bpermute_b32 v12, v8, v12
	s_mov_b32 s0, -1
	s_mov_b32 s22, -1
                                        ; implicit-def: $sgpr21
	s_and_saveexec_b32 s19, s20
	s_cbranch_execz .LBB30_429
; %bb.426:                              ;   in Loop: Header=BB30_419 Depth=1
	v_and_b32_e32 v10, vcc_lo, v16
	s_mov_b32 s20, 0
	s_mov_b32 s21, exec_lo
	s_waitcnt lgkmcnt(0)
	s_delay_alu instid0(VALU_DEP_1) | instskip(NEXT) | instid1(VALU_DEP_1)
	v_bcnt_u32_b32 v10, v10, v12
	v_cmpx_gt_u32_e64 s37, v10
	s_cbranch_execz .LBB30_428
; %bb.427:                              ;   in Loop: Header=BB30_419 Depth=1
	v_mul_lo_u32 v14, v10, s5
	v_mov_b32_e32 v15, v8
	v_mul_lo_u32 v17, v10, s10
	v_mov_b32_e32 v18, v8
	v_mov_b32_e32 v10, v8
	s_mov_b32 s20, exec_lo
	v_lshlrev_b64 v[14:15], 2, v[14:15]
	s_delay_alu instid0(VALU_DEP_3) | instskip(NEXT) | instid1(VALU_DEP_2)
	v_lshlrev_b64 v[17:18], 3, v[17:18]
	v_add_co_u32 v14, vcc_lo, s12, v14
	s_delay_alu instid0(VALU_DEP_3) | instskip(NEXT) | instid1(VALU_DEP_3)
	v_add_co_ci_u32_e32 v15, vcc_lo, s13, v15, vcc_lo
	v_add_co_u32 v17, vcc_lo, s14, v17
	s_delay_alu instid0(VALU_DEP_4)
	v_add_co_ci_u32_e32 v18, vcc_lo, s15, v18, vcc_lo
	global_store_b32 v[14:15], v4, off
	global_store_b64 v[17:18], v[9:10], off
.LBB30_428:                             ;   in Loop: Header=BB30_419 Depth=1
	s_or_b32 exec_lo, exec_lo, s21
	s_mov_b32 s21, -1
	s_or_not1_b32 s22, s20, exec_lo
.LBB30_429:                             ;   in Loop: Header=BB30_419 Depth=1
	s_or_b32 exec_lo, exec_lo, s19
	s_and_saveexec_b32 s19, s22
	s_cbranch_execz .LBB30_418
; %bb.430:                              ;   in Loop: Header=BB30_419 Depth=1
	v_cmp_le_u32_e32 vcc_lo, s11, v11
	v_add_nc_u32_e32 v7, s44, v7
	s_and_not1_b32 s21, s21, exec_lo
	s_or_not1_b32 s0, vcc_lo, exec_lo
	s_branch .LBB30_418
.LBB30_431:
	s_or_b32 exec_lo, exec_lo, s16
	s_delay_alu instid0(SALU_CYCLE_1)
	s_mov_b32 s16, exec_lo
	s_or_not1_b32 s0, s18, exec_lo
.LBB30_432:
	s_or_b32 exec_lo, exec_lo, s17
	s_and_saveexec_b32 s3, s0
	s_cbranch_execz .LBB30_455
; %bb.433:
	s_waitcnt vmcnt(0)
	v_dual_mov_b32 v4, 0 :: v_dual_mov_b32 v1, 0
	s_waitcnt lgkmcnt(0)
	s_waitcnt_vscnt null, 0x0
	s_barrier
	buffer_gl0_inv
	s_and_saveexec_b32 s0, s4
	s_cbranch_execz .LBB30_435
; %bb.434:
	global_load_b32 v1, v[5:6], off
.LBB30_435:
	s_or_b32 exec_lo, exec_lo, s0
	s_mov_b32 s4, 0
                                        ; implicit-def: $sgpr1
                                        ; implicit-def: $sgpr17
                                        ; implicit-def: $sgpr18
                                        ; implicit-def: $vgpr5
	s_branch .LBB30_438
.LBB30_436:                             ;   in Loop: Header=BB30_438 Depth=1
	s_or_b32 exec_lo, exec_lo, s21
	v_mov_b32_e32 v0, v6
	s_and_not1_b32 s0, s18, exec_lo
	s_and_b32 s18, s23, exec_lo
	s_and_not1_b32 s17, s17, exec_lo
	s_and_b32 s20, s20, exec_lo
	s_or_b32 s18, s0, s18
	s_or_b32 s17, s17, s20
.LBB30_437:                             ;   in Loop: Header=BB30_438 Depth=1
	s_or_b32 exec_lo, exec_lo, s19
	s_xor_b32 s0, s18, -1
	s_and_b32 s19, exec_lo, s17
	s_delay_alu instid0(SALU_CYCLE_1) | instskip(SKIP_2) | instid1(SALU_CYCLE_1)
	s_or_b32 s4, s19, s4
	s_and_not1_b32 s1, s1, exec_lo
	s_and_b32 s0, s0, exec_lo
	s_or_b32 s1, s1, s0
	s_and_not1_b32 exec_lo, exec_lo, s4
	s_cbranch_execz .LBB30_453
.LBB30_438:                             ; =>This Inner Loop Header: Depth=1
	s_or_b32 s18, s18, exec_lo
	s_or_b32 s17, s17, exec_lo
	s_mov_b32 s19, exec_lo
	v_cmpx_gt_u32_e64 s11, v0
	s_cbranch_execz .LBB30_437
; %bb.439:                              ;   in Loop: Header=BB30_438 Depth=1
	v_dual_mov_b32 v7, 0 :: v_dual_add_nc_u32 v6, s42, v0
	s_mov_b32 s0, exec_lo
	s_delay_alu instid0(VALU_DEP_1)
	v_cmpx_gt_u32_e64 s36, v6
	s_cbranch_execz .LBB30_441
; %bb.440:                              ;   in Loop: Header=BB30_438 Depth=1
	v_lshlrev_b64 v[7:8], 2, v[3:4]
	s_delay_alu instid0(VALU_DEP_1) | instskip(NEXT) | instid1(VALU_DEP_2)
	v_add_co_u32 v7, vcc_lo, s31, v7
	v_add_co_ci_u32_e32 v8, vcc_lo, s33, v8, vcc_lo
	global_load_b32 v7, v[7:8], off
.LBB30_441:                             ;   in Loop: Header=BB30_438 Depth=1
	s_or_b32 exec_lo, exec_lo, s0
	v_cmp_gt_u32_e32 vcc_lo, s36, v0
	s_waitcnt vmcnt(0)
	v_cmp_eq_u32_e64 s0, v1, v2
	s_delay_alu instid0(VALU_DEP_1) | instskip(NEXT) | instid1(SALU_CYCLE_1)
	s_and_b32 s21, vcc_lo, s0
	v_cndmask_b32_e64 v8, 0, 1, s21
	s_delay_alu instid0(VALU_DEP_1) | instskip(SKIP_2) | instid1(SALU_CYCLE_1)
	v_cmp_ne_u32_e32 vcc_lo, 0, v8
	s_cmp_lg_u32 vcc_lo, 0
	s_cselect_b32 s0, -1, 0
	s_and_b32 s0, s2, s0
	s_delay_alu instid0(SALU_CYCLE_1)
	s_and_saveexec_b32 s20, s0
	s_cbranch_execz .LBB30_445
; %bb.442:                              ;   in Loop: Header=BB30_438 Depth=1
	s_mov_b32 s24, exec_lo
	s_bcnt1_i32_b32 s22, vcc_lo
	v_mbcnt_lo_u32_b32 v5, s24, 0
	s_mov_b32 s23, exec_lo
                                        ; implicit-def: $vgpr8
	s_delay_alu instid0(VALU_DEP_1)
	v_cmpx_eq_u32_e32 0, v5
	s_cbranch_execz .LBB30_444
; %bb.443:                              ;   in Loop: Header=BB30_438 Depth=1
	s_bcnt1_i32_b32 s0, s24
	s_delay_alu instid0(SALU_CYCLE_1) | instskip(NEXT) | instid1(SALU_CYCLE_1)
	s_mul_i32 s0, s22, s0
	v_mov_b32_e32 v8, s0
	ds_add_rtn_u32 v8, v4, v8 offset:4108
.LBB30_444:                             ;   in Loop: Header=BB30_438 Depth=1
	s_or_b32 exec_lo, exec_lo, s23
	s_waitcnt lgkmcnt(0)
	v_readfirstlane_b32 s0, v8
	s_delay_alu instid0(VALU_DEP_1)
	v_mad_u32_u24 v5, s22, v5, s0
.LBB30_445:                             ;   in Loop: Header=BB30_438 Depth=1
	s_or_b32 exec_lo, exec_lo, s20
	ds_bpermute_b32 v5, v4, v5
	s_cmp_eq_u32 vcc_lo, 0
	s_mov_b32 s20, -1
	s_cselect_b32 s22, -1, 0
	s_mov_b32 s23, -1
	s_waitcnt lgkmcnt(0)
	v_cmp_gt_u32_e64 s0, s37, v5
	s_delay_alu instid0(VALU_DEP_1) | instskip(SKIP_3) | instid1(SALU_CYCLE_1)
	s_or_b32 s0, s22, s0
	s_mov_b32 s22, -1
	v_cndmask_b32_e64 v1, v1, v7, s0
	s_and_b32 s24, s21, s0
	s_and_saveexec_b32 s21, s24
	s_cbranch_execz .LBB30_451
; %bb.446:                              ;   in Loop: Header=BB30_438 Depth=1
	v_and_b32_e32 v1, vcc_lo, v16
	v_sub_nc_u32_e32 v8, s37, v5
	s_mov_b32 s24, -1
	s_mov_b32 s23, exec_lo
	s_delay_alu instid0(VALU_DEP_2) | instskip(NEXT) | instid1(VALU_DEP_1)
	v_bcnt_u32_b32 v1, v1, 0
	v_cmp_le_u32_e64 s22, v8, v1
	v_cmpx_gt_u32_e64 v8, v1
	s_cbranch_execz .LBB30_450
; %bb.447:                              ;   in Loop: Header=BB30_438 Depth=1
	v_add_nc_u32_e32 v1, v5, v1
	s_delay_alu instid0(VALU_DEP_3) | instskip(SKIP_1) | instid1(VALU_DEP_1)
	s_mov_b32 s25, s22
	s_mov_b32 s24, exec_lo
	v_cmpx_gt_u32_e64 s37, v1
	s_cbranch_execz .LBB30_449
; %bb.448:                              ;   in Loop: Header=BB30_438 Depth=1
	v_mul_lo_u32 v8, v1, s5
	v_mov_b32_e32 v9, v4
	v_mul_lo_u32 v10, v1, s10
	v_mov_b32_e32 v11, v4
	v_mov_b32_e32 v1, v4
	s_or_b32 s25, s22, exec_lo
	v_lshlrev_b64 v[8:9], 2, v[8:9]
	s_delay_alu instid0(VALU_DEP_3) | instskip(NEXT) | instid1(VALU_DEP_2)
	v_lshlrev_b64 v[10:11], 3, v[10:11]
	v_add_co_u32 v8, vcc_lo, s12, v8
	s_delay_alu instid0(VALU_DEP_3) | instskip(NEXT) | instid1(VALU_DEP_3)
	v_add_co_ci_u32_e32 v9, vcc_lo, s13, v9, vcc_lo
	v_add_co_u32 v10, vcc_lo, s14, v10
	s_delay_alu instid0(VALU_DEP_4)
	v_add_co_ci_u32_e32 v11, vcc_lo, s15, v11, vcc_lo
	global_store_b32 v[8:9], v2, off
	global_store_b64 v[10:11], v[0:1], off
.LBB30_449:                             ;   in Loop: Header=BB30_438 Depth=1
	s_or_b32 exec_lo, exec_lo, s24
	s_delay_alu instid0(SALU_CYCLE_1)
	s_and_not1_b32 s22, s22, exec_lo
	s_and_b32 s25, s25, exec_lo
	s_xor_b32 s24, exec_lo, -1
	s_or_b32 s22, s22, s25
.LBB30_450:                             ;   in Loop: Header=BB30_438 Depth=1
	s_or_b32 exec_lo, exec_lo, s23
	v_mov_b32_e32 v1, v7
	s_or_not1_b32 s23, s24, exec_lo
	s_or_b32 s0, s0, exec_lo
	s_or_not1_b32 s22, s22, exec_lo
.LBB30_451:                             ;   in Loop: Header=BB30_438 Depth=1
	s_or_b32 exec_lo, exec_lo, s21
	s_and_saveexec_b32 s21, s22
	s_cbranch_execz .LBB30_436
; %bb.452:                              ;   in Loop: Header=BB30_438 Depth=1
	v_add_nc_u32_e32 v3, s44, v3
	s_xor_b32 s0, s0, -1
	s_or_b32 s23, s23, exec_lo
	s_or_not1_b32 s20, s0, exec_lo
	s_branch .LBB30_436
.LBB30_453:
	s_or_b32 exec_lo, exec_lo, s4
	s_mov_b32 s0, 0
	s_and_saveexec_b32 s2, s1
	s_delay_alu instid0(SALU_CYCLE_1)
	s_xor_b32 s1, exec_lo, s2
	s_cbranch_execnz .LBB30_485
.LBB30_454:
	s_or_b32 exec_lo, exec_lo, s1
	s_delay_alu instid0(SALU_CYCLE_1)
	s_and_b32 s1, s0, exec_lo
	s_and_not1_b32 s16, s16, exec_lo
.LBB30_455:
	s_or_b32 exec_lo, exec_lo, s3
	s_and_saveexec_b32 s0, s16
	s_delay_alu instid0(SALU_CYCLE_1)
	s_xor_b32 s0, exec_lo, s0
	s_cbranch_execnz .LBB30_481
.LBB30_456:
	s_or_b32 exec_lo, exec_lo, s0
	s_delay_alu instid0(SALU_CYCLE_1)
	s_and_b32 s11, s1, exec_lo
.LBB30_457:
	s_and_not1_saveexec_b32 s0, s9
	s_cbranch_execnz .LBB30_477
.LBB30_458:
	s_or_b32 exec_lo, exec_lo, s0
	s_delay_alu instid0(SALU_CYCLE_1)
	s_and_b32 s11, s11, exec_lo
.LBB30_459:
	s_and_not1_saveexec_b32 s0, s8
	s_cbranch_execnz .LBB30_473
.LBB30_460:
	s_or_b32 exec_lo, exec_lo, s0
	s_delay_alu instid0(SALU_CYCLE_1)
	s_and_b32 s8, s11, exec_lo
.LBB30_461:
	s_and_not1_saveexec_b32 s0, s7
	s_cbranch_execnz .LBB30_469
.LBB30_462:
	s_or_b32 exec_lo, exec_lo, s0
	s_delay_alu instid0(SALU_CYCLE_1)
	s_and_b32 s7, s8, exec_lo
.LBB30_463:
	s_and_not1_saveexec_b32 s0, s6
	s_cbranch_execnz .LBB30_467
; %bb.464:
	s_or_b32 exec_lo, exec_lo, s0
	s_and_saveexec_b32 s0, s7
.LBB30_465:
	; divergent unreachable
.LBB30_466:
	s_nop 0
	s_sendmsg sendmsg(MSG_DEALLOC_VGPRS)
	s_endpgm
.LBB30_467:
	s_cbranch_execnz .LBB30_471
; %bb.468:
	s_or_b32 s7, s7, exec_lo
	s_or_b32 exec_lo, exec_lo, s0
	s_and_saveexec_b32 s0, s7
	s_cbranch_execnz .LBB30_465
	s_branch .LBB30_466
.LBB30_469:
	s_cbranch_execnz .LBB30_475
; %bb.470:
	s_or_b32 s8, s8, exec_lo
	s_branch .LBB30_462
.LBB30_471:
	s_trap 2
	s_sendmsg_rtn_b32 s0, sendmsg(MSG_RTN_GET_DOORBELL)
	s_mov_b32 ttmp2, m0
	s_waitcnt lgkmcnt(0)
	s_and_b32 s0, s0, 0x3ff
	s_delay_alu instid0(SALU_CYCLE_1) | instskip(NEXT) | instid1(SALU_CYCLE_1)
	s_bitset1_b32 s0, 10
	s_mov_b32 m0, s0
	s_sendmsg sendmsg(MSG_INTERRUPT)
	s_mov_b32 m0, ttmp2
.LBB30_472:                             ; =>This Inner Loop Header: Depth=1
	s_sethalt 5
	s_branch .LBB30_472
.LBB30_473:
	s_cbranch_execnz .LBB30_479
; %bb.474:
	s_or_b32 s11, s11, exec_lo
	s_branch .LBB30_460
.LBB30_475:
	s_trap 2
	s_sendmsg_rtn_b32 s0, sendmsg(MSG_RTN_GET_DOORBELL)
	s_mov_b32 ttmp2, m0
	s_waitcnt lgkmcnt(0)
	s_and_b32 s0, s0, 0x3ff
	s_delay_alu instid0(SALU_CYCLE_1) | instskip(NEXT) | instid1(SALU_CYCLE_1)
	s_bitset1_b32 s0, 10
	s_mov_b32 m0, s0
	s_sendmsg sendmsg(MSG_INTERRUPT)
	s_mov_b32 m0, ttmp2
.LBB30_476:                             ; =>This Inner Loop Header: Depth=1
	s_sethalt 5
	s_branch .LBB30_476
.LBB30_477:
	s_cbranch_execnz .LBB30_483
; %bb.478:
	s_or_b32 s11, s11, exec_lo
	s_branch .LBB30_458
.LBB30_479:
	s_trap 2
	s_sendmsg_rtn_b32 s0, sendmsg(MSG_RTN_GET_DOORBELL)
	s_mov_b32 ttmp2, m0
	s_waitcnt lgkmcnt(0)
	s_and_b32 s0, s0, 0x3ff
	s_delay_alu instid0(SALU_CYCLE_1) | instskip(NEXT) | instid1(SALU_CYCLE_1)
	s_bitset1_b32 s0, 10
	s_mov_b32 m0, s0
	s_sendmsg sendmsg(MSG_INTERRUPT)
	s_mov_b32 m0, ttmp2
.LBB30_480:                             ; =>This Inner Loop Header: Depth=1
	s_sethalt 5
	s_branch .LBB30_480
.LBB30_481:
	s_cbranch_execnz .LBB30_487
; %bb.482:
	s_or_b32 s1, s1, exec_lo
	s_branch .LBB30_456
.LBB30_483:
	s_trap 2
	s_sendmsg_rtn_b32 s0, sendmsg(MSG_RTN_GET_DOORBELL)
	s_mov_b32 ttmp2, m0
	s_waitcnt lgkmcnt(0)
	s_and_b32 s0, s0, 0x3ff
	s_delay_alu instid0(SALU_CYCLE_1) | instskip(NEXT) | instid1(SALU_CYCLE_1)
	s_bitset1_b32 s0, 10
	s_mov_b32 m0, s0
	s_sendmsg sendmsg(MSG_INTERRUPT)
	s_mov_b32 m0, ttmp2
.LBB30_484:                             ; =>This Inner Loop Header: Depth=1
	s_sethalt 5
	s_branch .LBB30_484
.LBB30_485:
	s_cbranch_execnz .LBB30_489
; %bb.486:
	s_mov_b32 s0, exec_lo
	s_branch .LBB30_454
.LBB30_487:
	s_trap 2
	s_sendmsg_rtn_b32 s0, sendmsg(MSG_RTN_GET_DOORBELL)
	s_mov_b32 ttmp2, m0
	s_waitcnt lgkmcnt(0)
	s_and_b32 s0, s0, 0x3ff
	s_delay_alu instid0(SALU_CYCLE_1) | instskip(NEXT) | instid1(SALU_CYCLE_1)
	s_bitset1_b32 s0, 10
	s_mov_b32 m0, s0
	s_sendmsg sendmsg(MSG_INTERRUPT)
	s_mov_b32 m0, ttmp2
.LBB30_488:                             ; =>This Inner Loop Header: Depth=1
	s_sethalt 5
	s_branch .LBB30_488
.LBB30_489:
	s_trap 2
	s_sendmsg_rtn_b32 s0, sendmsg(MSG_RTN_GET_DOORBELL)
	s_mov_b32 ttmp2, m0
	s_waitcnt lgkmcnt(0)
	s_and_b32 s0, s0, 0x3ff
	s_delay_alu instid0(SALU_CYCLE_1) | instskip(NEXT) | instid1(SALU_CYCLE_1)
	s_bitset1_b32 s0, 10
	s_mov_b32 m0, s0
	s_sendmsg sendmsg(MSG_INTERRUPT)
	s_mov_b32 m0, ttmp2
.LBB30_490:                             ; =>This Inner Loop Header: Depth=1
	s_sethalt 5
	s_branch .LBB30_490
	.section	.rodata,"a",@progbits
	.p2align	6, 0x0
	.amdhsa_kernel _ZN2at6native6sbtopk10gatherTopKIijLi1ELb0EEEvNS_4cuda6detail10TensorInfoIKT_T0_EES8_S8_bS8_S8_NS5_IS6_S8_EES8_NS5_IlS8_EES8_PS6_
		.amdhsa_group_segment_fixed_size 4112
		.amdhsa_private_segment_fixed_size 0
		.amdhsa_kernarg_size 952
		.amdhsa_user_sgpr_count 13
		.amdhsa_user_sgpr_dispatch_ptr 0
		.amdhsa_user_sgpr_queue_ptr 0
		.amdhsa_user_sgpr_kernarg_segment_ptr 1
		.amdhsa_user_sgpr_dispatch_id 0
		.amdhsa_user_sgpr_private_segment_size 0
		.amdhsa_wavefront_size32 1
		.amdhsa_uses_dynamic_stack 0
		.amdhsa_enable_private_segment 0
		.amdhsa_system_sgpr_workgroup_id_x 1
		.amdhsa_system_sgpr_workgroup_id_y 1
		.amdhsa_system_sgpr_workgroup_id_z 1
		.amdhsa_system_sgpr_workgroup_info 0
		.amdhsa_system_vgpr_workitem_id 0
		.amdhsa_next_free_vgpr 43
		.amdhsa_next_free_sgpr 89
		.amdhsa_reserve_vcc 1
		.amdhsa_float_round_mode_32 0
		.amdhsa_float_round_mode_16_64 0
		.amdhsa_float_denorm_mode_32 3
		.amdhsa_float_denorm_mode_16_64 3
		.amdhsa_dx10_clamp 1
		.amdhsa_ieee_mode 1
		.amdhsa_fp16_overflow 0
		.amdhsa_workgroup_processor_mode 1
		.amdhsa_memory_ordered 1
		.amdhsa_forward_progress 0
		.amdhsa_shared_vgpr_count 0
		.amdhsa_exception_fp_ieee_invalid_op 0
		.amdhsa_exception_fp_denorm_src 0
		.amdhsa_exception_fp_ieee_div_zero 0
		.amdhsa_exception_fp_ieee_overflow 0
		.amdhsa_exception_fp_ieee_underflow 0
		.amdhsa_exception_fp_ieee_inexact 0
		.amdhsa_exception_int_div_zero 0
	.end_amdhsa_kernel
	.section	.text._ZN2at6native6sbtopk10gatherTopKIijLi1ELb0EEEvNS_4cuda6detail10TensorInfoIKT_T0_EES8_S8_bS8_S8_NS5_IS6_S8_EES8_NS5_IlS8_EES8_PS6_,"axG",@progbits,_ZN2at6native6sbtopk10gatherTopKIijLi1ELb0EEEvNS_4cuda6detail10TensorInfoIKT_T0_EES8_S8_bS8_S8_NS5_IS6_S8_EES8_NS5_IlS8_EES8_PS6_,comdat
.Lfunc_end30:
	.size	_ZN2at6native6sbtopk10gatherTopKIijLi1ELb0EEEvNS_4cuda6detail10TensorInfoIKT_T0_EES8_S8_bS8_S8_NS5_IS6_S8_EES8_NS5_IlS8_EES8_PS6_, .Lfunc_end30-_ZN2at6native6sbtopk10gatherTopKIijLi1ELb0EEEvNS_4cuda6detail10TensorInfoIKT_T0_EES8_S8_bS8_S8_NS5_IS6_S8_EES8_NS5_IlS8_EES8_PS6_
                                        ; -- End function
	.section	.AMDGPU.csdata,"",@progbits
; Kernel info:
; codeLenInByte = 15268
; NumSgprs: 91
; NumVgprs: 43
; ScratchSize: 0
; MemoryBound: 0
; FloatMode: 240
; IeeeMode: 1
; LDSByteSize: 4112 bytes/workgroup (compile time only)
; SGPRBlocks: 11
; VGPRBlocks: 5
; NumSGPRsForWavesPerEU: 91
; NumVGPRsForWavesPerEU: 43
; Occupancy: 16
; WaveLimiterHint : 1
; COMPUTE_PGM_RSRC2:SCRATCH_EN: 0
; COMPUTE_PGM_RSRC2:USER_SGPR: 13
; COMPUTE_PGM_RSRC2:TRAP_HANDLER: 0
; COMPUTE_PGM_RSRC2:TGID_X_EN: 1
; COMPUTE_PGM_RSRC2:TGID_Y_EN: 1
; COMPUTE_PGM_RSRC2:TGID_Z_EN: 1
; COMPUTE_PGM_RSRC2:TIDIG_COMP_CNT: 0
	.section	.text._ZN2at6native6mbtopk23computeBlockDigitCountsIijjLi2EEEvNS_4cuda6detail10TensorInfoIKT_T0_EEjPjjS8_iijT1_PSB_Ps,"axG",@progbits,_ZN2at6native6mbtopk23computeBlockDigitCountsIijjLi2EEEvNS_4cuda6detail10TensorInfoIKT_T0_EEjPjjS8_iijT1_PSB_Ps,comdat
	.protected	_ZN2at6native6mbtopk23computeBlockDigitCountsIijjLi2EEEvNS_4cuda6detail10TensorInfoIKT_T0_EEjPjjS8_iijT1_PSB_Ps ; -- Begin function _ZN2at6native6mbtopk23computeBlockDigitCountsIijjLi2EEEvNS_4cuda6detail10TensorInfoIKT_T0_EEjPjjS8_iijT1_PSB_Ps
	.globl	_ZN2at6native6mbtopk23computeBlockDigitCountsIijjLi2EEEvNS_4cuda6detail10TensorInfoIKT_T0_EEjPjjS8_iijT1_PSB_Ps
	.p2align	8
	.type	_ZN2at6native6mbtopk23computeBlockDigitCountsIijjLi2EEEvNS_4cuda6detail10TensorInfoIKT_T0_EEjPjjS8_iijT1_PSB_Ps,@function
_ZN2at6native6mbtopk23computeBlockDigitCountsIijjLi2EEEvNS_4cuda6detail10TensorInfoIKT_T0_EEjPjjS8_iijT1_PSB_Ps: ; @_ZN2at6native6mbtopk23computeBlockDigitCountsIijjLi2EEEvNS_4cuda6detail10TensorInfoIKT_T0_EEjPjjS8_iijT1_PSB_Ps
; %bb.0:
	s_clause 0x2
	s_load_b64 s[2:3], s[0:1], 0xf8
	s_load_b128 s[8:11], s[0:1], 0xe8
	s_load_b64 s[4:5], s[0:1], 0x110
	s_waitcnt lgkmcnt(0)
	v_cvt_f32_u32_e32 v1, s2
	s_sub_i32 s7, 0, s2
	s_mul_i32 s5, s5, s15
	s_delay_alu instid0(SALU_CYCLE_1) | instskip(NEXT) | instid1(VALU_DEP_1)
	s_add_i32 s5, s5, s14
	v_rcp_iflag_f32_e32 v1, v1
	s_mul_i32 s16, s5, s4
	s_delay_alu instid0(SALU_CYCLE_1) | instskip(SKIP_3) | instid1(VALU_DEP_1)
	s_add_i32 s16, s16, s13
	s_mov_b32 s13, 0
	s_waitcnt_depctr 0xfff
	v_mul_f32_e32 v1, 0x4f7ffffe, v1
	v_cvt_u32_f32_e32 v1, v1
	s_delay_alu instid0(VALU_DEP_1) | instskip(NEXT) | instid1(VALU_DEP_1)
	v_readfirstlane_b32 s6, v1
	s_mul_i32 s7, s7, s6
	s_delay_alu instid0(SALU_CYCLE_1) | instskip(NEXT) | instid1(SALU_CYCLE_1)
	s_mul_hi_u32 s4, s6, s7
	s_add_i32 s6, s6, s4
	s_delay_alu instid0(SALU_CYCLE_1) | instskip(NEXT) | instid1(SALU_CYCLE_1)
	s_mul_hi_u32 s4, s16, s6
	s_mul_i32 s5, s4, s2
	s_add_i32 s6, s4, 1
	s_sub_i32 s5, s16, s5
	s_delay_alu instid0(SALU_CYCLE_1)
	s_sub_i32 s7, s5, s2
	s_cmp_ge_u32 s5, s2
	s_cselect_b32 s4, s6, s4
	s_cselect_b32 s5, s7, s5
	s_add_i32 s6, s4, 1
	s_cmp_ge_u32 s5, s2
	s_cselect_b32 s12, s6, s4
	s_delay_alu instid0(SALU_CYCLE_1)
	s_cmp_ge_u32 s12, s8
	s_cbranch_scc1 .LBB31_29
; %bb.1:
	s_clause 0x1
	s_load_b32 s17, s[0:1], 0xc
	s_load_b128 s[4:7], s[0:1], 0x100
	s_lshl_b64 s[14:15], s[12:13], 2
	v_cmp_gt_u32_e32 vcc_lo, 0x100, v0
	v_lshlrev_b32_e32 v3, 2, v0
	s_waitcnt lgkmcnt(0)
	v_cvt_f32_u32_e32 v1, s17
	s_add_u32 s14, s4, s14
	s_addc_u32 s15, s5, s15
	s_delay_alu instid0(VALU_DEP_1) | instskip(SKIP_2) | instid1(VALU_DEP_1)
	v_rcp_iflag_f32_e32 v1, v1
	s_waitcnt_depctr 0xfff
	v_mul_f32_e32 v1, 0x4f7ffffe, v1
	v_cvt_u32_f32_e32 v1, v1
	s_delay_alu instid0(VALU_DEP_1)
	v_readfirstlane_b32 s18, v1
	s_and_saveexec_b32 s4, vcc_lo
	s_cbranch_execz .LBB31_3
; %bb.2:
	v_mov_b32_e32 v1, 0
	ds_store_b32 v3, v1
.LBB31_3:
	s_or_b32 exec_lo, exec_lo, s4
	s_load_b32 s8, s[0:1], 0xd8
	s_mul_i32 s4, s12, s2
	s_waitcnt lgkmcnt(0)
	s_sub_i32 s4, s16, s4
	s_barrier
	s_mul_i32 s5, s11, s4
	s_add_i32 s4, s4, 1
	s_lshl_b32 s13, s5, 8
	buffer_gl0_inv
	s_sub_i32 s5, s8, s13
	s_delay_alu instid0(SALU_CYCLE_1) | instskip(SKIP_3) | instid1(VALU_DEP_1)
	s_add_u32 s5, s5, 0xff
	s_addc_u32 s19, 0, 0
	s_cmp_lt_u32 s4, s2
	v_alignbit_b32 v1, s19, s5, 8
	v_readfirstlane_b32 s5, v1
	s_delay_alu instid0(VALU_DEP_1)
	s_cselect_b32 s11, s11, s5
	s_mov_b32 s5, 0
	s_cmp_lt_i32 s11, 1
	s_cbranch_scc1 .LBB31_25
; %bb.4:
	s_sub_i32 s2, 0, s17
	s_load_b64 s[20:21], s[0:1], 0x0
	s_mul_i32 s2, s2, s18
	s_delay_alu instid0(SALU_CYCLE_1) | instskip(NEXT) | instid1(SALU_CYCLE_1)
	s_mul_hi_u32 s2, s18, s2
	s_add_i32 s2, s18, s2
	s_load_b64 s[18:19], s[0:1], 0x6c
	s_mul_hi_u32 s2, s12, s2
	s_load_b32 s1, s[14:15], 0x0
	s_mul_i32 s4, s2, s17
	s_delay_alu instid0(SALU_CYCLE_1)
	s_sub_i32 s0, s12, s4
	s_add_i32 s4, s2, 1
	s_sub_i32 s22, s0, s17
	s_cmp_ge_u32 s0, s17
	s_cselect_b32 s2, s4, s2
	s_cselect_b32 s0, s22, s0
	s_add_i32 s4, s2, 1
	s_cmp_ge_u32 s0, s17
	s_cselect_b32 s0, s4, s2
	s_delay_alu instid0(SALU_CYCLE_1) | instskip(NEXT) | instid1(SALU_CYCLE_1)
	s_mul_i32 s2, s0, s17
	s_sub_i32 s2, s12, s2
	s_waitcnt lgkmcnt(0)
	s_mul_i32 s0, s0, s18
	s_mul_i32 s2, s2, s19
	s_delay_alu instid0(SALU_CYCLE_1) | instskip(NEXT) | instid1(SALU_CYCLE_1)
	s_add_i32 s4, s0, s2
	s_lshl_b64 s[14:15], s[4:5], 2
	s_delay_alu instid0(SALU_CYCLE_1)
	s_add_u32 s2, s20, s14
	s_addc_u32 s4, s21, s15
	s_and_b32 s10, s10, 0xff
	s_cmp_lt_u32 s11, 4
	s_cbranch_scc1 .LBB31_19
; %bb.5:
	v_add_nc_u32_e32 v1, s13, v0
	s_and_b32 s5, s11, 0x7ffffffc
	s_lshl_b32 s12, s9, 10
	s_mov_b32 s14, 0
	s_mov_b32 s15, 0
	v_dual_mov_b32 v9, 1 :: v_dual_add_nc_u32 v2, 0x200, v1
	s_delay_alu instid0(VALU_DEP_1) | instskip(SKIP_4) | instid1(VALU_DEP_3)
	v_mul_lo_u32 v6, s9, v2
	v_mov_b32_e32 v2, 0
	v_add_nc_u32_e32 v4, 0x300, v1
	v_add_nc_u32_e32 v7, 0x100, v1
	v_mul_lo_u32 v8, s9, v1
	v_mul_lo_u32 v5, s9, v4
	s_delay_alu instid0(VALU_DEP_3)
	v_mul_lo_u32 v7, s9, v7
	s_branch .LBB31_7
.LBB31_6:                               ;   in Loop: Header=BB31_7 Depth=1
	s_or_b32 exec_lo, exec_lo, s17
	v_add_nc_u32_e32 v4, 0x400, v4
	s_add_i32 s15, s15, 4
	s_add_i32 s14, s14, s12
	s_cmp_eq_u32 s5, s15
	s_cbranch_scc1 .LBB31_19
.LBB31_7:                               ; =>This Inner Loop Header: Depth=1
	v_add_nc_u32_e32 v1, 0xfffffd00, v4
	s_mov_b32 s17, exec_lo
	s_delay_alu instid0(VALU_DEP_1)
	v_cmpx_gt_u32_e64 s8, v1
	s_cbranch_execz .LBB31_10
; %bb.8:                                ;   in Loop: Header=BB31_7 Depth=1
	v_add_nc_u32_e32 v1, s14, v8
	s_delay_alu instid0(VALU_DEP_1) | instskip(NEXT) | instid1(VALU_DEP_1)
	v_lshlrev_b64 v[10:11], 2, v[1:2]
	v_add_co_u32 v10, s0, s2, v10
	s_delay_alu instid0(VALU_DEP_1) | instskip(SKIP_3) | instid1(VALU_DEP_1)
	v_add_co_ci_u32_e64 v11, s0, s4, v11, s0
	global_load_b32 v1, v[10:11], off
	s_waitcnt vmcnt(0)
	v_xor_b32_e32 v1, 0x80000000, v1
	v_xor_b32_e32 v10, s1, v1
	s_delay_alu instid0(VALU_DEP_1) | instskip(NEXT) | instid1(VALU_DEP_1)
	v_and_b32_e32 v10, s3, v10
	v_cmp_eq_u32_e64 s0, 0, v10
	s_delay_alu instid0(VALU_DEP_1)
	s_and_b32 exec_lo, exec_lo, s0
	s_cbranch_execz .LBB31_10
; %bb.9:                                ;   in Loop: Header=BB31_7 Depth=1
	v_bfe_u32 v1, v1, s10, 8
	s_delay_alu instid0(VALU_DEP_1)
	v_lshlrev_b32_e32 v1, 2, v1
	ds_add_u32 v1, v9
.LBB31_10:                              ;   in Loop: Header=BB31_7 Depth=1
	s_or_b32 exec_lo, exec_lo, s17
	v_add_nc_u32_e32 v1, 0xfffffe00, v4
	s_mov_b32 s17, exec_lo
	s_delay_alu instid0(VALU_DEP_1)
	v_cmpx_gt_u32_e64 s8, v1
	s_cbranch_execz .LBB31_13
; %bb.11:                               ;   in Loop: Header=BB31_7 Depth=1
	v_add_nc_u32_e32 v1, s14, v7
	s_delay_alu instid0(VALU_DEP_1) | instskip(NEXT) | instid1(VALU_DEP_1)
	v_lshlrev_b64 v[10:11], 2, v[1:2]
	v_add_co_u32 v10, s0, s2, v10
	s_delay_alu instid0(VALU_DEP_1) | instskip(SKIP_3) | instid1(VALU_DEP_1)
	v_add_co_ci_u32_e64 v11, s0, s4, v11, s0
	global_load_b32 v1, v[10:11], off
	s_waitcnt vmcnt(0)
	v_xor_b32_e32 v1, 0x80000000, v1
	v_xor_b32_e32 v10, s1, v1
	s_delay_alu instid0(VALU_DEP_1) | instskip(NEXT) | instid1(VALU_DEP_1)
	v_and_b32_e32 v10, s3, v10
	v_cmp_eq_u32_e64 s0, 0, v10
	s_delay_alu instid0(VALU_DEP_1)
	s_and_b32 exec_lo, exec_lo, s0
	s_cbranch_execz .LBB31_13
; %bb.12:                               ;   in Loop: Header=BB31_7 Depth=1
	v_bfe_u32 v1, v1, s10, 8
	s_delay_alu instid0(VALU_DEP_1)
	v_lshlrev_b32_e32 v1, 2, v1
	ds_add_u32 v1, v9
.LBB31_13:                              ;   in Loop: Header=BB31_7 Depth=1
	s_or_b32 exec_lo, exec_lo, s17
	v_add_nc_u32_e32 v1, 0xffffff00, v4
	s_mov_b32 s17, exec_lo
	s_delay_alu instid0(VALU_DEP_1)
	v_cmpx_gt_u32_e64 s8, v1
	s_cbranch_execz .LBB31_16
; %bb.14:                               ;   in Loop: Header=BB31_7 Depth=1
	v_add_nc_u32_e32 v1, s14, v6
	s_delay_alu instid0(VALU_DEP_1) | instskip(NEXT) | instid1(VALU_DEP_1)
	v_lshlrev_b64 v[10:11], 2, v[1:2]
	v_add_co_u32 v10, s0, s2, v10
	s_delay_alu instid0(VALU_DEP_1) | instskip(SKIP_3) | instid1(VALU_DEP_1)
	v_add_co_ci_u32_e64 v11, s0, s4, v11, s0
	global_load_b32 v1, v[10:11], off
	s_waitcnt vmcnt(0)
	v_xor_b32_e32 v1, 0x80000000, v1
	v_xor_b32_e32 v10, s1, v1
	s_delay_alu instid0(VALU_DEP_1) | instskip(NEXT) | instid1(VALU_DEP_1)
	v_and_b32_e32 v10, s3, v10
	v_cmp_eq_u32_e64 s0, 0, v10
	s_delay_alu instid0(VALU_DEP_1)
	s_and_b32 exec_lo, exec_lo, s0
	s_cbranch_execz .LBB31_16
; %bb.15:                               ;   in Loop: Header=BB31_7 Depth=1
	v_bfe_u32 v1, v1, s10, 8
	s_delay_alu instid0(VALU_DEP_1)
	v_lshlrev_b32_e32 v1, 2, v1
	ds_add_u32 v1, v9
.LBB31_16:                              ;   in Loop: Header=BB31_7 Depth=1
	s_or_b32 exec_lo, exec_lo, s17
	s_delay_alu instid0(SALU_CYCLE_1)
	s_mov_b32 s17, exec_lo
	v_cmpx_gt_u32_e64 s8, v4
	s_cbranch_execz .LBB31_6
; %bb.17:                               ;   in Loop: Header=BB31_7 Depth=1
	v_add_nc_u32_e32 v1, s14, v5
	s_delay_alu instid0(VALU_DEP_1) | instskip(NEXT) | instid1(VALU_DEP_1)
	v_lshlrev_b64 v[10:11], 2, v[1:2]
	v_add_co_u32 v10, s0, s2, v10
	s_delay_alu instid0(VALU_DEP_1) | instskip(SKIP_3) | instid1(VALU_DEP_1)
	v_add_co_ci_u32_e64 v11, s0, s4, v11, s0
	global_load_b32 v1, v[10:11], off
	s_waitcnt vmcnt(0)
	v_xor_b32_e32 v1, 0x80000000, v1
	v_xor_b32_e32 v10, s1, v1
	s_delay_alu instid0(VALU_DEP_1) | instskip(NEXT) | instid1(VALU_DEP_1)
	v_and_b32_e32 v10, s3, v10
	v_cmp_eq_u32_e64 s0, 0, v10
	s_delay_alu instid0(VALU_DEP_1)
	s_and_b32 exec_lo, exec_lo, s0
	s_cbranch_execz .LBB31_6
; %bb.18:                               ;   in Loop: Header=BB31_7 Depth=1
	v_bfe_u32 v1, v1, s10, 8
	s_delay_alu instid0(VALU_DEP_1)
	v_lshlrev_b32_e32 v1, 2, v1
	ds_add_u32 v1, v9
	s_branch .LBB31_6
.LBB31_19:
	s_and_b32 s11, s11, 3
	s_delay_alu instid0(SALU_CYCLE_1)
	s_cmp_eq_u32 s11, 0
	s_cbranch_scc1 .LBB31_25
; %bb.20:
	s_lshl_b32 s0, s5, 8
	v_dual_mov_b32 v2, 0 :: v_dual_mov_b32 v5, 1
	v_add3_u32 v4, s0, s13, v0
	s_lshl_b32 s5, s9, 8
	s_delay_alu instid0(VALU_DEP_1)
	v_mul_lo_u32 v1, s9, v4
	s_set_inst_prefetch_distance 0x1
	s_branch .LBB31_22
	.p2align	6
.LBB31_21:                              ;   in Loop: Header=BB31_22 Depth=1
	s_or_b32 exec_lo, exec_lo, s9
	s_delay_alu instid0(VALU_DEP_2) | instskip(SKIP_2) | instid1(SALU_CYCLE_1)
	v_add_nc_u32_e32 v1, s5, v1
	v_add_nc_u32_e32 v4, 0x100, v4
	s_add_i32 s11, s11, -1
	s_cmp_lg_u32 s11, 0
	s_cbranch_scc0 .LBB31_25
.LBB31_22:                              ; =>This Inner Loop Header: Depth=1
	s_mov_b32 s9, exec_lo
	v_cmpx_gt_u32_e64 s8, v4
	s_cbranch_execz .LBB31_21
; %bb.23:                               ;   in Loop: Header=BB31_22 Depth=1
	s_delay_alu instid0(VALU_DEP_2) | instskip(NEXT) | instid1(VALU_DEP_1)
	v_lshlrev_b64 v[6:7], 2, v[1:2]
	v_add_co_u32 v6, s0, s2, v6
	s_delay_alu instid0(VALU_DEP_1) | instskip(SKIP_3) | instid1(VALU_DEP_1)
	v_add_co_ci_u32_e64 v7, s0, s4, v7, s0
	global_load_b32 v6, v[6:7], off
	s_waitcnt vmcnt(0)
	v_xor_b32_e32 v6, 0x80000000, v6
	v_xor_b32_e32 v7, s1, v6
	s_delay_alu instid0(VALU_DEP_1) | instskip(NEXT) | instid1(VALU_DEP_1)
	v_and_b32_e32 v7, s3, v7
	v_cmp_eq_u32_e64 s0, 0, v7
	s_delay_alu instid0(VALU_DEP_1)
	s_and_b32 exec_lo, exec_lo, s0
	s_cbranch_execz .LBB31_21
; %bb.24:                               ;   in Loop: Header=BB31_22 Depth=1
	v_bfe_u32 v6, v6, s10, 8
	s_delay_alu instid0(VALU_DEP_1)
	v_lshlrev_b32_e32 v6, 2, v6
	ds_add_u32 v6, v5
	s_branch .LBB31_21
.LBB31_25:
	s_set_inst_prefetch_distance 0x2
	v_mov_b32_e32 v1, 0
	s_waitcnt lgkmcnt(0)
	s_barrier
	buffer_gl0_inv
	s_and_saveexec_b32 s0, vcc_lo
	s_cbranch_execz .LBB31_27
; %bb.26:
	ds_load_b32 v1, v3
.LBB31_27:
	s_or_b32 exec_lo, exec_lo, s0
	s_and_saveexec_b32 s0, vcc_lo
	s_cbranch_execz .LBB31_29
; %bb.28:
	v_lshl_or_b32 v2, s16, 8, v0
	v_mov_b32_e32 v3, 0
	s_delay_alu instid0(VALU_DEP_1) | instskip(NEXT) | instid1(VALU_DEP_1)
	v_lshlrev_b64 v[2:3], 1, v[2:3]
	v_add_co_u32 v2, vcc_lo, s6, v2
	s_delay_alu instid0(VALU_DEP_2)
	v_add_co_ci_u32_e32 v3, vcc_lo, s7, v3, vcc_lo
	s_waitcnt lgkmcnt(0)
	global_store_b16 v[2:3], v1, off
.LBB31_29:
	s_nop 0
	s_sendmsg sendmsg(MSG_DEALLOC_VGPRS)
	s_endpgm
	.section	.rodata,"a",@progbits
	.p2align	6, 0x0
	.amdhsa_kernel _ZN2at6native6mbtopk23computeBlockDigitCountsIijjLi2EEEvNS_4cuda6detail10TensorInfoIKT_T0_EEjPjjS8_iijT1_PSB_Ps
		.amdhsa_group_segment_fixed_size 1024
		.amdhsa_private_segment_fixed_size 0
		.amdhsa_kernarg_size 528
		.amdhsa_user_sgpr_count 13
		.amdhsa_user_sgpr_dispatch_ptr 0
		.amdhsa_user_sgpr_queue_ptr 0
		.amdhsa_user_sgpr_kernarg_segment_ptr 1
		.amdhsa_user_sgpr_dispatch_id 0
		.amdhsa_user_sgpr_private_segment_size 0
		.amdhsa_wavefront_size32 1
		.amdhsa_uses_dynamic_stack 0
		.amdhsa_enable_private_segment 0
		.amdhsa_system_sgpr_workgroup_id_x 1
		.amdhsa_system_sgpr_workgroup_id_y 1
		.amdhsa_system_sgpr_workgroup_id_z 1
		.amdhsa_system_sgpr_workgroup_info 0
		.amdhsa_system_vgpr_workitem_id 0
		.amdhsa_next_free_vgpr 12
		.amdhsa_next_free_sgpr 23
		.amdhsa_reserve_vcc 1
		.amdhsa_float_round_mode_32 0
		.amdhsa_float_round_mode_16_64 0
		.amdhsa_float_denorm_mode_32 3
		.amdhsa_float_denorm_mode_16_64 3
		.amdhsa_dx10_clamp 1
		.amdhsa_ieee_mode 1
		.amdhsa_fp16_overflow 0
		.amdhsa_workgroup_processor_mode 1
		.amdhsa_memory_ordered 1
		.amdhsa_forward_progress 0
		.amdhsa_shared_vgpr_count 0
		.amdhsa_exception_fp_ieee_invalid_op 0
		.amdhsa_exception_fp_denorm_src 0
		.amdhsa_exception_fp_ieee_div_zero 0
		.amdhsa_exception_fp_ieee_overflow 0
		.amdhsa_exception_fp_ieee_underflow 0
		.amdhsa_exception_fp_ieee_inexact 0
		.amdhsa_exception_int_div_zero 0
	.end_amdhsa_kernel
	.section	.text._ZN2at6native6mbtopk23computeBlockDigitCountsIijjLi2EEEvNS_4cuda6detail10TensorInfoIKT_T0_EEjPjjS8_iijT1_PSB_Ps,"axG",@progbits,_ZN2at6native6mbtopk23computeBlockDigitCountsIijjLi2EEEvNS_4cuda6detail10TensorInfoIKT_T0_EEjPjjS8_iijT1_PSB_Ps,comdat
.Lfunc_end31:
	.size	_ZN2at6native6mbtopk23computeBlockDigitCountsIijjLi2EEEvNS_4cuda6detail10TensorInfoIKT_T0_EEjPjjS8_iijT1_PSB_Ps, .Lfunc_end31-_ZN2at6native6mbtopk23computeBlockDigitCountsIijjLi2EEEvNS_4cuda6detail10TensorInfoIKT_T0_EEjPjjS8_iijT1_PSB_Ps
                                        ; -- End function
	.section	.AMDGPU.csdata,"",@progbits
; Kernel info:
; codeLenInByte = 1572
; NumSgprs: 25
; NumVgprs: 12
; ScratchSize: 0
; MemoryBound: 0
; FloatMode: 240
; IeeeMode: 1
; LDSByteSize: 1024 bytes/workgroup (compile time only)
; SGPRBlocks: 3
; VGPRBlocks: 1
; NumSGPRsForWavesPerEU: 25
; NumVGPRsForWavesPerEU: 12
; Occupancy: 16
; WaveLimiterHint : 1
; COMPUTE_PGM_RSRC2:SCRATCH_EN: 0
; COMPUTE_PGM_RSRC2:USER_SGPR: 13
; COMPUTE_PGM_RSRC2:TRAP_HANDLER: 0
; COMPUTE_PGM_RSRC2:TGID_X_EN: 1
; COMPUTE_PGM_RSRC2:TGID_Y_EN: 1
; COMPUTE_PGM_RSRC2:TGID_Z_EN: 1
; COMPUTE_PGM_RSRC2:TIDIG_COMP_CNT: 0
	.section	.text._ZN2at6native6mbtopk10gatherTopKIijLi2EEEvNS_4cuda6detail10TensorInfoIKT_T0_EES8_S8_bjS8_NS5_IS6_S8_EES8_NS5_IlS8_EES8_jjPS6_PjSD_j,"axG",@progbits,_ZN2at6native6mbtopk10gatherTopKIijLi2EEEvNS_4cuda6detail10TensorInfoIKT_T0_EES8_S8_bjS8_NS5_IS6_S8_EES8_NS5_IlS8_EES8_jjPS6_PjSD_j,comdat
	.protected	_ZN2at6native6mbtopk10gatherTopKIijLi2EEEvNS_4cuda6detail10TensorInfoIKT_T0_EES8_S8_bjS8_NS5_IS6_S8_EES8_NS5_IlS8_EES8_jjPS6_PjSD_j ; -- Begin function _ZN2at6native6mbtopk10gatherTopKIijLi2EEEvNS_4cuda6detail10TensorInfoIKT_T0_EES8_S8_bjS8_NS5_IS6_S8_EES8_NS5_IlS8_EES8_jjPS6_PjSD_j
	.globl	_ZN2at6native6mbtopk10gatherTopKIijLi2EEEvNS_4cuda6detail10TensorInfoIKT_T0_EES8_S8_bjS8_NS5_IS6_S8_EES8_NS5_IlS8_EES8_jjPS6_PjSD_j
	.p2align	8
	.type	_ZN2at6native6mbtopk10gatherTopKIijLi2EEEvNS_4cuda6detail10TensorInfoIKT_T0_EES8_S8_bjS8_NS5_IS6_S8_EES8_NS5_IlS8_EES8_jjPS6_PjSD_j,@function
_ZN2at6native6mbtopk10gatherTopKIijLi2EEEvNS_4cuda6detail10TensorInfoIKT_T0_EES8_S8_bjS8_NS5_IS6_S8_EES8_NS5_IlS8_EES8_jjPS6_PjSD_j: ; @_ZN2at6native6mbtopk10gatherTopKIijLi2EEEvNS_4cuda6detail10TensorInfoIKT_T0_EES8_S8_bjS8_NS5_IS6_S8_EES8_NS5_IlS8_EES8_jjPS6_PjSD_j
; %bb.0:
	s_clause 0x1
	s_load_b64 s[2:3], s[0:1], 0x2d8
	s_load_b32 s4, s[0:1], 0x2d0
	s_waitcnt lgkmcnt(0)
	s_mul_i32 s3, s3, s15
	s_delay_alu instid0(SALU_CYCLE_1) | instskip(NEXT) | instid1(SALU_CYCLE_1)
	s_add_i32 s3, s3, s14
	s_mul_i32 s2, s3, s2
	s_delay_alu instid0(SALU_CYCLE_1) | instskip(NEXT) | instid1(SALU_CYCLE_1)
	s_add_i32 s2, s2, s13
	s_cmp_ge_u32 s2, s4
	s_cbranch_scc1 .LBB32_40
; %bb.1:
	s_clause 0x3
	s_load_b256 s[4:11], s[0:1], 0x2a8
	s_load_b32 s38, s[0:1], 0xc
	s_load_b32 s37, s[0:1], 0xfc
	;; [unrolled: 1-line block ×3, first 2 shown]
	s_mov_b32 s23, 0
	s_clause 0x4
	s_load_b64 s[18:19], s[0:1], 0xf0
	s_load_b64 s[28:29], s[0:1], 0x6c
	;; [unrolled: 1-line block ×5, first 2 shown]
	s_waitcnt lgkmcnt(0)
	v_cvt_f32_u32_e32 v1, s6
	v_cvt_f32_u32_e32 v2, s38
	;; [unrolled: 1-line block ×4, first 2 shown]
	s_sub_i32 s7, 0, s6
	v_rcp_iflag_f32_e32 v1, v1
	v_rcp_iflag_f32_e32 v2, v2
	;; [unrolled: 1-line block ×4, first 2 shown]
	v_mul_f32_e32 v1, 0x4f7ffffe, v1
	s_delay_alu instid0(VALU_DEP_1) | instskip(NEXT) | instid1(VALU_DEP_1)
	v_cvt_u32_f32_e32 v1, v1
	v_readfirstlane_b32 s3, v1
	s_waitcnt_depctr 0xfff
	v_dual_mul_f32 v1, 0x4f7ffffe, v2 :: v_dual_mul_f32 v2, 0x4f7ffffe, v3
	v_mul_f32_e32 v3, 0x4f7ffffe, v4
	s_mul_i32 s7, s7, s3
	s_delay_alu instid0(VALU_DEP_2)
	v_cvt_u32_f32_e32 v1, v1
	s_mul_hi_u32 s7, s3, s7
	v_cvt_u32_f32_e32 v2, v2
	s_add_i32 s3, s3, s7
	v_cvt_u32_f32_e32 v3, v3
	s_mul_hi_u32 s3, s2, s3
	v_readfirstlane_b32 s13, v1
	s_mul_i32 s7, s3, s6
	s_add_i32 s12, s3, 1
	s_sub_i32 s7, s2, s7
	v_readfirstlane_b32 s26, v2
	s_sub_i32 s14, s7, s6
	s_cmp_ge_u32 s7, s6
	v_readfirstlane_b32 s27, v3
	s_cselect_b32 s3, s12, s3
	s_cselect_b32 s7, s14, s7
	s_add_i32 s12, s3, 1
	s_cmp_ge_u32 s7, s6
	s_cselect_b32 s22, s12, s3
	s_sub_i32 s3, 0, s38
	s_sub_i32 s7, 0, s37
	;; [unrolled: 1-line block ×3, first 2 shown]
	s_mul_i32 s12, s22, s6
	s_mul_i32 s3, s3, s13
	;; [unrolled: 1-line block ×4, first 2 shown]
	s_sub_i32 s7, s2, s12
	s_mul_hi_u32 s2, s13, s3
	s_mul_hi_u32 s3, s26, s30
	;; [unrolled: 1-line block ×3, first 2 shown]
	s_lshl_b64 s[14:15], s[22:23], 2
	s_add_i32 s13, s13, s2
	s_add_i32 s31, s26, s3
	;; [unrolled: 1-line block ×3, first 2 shown]
	s_add_u32 s2, s8, s14
	s_addc_u32 s3, s9, s15
	s_load_b64 s[26:27], s[0:1], 0x23c
	s_load_b32 s33, s[2:3], 0x0
	v_cmp_ne_u32_e64 s2, 0, v0
	v_cmp_eq_u32_e64 s3, 0, v0
	s_mul_hi_u32 s41, s22, s13
	s_mul_hi_u32 s40, s22, s31
	;; [unrolled: 1-line block ×3, first 2 shown]
	s_delay_alu instid0(VALU_DEP_1)
	s_and_saveexec_b32 s42, s3
	s_cbranch_execz .LBB32_17
; %bb.2:
	s_load_b64 s[8:9], s[0:1], 0x2c8
	s_mov_b32 s13, s23
	s_delay_alu instid0(SALU_CYCLE_1) | instskip(NEXT) | instid1(SALU_CYCLE_1)
	s_lshl_b64 s[30:31], s[12:13], 2
	s_add_u32 s12, s10, s30
	s_addc_u32 s13, s11, s31
	s_waitcnt lgkmcnt(0)
	s_add_u32 s14, s8, s30
	s_addc_u32 s15, s9, s31
	s_cmp_lt_u32 s6, 4
	s_cbranch_scc1 .LBB32_14
; %bb.3:
	s_mov_b32 s43, s23
	s_mov_b32 s44, s23
	s_mov_b32 s45, s23
.LBB32_4:                               ; =>This Inner Loop Header: Depth=1
	s_add_u32 s12, s10, s30
	s_addc_u32 s13, s11, s31
	s_add_u32 s34, s8, s30
	s_load_b128 s[12:15], s[12:13], 0x0
	s_addc_u32 s35, s9, s31
	s_cmp_ge_u32 s45, s7
	s_cbranch_scc0 .LBB32_11
; %bb.5:                                ;   in Loop: Header=BB32_4 Depth=1
	s_add_i32 s46, s45, 1
	s_delay_alu instid0(SALU_CYCLE_1)
	s_cmp_ge_u32 s46, s7
	s_cbranch_scc0 .LBB32_12
.LBB32_6:                               ;   in Loop: Header=BB32_4 Depth=1
	s_add_i32 s46, s46, 1
	s_delay_alu instid0(SALU_CYCLE_1)
	s_cmp_ge_u32 s46, s7
	s_cbranch_scc0 .LBB32_13
.LBB32_7:                               ;   in Loop: Header=BB32_4 Depth=1
	s_add_i32 s46, s46, 1
	s_delay_alu instid0(SALU_CYCLE_1)
	s_cmp_ge_u32 s46, s7
	s_cbranch_scc1 .LBB32_9
.LBB32_8:                               ;   in Loop: Header=BB32_4 Depth=1
	s_load_b32 s34, s[34:35], 0xc
	s_waitcnt lgkmcnt(0)
	s_add_i32 s23, s23, s15
	s_add_i32 s43, s34, s43
.LBB32_9:                               ;   in Loop: Header=BB32_4 Depth=1
	s_waitcnt lgkmcnt(0)
	s_add_i32 s12, s12, s44
	s_delay_alu instid0(SALU_CYCLE_1) | instskip(NEXT) | instid1(SALU_CYCLE_1)
	s_add_i32 s12, s12, s13
	s_add_i32 s12, s12, s14
	s_delay_alu instid0(SALU_CYCLE_1)
	s_add_i32 s44, s12, s15
	s_add_u32 s10, s10, 16
	s_addc_u32 s11, s11, 0
	s_add_u32 s8, s8, 16
	s_addc_u32 s9, s9, 0
	s_add_i32 s35, s46, 4
	s_add_u32 s14, s8, s30
	s_addc_u32 s15, s9, s31
	s_add_u32 s12, s10, s30
	s_addc_u32 s13, s11, s31
	s_add_i32 s34, s46, 1
	s_cmp_ge_u32 s35, s6
	s_cbranch_scc1 .LBB32_15
; %bb.10:                               ;   in Loop: Header=BB32_4 Depth=1
	s_mov_b32 s45, s34
	s_branch .LBB32_4
.LBB32_11:                              ;   in Loop: Header=BB32_4 Depth=1
	s_load_b32 s46, s[34:35], 0x0
	s_waitcnt lgkmcnt(0)
	s_add_i32 s23, s12, s23
	s_add_i32 s43, s46, s43
	;; [unrolled: 1-line block ×3, first 2 shown]
	s_delay_alu instid0(SALU_CYCLE_1)
	s_cmp_ge_u32 s46, s7
	s_cbranch_scc1 .LBB32_6
.LBB32_12:                              ;   in Loop: Header=BB32_4 Depth=1
	s_load_b32 s47, s[34:35], 0x4
	s_waitcnt lgkmcnt(0)
	s_add_i32 s23, s23, s13
	s_add_i32 s43, s47, s43
	;; [unrolled: 1-line block ×3, first 2 shown]
	s_delay_alu instid0(SALU_CYCLE_1)
	s_cmp_ge_u32 s46, s7
	s_cbranch_scc1 .LBB32_7
.LBB32_13:                              ;   in Loop: Header=BB32_4 Depth=1
	s_load_b32 s47, s[34:35], 0x8
	s_waitcnt lgkmcnt(0)
	s_add_i32 s23, s23, s14
	s_add_i32 s43, s47, s43
	s_add_i32 s46, s46, 1
	s_delay_alu instid0(SALU_CYCLE_1)
	s_cmp_ge_u32 s46, s7
	s_cbranch_scc0 .LBB32_8
	s_branch .LBB32_9
.LBB32_14:
	s_mov_b32 s43, 0
	s_mov_b32 s44, 0
	;; [unrolled: 1-line block ×3, first 2 shown]
	s_delay_alu instid0(SALU_CYCLE_1)
	s_cmp_ge_u32 s8, s6
	s_cbranch_scc0 .LBB32_38
	s_branch .LBB32_16
.LBB32_15:
	s_add_i32 s8, s45, 4
	s_delay_alu instid0(SALU_CYCLE_1)
	s_cmp_ge_u32 s8, s6
	s_cbranch_scc0 .LBB32_38
.LBB32_16:
	v_dual_mov_b32 v1, s43 :: v_dual_mov_b32 v2, s44
	v_dual_mov_b32 v3, s23 :: v_dual_mov_b32 v4, 0
	ds_store_b96 v4, v[1:3] offset:1056
.LBB32_17:
	s_or_b32 exec_lo, exec_lo, s42
	s_load_b128 s[8:11], s[0:1], 0xd8
	s_waitcnt lgkmcnt(0)
	s_mul_i32 s11, s5, s7
	s_add_i32 s7, s7, 1
	s_lshl_b32 s23, s11, 8
	s_barrier
	buffer_gl0_inv
	s_sub_i32 s11, s8, s23
	s_delay_alu instid0(SALU_CYCLE_1) | instskip(SKIP_4) | instid1(VALU_DEP_1)
	s_add_u32 s11, s11, 0xff
	s_addc_u32 s12, 0, 0
	s_cmp_lt_u32 s7, s6
	v_alignbit_b32 v1, s12, s11, 8
	s_mov_b32 s7, 0
	v_readfirstlane_b32 s11, v1
	s_delay_alu instid0(VALU_DEP_1) | instskip(NEXT) | instid1(SALU_CYCLE_1)
	s_cselect_b32 s5, s5, s11
	s_cmp_eq_u32 s5, 0
	s_cbranch_scc1 .LBB32_40
; %bb.18:
	s_mul_i32 s6, s41, s38
	s_add_i32 s11, s41, 1
	s_sub_i32 s6, s22, s6
	v_mov_b32_e32 v5, 0
	s_sub_i32 s12, s6, s38
	s_cmp_ge_u32 s6, s38
	v_lshrrev_b32_e32 v4, 5, v0
	s_cselect_b32 s11, s11, s41
	s_cselect_b32 s6, s12, s6
	s_add_i32 s12, s11, 1
	s_cmp_ge_u32 s6, s38
	s_mul_i32 s6, s40, s37
	s_cselect_b32 s11, s12, s11
	s_sub_i32 s12, s22, s6
	s_mul_i32 s6, s11, s38
	s_mul_i32 s11, s11, s28
	s_sub_i32 s6, s22, s6
	s_add_i32 s13, s40, 1
	s_mul_i32 s6, s6, s29
	s_sub_i32 s14, s12, s37
	s_add_i32 s6, s11, s6
	s_cmp_ge_u32 s12, s37
	ds_load_b96 v[1:3], v5 offset:1056
	s_cselect_b32 s11, s13, s40
	s_cselect_b32 s12, s14, s12
	s_add_i32 s13, s11, 1
	s_cmp_ge_u32 s12, s37
	s_mul_i32 s12, s39, s36
	s_cselect_b32 s11, s13, s11
	s_sub_i32 s13, s22, s12
	s_mul_i32 s12, s11, s37
	s_mul_i32 s11, s11, s24
	s_sub_i32 s12, s22, s12
	s_add_i32 s14, s39, 1
	s_mul_i32 s12, s12, s25
	s_sub_i32 s15, s13, s36
	s_add_i32 s12, s11, s12
	s_cmp_ge_u32 s13, s36
	s_mov_b32 s25, s7
	s_cselect_b32 s11, s14, s39
	s_cselect_b32 s13, s15, s13
	s_add_i32 s14, s11, 1
	s_waitcnt lgkmcnt(0)
	v_add_nc_u32_e32 v6, v1, v2
	s_cmp_ge_u32 s13, s36
	s_mov_b32 s13, s7
	s_cselect_b32 s11, s14, s11
	v_add_nc_u32_e32 v9, -1, v0
	s_mul_i32 s14, s11, s36
	s_mul_i32 s11, s11, s26
	s_sub_i32 s14, s22, s14
	v_add_lshl_u32 v7, v4, v0, 2
	s_mul_i32 s22, s14, s27
	s_lshl_b64 s[14:15], s[6:7], 2
	s_add_i32 s24, s11, s22
	s_add_u32 s6, s20, s14
	s_addc_u32 s11, s21, s15
	s_lshl_b64 s[12:13], s[12:13], 2
	v_lshlrev_b32_e32 v2, 3, v0
	s_add_u32 s7, s18, s12
	s_load_b32 s18, s[0:1], 0xe8
	s_addc_u32 s12, s19, s13
	s_lshl_b64 s[14:15], s[24:25], 3
	v_lshrrev_b32_e32 v4, 2, v0
	s_add_u32 s13, s16, s14
	s_addc_u32 s14, s17, s15
	s_xor_b32 s15, s33, 0x80000000
	s_bitcmp1_b32 s10, 0
	s_load_b32 s10, s[0:1], 0x1c8
	v_add_nc_u32_e32 v1, s23, v0
	v_lshrrev_b32_e32 v10, 5, v9
	v_mbcnt_lo_u32_b32 v8, -1, 0
	v_cmp_gt_u32_e64 s0, 32, v0
	v_add_lshl_u32 v0, v4, v2, 2
	s_cselect_b32 s1, -1, 0
	v_add_lshl_u32 v9, v10, v9, 2
	v_and_b32_e32 v10, 15, v8
	v_bfe_i32 v11, v8, 4, 1
	v_add_nc_u32_e32 v12, -1, v8
                                        ; implicit-def: $vgpr13
	s_waitcnt lgkmcnt(0)
	v_mul_lo_u32 v4, s18, v1
	s_lshl_b32 s16, s18, 8
	s_branch .LBB32_21
.LBB32_19:                              ;   in Loop: Header=BB32_21 Depth=1
	s_or_b32 exec_lo, exec_lo, s17
	v_add_nc_u32_e32 v6, v16, v6
.LBB32_20:                              ;   in Loop: Header=BB32_21 Depth=1
	v_add_nc_u32_e32 v3, v15, v3
	v_add_nc_u32_e32 v4, s16, v4
	;; [unrolled: 1-line block ×3, first 2 shown]
	s_add_i32 s5, s5, -1
	s_delay_alu instid0(SALU_CYCLE_1)
	s_cmp_lg_u32 s5, 0
	s_cbranch_scc0 .LBB32_40
.LBB32_21:                              ; =>This Inner Loop Header: Depth=1
	v_mov_b32_e32 v2, 0
	v_mov_b32_e32 v14, 0
	s_mov_b32 s17, exec_lo
	v_cmpx_gt_u32_e64 s8, v1
	s_cbranch_execz .LBB32_23
; %bb.22:                               ;   in Loop: Header=BB32_21 Depth=1
	v_lshlrev_b64 v[13:14], 2, v[4:5]
	s_delay_alu instid0(VALU_DEP_1) | instskip(NEXT) | instid1(VALU_DEP_2)
	v_add_co_u32 v13, vcc_lo, s6, v13
	v_add_co_ci_u32_e32 v14, vcc_lo, s11, v14, vcc_lo
	global_load_b32 v13, v[13:14], off
	s_waitcnt vmcnt(0)
	v_xor_b32_e32 v2, 0x80000000, v13
	s_delay_alu instid0(VALU_DEP_1) | instskip(SKIP_4) | instid1(VALU_DEP_2)
	v_cmp_lt_u32_e32 vcc_lo, s15, v2
	v_cndmask_b32_e64 v14, 0, 1, vcc_lo
	v_cmp_gt_u32_e32 vcc_lo, s15, v2
	v_cndmask_b32_e64 v2, 0, 1, vcc_lo
	v_cmp_eq_u32_e32 vcc_lo, s33, v13
	v_cndmask_b32_e64 v2, v2, v14, s1
	v_cndmask_b32_e64 v14, 0, 1, vcc_lo
	s_delay_alu instid0(VALU_DEP_2)
	v_and_b32_e32 v2, 1, v2
.LBB32_23:                              ;   in Loop: Header=BB32_21 Depth=1
	s_or_b32 exec_lo, exec_lo, s17
	ds_store_b32 v7, v2
	s_waitcnt lgkmcnt(0)
	s_waitcnt_vscnt null, 0x0
	s_barrier
	buffer_gl0_inv
	s_and_saveexec_b32 s17, s0
	s_cbranch_execz .LBB32_25
; %bb.24:                               ;   in Loop: Header=BB32_21 Depth=1
	ds_load_2addr_b32 v[15:16], v0 offset1:1
	ds_load_2addr_b32 v[17:18], v0 offset0:2 offset1:3
	ds_load_2addr_b32 v[19:20], v0 offset0:4 offset1:5
	;; [unrolled: 1-line block ×3, first 2 shown]
	v_cmp_ne_u32_e32 vcc_lo, 0, v10
	; wave barrier
	s_waitcnt lgkmcnt(3)
	v_add_nc_u32_e32 v16, v16, v15
	s_waitcnt lgkmcnt(2)
	s_delay_alu instid0(VALU_DEP_1) | instskip(SKIP_1) | instid1(VALU_DEP_1)
	v_add3_u32 v16, v16, v17, v18
	s_waitcnt lgkmcnt(1)
	v_add3_u32 v16, v16, v19, v20
	s_waitcnt lgkmcnt(0)
	s_delay_alu instid0(VALU_DEP_1) | instskip(NEXT) | instid1(VALU_DEP_1)
	v_add3_u32 v16, v16, v21, v22
	v_mov_b32_dpp v17, v16 row_shr:1 row_mask:0xf bank_mask:0xf
	s_delay_alu instid0(VALU_DEP_1) | instskip(SKIP_1) | instid1(VALU_DEP_2)
	v_cndmask_b32_e32 v17, 0, v17, vcc_lo
	v_cmp_lt_u32_e32 vcc_lo, 1, v10
	v_add_nc_u32_e32 v16, v17, v16
	s_delay_alu instid0(VALU_DEP_1) | instskip(NEXT) | instid1(VALU_DEP_1)
	v_mov_b32_dpp v17, v16 row_shr:2 row_mask:0xf bank_mask:0xf
	v_cndmask_b32_e32 v17, 0, v17, vcc_lo
	v_cmp_lt_u32_e32 vcc_lo, 3, v10
	s_delay_alu instid0(VALU_DEP_2) | instskip(NEXT) | instid1(VALU_DEP_1)
	v_add_nc_u32_e32 v16, v16, v17
	v_mov_b32_dpp v17, v16 row_shr:4 row_mask:0xf bank_mask:0xf
	s_delay_alu instid0(VALU_DEP_1) | instskip(SKIP_1) | instid1(VALU_DEP_2)
	v_cndmask_b32_e32 v17, 0, v17, vcc_lo
	v_cmp_lt_u32_e32 vcc_lo, 7, v10
	v_add_nc_u32_e32 v16, v16, v17
	s_delay_alu instid0(VALU_DEP_1) | instskip(NEXT) | instid1(VALU_DEP_1)
	v_mov_b32_dpp v17, v16 row_shr:8 row_mask:0xf bank_mask:0xf
	v_cndmask_b32_e32 v17, 0, v17, vcc_lo
	v_cmp_gt_i32_e32 vcc_lo, 0, v12
	v_cndmask_b32_e32 v18, v12, v8, vcc_lo
	s_delay_alu instid0(VALU_DEP_1) | instskip(NEXT) | instid1(VALU_DEP_4)
	v_lshlrev_b32_e32 v18, 2, v18
	v_add_nc_u32_e32 v16, v16, v17
	ds_swizzle_b32 v17, v16 offset:swizzle(BROADCAST,32,15)
	s_waitcnt lgkmcnt(0)
	v_and_b32_e32 v17, v11, v17
	s_delay_alu instid0(VALU_DEP_1) | instskip(SKIP_3) | instid1(VALU_DEP_1)
	v_add_nc_u32_e32 v16, v16, v17
	ds_bpermute_b32 v16, v18, v16
	s_waitcnt lgkmcnt(0)
	v_add_nc_u32_e32 v15, v16, v15
	v_cndmask_b32_e64 v21, v15, v2, s3
	ds_store_b32 v0, v21
	; wave barrier
	ds_load_2addr_b32 v[15:16], v0 offset0:1 offset1:2
	ds_load_2addr_b32 v[17:18], v0 offset0:3 offset1:4
	;; [unrolled: 1-line block ×3, first 2 shown]
	ds_load_b32 v22, v0 offset:28
	s_waitcnt lgkmcnt(3)
	v_add_nc_u32_e32 v15, v15, v21
	s_delay_alu instid0(VALU_DEP_1) | instskip(SKIP_1) | instid1(VALU_DEP_1)
	v_add_nc_u32_e32 v16, v16, v15
	s_waitcnt lgkmcnt(2)
	v_add_nc_u32_e32 v17, v17, v16
	s_delay_alu instid0(VALU_DEP_1) | instskip(SKIP_1) | instid1(VALU_DEP_1)
	v_add_nc_u32_e32 v18, v18, v17
	;; [unrolled: 4-line block ×3, first 2 shown]
	s_waitcnt lgkmcnt(0)
	v_add_nc_u32_e32 v21, v22, v20
	ds_store_2addr_b32 v0, v15, v16 offset0:1 offset1:2
	ds_store_2addr_b32 v0, v17, v18 offset0:3 offset1:4
	;; [unrolled: 1-line block ×3, first 2 shown]
	ds_store_b32 v0, v21 offset:28
.LBB32_25:                              ;   in Loop: Header=BB32_21 Depth=1
	s_or_b32 exec_lo, exec_lo, s17
	v_mov_b32_e32 v16, 0
	s_waitcnt lgkmcnt(0)
	s_barrier
	buffer_gl0_inv
	s_and_saveexec_b32 s17, s2
	s_cbranch_execz .LBB32_27
; %bb.26:                               ;   in Loop: Header=BB32_21 Depth=1
	ds_load_b32 v16, v9
.LBB32_27:                              ;   in Loop: Header=BB32_21 Depth=1
	s_or_b32 exec_lo, exec_lo, s17
	ds_load_b32 v15, v5 offset:1048
	s_mov_b32 s17, exec_lo
	s_waitcnt lgkmcnt(0)
	s_barrier
	buffer_gl0_inv
	v_cmpx_ne_u32_e32 0, v2
	s_cbranch_execz .LBB32_29
; %bb.28:                               ;   in Loop: Header=BB32_21 Depth=1
	v_dual_mov_b32 v17, v5 :: v_dual_add_nc_u32 v2, v16, v3
	v_mov_b32_e32 v19, v5
	s_delay_alu instid0(VALU_DEP_2) | instskip(SKIP_2) | instid1(VALU_DEP_3)
	v_mul_lo_u32 v16, v2, s10
	v_mul_lo_u32 v18, v2, s4
	v_mov_b32_e32 v2, v5
	v_lshlrev_b64 v[16:17], 2, v[16:17]
	s_delay_alu instid0(VALU_DEP_3) | instskip(NEXT) | instid1(VALU_DEP_2)
	v_lshlrev_b64 v[18:19], 3, v[18:19]
	v_add_co_u32 v16, vcc_lo, s7, v16
	s_delay_alu instid0(VALU_DEP_3) | instskip(NEXT) | instid1(VALU_DEP_3)
	v_add_co_ci_u32_e32 v17, vcc_lo, s12, v17, vcc_lo
	v_add_co_u32 v18, vcc_lo, s13, v18
	s_delay_alu instid0(VALU_DEP_4)
	v_add_co_ci_u32_e32 v19, vcc_lo, s14, v19, vcc_lo
	global_store_b32 v[16:17], v13, off
	global_store_b64 v[18:19], v[1:2], off
.LBB32_29:                              ;   in Loop: Header=BB32_21 Depth=1
	s_or_b32 exec_lo, exec_lo, s17
	v_cmp_le_u32_e32 vcc_lo, s9, v6
	s_cbranch_vccnz .LBB32_20
; %bb.30:                               ;   in Loop: Header=BB32_21 Depth=1
	ds_store_b32 v7, v14
	s_waitcnt lgkmcnt(0)
	s_waitcnt_vscnt null, 0x0
	s_barrier
	buffer_gl0_inv
	s_and_saveexec_b32 s17, s0
	s_cbranch_execz .LBB32_32
; %bb.31:                               ;   in Loop: Header=BB32_21 Depth=1
	ds_load_2addr_b32 v[16:17], v0 offset1:1
	ds_load_2addr_b32 v[18:19], v0 offset0:2 offset1:3
	ds_load_2addr_b32 v[20:21], v0 offset0:4 offset1:5
	;; [unrolled: 1-line block ×3, first 2 shown]
	v_cmp_ne_u32_e32 vcc_lo, 0, v10
	; wave barrier
	s_waitcnt lgkmcnt(3)
	v_add_nc_u32_e32 v2, v17, v16
	s_waitcnt lgkmcnt(2)
	s_delay_alu instid0(VALU_DEP_1) | instskip(SKIP_1) | instid1(VALU_DEP_1)
	v_add3_u32 v2, v2, v18, v19
	s_waitcnt lgkmcnt(1)
	v_add3_u32 v2, v2, v20, v21
	s_waitcnt lgkmcnt(0)
	s_delay_alu instid0(VALU_DEP_1) | instskip(NEXT) | instid1(VALU_DEP_1)
	v_add3_u32 v2, v2, v22, v23
	v_mov_b32_dpp v17, v2 row_shr:1 row_mask:0xf bank_mask:0xf
	s_delay_alu instid0(VALU_DEP_1) | instskip(SKIP_1) | instid1(VALU_DEP_2)
	v_cndmask_b32_e32 v17, 0, v17, vcc_lo
	v_cmp_lt_u32_e32 vcc_lo, 1, v10
	v_add_nc_u32_e32 v2, v17, v2
	s_delay_alu instid0(VALU_DEP_1) | instskip(NEXT) | instid1(VALU_DEP_1)
	v_mov_b32_dpp v17, v2 row_shr:2 row_mask:0xf bank_mask:0xf
	v_cndmask_b32_e32 v17, 0, v17, vcc_lo
	v_cmp_lt_u32_e32 vcc_lo, 3, v10
	s_delay_alu instid0(VALU_DEP_2) | instskip(NEXT) | instid1(VALU_DEP_1)
	v_add_nc_u32_e32 v2, v2, v17
	v_mov_b32_dpp v17, v2 row_shr:4 row_mask:0xf bank_mask:0xf
	s_delay_alu instid0(VALU_DEP_1) | instskip(SKIP_1) | instid1(VALU_DEP_2)
	v_cndmask_b32_e32 v17, 0, v17, vcc_lo
	v_cmp_lt_u32_e32 vcc_lo, 7, v10
	v_add_nc_u32_e32 v2, v2, v17
	s_delay_alu instid0(VALU_DEP_1) | instskip(NEXT) | instid1(VALU_DEP_1)
	v_mov_b32_dpp v17, v2 row_shr:8 row_mask:0xf bank_mask:0xf
	v_cndmask_b32_e32 v17, 0, v17, vcc_lo
	v_cmp_gt_i32_e32 vcc_lo, 0, v12
	v_cndmask_b32_e32 v18, v12, v8, vcc_lo
	s_delay_alu instid0(VALU_DEP_1) | instskip(NEXT) | instid1(VALU_DEP_4)
	v_lshlrev_b32_e32 v18, 2, v18
	v_add_nc_u32_e32 v2, v2, v17
	ds_swizzle_b32 v17, v2 offset:swizzle(BROADCAST,32,15)
	s_waitcnt lgkmcnt(0)
	v_and_b32_e32 v17, v11, v17
	s_delay_alu instid0(VALU_DEP_1) | instskip(SKIP_3) | instid1(VALU_DEP_1)
	v_add_nc_u32_e32 v2, v2, v17
	ds_bpermute_b32 v2, v18, v2
	s_waitcnt lgkmcnt(0)
	v_add_nc_u32_e32 v2, v2, v16
	v_cndmask_b32_e64 v2, v2, v14, s3
	ds_store_b32 v0, v2
	; wave barrier
	ds_load_2addr_b32 v[16:17], v0 offset0:1 offset1:2
	ds_load_2addr_b32 v[18:19], v0 offset0:3 offset1:4
	;; [unrolled: 1-line block ×3, first 2 shown]
	ds_load_b32 v22, v0 offset:28
	s_waitcnt lgkmcnt(3)
	v_add_nc_u32_e32 v2, v16, v2
	s_delay_alu instid0(VALU_DEP_1) | instskip(SKIP_1) | instid1(VALU_DEP_1)
	v_add_nc_u32_e32 v16, v17, v2
	s_waitcnt lgkmcnt(2)
	v_add_nc_u32_e32 v17, v18, v16
	s_delay_alu instid0(VALU_DEP_1) | instskip(SKIP_1) | instid1(VALU_DEP_1)
	v_add_nc_u32_e32 v18, v19, v17
	;; [unrolled: 4-line block ×3, first 2 shown]
	s_waitcnt lgkmcnt(0)
	v_add_nc_u32_e32 v21, v22, v20
	ds_store_2addr_b32 v0, v2, v16 offset0:1 offset1:2
	ds_store_2addr_b32 v0, v17, v18 offset0:3 offset1:4
	;; [unrolled: 1-line block ×3, first 2 shown]
	ds_store_b32 v0, v21 offset:28
.LBB32_32:                              ;   in Loop: Header=BB32_21 Depth=1
	s_or_b32 exec_lo, exec_lo, s17
	v_mov_b32_e32 v2, 0
	s_waitcnt lgkmcnt(0)
	s_barrier
	buffer_gl0_inv
	s_and_saveexec_b32 s17, s2
	s_cbranch_execz .LBB32_34
; %bb.33:                               ;   in Loop: Header=BB32_21 Depth=1
	ds_load_b32 v2, v9
.LBB32_34:                              ;   in Loop: Header=BB32_21 Depth=1
	s_or_b32 exec_lo, exec_lo, s17
	ds_load_b32 v16, v5 offset:1048
	s_mov_b32 s17, exec_lo
	s_waitcnt lgkmcnt(0)
	s_barrier
	buffer_gl0_inv
	v_cmpx_ne_u32_e32 0, v14
	s_cbranch_execz .LBB32_19
; %bb.35:                               ;   in Loop: Header=BB32_21 Depth=1
	v_add_nc_u32_e32 v2, v2, v6
	s_delay_alu instid0(VALU_DEP_1)
	v_cmp_gt_u32_e32 vcc_lo, s9, v2
	s_and_b32 exec_lo, exec_lo, vcc_lo
	s_cbranch_execz .LBB32_19
; %bb.36:                               ;   in Loop: Header=BB32_21 Depth=1
	v_mul_lo_u32 v17, v2, s10
	v_mov_b32_e32 v18, v5
	v_mul_lo_u32 v19, v2, s4
	v_mov_b32_e32 v20, v5
	v_mov_b32_e32 v2, v5
	s_delay_alu instid0(VALU_DEP_4) | instskip(NEXT) | instid1(VALU_DEP_3)
	v_lshlrev_b64 v[17:18], 2, v[17:18]
	v_lshlrev_b64 v[19:20], 3, v[19:20]
	s_delay_alu instid0(VALU_DEP_2) | instskip(NEXT) | instid1(VALU_DEP_3)
	v_add_co_u32 v17, vcc_lo, s7, v17
	v_add_co_ci_u32_e32 v18, vcc_lo, s12, v18, vcc_lo
	s_delay_alu instid0(VALU_DEP_3) | instskip(NEXT) | instid1(VALU_DEP_4)
	v_add_co_u32 v19, vcc_lo, s13, v19
	v_add_co_ci_u32_e32 v20, vcc_lo, s14, v20, vcc_lo
	global_store_b32 v[17:18], v13, off
	global_store_b64 v[19:20], v[1:2], off
	s_branch .LBB32_19
	.p2align	6
.LBB32_37:                              ;   in Loop: Header=BB32_38 Depth=1
	s_add_u32 s12, s12, 4
	s_addc_u32 s13, s13, 0
	s_waitcnt lgkmcnt(0)
	s_add_i32 s44, s9, s44
	s_add_u32 s14, s14, 4
	s_addc_u32 s15, s15, 0
	s_add_i32 s8, s8, 1
	s_delay_alu instid0(SALU_CYCLE_1)
	s_cmp_lt_u32 s8, s6
	s_cbranch_scc0 .LBB32_16
.LBB32_38:                              ; =>This Inner Loop Header: Depth=1
	s_load_b32 s9, s[12:13], 0x0
	s_cmp_ge_u32 s8, s7
	s_cbranch_scc1 .LBB32_37
; %bb.39:                               ;   in Loop: Header=BB32_38 Depth=1
	s_load_b32 s10, s[14:15], 0x0
	s_waitcnt lgkmcnt(0)
	s_add_i32 s23, s9, s23
	s_add_i32 s43, s10, s43
	s_branch .LBB32_37
.LBB32_40:
	s_nop 0
	s_sendmsg sendmsg(MSG_DEALLOC_VGPRS)
	s_endpgm
	.section	.rodata,"a",@progbits
	.p2align	6, 0x0
	.amdhsa_kernel _ZN2at6native6mbtopk10gatherTopKIijLi2EEEvNS_4cuda6detail10TensorInfoIKT_T0_EES8_S8_bjS8_NS5_IS6_S8_EES8_NS5_IlS8_EES8_jjPS6_PjSD_j
		.amdhsa_group_segment_fixed_size 1068
		.amdhsa_private_segment_fixed_size 0
		.amdhsa_kernarg_size 984
		.amdhsa_user_sgpr_count 13
		.amdhsa_user_sgpr_dispatch_ptr 0
		.amdhsa_user_sgpr_queue_ptr 0
		.amdhsa_user_sgpr_kernarg_segment_ptr 1
		.amdhsa_user_sgpr_dispatch_id 0
		.amdhsa_user_sgpr_private_segment_size 0
		.amdhsa_wavefront_size32 1
		.amdhsa_uses_dynamic_stack 0
		.amdhsa_enable_private_segment 0
		.amdhsa_system_sgpr_workgroup_id_x 1
		.amdhsa_system_sgpr_workgroup_id_y 1
		.amdhsa_system_sgpr_workgroup_id_z 1
		.amdhsa_system_sgpr_workgroup_info 0
		.amdhsa_system_vgpr_workitem_id 0
		.amdhsa_next_free_vgpr 24
		.amdhsa_next_free_sgpr 48
		.amdhsa_reserve_vcc 1
		.amdhsa_float_round_mode_32 0
		.amdhsa_float_round_mode_16_64 0
		.amdhsa_float_denorm_mode_32 3
		.amdhsa_float_denorm_mode_16_64 3
		.amdhsa_dx10_clamp 1
		.amdhsa_ieee_mode 1
		.amdhsa_fp16_overflow 0
		.amdhsa_workgroup_processor_mode 1
		.amdhsa_memory_ordered 1
		.amdhsa_forward_progress 0
		.amdhsa_shared_vgpr_count 0
		.amdhsa_exception_fp_ieee_invalid_op 0
		.amdhsa_exception_fp_denorm_src 0
		.amdhsa_exception_fp_ieee_div_zero 0
		.amdhsa_exception_fp_ieee_overflow 0
		.amdhsa_exception_fp_ieee_underflow 0
		.amdhsa_exception_fp_ieee_inexact 0
		.amdhsa_exception_int_div_zero 0
	.end_amdhsa_kernel
	.section	.text._ZN2at6native6mbtopk10gatherTopKIijLi2EEEvNS_4cuda6detail10TensorInfoIKT_T0_EES8_S8_bjS8_NS5_IS6_S8_EES8_NS5_IlS8_EES8_jjPS6_PjSD_j,"axG",@progbits,_ZN2at6native6mbtopk10gatherTopKIijLi2EEEvNS_4cuda6detail10TensorInfoIKT_T0_EES8_S8_bjS8_NS5_IS6_S8_EES8_NS5_IlS8_EES8_jjPS6_PjSD_j,comdat
.Lfunc_end32:
	.size	_ZN2at6native6mbtopk10gatherTopKIijLi2EEEvNS_4cuda6detail10TensorInfoIKT_T0_EES8_S8_bjS8_NS5_IS6_S8_EES8_NS5_IlS8_EES8_jjPS6_PjSD_j, .Lfunc_end32-_ZN2at6native6mbtopk10gatherTopKIijLi2EEEvNS_4cuda6detail10TensorInfoIKT_T0_EES8_S8_bjS8_NS5_IS6_S8_EES8_NS5_IlS8_EES8_jjPS6_PjSD_j
                                        ; -- End function
	.section	.AMDGPU.csdata,"",@progbits
; Kernel info:
; codeLenInByte = 2808
; NumSgprs: 50
; NumVgprs: 24
; ScratchSize: 0
; MemoryBound: 0
; FloatMode: 240
; IeeeMode: 1
; LDSByteSize: 1068 bytes/workgroup (compile time only)
; SGPRBlocks: 6
; VGPRBlocks: 2
; NumSGPRsForWavesPerEU: 50
; NumVGPRsForWavesPerEU: 24
; Occupancy: 16
; WaveLimiterHint : 1
; COMPUTE_PGM_RSRC2:SCRATCH_EN: 0
; COMPUTE_PGM_RSRC2:USER_SGPR: 13
; COMPUTE_PGM_RSRC2:TRAP_HANDLER: 0
; COMPUTE_PGM_RSRC2:TGID_X_EN: 1
; COMPUTE_PGM_RSRC2:TGID_Y_EN: 1
; COMPUTE_PGM_RSRC2:TGID_Z_EN: 1
; COMPUTE_PGM_RSRC2:TIDIG_COMP_CNT: 0
	.section	.text._ZN2at6native6sbtopk10gatherTopKIijLi2ELb0EEEvNS_4cuda6detail10TensorInfoIKT_T0_EES8_S8_bS8_S8_NS5_IS6_S8_EES8_NS5_IlS8_EES8_PS6_,"axG",@progbits,_ZN2at6native6sbtopk10gatherTopKIijLi2ELb0EEEvNS_4cuda6detail10TensorInfoIKT_T0_EES8_S8_bS8_S8_NS5_IS6_S8_EES8_NS5_IlS8_EES8_PS6_,comdat
	.protected	_ZN2at6native6sbtopk10gatherTopKIijLi2ELb0EEEvNS_4cuda6detail10TensorInfoIKT_T0_EES8_S8_bS8_S8_NS5_IS6_S8_EES8_NS5_IlS8_EES8_PS6_ ; -- Begin function _ZN2at6native6sbtopk10gatherTopKIijLi2ELb0EEEvNS_4cuda6detail10TensorInfoIKT_T0_EES8_S8_bS8_S8_NS5_IS6_S8_EES8_NS5_IlS8_EES8_PS6_
	.globl	_ZN2at6native6sbtopk10gatherTopKIijLi2ELb0EEEvNS_4cuda6detail10TensorInfoIKT_T0_EES8_S8_bS8_S8_NS5_IS6_S8_EES8_NS5_IlS8_EES8_PS6_
	.p2align	8
	.type	_ZN2at6native6sbtopk10gatherTopKIijLi2ELb0EEEvNS_4cuda6detail10TensorInfoIKT_T0_EES8_S8_bS8_S8_NS5_IS6_S8_EES8_NS5_IlS8_EES8_PS6_,@function
_ZN2at6native6sbtopk10gatherTopKIijLi2ELb0EEEvNS_4cuda6detail10TensorInfoIKT_T0_EES8_S8_bS8_S8_NS5_IS6_S8_EES8_NS5_IlS8_EES8_PS6_: ; @_ZN2at6native6sbtopk10gatherTopKIijLi2ELb0EEEvNS_4cuda6detail10TensorInfoIKT_T0_EES8_S8_bS8_S8_NS5_IS6_S8_EES8_NS5_IlS8_EES8_PS6_
; %bb.0:
	s_clause 0x1
	s_load_b64 s[4:5], s[0:1], 0x2b8
	s_load_b128 s[36:39], s[0:1], 0xd8
	s_add_u32 s6, s0, 0x2b8
	s_addc_u32 s7, s1, 0
	s_waitcnt lgkmcnt(0)
	s_mul_i32 s2, s5, s15
	s_delay_alu instid0(SALU_CYCLE_1) | instskip(NEXT) | instid1(SALU_CYCLE_1)
	s_add_i32 s2, s2, s14
	s_mul_i32 s49, s2, s4
	s_delay_alu instid0(SALU_CYCLE_1) | instskip(NEXT) | instid1(SALU_CYCLE_1)
	s_add_i32 s49, s49, s13
	s_cmp_ge_u32 s49, s39
	s_cbranch_scc1 .LBB33_466
; %bb.1:
	s_clause 0x9
	s_load_b32 s10, s[0:1], 0xc
	s_load_b32 s51, s[0:1], 0xfc
	;; [unrolled: 1-line block ×3, first 2 shown]
	s_load_b64 s[30:31], s[0:1], 0xf0
	s_load_b64 s[42:43], s[0:1], 0x23c
	;; [unrolled: 1-line block ×4, first 2 shown]
	s_load_b32 s34, s[0:1], 0xe8
	s_load_b64 s[2:3], s[0:1], 0x6c
	s_load_b64 s[8:9], s[0:1], 0x0
	v_cmp_eq_u32_e64 s5, 0, v0
	s_mov_b32 s47, 0
	s_waitcnt lgkmcnt(0)
	v_cvt_f32_u32_e32 v1, s10
	v_cvt_f32_u32_e32 v2, s51
	;; [unrolled: 1-line block ×3, first 2 shown]
	s_sub_i32 s11, 0, s10
	s_sub_i32 s16, 0, s51
	v_rcp_iflag_f32_e32 v1, v1
	v_rcp_iflag_f32_e32 v2, v2
	;; [unrolled: 1-line block ×3, first 2 shown]
	s_sub_i32 s17, 0, s50
	s_waitcnt_depctr 0xfff
	v_dual_mul_f32 v1, 0x4f7ffffe, v1 :: v_dual_mul_f32 v2, 0x4f7ffffe, v2
	v_mul_f32_e32 v3, 0x4f7ffffe, v3
	s_delay_alu instid0(VALU_DEP_2) | instskip(NEXT) | instid1(VALU_DEP_3)
	v_cvt_u32_f32_e32 v1, v1
	v_cvt_u32_f32_e32 v2, v2
	s_delay_alu instid0(VALU_DEP_3) | instskip(NEXT) | instid1(VALU_DEP_3)
	v_cvt_u32_f32_e32 v3, v3
	v_readfirstlane_b32 s12, v1
	s_delay_alu instid0(VALU_DEP_3) | instskip(NEXT) | instid1(VALU_DEP_3)
	v_readfirstlane_b32 s14, v2
	v_readfirstlane_b32 s15, v3
	s_delay_alu instid0(VALU_DEP_3) | instskip(NEXT) | instid1(VALU_DEP_2)
	s_mul_i32 s11, s11, s12
	s_mul_i32 s16, s16, s14
	s_delay_alu instid0(VALU_DEP_1)
	s_mul_i32 s17, s17, s15
	s_mul_hi_u32 s11, s12, s11
	s_mul_hi_u32 s16, s14, s16
	;; [unrolled: 1-line block ×3, first 2 shown]
	s_add_i32 s12, s12, s11
	s_add_i32 s14, s14, s16
	;; [unrolled: 1-line block ×3, first 2 shown]
	s_mul_hi_u32 s11, s49, s12
	s_mul_hi_u32 s53, s49, s14
	;; [unrolled: 1-line block ×3, first 2 shown]
	s_and_saveexec_b32 s12, s5
	s_cbranch_execz .LBB33_3
; %bb.2:
	v_dual_mov_b32 v1, 0 :: v_dual_mov_b32 v2, s36
	s_delay_alu instid0(VALU_DEP_1)
	v_mov_b32_e32 v3, v1
	ds_store_b96 v1, v[1:3] offset:4096
.LBB33_3:
	s_or_b32 exec_lo, exec_lo, s12
	s_mul_i32 s12, s11, s10
	s_add_i32 s14, s11, 1
	s_sub_i32 s12, s49, s12
	s_waitcnt lgkmcnt(0)
	s_sub_i32 s15, s12, s10
	s_cmp_ge_u32 s12, s10
	s_barrier
	s_cselect_b32 s11, s14, s11
	s_cselect_b32 s12, s15, s12
	buffer_gl0_inv
	s_load_b32 s15, s[6:7], 0xc
	s_add_i32 s14, s11, 1
	s_cmp_ge_u32 s12, s10
	v_mbcnt_lo_u32_b32 v17, -1, 0
	s_cselect_b32 s11, s14, s11
	v_cmp_gt_u32_e32 vcc_lo, 32, v0
	s_mul_i32 s10, s11, s10
	s_mul_i32 s2, s11, s2
	s_sub_i32 s10, s49, s10
	v_mul_lo_u32 v9, v0, s34
	s_mul_i32 s10, s10, s3
	v_dual_mov_b32 v29, 0 :: v_dual_lshlrev_b32 v26, 4, v0
	s_add_i32 s46, s2, s10
	v_cmp_gt_i32_e64 s2, 4, v17
	s_lshl_b64 s[10:11], s[46:47], 2
	v_lshl_or_b32 v27, v17, 2, 0xc00
	s_add_u32 s33, s8, s10
	s_addc_u32 s35, s9, s11
	s_bitcmp1_b32 s38, 0
	v_dual_mov_b32 v15, 0 :: v_dual_lshlrev_b32 v24, 2, v9
	s_cselect_b32 s3, -1, 0
	s_waitcnt lgkmcnt(0)
	s_and_b32 s46, s15, 0xffff
	s_bfe_u32 s8, s15, 0xb0005
	s_lshl_b32 s55, s46, 2
	s_and_b32 s54, vcc_lo, s2
	v_cvt_f32_u32_e32 v1, s55
	s_xor_b32 s56, s3, -1
	s_cmpk_gt_u32 s36, 0x300
	v_cvt_f32_u32_e32 v2, s46
	s_cselect_b32 s57, -1, 0
	v_rcp_iflag_f32_e32 v1, v1
	s_cmp_gt_u32 s46, 31
	v_lshlrev_b32_e32 v18, 2, v0
	s_cselect_b32 s58, -1, 0
	s_add_i32 s59, s46, -1
	v_mov_b32_e32 v30, s37
	s_add_i32 s9, s59, s36
	s_cmp_lt_u32 s13, s4
	v_mov_b32_e32 v28, 0
	s_cselect_b32 s2, 12, 18
	s_waitcnt_depctr 0xfff
	v_mul_f32_e32 v1, 0x4f7ffffe, v1
	s_add_u32 s38, s6, s2
	s_addc_u32 s39, s7, 0
	s_add_i32 s2, s8, -1
	s_bfe_u32 s60, s46, 0x30005
	v_cvt_u32_f32_e32 v1, v1
	s_cmp_gt_u32 s2, 6
	v_mad_u64_u32 v[12:13], null, s34, v18, s[34:35]
	s_cselect_b32 s61, -1, 0
	s_and_b32 s62, s8, 0x7f8
	v_readfirstlane_b32 s2, v1
	s_cmp_lg_u32 s60, 0
	v_rcp_iflag_f32_e32 v1, v2
	s_cselect_b32 s63, -1, 0
	s_sub_i32 s4, 0, s55
	v_mov_b32_e32 v8, 0
	s_mul_i32 s6, s4, s2
	v_cmp_gt_u32_e64 s4, s36, v0
	s_mul_hi_u32 s6, s2, s6
	v_add_nc_u32_e32 v21, 0xc00, v18
	s_add_i32 s64, s2, s6
	v_cmp_eq_u32_e64 s2, 0, v17
	s_mul_hi_u32 s6, s36, s64
	s_waitcnt_depctr 0xfff
	v_mul_f32_e32 v3, 0x4f7ffffe, v1
	s_mul_i32 s6, s6, s55
	s_mul_i32 s48, s34, s46
	s_sub_i32 s6, s36, s6
	s_mov_b32 s76, 30
	s_sub_i32 s7, s6, s55
	s_cmp_ge_u32 s6, s55
	v_cvt_u32_f32_e32 v3, v3
	s_cselect_b32 s6, s7, s6
	s_mov_b32 s71, 0
	s_sub_i32 s7, s6, s55
	s_cmp_ge_u32 s6, s55
	v_readfirstlane_b32 s8, v3
	s_cselect_b32 s10, s7, s6
	s_sub_i32 s6, 0, s46
	s_sub_i32 s65, s36, s10
	s_delay_alu instid0(SALU_CYCLE_1) | instskip(SKIP_3) | instid1(VALU_DEP_2)
	v_dual_mov_b32 v10, v8 :: v_dual_add_nc_u32 v19, s65, v0
	s_mul_i32 s6, s6, s8
	v_or_b32_e32 v3, 3, v18
	s_mul_hi_u32 s6, s8, s6
	v_lshlrev_b64 v[1:2], 2, v[9:10]
	v_mul_lo_u32 v7, v19, s34
	s_add_i32 s66, s8, s6
	v_mul_lo_u32 v23, s34, v3
	s_mul_hi_u32 s6, s9, s66
	v_mov_b32_e32 v13, 1
	v_add_co_u32 v5, vcc_lo, s33, v1
	v_lshrrev_b32_e32 v1, 3, v0
	v_add_co_ci_u32_e32 v6, vcc_lo, s35, v2, vcc_lo
	s_mul_i32 s7, s6, s46
	v_cmp_gt_u32_e64 s6, 2, v0
	s_delay_alu instid0(VALU_DEP_3) | instskip(SKIP_2) | instid1(SALU_CYCLE_1)
	v_and_b32_e32 v20, 0x7c, v1
	v_lshlrev_b64 v[1:2], v17, -1
	s_sub_i32 s7, s9, s7
                                        ; implicit-def: $sgpr70
                                        ; implicit-def: $sgpr74
                                        ; implicit-def: $sgpr73
                                        ; implicit-def: $sgpr75
                                        ; implicit-def: $sgpr72
                                        ; implicit-def: $sgpr77
                                        ; implicit-def: $sgpr79
                                        ; implicit-def: $sgpr78
                                        ; implicit-def: $sgpr80
                                        ; implicit-def: $sgpr81
	s_sub_i32 s8, s7, s46
	s_cmp_ge_u32 s7, s46
	s_delay_alu instid0(VALU_DEP_1)
	v_not_b32_e32 v16, v1
	v_lshlrev_b64 v[1:2], 2, v[7:8]
	s_cselect_b32 s8, s8, s7
	v_cmp_gt_u32_e64 s7, s65, v18
	s_sub_i32 s11, s8, s46
	s_cmp_ge_u32 s8, s46
	s_delay_alu instid0(VALU_DEP_2) | instskip(SKIP_4) | instid1(VALU_DEP_3)
	v_add_co_u32 v10, vcc_lo, s33, v1
	v_add3_u32 v1, s46, s36, v0
	v_add_co_ci_u32_e32 v11, vcc_lo, s35, v2, vcc_lo
	v_or_b32_e32 v2, 2, v18
	s_cselect_b32 s11, s11, s8
	v_subrev_nc_u32_e32 v1, s10, v1
	s_sub_i32 s67, s9, s11
	v_cmp_gt_u32_e64 s8, s36, v19
	v_mul_lo_u32 v22, s34, v2
	v_cmp_gt_u32_e64 s9, s67, v0
	v_mul_lo_u32 v25, s34, v1
	s_lshl_b32 s68, s48, 2
	s_lshl_b32 s69, s46, 4
	s_branch .LBB33_6
.LBB33_4:                               ;   in Loop: Header=BB33_6 Depth=1
	s_or_b32 exec_lo, exec_lo, s13
	v_dual_mov_b32 v28, v4 :: v_dual_mov_b32 v29, v3
	v_dual_mov_b32 v30, v31 :: v_dual_mov_b32 v15, v2
	s_and_not1_b32 s13, s81, exec_lo
	s_and_b32 s12, s12, exec_lo
	s_and_not1_b32 s80, s80, exec_lo
	s_or_b32 s81, s13, s12
	s_and_not1_b32 s78, s78, exec_lo
	s_and_not1_b32 s79, s79, exec_lo
	;; [unrolled: 1-line block ×3, first 2 shown]
	s_or_not1_b32 s12, s11, exec_lo
.LBB33_5:                               ;   in Loop: Header=BB33_6 Depth=1
	s_or_b32 exec_lo, exec_lo, s10
	s_delay_alu instid0(SALU_CYCLE_1) | instskip(NEXT) | instid1(SALU_CYCLE_1)
	s_and_b32 s10, exec_lo, s12
	s_or_b32 s47, s10, s47
	s_and_not1_b32 s10, s72, exec_lo
	s_and_b32 s11, s81, exec_lo
	s_and_not1_b32 s12, s75, exec_lo
	s_or_b32 s72, s10, s11
	s_and_b32 s10, s80, exec_lo
	s_and_not1_b32 s11, s73, exec_lo
	s_and_b32 s13, s78, exec_lo
	s_or_b32 s75, s12, s10
	s_or_b32 s73, s11, s13
	s_and_not1_b32 s10, s74, exec_lo
	s_and_b32 s11, s79, exec_lo
	s_and_not1_b32 s12, s70, exec_lo
	s_and_b32 s13, s77, exec_lo
	s_or_b32 s74, s10, s11
	s_or_b32 s70, s12, s13
	s_and_not1_b32 exec_lo, exec_lo, s47
	s_cbranch_execz .LBB33_406
.LBB33_6:                               ; =>This Loop Header: Depth=1
                                        ;     Child Loop BB33_14 Depth 2
                                        ;     Child Loop BB33_29 Depth 2
	;; [unrolled: 1-line block ×24, first 2 shown]
	ds_load_b64 v[1:2], v8 offset:4096
	s_waitcnt lgkmcnt(0)
	v_readfirstlane_b32 s82, v1
	s_delay_alu instid0(VALU_DEP_1)
	s_cmp_lg_u32 s82, 0
	s_cbranch_scc1 .LBB33_36
; %bb.7:                                ;   in Loop: Header=BB33_6 Depth=1
	s_and_b32 vcc_lo, exec_lo, s57
	s_cbranch_vccz .LBB33_22
; %bb.8:                                ;   in Loop: Header=BB33_6 Depth=1
	v_cmp_gt_u32_e32 vcc_lo, 0x301, v2
	s_mov_b32 s82, 0
	s_mov_b32 s10, 0
	s_cbranch_vccz .LBB33_23
; %bb.9:                                ;   in Loop: Header=BB33_6 Depth=1
	v_mov_b32_e32 v1, 0
	s_and_saveexec_b32 s10, s4
	s_cbranch_execz .LBB33_11
; %bb.10:                               ;   in Loop: Header=BB33_6 Depth=1
	global_load_b32 v1, v[5:6], off
.LBB33_11:                              ;   in Loop: Header=BB33_6 Depth=1
	s_or_b32 exec_lo, exec_lo, s10
	s_and_saveexec_b32 s12, s4
	s_cbranch_execz .LBB33_87
; %bb.12:                               ;   in Loop: Header=BB33_6 Depth=1
	global_load_u16 v2, v8, s[38:39]
	v_mov_b32_e32 v4, v0
	s_mov_b32 s13, 0
	s_waitcnt vmcnt(0)
	v_add_nc_u32_e32 v3, v0, v2
	s_delay_alu instid0(VALU_DEP_1)
	v_mul_lo_u32 v7, s34, v3
	v_mul_lo_u32 v3, s34, v2
	s_branch .LBB33_14
.LBB33_13:                              ;   in Loop: Header=BB33_14 Depth=2
	s_or_b32 exec_lo, exec_lo, s11
	v_add_nc_u32_e32 v7, v7, v3
	s_waitcnt vmcnt(0)
	v_mov_b32_e32 v1, v14
	s_and_not1_b32 exec_lo, exec_lo, s13
	s_cbranch_execz .LBB33_87
.LBB33_14:                              ;   Parent Loop BB33_6 Depth=1
                                        ; =>  This Inner Loop Header: Depth=2
	s_waitcnt lgkmcnt(0)
	v_dual_mov_b32 v31, 0 :: v_dual_add_nc_u32 v4, v4, v2
	v_mov_b32_e32 v14, 0
	s_mov_b32 s11, exec_lo
	s_delay_alu instid0(VALU_DEP_2)
	v_cmp_le_u32_e32 vcc_lo, s36, v4
	v_cmpx_gt_u32_e64 s36, v4
	s_cbranch_execz .LBB33_16
; %bb.15:                               ;   in Loop: Header=BB33_14 Depth=2
	v_lshlrev_b64 v[32:33], 2, v[7:8]
	s_delay_alu instid0(VALU_DEP_1) | instskip(NEXT) | instid1(VALU_DEP_1)
	v_add_co_u32 v32, s10, s33, v32
	v_add_co_ci_u32_e64 v33, s10, s35, v33, s10
	global_load_b32 v14, v[32:33], off
.LBB33_16:                              ;   in Loop: Header=BB33_14 Depth=2
	s_or_b32 exec_lo, exec_lo, s11
	v_xor_b32_e32 v32, 0x80000000, v1
	s_delay_alu instid0(VALU_DEP_1) | instskip(NEXT) | instid1(VALU_DEP_1)
	v_and_b32_e32 v32, v32, v28
	v_cmp_eq_u32_e64 s10, v32, v29
	s_delay_alu instid0(VALU_DEP_1) | instskip(SKIP_1) | instid1(SALU_CYCLE_1)
	s_cmp_lg_u32 s10, 0
	s_cselect_b32 s11, -1, 0
	s_and_b32 s11, s2, s11
	s_delay_alu instid0(SALU_CYCLE_1)
	s_and_saveexec_b32 s14, s11
	s_cbranch_execz .LBB33_20
; %bb.17:                               ;   in Loop: Header=BB33_14 Depth=2
	s_mov_b32 s17, exec_lo
	s_bcnt1_i32_b32 s15, s10
	v_mbcnt_lo_u32_b32 v31, s17, 0
	s_mov_b32 s16, exec_lo
                                        ; implicit-def: $vgpr32
	s_delay_alu instid0(VALU_DEP_1)
	v_cmpx_eq_u32_e32 0, v31
	s_cbranch_execz .LBB33_19
; %bb.18:                               ;   in Loop: Header=BB33_14 Depth=2
	s_bcnt1_i32_b32 s11, s17
	s_delay_alu instid0(SALU_CYCLE_1) | instskip(NEXT) | instid1(SALU_CYCLE_1)
	s_mul_i32 s11, s15, s11
	v_mov_b32_e32 v32, s11
	ds_add_rtn_u32 v32, v8, v32 offset:4104
.LBB33_19:                              ;   in Loop: Header=BB33_14 Depth=2
	s_or_b32 exec_lo, exec_lo, s16
	s_waitcnt lgkmcnt(0)
	v_readfirstlane_b32 s11, v32
	s_delay_alu instid0(VALU_DEP_1)
	v_mad_u32_u24 v31, s15, v31, s11
.LBB33_20:                              ;   in Loop: Header=BB33_14 Depth=2
	s_or_b32 exec_lo, exec_lo, s14
	ds_bpermute_b32 v31, v8, v31
	s_and_b32 s11, exec_lo, vcc_lo
	s_delay_alu instid0(SALU_CYCLE_1)
	s_or_b32 s13, s11, s13
	s_and_saveexec_b32 s11, s10
	s_cbranch_execz .LBB33_13
; %bb.21:                               ;   in Loop: Header=BB33_14 Depth=2
	v_and_b32_e32 v32, s10, v16
	s_delay_alu instid0(VALU_DEP_1) | instskip(NEXT) | instid1(VALU_DEP_1)
	v_bcnt_u32_b32 v32, v32, 0
	v_lshlrev_b32_e32 v32, 2, v32
	s_waitcnt lgkmcnt(0)
	s_delay_alu instid0(VALU_DEP_1)
	v_lshl_add_u32 v31, v31, 2, v32
	ds_store_b32 v31, v1
	s_branch .LBB33_13
.LBB33_22:                              ;   in Loop: Header=BB33_6 Depth=1
	s_mov_b32 s82, -1
	s_mov_b32 s10, 0
.LBB33_23:                              ;   in Loop: Header=BB33_6 Depth=1
	s_and_b32 vcc_lo, exec_lo, s82
	s_cbranch_vccz .LBB33_34
.LBB33_24:                              ;   in Loop: Header=BB33_6 Depth=1
	v_mov_b32_e32 v1, 0
	s_and_saveexec_b32 s10, s4
	s_cbranch_execz .LBB33_26
; %bb.25:                               ;   in Loop: Header=BB33_6 Depth=1
	global_load_b32 v1, v[5:6], off
.LBB33_26:                              ;   in Loop: Header=BB33_6 Depth=1
	s_or_b32 exec_lo, exec_lo, s10
	s_and_saveexec_b32 s11, s4
	s_cbranch_execz .LBB33_31
; %bb.27:                               ;   in Loop: Header=BB33_6 Depth=1
	global_load_u16 v2, v8, s[38:39]
	s_mov_b32 s12, 0
	v_dual_mov_b32 v14, v18 :: v_dual_mov_b32 v31, v0
	s_waitcnt vmcnt(0)
	v_add_nc_u32_e32 v3, v0, v2
	v_lshlrev_b32_e32 v4, 2, v2
	s_delay_alu instid0(VALU_DEP_2)
	v_mul_lo_u32 v7, s34, v3
	v_mul_lo_u32 v3, s34, v2
	s_set_inst_prefetch_distance 0x1
	s_branch .LBB33_29
	.p2align	6
.LBB33_28:                              ;   in Loop: Header=BB33_29 Depth=2
	s_or_b32 exec_lo, exec_lo, s13
	ds_store_b32 v14, v1
	s_waitcnt vmcnt(0)
	v_dual_mov_b32 v1, v32 :: v_dual_add_nc_u32 v14, v14, v4
	v_add_nc_u32_e32 v7, v7, v3
	s_and_b32 s10, exec_lo, vcc_lo
	s_delay_alu instid0(SALU_CYCLE_1) | instskip(NEXT) | instid1(SALU_CYCLE_1)
	s_or_b32 s12, s10, s12
	s_and_not1_b32 exec_lo, exec_lo, s12
	s_cbranch_execz .LBB33_31
.LBB33_29:                              ;   Parent Loop BB33_6 Depth=1
                                        ; =>  This Inner Loop Header: Depth=2
	v_dual_mov_b32 v32, 0 :: v_dual_add_nc_u32 v31, v31, v2
	s_mov_b32 s13, exec_lo
	s_delay_alu instid0(VALU_DEP_1)
	v_cmp_le_u32_e32 vcc_lo, s36, v31
	v_cmpx_gt_u32_e64 s36, v31
	s_cbranch_execz .LBB33_28
; %bb.30:                               ;   in Loop: Header=BB33_29 Depth=2
	v_lshlrev_b64 v[32:33], 2, v[7:8]
	s_delay_alu instid0(VALU_DEP_1) | instskip(NEXT) | instid1(VALU_DEP_1)
	v_add_co_u32 v32, s10, s33, v32
	v_add_co_ci_u32_e64 v33, s10, s35, v33, s10
	global_load_b32 v32, v[32:33], off
	s_branch .LBB33_28
.LBB33_31:                              ;   in Loop: Header=BB33_6 Depth=1
	s_set_inst_prefetch_distance 0x2
	s_or_b32 exec_lo, exec_lo, s11
	s_waitcnt vmcnt(0) lgkmcnt(0)
	s_barrier
	buffer_gl0_inv
	s_and_saveexec_b32 s10, s5
	s_cbranch_execz .LBB33_33
; %bb.32:                               ;   in Loop: Header=BB33_6 Depth=1
	v_mov_b32_e32 v1, s36
	ds_store_b32 v8, v1 offset:4096
.LBB33_33:                              ;   in Loop: Header=BB33_6 Depth=1
	s_or_b32 exec_lo, exec_lo, s10
	s_mov_b32 s10, -1
	s_waitcnt lgkmcnt(0)
	s_barrier
                                        ; implicit-def: $sgpr82
.LBB33_34:                              ;   in Loop: Header=BB33_6 Depth=1
	s_and_b32 vcc_lo, exec_lo, s10
	s_cbranch_vccz .LBB33_36
; %bb.35:                               ;   in Loop: Header=BB33_6 Depth=1
	buffer_gl0_inv
	ds_load_b32 v1, v8 offset:4096
	s_waitcnt lgkmcnt(0)
	v_readfirstlane_b32 s82, v1
.LBB33_36:                              ;   in Loop: Header=BB33_6 Depth=1
	s_delay_alu instid0(VALU_DEP_1)
	s_cmp_lt_i32 s82, 1
	s_cbranch_scc0 .LBB33_40
; %bb.37:                               ;   in Loop: Header=BB33_6 Depth=1
	v_dual_mov_b32 v1, 0 :: v_dual_mov_b32 v2, 0
	v_dual_mov_b32 v3, 0 :: v_dual_mov_b32 v4, 0
	s_mov_b32 s22, 0
	s_and_saveexec_b32 s21, s7
	s_cbranch_execnz .LBB33_41
; %bb.38:                               ;   in Loop: Header=BB33_6 Depth=1
	s_or_b32 exec_lo, exec_lo, s21
	v_mov_b32_e32 v31, 0
	s_and_saveexec_b32 s10, s8
	s_cbranch_execnz .LBB33_44
.LBB33_39:                              ;   in Loop: Header=BB33_6 Depth=1
	s_or_b32 exec_lo, exec_lo, s10
	s_and_saveexec_b32 s14, s8
	s_cbranch_execnz .LBB33_45
	s_branch .LBB33_50
.LBB33_40:                              ;   in Loop: Header=BB33_6 Depth=1
                                        ; implicit-def: $vgpr4
	s_cbranch_execnz .LBB33_51
	s_branch .LBB33_60
.LBB33_41:                              ;   in Loop: Header=BB33_6 Depth=1
	v_mov_b32_e32 v14, v18
	s_and_b32 s23, s76, 0xfe
	s_mov_b32 s24, 0
	s_mov_b32 s25, 0
	;; [unrolled: 1-line block ×5, first 2 shown]
.LBB33_42:                              ;   Parent Loop BB33_6 Depth=1
                                        ; =>  This Inner Loop Header: Depth=2
	v_add_nc_u32_e32 v7, s24, v24
	s_delay_alu instid0(VALU_DEP_1) | instskip(SKIP_1) | instid1(VALU_DEP_1)
	v_lshlrev_b64 v[1:2], 2, v[7:8]
	v_add_nc_u32_e32 v7, s24, v12
	v_lshlrev_b64 v[3:4], 2, v[7:8]
	v_add_nc_u32_e32 v7, s24, v22
	s_delay_alu instid0(VALU_DEP_4) | instskip(SKIP_1) | instid1(VALU_DEP_3)
	v_add_co_u32 v1, vcc_lo, s33, v1
	v_add_co_ci_u32_e32 v2, vcc_lo, s35, v2, vcc_lo
	v_lshlrev_b64 v[31:32], 2, v[7:8]
	v_add_nc_u32_e32 v7, s24, v23
	s_add_i32 s24, s24, s68
	global_load_b32 v33, v[1:2], off
	v_add_co_u32 v1, vcc_lo, s33, v3
	v_add_co_ci_u32_e32 v2, vcc_lo, s35, v4, vcc_lo
	v_add_co_u32 v31, vcc_lo, s33, v31
	v_lshlrev_b64 v[3:4], 2, v[7:8]
	v_add_co_ci_u32_e32 v32, vcc_lo, s35, v32, vcc_lo
	s_clause 0x1
	global_load_b32 v7, v[1:2], off
	global_load_b32 v31, v[31:32], off
	v_add_co_u32 v1, vcc_lo, s33, v3
	v_add_co_ci_u32_e32 v2, vcc_lo, s35, v4, vcc_lo
	global_load_b32 v1, v[1:2], off
	s_waitcnt vmcnt(3)
	v_xor_b32_e32 v2, 0x80000000, v33
	s_delay_alu instid0(VALU_DEP_1) | instskip(SKIP_1) | instid1(VALU_DEP_2)
	v_and_b32_e32 v3, v2, v28
	v_bfe_u32 v2, v2, s23, 2
	v_cmp_eq_u32_e64 s10, v3, v29
	s_waitcnt vmcnt(2)
	v_xor_b32_e32 v4, 0x80000000, v7
	s_delay_alu instid0(VALU_DEP_3)
	v_cmp_eq_u32_e64 s11, 0, v2
	s_waitcnt vmcnt(1)
	v_xor_b32_e32 v7, 0x80000000, v31
	v_cmp_eq_u32_e64 s12, 1, v2
	v_cmp_eq_u32_e64 s13, 2, v2
	v_and_b32_e32 v3, v4, v28
	v_bfe_u32 v4, v4, s23, 2
	v_cmp_eq_u32_e64 s14, 3, v2
	s_and_b32 s11, s10, s11
	s_waitcnt vmcnt(0)
	v_xor_b32_e32 v1, 0x80000000, v1
	v_cmp_eq_u32_e64 s15, v3, v29
	v_and_b32_e32 v2, v7, v28
	v_bfe_u32 v3, v7, s23, 2
	v_cmp_eq_u32_e64 s16, 0, v4
	v_cndmask_b32_e64 v7, 0, 1, s11
	v_cmp_eq_u32_e64 s11, 1, v4
	s_and_b32 s12, s10, s12
	s_and_b32 s13, s10, s13
	v_cndmask_b32_e64 v31, 0, 1, s12
	v_cmp_eq_u32_e64 s12, 2, v4
	v_cndmask_b32_e64 v32, 0, 1, s13
	v_cmp_eq_u32_e64 s13, 3, v4
	s_and_b32 s10, s10, s14
	v_cmp_eq_u32_e64 s14, 0, v3
	v_cndmask_b32_e64 v4, 0, 1, s10
	v_cmp_eq_u32_e64 s10, v2, v29
	v_and_b32_e32 v2, v1, v28
	v_bfe_u32 v1, v1, s23, 2
	s_and_b32 s16, s15, s16
	s_and_b32 s11, s15, s11
	v_cmp_ne_u32_e64 s17, 0, v7
	v_cndmask_b32_e64 v7, 0, 1, s16
	v_cmp_eq_u32_e64 s16, 1, v3
	v_cmp_ne_u32_e64 s18, 0, v31
	v_cndmask_b32_e64 v31, 0, 1, s11
	v_cmp_eq_u32_e64 s11, 2, v3
	s_and_b32 s12, s15, s12
	s_and_b32 s13, s15, s13
	v_cmp_ne_u32_e64 s19, 0, v32
	v_cndmask_b32_e64 v32, 0, 1, s12
	v_cmp_eq_u32_e64 s12, 3, v3
	v_cndmask_b32_e64 v3, 0, 1, s13
	v_cmp_eq_u32_e64 s13, v2, v29
	v_cmp_eq_u32_e64 s15, 0, v1
	s_and_b32 s14, s10, s14
	v_cmp_ne_u32_e64 s20, 0, v4
	v_cndmask_b32_e64 v2, 0, 1, s14
	s_and_b32 s16, s10, s16
	s_and_b32 s11, s10, s11
	s_bcnt1_i32_b32 s29, s17
	v_cmp_ne_u32_e64 s17, 0, v7
	v_cmp_eq_u32_e64 s14, 1, v1
	v_cndmask_b32_e64 v4, 0, 1, s16
	v_cmp_eq_u32_e64 s16, 2, v1
	v_cndmask_b32_e64 v7, 0, 1, s11
	v_cmp_eq_u32_e64 s11, 3, v1
	s_and_b32 s10, s10, s12
	s_and_b32 s12, s13, s15
	s_bcnt1_i32_b32 s85, s20
	v_cmp_ne_u32_e64 s20, 0, v3
	v_cndmask_b32_e64 v1, 0, 1, s10
	v_cmp_ne_u32_e64 s10, 0, v2
	v_cndmask_b32_e64 v2, 0, 1, s12
	s_and_b32 s14, s13, s14
	s_and_b32 s15, s13, s16
	;; [unrolled: 1-line block ×3, first 2 shown]
	v_cmp_ne_u32_e64 s12, 0, v4
	v_cndmask_b32_e64 v3, 0, 1, s14
	v_cndmask_b32_e64 v4, 0, 1, s15
	s_bcnt1_i32_b32 s16, s20
	v_cmp_ne_u32_e64 s15, 0, v1
	v_cndmask_b32_e64 v1, 0, 1, s11
	s_bcnt1_i32_b32 s20, s10
	v_cmp_ne_u32_e64 s10, 0, v2
	s_bcnt1_i32_b32 s83, s18
	v_cmp_ne_u32_e64 s18, 0, v31
	;; [unrolled: 2-line block ×3, first 2 shown]
	s_add_i32 s28, s29, s28
	s_bcnt1_i32_b32 s17, s17
	s_add_i32 s25, s85, s25
	v_cmp_ne_u32_e64 s14, 0, v7
	s_add_i32 s17, s28, s17
	s_add_i32 s16, s25, s16
	s_bcnt1_i32_b32 s25, s12
	v_cmp_ne_u32_e64 s11, 0, v3
	v_cmp_ne_u32_e64 s12, 0, v4
	;; [unrolled: 1-line block ×3, first 2 shown]
	s_add_i32 s17, s17, s20
	s_bcnt1_i32_b32 s10, s10
	s_add_i32 s27, s83, s27
	s_add_i32 s26, s84, s26
	s_bcnt1_i32_b32 s18, s18
	s_bcnt1_i32_b32 s19, s19
	s_add_i32 s28, s17, s10
	s_delay_alu instid0(SALU_CYCLE_1)
	v_dual_mov_b32 v1, s28 :: v_dual_add_nc_u32 v14, s55, v14
	s_add_i32 s18, s27, s18
	s_add_i32 s19, s26, s19
	s_bcnt1_i32_b32 s14, s14
	s_bcnt1_i32_b32 s15, s15
	s_add_i32 s18, s18, s25
	s_add_i32 s14, s19, s14
	;; [unrolled: 1-line block ×3, first 2 shown]
	s_bcnt1_i32_b32 s11, s11
	s_bcnt1_i32_b32 s12, s12
	;; [unrolled: 1-line block ×3, first 2 shown]
	v_cmp_le_u32_e32 vcc_lo, s65, v14
	s_add_i32 s27, s18, s11
	s_add_i32 s26, s14, s12
	;; [unrolled: 1-line block ×3, first 2 shown]
	v_dual_mov_b32 v2, s27 :: v_dual_mov_b32 v3, s26
	v_mov_b32_e32 v4, s25
	s_or_b32 s22, vcc_lo, s22
	s_delay_alu instid0(SALU_CYCLE_1)
	s_and_not1_b32 exec_lo, exec_lo, s22
	s_cbranch_execnz .LBB33_42
; %bb.43:                               ;   in Loop: Header=BB33_6 Depth=1
	s_or_b32 exec_lo, exec_lo, s22
	s_delay_alu instid0(SALU_CYCLE_1)
	s_or_b32 exec_lo, exec_lo, s21
	v_mov_b32_e32 v31, 0
	s_and_saveexec_b32 s10, s8
	s_cbranch_execz .LBB33_39
.LBB33_44:                              ;   in Loop: Header=BB33_6 Depth=1
	global_load_b32 v31, v[10:11], off
	s_or_b32 exec_lo, exec_lo, s10
	s_and_saveexec_b32 s14, s8
	s_cbranch_execz .LBB33_50
.LBB33_45:                              ;   in Loop: Header=BB33_6 Depth=1
	v_dual_mov_b32 v7, v25 :: v_dual_mov_b32 v14, v19
	s_and_b32 s16, s76, 0xfe
	s_mov_b32 s15, 0
	s_branch .LBB33_47
.LBB33_46:                              ;   in Loop: Header=BB33_47 Depth=2
	s_or_b32 exec_lo, exec_lo, s11
	s_waitcnt vmcnt(0)
	v_xor_b32_e32 v31, 0x80000000, v31
	s_and_b32 s11, exec_lo, vcc_lo
	v_add_nc_u32_e32 v7, s48, v7
	s_or_b32 s15, s11, s15
	s_delay_alu instid0(VALU_DEP_2) | instskip(SKIP_1) | instid1(VALU_DEP_2)
	v_and_b32_e32 v33, v31, v28
	v_bfe_u32 v31, v31, s16, 2
	v_cmp_eq_u32_e32 vcc_lo, v33, v29
	s_delay_alu instid0(VALU_DEP_2) | instskip(SKIP_3) | instid1(VALU_DEP_4)
	v_cmp_eq_u32_e64 s10, 0, v31
	v_cmp_eq_u32_e64 s11, 1, v31
	;; [unrolled: 1-line block ×4, first 2 shown]
	s_and_b32 s10, vcc_lo, s10
	s_delay_alu instid0(SALU_CYCLE_1) | instskip(SKIP_1) | instid1(SALU_CYCLE_1)
	v_cndmask_b32_e64 v31, 0, 1, s10
	s_and_b32 s10, vcc_lo, s11
	v_cndmask_b32_e64 v33, 0, 1, s10
	s_and_b32 s10, vcc_lo, s12
	s_delay_alu instid0(SALU_CYCLE_1)
	v_cndmask_b32_e64 v34, 0, 1, s10
	s_and_b32 s10, vcc_lo, s13
	v_cmp_ne_u32_e32 vcc_lo, 0, v31
	v_cndmask_b32_e64 v35, 0, 1, s10
	v_cmp_ne_u32_e64 s10, 0, v33
	v_cmp_ne_u32_e64 s11, 0, v34
	v_mov_b32_e32 v31, v32
	s_bcnt1_i32_b32 s13, vcc_lo
	v_cmp_ne_u32_e64 s12, 0, v35
	s_bcnt1_i32_b32 s10, s10
	s_bcnt1_i32_b32 s11, s11
	v_add_nc_u32_e32 v1, s13, v1
	v_add_nc_u32_e32 v2, s10, v2
	s_bcnt1_i32_b32 s12, s12
	v_add_nc_u32_e32 v3, s11, v3
	v_add_nc_u32_e32 v4, s12, v4
	s_and_not1_b32 exec_lo, exec_lo, s15
	s_cbranch_execz .LBB33_49
.LBB33_47:                              ;   Parent Loop BB33_6 Depth=1
                                        ; =>  This Inner Loop Header: Depth=2
	s_delay_alu instid0(VALU_DEP_1) | instskip(SKIP_2) | instid1(VALU_DEP_2)
	v_add_nc_u32_e32 v14, s46, v14
	v_mov_b32_e32 v32, 0
	s_mov_b32 s11, exec_lo
	v_cmp_le_u32_e32 vcc_lo, s36, v14
	v_cmpx_gt_u32_e64 s36, v14
	s_cbranch_execz .LBB33_46
; %bb.48:                               ;   in Loop: Header=BB33_47 Depth=2
	v_lshlrev_b64 v[32:33], 2, v[7:8]
	s_delay_alu instid0(VALU_DEP_1) | instskip(NEXT) | instid1(VALU_DEP_1)
	v_add_co_u32 v32, s10, s33, v32
	v_add_co_ci_u32_e64 v33, s10, s35, v33, s10
	global_load_b32 v32, v[32:33], off
	s_branch .LBB33_46
.LBB33_49:                              ;   in Loop: Header=BB33_6 Depth=1
	s_or_b32 exec_lo, exec_lo, s15
.LBB33_50:                              ;   in Loop: Header=BB33_6 Depth=1
	s_delay_alu instid0(SALU_CYCLE_1)
	s_or_b32 exec_lo, exec_lo, s14
	s_branch .LBB33_60
.LBB33_51:                              ;   in Loop: Header=BB33_6 Depth=1
	s_mul_hi_u32 s10, s82, s64
	v_dual_mov_b32 v1, 0 :: v_dual_mov_b32 v2, 0
	s_mul_i32 s10, s10, s55
	v_dual_mov_b32 v3, 0 :: v_dual_mov_b32 v4, 0
	s_sub_i32 s10, s82, s10
	s_mov_b32 s85, 0
	s_sub_i32 s11, s10, s55
	s_cmp_ge_u32 s10, s55
	s_mov_b32 s84, exec_lo
	s_cselect_b32 s10, s11, s10
	s_delay_alu instid0(SALU_CYCLE_1) | instskip(SKIP_2) | instid1(SALU_CYCLE_1)
	s_sub_i32 s11, s10, s55
	s_cmp_ge_u32 s10, s55
	s_cselect_b32 s10, s11, s10
	s_sub_i32 s83, s82, s10
	s_delay_alu instid0(SALU_CYCLE_1)
	v_cmpx_gt_u32_e64 s83, v18
	s_cbranch_execz .LBB33_55
; %bb.52:                               ;   in Loop: Header=BB33_6 Depth=1
	v_mov_b32_e32 v7, v26
	v_mov_b32_e32 v14, v18
	s_and_b32 s86, s76, 0xfe
	s_mov_b32 s87, 0
	s_mov_b32 s88, 0
	;; [unrolled: 1-line block ×4, first 2 shown]
.LBB33_53:                              ;   Parent Loop BB33_6 Depth=1
                                        ; =>  This Inner Loop Header: Depth=2
	ds_load_b128 v[1:4], v7
	s_waitcnt lgkmcnt(0)
	v_xor_b32_e32 v1, 0x80000000, v1
	v_xor_b32_e32 v2, 0x80000000, v2
	;; [unrolled: 1-line block ×4, first 2 shown]
	s_waitcnt vmcnt(0)
	v_and_b32_e32 v31, v1, v28
	v_bfe_u32 v1, v1, s86, 2
	v_and_b32_e32 v32, v2, v28
	v_bfe_u32 v2, v2, s86, 2
	;; [unrolled: 2-line block ×3, first 2 shown]
	v_cmp_eq_u32_e64 s10, v31, v29
	v_cmp_eq_u32_e64 s14, 0, v1
	v_and_b32_e32 v34, v4, v28
	v_bfe_u32 v4, v4, s86, 2
	v_cmp_eq_u32_e64 s11, v32, v29
	v_cmp_eq_u32_e64 s15, 0, v2
	v_cmp_eq_u32_e64 s12, v33, v29
	v_cmp_eq_u32_e64 s16, 0, v3
	s_and_b32 s14, s10, s14
	v_cmp_eq_u32_e64 s13, v34, v29
	v_cmp_eq_u32_e64 s17, 0, v4
	;; [unrolled: 1-line block ×5, first 2 shown]
	v_cndmask_b32_e64 v1, 0, 1, s14
	s_and_b32 s14, s11, s15
	v_cmp_eq_u32_e64 s19, 1, v2
	v_cmp_eq_u32_e64 s23, 2, v2
	v_cmp_eq_u32_e64 s27, 3, v2
	v_cndmask_b32_e64 v2, 0, 1, s14
	s_and_b32 s14, s12, s16
	v_cmp_eq_u32_e64 s20, 1, v3
	v_cmp_eq_u32_e64 s24, 2, v3
	v_cmp_eq_u32_e64 s28, 3, v3
	;; [unrolled: 5-line block ×3, first 2 shown]
	v_cndmask_b32_e64 v4, 0, 1, s14
	s_and_b32 s14, s10, s18
	s_delay_alu instid0(SALU_CYCLE_1) | instskip(SKIP_1) | instid1(SALU_CYCLE_1)
	v_cndmask_b32_e64 v31, 0, 1, s14
	s_and_b32 s14, s11, s19
	v_cndmask_b32_e64 v32, 0, 1, s14
	s_and_b32 s14, s12, s20
	s_delay_alu instid0(SALU_CYCLE_1) | instskip(SKIP_1) | instid1(VALU_DEP_2)
	v_cndmask_b32_e64 v33, 0, 1, s14
	s_and_b32 s14, s13, s21
	v_cmp_ne_u32_e64 s15, 0, v32
	v_cndmask_b32_e64 v34, 0, 1, s14
	s_and_b32 s14, s10, s22
	s_and_b32 s10, s10, s26
	v_cndmask_b32_e64 v35, 0, 1, s14
	v_cndmask_b32_e64 v39, 0, 1, s10
	s_and_b32 s10, s11, s27
	s_and_b32 s14, s11, s23
	v_cndmask_b32_e64 v40, 0, 1, s10
	s_and_b32 s10, s12, s28
	v_cndmask_b32_e64 v36, 0, 1, s14
	v_cndmask_b32_e64 v41, 0, 1, s10
	s_and_b32 s10, s13, s29
	s_and_b32 s14, s12, s24
	v_cndmask_b32_e64 v42, 0, 1, s10
	v_cmp_ne_u32_e64 s10, 0, v1
	v_cmp_ne_u32_e64 s11, 0, v2
	v_cndmask_b32_e64 v37, 0, 1, s14
	s_and_b32 s14, s13, s25
	v_cmp_ne_u32_e64 s12, 0, v3
	v_cndmask_b32_e64 v38, 0, 1, s14
	v_cmp_ne_u32_e64 s14, 0, v31
	v_cmp_ne_u32_e64 s18, 0, v35
	;; [unrolled: 1-line block ×3, first 2 shown]
	s_bcnt1_i32_b32 s10, s10
	v_cmp_ne_u32_e64 s13, 0, v4
	v_cmp_ne_u32_e64 s19, 0, v36
	;; [unrolled: 1-line block ×3, first 2 shown]
	s_bcnt1_i32_b32 s11, s11
	s_add_i32 s10, s10, s90
	v_cmp_ne_u32_e64 s16, 0, v33
	v_cmp_ne_u32_e64 s20, 0, v37
	;; [unrolled: 1-line block ×3, first 2 shown]
	s_bcnt1_i32_b32 s12, s12
	s_add_i32 s10, s10, s11
	s_bcnt1_i32_b32 s14, s14
	s_bcnt1_i32_b32 s18, s18
	;; [unrolled: 1-line block ×3, first 2 shown]
	v_cmp_ne_u32_e64 s17, 0, v34
	v_cmp_ne_u32_e64 s21, 0, v38
	;; [unrolled: 1-line block ×3, first 2 shown]
	s_bcnt1_i32_b32 s13, s13
	s_add_i32 s10, s10, s12
	s_bcnt1_i32_b32 s15, s15
	s_bcnt1_i32_b32 s19, s19
	;; [unrolled: 1-line block ×3, first 2 shown]
	s_add_i32 s14, s14, s89
	s_add_i32 s18, s18, s88
	;; [unrolled: 1-line block ×4, first 2 shown]
	s_delay_alu instid0(SALU_CYCLE_1)
	v_dual_mov_b32 v1, s90 :: v_dual_add_nc_u32 v14, s55, v14
	s_bcnt1_i32_b32 s16, s16
	s_bcnt1_i32_b32 s20, s20
	;; [unrolled: 1-line block ×3, first 2 shown]
	s_add_i32 s11, s14, s15
	s_add_i32 s14, s18, s19
	;; [unrolled: 1-line block ×3, first 2 shown]
	s_bcnt1_i32_b32 s17, s17
	s_bcnt1_i32_b32 s21, s21
	;; [unrolled: 1-line block ×3, first 2 shown]
	s_add_i32 s11, s11, s16
	s_add_i32 s12, s14, s20
	;; [unrolled: 1-line block ×3, first 2 shown]
	v_cmp_le_u32_e32 vcc_lo, s83, v14
	s_add_i32 s89, s11, s17
	s_add_i32 s88, s12, s21
	;; [unrolled: 1-line block ×3, first 2 shown]
	v_dual_mov_b32 v2, s89 :: v_dual_add_nc_u32 v7, s69, v7
	v_dual_mov_b32 v3, s88 :: v_dual_mov_b32 v4, s87
	s_or_b32 s85, vcc_lo, s85
	s_delay_alu instid0(SALU_CYCLE_1)
	s_and_not1_b32 exec_lo, exec_lo, s85
	s_cbranch_execnz .LBB33_53
; %bb.54:                               ;   in Loop: Header=BB33_6 Depth=1
	s_or_b32 exec_lo, exec_lo, s85
.LBB33_55:                              ;   in Loop: Header=BB33_6 Depth=1
	s_delay_alu instid0(SALU_CYCLE_1) | instskip(SKIP_2) | instid1(VALU_DEP_1)
	s_or_b32 exec_lo, exec_lo, s84
	v_add_nc_u32_e32 v7, s83, v0
	s_mov_b32 s15, exec_lo
	v_cmpx_gt_u32_e64 s82, v7
	s_cbranch_execz .LBB33_59
; %bb.56:                               ;   in Loop: Header=BB33_6 Depth=1
	v_lshlrev_b32_e32 v14, 2, v7
	s_and_b32 s17, s76, 0xfe
	s_mov_b32 s16, 0
.LBB33_57:                              ;   Parent Loop BB33_6 Depth=1
                                        ; =>  This Inner Loop Header: Depth=2
	s_waitcnt vmcnt(0)
	ds_load_b32 v31, v14
	v_add_nc_u32_e32 v7, s46, v7
	v_add_nc_u32_e32 v14, s55, v14
	s_delay_alu instid0(VALU_DEP_2) | instskip(SKIP_2) | instid1(VALU_DEP_1)
	v_cmp_le_u32_e32 vcc_lo, s82, v7
	s_waitcnt lgkmcnt(0)
	v_xor_b32_e32 v31, 0x80000000, v31
	v_and_b32_e32 v32, v31, v28
	v_bfe_u32 v31, v31, s17, 2
	s_delay_alu instid0(VALU_DEP_2) | instskip(NEXT) | instid1(VALU_DEP_2)
	v_cmp_eq_u32_e64 s10, v32, v29
	v_cmp_eq_u32_e64 s11, 0, v31
	;; [unrolled: 1-line block ×5, first 2 shown]
	s_delay_alu instid0(VALU_DEP_4) | instskip(NEXT) | instid1(SALU_CYCLE_1)
	s_and_b32 s11, s10, s11
	v_cndmask_b32_e64 v31, 0, 1, s11
	s_and_b32 s11, s10, s12
	s_delay_alu instid0(SALU_CYCLE_1)
	v_cndmask_b32_e64 v32, 0, 1, s11
	s_and_b32 s11, s10, s13
	s_and_b32 s10, s10, s14
	v_cndmask_b32_e64 v33, 0, 1, s11
	v_cndmask_b32_e64 v34, 0, 1, s10
	v_cmp_ne_u32_e64 s10, 0, v31
	v_cmp_ne_u32_e64 s11, 0, v32
	s_delay_alu instid0(VALU_DEP_4) | instskip(NEXT) | instid1(VALU_DEP_4)
	v_cmp_ne_u32_e64 s12, 0, v33
	v_cmp_ne_u32_e64 s13, 0, v34
	s_delay_alu instid0(VALU_DEP_4) | instskip(NEXT) | instid1(VALU_DEP_3)
	s_bcnt1_i32_b32 s10, s10
	s_bcnt1_i32_b32 s11, s11
	v_add_nc_u32_e32 v1, s10, v1
	s_bcnt1_i32_b32 s12, s12
	s_bcnt1_i32_b32 s13, s13
	v_add_nc_u32_e32 v2, s11, v2
	v_add_nc_u32_e32 v3, s12, v3
	;; [unrolled: 1-line block ×3, first 2 shown]
	s_or_b32 s16, vcc_lo, s16
	s_delay_alu instid0(SALU_CYCLE_1)
	s_and_not1_b32 exec_lo, exec_lo, s16
	s_cbranch_execnz .LBB33_57
; %bb.58:                               ;   in Loop: Header=BB33_6 Depth=1
	s_or_b32 exec_lo, exec_lo, s16
.LBB33_59:                              ;   in Loop: Header=BB33_6 Depth=1
	s_delay_alu instid0(SALU_CYCLE_1)
	s_or_b32 exec_lo, exec_lo, s15
.LBB33_60:                              ;   in Loop: Header=BB33_6 Depth=1
	s_lshl_b32 s10, s71, 7
	s_and_saveexec_b32 s11, s2
	s_cbranch_execz .LBB33_62
; %bb.61:                               ;   in Loop: Header=BB33_6 Depth=1
	v_or_b32_e32 v7, s10, v20
	s_delay_alu instid0(VALU_DEP_1)
	v_lshlrev_b32_e32 v7, 2, v7
	ds_store_b128 v7, v[1:4] offset:3072
.LBB33_62:                              ;   in Loop: Header=BB33_6 Depth=1
	s_or_b32 exec_lo, exec_lo, s11
	s_waitcnt vmcnt(0) lgkmcnt(0)
	s_barrier
	buffer_gl0_inv
	s_and_saveexec_b32 s11, s54
	s_cbranch_execz .LBB33_72
; %bb.63:                               ;   in Loop: Header=BB33_6 Depth=1
	v_mov_b32_e32 v1, 0
	s_and_not1_b32 vcc_lo, exec_lo, s58
	s_cbranch_vccnz .LBB33_71
; %bb.64:                               ;   in Loop: Header=BB33_6 Depth=1
	v_mov_b32_e32 v1, 0
	s_and_not1_b32 vcc_lo, exec_lo, s61
	s_mov_b32 s12, 0
	s_cbranch_vccnz .LBB33_68
; %bb.65:                               ;   in Loop: Header=BB33_6 Depth=1
	v_lshl_add_u32 v2, s71, 9, v27
	v_mov_b32_e32 v1, 0
	.p2align	6
.LBB33_66:                              ;   Parent Loop BB33_6 Depth=1
                                        ; =>  This Inner Loop Header: Depth=2
	ds_load_2addr_b32 v[3:4], v2 offset1:4
	ds_load_2addr_b32 v[31:32], v2 offset0:8 offset1:12
	ds_load_2addr_b32 v[33:34], v2 offset0:16 offset1:20
	;; [unrolled: 1-line block ×3, first 2 shown]
	v_add_nc_u32_e32 v2, 0x80, v2
	s_add_i32 s12, s12, 8
	s_delay_alu instid0(SALU_CYCLE_1) | instskip(SKIP_3) | instid1(VALU_DEP_1)
	s_cmp_eq_u32 s62, s12
	s_waitcnt lgkmcnt(3)
	v_add3_u32 v1, v3, v1, v4
	s_waitcnt lgkmcnt(2)
	v_add3_u32 v1, v31, v1, v32
	s_waitcnt lgkmcnt(1)
	s_delay_alu instid0(VALU_DEP_1) | instskip(SKIP_1) | instid1(VALU_DEP_1)
	v_add3_u32 v1, v33, v1, v34
	s_waitcnt lgkmcnt(0)
	v_add3_u32 v1, v35, v1, v36
	s_cbranch_scc0 .LBB33_66
; %bb.67:                               ;   in Loop: Header=BB33_6 Depth=1
	s_mov_b32 s12, s62
.LBB33_68:                              ;   in Loop: Header=BB33_6 Depth=1
	s_and_not1_b32 vcc_lo, exec_lo, s63
	s_cbranch_vccnz .LBB33_71
; %bb.69:                               ;   in Loop: Header=BB33_6 Depth=1
	s_lshl_b32 s13, s71, 9
	s_lshl_b32 s12, s12, 4
	s_delay_alu instid0(SALU_CYCLE_1)
	v_add3_u32 v2, s13, s12, v27
	s_mov_b32 s12, s60
.LBB33_70:                              ;   Parent Loop BB33_6 Depth=1
                                        ; =>  This Inner Loop Header: Depth=2
	ds_load_b32 v3, v2
	v_add_nc_u32_e32 v2, 16, v2
	s_add_i32 s12, s12, -1
	s_delay_alu instid0(SALU_CYCLE_1)
	s_cmp_lg_u32 s12, 0
	s_waitcnt lgkmcnt(0)
	v_add_nc_u32_e32 v1, v3, v1
	s_cbranch_scc1 .LBB33_70
.LBB33_71:                              ;   in Loop: Header=BB33_6 Depth=1
	v_add_lshl_u32 v2, s10, v17, 2
	ds_store_b32 v2, v1 offset:3072
.LBB33_72:                              ;   in Loop: Header=BB33_6 Depth=1
	s_or_b32 exec_lo, exec_lo, s11
	s_lshl_b32 s10, s10, 2
	s_waitcnt lgkmcnt(0)
	v_mov_b32_e32 v1, s10
	s_barrier
	buffer_gl0_inv
	s_and_b32 s17, s76, 0xfe
	v_cmp_eq_u32_e64 s10, 1, v30
	ds_load_b128 v[1:4], v1 offset:3072
	s_lshl_b32 s13, 3, s17
	s_and_not1_b32 vcc_lo, exec_lo, s56
	s_not_b32 s14, s13
	s_waitcnt lgkmcnt(0)
	v_readfirstlane_b32 s12, v1
	v_readfirstlane_b32 s16, v2
	;; [unrolled: 1-line block ×4, first 2 shown]
	s_cbranch_vccnz .LBB33_85
; %bb.73:                               ;   in Loop: Header=BB33_6 Depth=1
	s_cmp_eq_u32 s12, 1
	v_dual_mov_b32 v3, v29 :: v_dual_mov_b32 v4, v28
	v_mov_b32_e32 v2, v15
	s_cselect_b32 s11, -1, 0
	s_mov_b32 s26, -1
	s_and_b32 s25, s11, s10
                                        ; implicit-def: $sgpr15
                                        ; implicit-def: $sgpr22
                                        ; implicit-def: $sgpr21
	s_delay_alu instid0(SALU_CYCLE_1)
	s_and_saveexec_b32 s20, s25
	s_cbranch_execz .LBB33_104
; %bb.74:                               ;   in Loop: Header=BB33_6 Depth=1
	ds_load_b32 v1, v8 offset:4096
	s_waitcnt lgkmcnt(0)
	s_barrier
	buffer_gl0_inv
	v_readfirstlane_b32 s11, v1
	s_and_saveexec_b32 s15, s6
	s_cbranch_execz .LBB33_76
; %bb.75:                               ;   in Loop: Header=BB33_6 Depth=1
	ds_store_b32 v21, v8
.LBB33_76:                              ;   in Loop: Header=BB33_6 Depth=1
	s_or_b32 exec_lo, exec_lo, s15
	v_and_b32_e32 v3, s14, v29
	v_or_b32_e32 v4, s13, v28
	s_cmp_eq_u32 s11, 0
	s_waitcnt lgkmcnt(0)
	s_barrier
	buffer_gl0_inv
	s_cbranch_scc1 .LBB33_90
; %bb.77:                               ;   in Loop: Header=BB33_6 Depth=1
	s_add_i32 s15, s11, s59
	s_mov_b32 s23, 0
	s_mul_hi_u32 s21, s15, s66
                                        ; implicit-def: $vgpr2
	s_delay_alu instid0(SALU_CYCLE_1) | instskip(NEXT) | instid1(SALU_CYCLE_1)
	s_mul_i32 s21, s21, s46
	s_sub_i32 s21, s15, s21
	s_delay_alu instid0(SALU_CYCLE_1) | instskip(SKIP_2) | instid1(SALU_CYCLE_1)
	s_sub_i32 s22, s21, s46
	s_cmp_ge_u32 s21, s46
	s_cselect_b32 s21, s22, s21
	s_sub_i32 s22, s21, s46
	s_cmp_ge_u32 s21, s46
	s_cselect_b32 s21, s22, s21
	s_delay_alu instid0(SALU_CYCLE_1)
	s_sub_i32 s21, s15, s21
	s_mov_b32 s15, exec_lo
	v_cmpx_gt_u32_e64 s21, v0
	s_cbranch_execz .LBB33_92
; %bb.78:                               ;   in Loop: Header=BB33_6 Depth=1
	v_mov_b32_e32 v7, v18
	v_mov_b32_e32 v31, v0
	s_mov_b32 s22, 0
                                        ; implicit-def: $sgpr23
	s_set_inst_prefetch_distance 0x1
	s_branch .LBB33_80
	.p2align	6
.LBB33_79:                              ;   in Loop: Header=BB33_80 Depth=2
	s_or_b32 exec_lo, exec_lo, s24
	s_waitcnt lgkmcnt(0)
	s_barrier
	buffer_gl0_inv
	ds_load_b64 v[1:2], v8 offset:3072
	v_add_nc_u32_e32 v31, s46, v31
	v_add_nc_u32_e32 v7, s55, v7
	s_waitcnt lgkmcnt(0)
	s_barrier
	buffer_gl0_inv
	v_cmp_le_u32_e32 vcc_lo, s21, v31
	v_readfirstlane_b32 s24, v1
	s_delay_alu instid0(VALU_DEP_1) | instskip(SKIP_1) | instid1(SALU_CYCLE_1)
	s_cmp_lg_u32 s24, 0
	s_cselect_b32 s24, -1, 0
	s_or_b32 s26, vcc_lo, s24
	s_delay_alu instid0(SALU_CYCLE_1) | instskip(NEXT) | instid1(SALU_CYCLE_1)
	s_and_b32 s26, exec_lo, s26
	s_or_b32 s22, s26, s22
	s_and_not1_b32 s23, s23, exec_lo
	s_and_b32 s24, s24, exec_lo
	s_delay_alu instid0(SALU_CYCLE_1)
	s_or_b32 s23, s23, s24
	s_and_not1_b32 exec_lo, exec_lo, s22
	s_cbranch_execz .LBB33_91
.LBB33_80:                              ;   Parent Loop BB33_6 Depth=1
                                        ; =>  This Inner Loop Header: Depth=2
	s_delay_alu instid0(VALU_DEP_1)
	v_cmp_gt_u32_e32 vcc_lo, s11, v31
	v_mov_b32_e32 v14, 0
	s_and_saveexec_b32 s24, vcc_lo
	s_cbranch_execz .LBB33_82
; %bb.81:                               ;   in Loop: Header=BB33_80 Depth=2
	ds_load_b32 v14, v7
.LBB33_82:                              ;   in Loop: Header=BB33_80 Depth=2
	s_or_b32 exec_lo, exec_lo, s24
	s_and_saveexec_b32 s24, vcc_lo
	s_cbranch_execz .LBB33_79
; %bb.83:                               ;   in Loop: Header=BB33_80 Depth=2
	s_waitcnt lgkmcnt(0)
	v_xor_b32_e32 v1, 0x80000000, v14
	s_delay_alu instid0(VALU_DEP_1) | instskip(NEXT) | instid1(VALU_DEP_1)
	v_and_b32_e32 v1, v1, v4
	v_cmp_eq_u32_e32 vcc_lo, v1, v3
	s_and_b32 exec_lo, exec_lo, vcc_lo
	s_cbranch_execz .LBB33_79
; %bb.84:                               ;   in Loop: Header=BB33_80 Depth=2
	ds_store_b64 v8, v[13:14] offset:3072
	s_branch .LBB33_79
.LBB33_85:                              ;   in Loop: Header=BB33_6 Depth=1
	s_mov_b32 s20, 0
	s_mov_b32 s11, 0
                                        ; implicit-def: $sgpr21
                                        ; implicit-def: $sgpr22
                                        ; implicit-def: $sgpr15
                                        ; implicit-def: $vgpr1
                                        ; implicit-def: $vgpr31
                                        ; implicit-def: $vgpr3
                                        ; implicit-def: $vgpr4
                                        ; implicit-def: $vgpr2
	s_cbranch_execnz .LBB33_240
.LBB33_86:                              ;   in Loop: Header=BB33_6 Depth=1
	s_mov_b32 s23, s15
	s_mov_b32 s24, s15
	s_and_saveexec_b32 s10, s20
	s_cbranch_execnz .LBB33_402
	s_branch .LBB33_403
.LBB33_87:                              ;   in Loop: Header=BB33_6 Depth=1
	s_or_b32 exec_lo, exec_lo, s12
	s_waitcnt vmcnt(0) lgkmcnt(0)
	s_barrier
	buffer_gl0_inv
	s_and_saveexec_b32 s10, s5
	s_cbranch_execz .LBB33_89
; %bb.88:                               ;   in Loop: Header=BB33_6 Depth=1
	ds_load_b32 v1, v8 offset:4104
	s_waitcnt lgkmcnt(0)
	ds_store_b32 v8, v1 offset:4096
.LBB33_89:                              ;   in Loop: Header=BB33_6 Depth=1
	s_or_b32 exec_lo, exec_lo, s10
	s_waitcnt lgkmcnt(0)
	s_mov_b32 s10, -1
	s_barrier
	s_and_b32 vcc_lo, exec_lo, s82
	s_cbranch_vccnz .LBB33_24
	s_branch .LBB33_34
.LBB33_90:                              ;   in Loop: Header=BB33_6 Depth=1
	s_mov_b32 s15, -1
	s_mov_b32 s23, 0
                                        ; implicit-def: $sgpr21
                                        ; implicit-def: $vgpr2
	s_mov_b32 s22, s15
	s_cbranch_execnz .LBB33_93
	s_branch .LBB33_103
.LBB33_91:                              ;   in Loop: Header=BB33_6 Depth=1
	s_set_inst_prefetch_distance 0x2
	s_or_b32 exec_lo, exec_lo, s22
	s_delay_alu instid0(SALU_CYCLE_1)
	s_and_b32 s23, s23, exec_lo
.LBB33_92:                              ;   in Loop: Header=BB33_6 Depth=1
	s_or_b32 exec_lo, exec_lo, s15
	s_mov_b32 s21, -1
	s_mov_b32 s15, 0
	s_delay_alu instid0(SALU_CYCLE_1)
	s_mov_b32 s22, s15
	s_branch .LBB33_103
.LBB33_93:                              ;   in Loop: Header=BB33_6 Depth=1
	s_mov_b32 s23, 0
                                        ; implicit-def: $vgpr2
	s_and_saveexec_b32 s15, s9
	s_cbranch_execz .LBB33_102
; %bb.94:                               ;   in Loop: Header=BB33_6 Depth=1
	v_mov_b32_e32 v7, v9
	v_mov_b32_e32 v31, v0
	s_mov_b32 s21, 0
                                        ; implicit-def: $sgpr22
	s_set_inst_prefetch_distance 0x1
	s_branch .LBB33_96
	.p2align	6
.LBB33_95:                              ;   in Loop: Header=BB33_96 Depth=2
	s_or_b32 exec_lo, exec_lo, s11
	s_waitcnt vmcnt(0) lgkmcnt(0)
	s_barrier
	buffer_gl0_inv
	ds_load_b64 v[1:2], v8 offset:3072
	v_add_nc_u32_e32 v31, s46, v31
	v_add_nc_u32_e32 v7, s48, v7
	s_waitcnt lgkmcnt(0)
	s_barrier
	buffer_gl0_inv
	v_cmp_le_u32_e32 vcc_lo, s67, v31
	v_readfirstlane_b32 s11, v1
	s_delay_alu instid0(VALU_DEP_1) | instskip(SKIP_1) | instid1(SALU_CYCLE_1)
	s_cmp_lg_u32 s11, 0
	s_cselect_b32 s11, -1, 0
	s_or_b32 s23, vcc_lo, s11
	s_delay_alu instid0(SALU_CYCLE_1) | instskip(NEXT) | instid1(SALU_CYCLE_1)
	s_and_b32 s23, exec_lo, s23
	s_or_b32 s21, s23, s21
	s_and_not1_b32 s22, s22, exec_lo
	s_and_b32 s11, s11, exec_lo
	s_delay_alu instid0(SALU_CYCLE_1)
	s_or_b32 s22, s22, s11
	s_and_not1_b32 exec_lo, exec_lo, s21
	s_cbranch_execz .LBB33_101
.LBB33_96:                              ;   Parent Loop BB33_6 Depth=1
                                        ; =>  This Inner Loop Header: Depth=2
	s_delay_alu instid0(VALU_DEP_1)
	v_cmp_gt_u32_e32 vcc_lo, s36, v31
	v_mov_b32_e32 v14, 0
	s_and_saveexec_b32 s23, vcc_lo
	s_cbranch_execz .LBB33_98
; %bb.97:                               ;   in Loop: Header=BB33_96 Depth=2
	v_lshlrev_b64 v[1:2], 2, v[7:8]
	s_delay_alu instid0(VALU_DEP_1) | instskip(NEXT) | instid1(VALU_DEP_1)
	v_add_co_u32 v1, s11, s33, v1
	v_add_co_ci_u32_e64 v2, s11, s35, v2, s11
	global_load_b32 v14, v[1:2], off
.LBB33_98:                              ;   in Loop: Header=BB33_96 Depth=2
	s_or_b32 exec_lo, exec_lo, s23
	s_and_saveexec_b32 s11, vcc_lo
	s_cbranch_execz .LBB33_95
; %bb.99:                               ;   in Loop: Header=BB33_96 Depth=2
	s_waitcnt vmcnt(0)
	v_xor_b32_e32 v1, 0x80000000, v14
	s_delay_alu instid0(VALU_DEP_1) | instskip(NEXT) | instid1(VALU_DEP_1)
	v_and_b32_e32 v1, v1, v4
	v_cmp_eq_u32_e32 vcc_lo, v1, v3
	s_and_b32 exec_lo, exec_lo, vcc_lo
	s_cbranch_execz .LBB33_95
; %bb.100:                              ;   in Loop: Header=BB33_96 Depth=2
	ds_store_b64 v8, v[13:14] offset:3072
	s_branch .LBB33_95
.LBB33_101:                             ;   in Loop: Header=BB33_6 Depth=1
	s_set_inst_prefetch_distance 0x2
	s_or_b32 exec_lo, exec_lo, s21
	s_delay_alu instid0(SALU_CYCLE_1)
	s_and_b32 s23, s22, exec_lo
.LBB33_102:                             ;   in Loop: Header=BB33_6 Depth=1
	s_or_b32 exec_lo, exec_lo, s15
	s_mov_b32 s22, -1
	s_mov_b32 s15, 0
	s_mov_b32 s21, 0
.LBB33_103:                             ;   in Loop: Header=BB33_6 Depth=1
	s_or_not1_b32 s26, s23, exec_lo
.LBB33_104:                             ;   in Loop: Header=BB33_6 Depth=1
	s_or_b32 exec_lo, exec_lo, s20
	s_mov_b32 s23, 0
	s_mov_b32 s20, 0
	;; [unrolled: 1-line block ×3, first 2 shown]
                                        ; implicit-def: $vgpr1
                                        ; implicit-def: $vgpr31
	s_and_saveexec_b32 s24, s26
	s_cbranch_execz .LBB33_239
; %bb.105:                              ;   in Loop: Header=BB33_6 Depth=1
	v_mov_b32_e32 v31, 1
	v_mov_b32_e32 v1, 1
	s_xor_b32 s25, s25, -1
	s_delay_alu instid0(SALU_CYCLE_1)
	s_and_saveexec_b32 s11, s25
	s_cbranch_execz .LBB33_115
; %bb.106:                              ;   in Loop: Header=BB33_6 Depth=1
	s_mov_b32 s25, exec_lo
                                        ; implicit-def: $sgpr26
                                        ; implicit-def: $sgpr20
	v_cmpx_ge_u32_e64 s12, v30
	s_xor_b32 s25, exec_lo, s25
	s_cbranch_execz .LBB33_112
; %bb.107:                              ;   in Loop: Header=BB33_6 Depth=1
	ds_load_b32 v1, v8 offset:4096
	s_waitcnt lgkmcnt(0)
	v_cmp_ne_u32_e32 vcc_lo, 0, v1
	s_cbranch_vccnz .LBB33_111
; %bb.108:                              ;   in Loop: Header=BB33_6 Depth=1
	s_and_saveexec_b32 s20, s5
	s_cbranch_execz .LBB33_110
; %bb.109:                              ;   in Loop: Header=BB33_6 Depth=1
	v_mov_b32_e32 v1, s12
	ds_store_b32 v8, v1 offset:4100
.LBB33_110:                             ;   in Loop: Header=BB33_6 Depth=1
	s_or_b32 exec_lo, exec_lo, s20
	s_waitcnt lgkmcnt(0)
	s_barrier
	buffer_gl0_inv
.LBB33_111:                             ;   in Loop: Header=BB33_6 Depth=1
	v_and_b32_e32 v3, s14, v3
	v_or_b32_e32 v4, s13, v4
	s_mov_b32 s20, 0
	s_mov_b32 s26, 8
.LBB33_112:                             ;   in Loop: Header=BB33_6 Depth=1
	s_or_saveexec_b32 s25, s25
	v_mov_b32_e32 v1, s26
	v_mov_b32_e32 v31, v30
	s_xor_b32 exec_lo, exec_lo, s25
; %bb.113:                              ;   in Loop: Header=BB33_6 Depth=1
	v_subrev_nc_u32_e32 v31, s12, v30
	v_mov_b32_e32 v1, 0
	s_or_b32 s20, s20, exec_lo
; %bb.114:                              ;   in Loop: Header=BB33_6 Depth=1
	s_or_b32 exec_lo, exec_lo, s25
	s_delay_alu instid0(SALU_CYCLE_1)
	s_and_b32 s20, s20, exec_lo
.LBB33_115:                             ;   in Loop: Header=BB33_6 Depth=1
	s_or_b32 exec_lo, exec_lo, s11
	s_mov_b32 s11, -1
                                        ; implicit-def: $sgpr25
                                        ; implicit-def: $sgpr27
                                        ; implicit-def: $sgpr28
	s_and_saveexec_b32 s26, s20
	s_delay_alu instid0(SALU_CYCLE_1)
	s_xor_b32 s20, exec_lo, s26
	s_cbranch_execz .LBB33_236
; %bb.116:                              ;   in Loop: Header=BB33_6 Depth=1
	v_cmp_eq_u32_e32 vcc_lo, 1, v31
	s_cmp_eq_u32 s16, 1
                                        ; implicit-def: $sgpr25
                                        ; implicit-def: $sgpr27
                                        ; implicit-def: $sgpr26
	s_cselect_b32 s11, -1, 0
	s_delay_alu instid0(SALU_CYCLE_1)
	s_and_b32 s29, s11, vcc_lo
	s_mov_b32 s11, -1
	s_and_saveexec_b32 s28, s29
	s_cbranch_execz .LBB33_142
; %bb.117:                              ;   in Loop: Header=BB33_6 Depth=1
	ds_load_b32 v1, v8 offset:4096
	s_waitcnt lgkmcnt(0)
	s_barrier
	buffer_gl0_inv
	v_readfirstlane_b32 s11, v1
	s_and_saveexec_b32 s25, s6
	s_cbranch_execz .LBB33_119
; %bb.118:                              ;   in Loop: Header=BB33_6 Depth=1
	ds_store_b32 v21, v8
.LBB33_119:                             ;   in Loop: Header=BB33_6 Depth=1
	s_or_b32 exec_lo, exec_lo, s25
	s_lshl_b32 s25, 1, s17
	v_or_b32_e32 v4, s13, v4
	v_and_or_b32 v3, v3, s14, s25
	s_cmp_eq_u32 s11, 0
	s_waitcnt lgkmcnt(0)
	s_barrier
	buffer_gl0_inv
	s_cbranch_scc1 .LBB33_128
; %bb.120:                              ;   in Loop: Header=BB33_6 Depth=1
	s_add_i32 s25, s11, s59
	s_mov_b32 s82, 0
	s_mul_hi_u32 s26, s25, s66
                                        ; implicit-def: $vgpr2
	s_delay_alu instid0(SALU_CYCLE_1) | instskip(NEXT) | instid1(SALU_CYCLE_1)
	s_mul_i32 s26, s26, s46
	s_sub_i32 s26, s25, s26
	s_delay_alu instid0(SALU_CYCLE_1) | instskip(SKIP_2) | instid1(SALU_CYCLE_1)
	s_sub_i32 s27, s26, s46
	s_cmp_ge_u32 s26, s46
	s_cselect_b32 s26, s27, s26
	s_sub_i32 s27, s26, s46
	s_cmp_ge_u32 s26, s46
	s_cselect_b32 s26, s27, s26
	s_delay_alu instid0(SALU_CYCLE_1)
	s_sub_i32 s26, s25, s26
	s_mov_b32 s25, exec_lo
	v_cmpx_gt_u32_e64 s26, v0
	s_cbranch_execz .LBB33_130
; %bb.121:                              ;   in Loop: Header=BB33_6 Depth=1
	v_dual_mov_b32 v7, v18 :: v_dual_mov_b32 v32, v0
	s_mov_b32 s27, 0
                                        ; implicit-def: $sgpr82
	s_set_inst_prefetch_distance 0x1
	s_branch .LBB33_123
	.p2align	6
.LBB33_122:                             ;   in Loop: Header=BB33_123 Depth=2
	s_or_b32 exec_lo, exec_lo, s83
	s_waitcnt lgkmcnt(0)
	s_barrier
	buffer_gl0_inv
	ds_load_b64 v[1:2], v8 offset:3072
	v_add_nc_u32_e32 v32, s46, v32
	v_add_nc_u32_e32 v7, s55, v7
	s_waitcnt lgkmcnt(0)
	s_barrier
	buffer_gl0_inv
	v_cmp_le_u32_e32 vcc_lo, s26, v32
	v_readfirstlane_b32 s83, v1
	s_delay_alu instid0(VALU_DEP_1) | instskip(SKIP_1) | instid1(SALU_CYCLE_1)
	s_cmp_lg_u32 s83, 0
	s_cselect_b32 s83, -1, 0
	s_or_b32 s84, vcc_lo, s83
	s_delay_alu instid0(SALU_CYCLE_1) | instskip(NEXT) | instid1(SALU_CYCLE_1)
	s_and_b32 s84, exec_lo, s84
	s_or_b32 s27, s84, s27
	s_and_not1_b32 s82, s82, exec_lo
	s_and_b32 s83, s83, exec_lo
	s_delay_alu instid0(SALU_CYCLE_1)
	s_or_b32 s82, s82, s83
	s_and_not1_b32 exec_lo, exec_lo, s27
	s_cbranch_execz .LBB33_129
.LBB33_123:                             ;   Parent Loop BB33_6 Depth=1
                                        ; =>  This Inner Loop Header: Depth=2
	s_delay_alu instid0(VALU_DEP_1)
	v_cmp_gt_u32_e32 vcc_lo, s11, v32
	v_mov_b32_e32 v14, 0
	s_and_saveexec_b32 s83, vcc_lo
	s_cbranch_execz .LBB33_125
; %bb.124:                              ;   in Loop: Header=BB33_123 Depth=2
	ds_load_b32 v14, v7
.LBB33_125:                             ;   in Loop: Header=BB33_123 Depth=2
	s_or_b32 exec_lo, exec_lo, s83
	s_and_saveexec_b32 s83, vcc_lo
	s_cbranch_execz .LBB33_122
; %bb.126:                              ;   in Loop: Header=BB33_123 Depth=2
	s_waitcnt lgkmcnt(0)
	v_xor_b32_e32 v1, 0x80000000, v14
	s_delay_alu instid0(VALU_DEP_1) | instskip(NEXT) | instid1(VALU_DEP_1)
	v_and_b32_e32 v1, v1, v4
	v_cmp_eq_u32_e32 vcc_lo, v1, v3
	s_and_b32 exec_lo, exec_lo, vcc_lo
	s_cbranch_execz .LBB33_122
; %bb.127:                              ;   in Loop: Header=BB33_123 Depth=2
	ds_store_b64 v8, v[13:14] offset:3072
	s_branch .LBB33_122
.LBB33_128:                             ;   in Loop: Header=BB33_6 Depth=1
	s_mov_b32 s25, -1
	s_mov_b32 s82, 0
                                        ; implicit-def: $sgpr26
                                        ; implicit-def: $vgpr2
	s_mov_b32 s27, s25
	s_cbranch_execnz .LBB33_131
	s_branch .LBB33_141
.LBB33_129:                             ;   in Loop: Header=BB33_6 Depth=1
	s_set_inst_prefetch_distance 0x2
	s_or_b32 exec_lo, exec_lo, s27
	s_delay_alu instid0(SALU_CYCLE_1)
	s_and_b32 s82, s82, exec_lo
.LBB33_130:                             ;   in Loop: Header=BB33_6 Depth=1
	s_or_b32 exec_lo, exec_lo, s25
	s_mov_b32 s26, -1
	s_mov_b32 s25, 0
	s_delay_alu instid0(SALU_CYCLE_1)
	s_mov_b32 s27, s25
	s_branch .LBB33_141
.LBB33_131:                             ;   in Loop: Header=BB33_6 Depth=1
	s_mov_b32 s82, 0
                                        ; implicit-def: $vgpr2
	s_and_saveexec_b32 s25, s9
	s_cbranch_execz .LBB33_140
; %bb.132:                              ;   in Loop: Header=BB33_6 Depth=1
	v_dual_mov_b32 v7, v9 :: v_dual_mov_b32 v32, v0
	s_mov_b32 s26, 0
                                        ; implicit-def: $sgpr27
	s_set_inst_prefetch_distance 0x1
	s_branch .LBB33_134
	.p2align	6
.LBB33_133:                             ;   in Loop: Header=BB33_134 Depth=2
	s_or_b32 exec_lo, exec_lo, s11
	s_waitcnt vmcnt(0) lgkmcnt(0)
	s_barrier
	buffer_gl0_inv
	ds_load_b64 v[1:2], v8 offset:3072
	v_add_nc_u32_e32 v32, s46, v32
	v_add_nc_u32_e32 v7, s48, v7
	s_waitcnt lgkmcnt(0)
	s_barrier
	buffer_gl0_inv
	v_cmp_le_u32_e32 vcc_lo, s67, v32
	v_readfirstlane_b32 s11, v1
	s_delay_alu instid0(VALU_DEP_1) | instskip(SKIP_1) | instid1(SALU_CYCLE_1)
	s_cmp_lg_u32 s11, 0
	s_cselect_b32 s11, -1, 0
	s_or_b32 s82, vcc_lo, s11
	s_delay_alu instid0(SALU_CYCLE_1) | instskip(NEXT) | instid1(SALU_CYCLE_1)
	s_and_b32 s82, exec_lo, s82
	s_or_b32 s26, s82, s26
	s_and_not1_b32 s27, s27, exec_lo
	s_and_b32 s11, s11, exec_lo
	s_delay_alu instid0(SALU_CYCLE_1)
	s_or_b32 s27, s27, s11
	s_and_not1_b32 exec_lo, exec_lo, s26
	s_cbranch_execz .LBB33_139
.LBB33_134:                             ;   Parent Loop BB33_6 Depth=1
                                        ; =>  This Inner Loop Header: Depth=2
	s_delay_alu instid0(VALU_DEP_1)
	v_cmp_gt_u32_e32 vcc_lo, s36, v32
	v_mov_b32_e32 v14, 0
	s_and_saveexec_b32 s82, vcc_lo
	s_cbranch_execz .LBB33_136
; %bb.135:                              ;   in Loop: Header=BB33_134 Depth=2
	v_lshlrev_b64 v[1:2], 2, v[7:8]
	s_delay_alu instid0(VALU_DEP_1) | instskip(NEXT) | instid1(VALU_DEP_1)
	v_add_co_u32 v1, s11, s33, v1
	v_add_co_ci_u32_e64 v2, s11, s35, v2, s11
	global_load_b32 v14, v[1:2], off
.LBB33_136:                             ;   in Loop: Header=BB33_134 Depth=2
	s_or_b32 exec_lo, exec_lo, s82
	s_and_saveexec_b32 s11, vcc_lo
	s_cbranch_execz .LBB33_133
; %bb.137:                              ;   in Loop: Header=BB33_134 Depth=2
	s_waitcnt vmcnt(0)
	v_xor_b32_e32 v1, 0x80000000, v14
	s_delay_alu instid0(VALU_DEP_1) | instskip(NEXT) | instid1(VALU_DEP_1)
	v_and_b32_e32 v1, v1, v4
	v_cmp_eq_u32_e32 vcc_lo, v1, v3
	s_and_b32 exec_lo, exec_lo, vcc_lo
	s_cbranch_execz .LBB33_133
; %bb.138:                              ;   in Loop: Header=BB33_134 Depth=2
	ds_store_b64 v8, v[13:14] offset:3072
	s_branch .LBB33_133
.LBB33_139:                             ;   in Loop: Header=BB33_6 Depth=1
	s_set_inst_prefetch_distance 0x2
	s_or_b32 exec_lo, exec_lo, s26
	s_delay_alu instid0(SALU_CYCLE_1)
	s_and_b32 s82, s27, exec_lo
.LBB33_140:                             ;   in Loop: Header=BB33_6 Depth=1
	s_or_b32 exec_lo, exec_lo, s25
	s_mov_b32 s27, -1
	s_mov_b32 s25, 0
	s_mov_b32 s26, 0
.LBB33_141:                             ;   in Loop: Header=BB33_6 Depth=1
	s_or_not1_b32 s11, s82, exec_lo
.LBB33_142:                             ;   in Loop: Header=BB33_6 Depth=1
	s_or_b32 exec_lo, exec_lo, s28
	s_mov_b32 s82, 0
                                        ; implicit-def: $vgpr1
	s_and_saveexec_b32 s28, s11
	s_cbranch_execz .LBB33_235
; %bb.143:                              ;   in Loop: Header=BB33_6 Depth=1
	v_dual_mov_b32 v32, 1 :: v_dual_mov_b32 v1, 1
	s_xor_b32 s29, s29, -1
	s_mov_b32 s83, 0
	s_and_saveexec_b32 s11, s29
	s_cbranch_execz .LBB33_153
; %bb.144:                              ;   in Loop: Header=BB33_6 Depth=1
	s_mov_b32 s82, exec_lo
                                        ; implicit-def: $sgpr83
                                        ; implicit-def: $sgpr29
	v_cmpx_ge_u32_e64 s16, v31
	s_xor_b32 s82, exec_lo, s82
	s_cbranch_execz .LBB33_150
; %bb.145:                              ;   in Loop: Header=BB33_6 Depth=1
	ds_load_b32 v1, v8 offset:4096
	s_waitcnt lgkmcnt(0)
	v_cmp_ne_u32_e32 vcc_lo, 0, v1
	s_cbranch_vccnz .LBB33_149
; %bb.146:                              ;   in Loop: Header=BB33_6 Depth=1
	s_and_saveexec_b32 s29, s5
	s_cbranch_execz .LBB33_148
; %bb.147:                              ;   in Loop: Header=BB33_6 Depth=1
	v_mov_b32_e32 v1, s16
	ds_store_b32 v8, v1 offset:4100
.LBB33_148:                             ;   in Loop: Header=BB33_6 Depth=1
	s_or_b32 exec_lo, exec_lo, s29
	s_waitcnt lgkmcnt(0)
	s_barrier
	buffer_gl0_inv
.LBB33_149:                             ;   in Loop: Header=BB33_6 Depth=1
	s_lshl_b32 s29, 1, s17
	v_or_b32_e32 v4, s13, v4
	v_and_or_b32 v3, v3, s14, s29
	s_mov_b32 s29, 0
	s_mov_b32 s83, 8
.LBB33_150:                             ;   in Loop: Header=BB33_6 Depth=1
	s_or_saveexec_b32 s82, s82
	v_mov_b32_e32 v1, s83
	s_xor_b32 exec_lo, exec_lo, s82
; %bb.151:                              ;   in Loop: Header=BB33_6 Depth=1
	v_subrev_nc_u32_e32 v31, s16, v31
	v_mov_b32_e32 v1, 0
	s_or_b32 s29, s29, exec_lo
; %bb.152:                              ;   in Loop: Header=BB33_6 Depth=1
	s_or_b32 exec_lo, exec_lo, s82
	s_delay_alu instid0(VALU_DEP_2)
	v_mov_b32_e32 v32, v31
	s_and_b32 s83, s29, exec_lo
.LBB33_153:                             ;   in Loop: Header=BB33_6 Depth=1
	s_or_b32 exec_lo, exec_lo, s11
	s_mov_b32 s11, -1
                                        ; implicit-def: $sgpr82
                                        ; implicit-def: $sgpr84
                                        ; implicit-def: $sgpr85
	s_and_saveexec_b32 s29, s83
	s_cbranch_execz .LBB33_234
; %bb.154:                              ;   in Loop: Header=BB33_6 Depth=1
	v_cmp_eq_u32_e32 vcc_lo, 1, v32
	s_cmp_eq_u32 s18, 1
                                        ; implicit-def: $sgpr82
                                        ; implicit-def: $sgpr84
                                        ; implicit-def: $sgpr83
	s_cselect_b32 s11, -1, 0
	s_delay_alu instid0(SALU_CYCLE_1)
	s_and_b32 s86, s11, vcc_lo
	s_mov_b32 s11, -1
	s_and_saveexec_b32 s85, s86
	s_cbranch_execz .LBB33_180
; %bb.155:                              ;   in Loop: Header=BB33_6 Depth=1
	ds_load_b32 v1, v8 offset:4096
	s_waitcnt lgkmcnt(0)
	s_barrier
	buffer_gl0_inv
	v_readfirstlane_b32 s11, v1
	s_and_saveexec_b32 s82, s6
	s_cbranch_execz .LBB33_157
; %bb.156:                              ;   in Loop: Header=BB33_6 Depth=1
	ds_store_b32 v21, v8
.LBB33_157:                             ;   in Loop: Header=BB33_6 Depth=1
	s_or_b32 exec_lo, exec_lo, s82
	s_lshl_b32 s82, 2, s17
	v_or_b32_e32 v4, s13, v4
	v_and_or_b32 v3, v3, s14, s82
	s_cmp_eq_u32 s11, 0
	s_waitcnt lgkmcnt(0)
	s_barrier
	buffer_gl0_inv
	s_cbranch_scc1 .LBB33_166
; %bb.158:                              ;   in Loop: Header=BB33_6 Depth=1
	s_add_i32 s82, s11, s59
	s_mov_b32 s87, 0
	s_mul_hi_u32 s83, s82, s66
                                        ; implicit-def: $vgpr2
	s_delay_alu instid0(SALU_CYCLE_1) | instskip(NEXT) | instid1(SALU_CYCLE_1)
	s_mul_i32 s83, s83, s46
	s_sub_i32 s83, s82, s83
	s_delay_alu instid0(SALU_CYCLE_1) | instskip(SKIP_2) | instid1(SALU_CYCLE_1)
	s_sub_i32 s84, s83, s46
	s_cmp_ge_u32 s83, s46
	s_cselect_b32 s83, s84, s83
	s_sub_i32 s84, s83, s46
	s_cmp_ge_u32 s83, s46
	s_cselect_b32 s83, s84, s83
	s_delay_alu instid0(SALU_CYCLE_1)
	s_sub_i32 s83, s82, s83
	s_mov_b32 s82, exec_lo
	v_cmpx_gt_u32_e64 s83, v0
	s_cbranch_execz .LBB33_168
; %bb.159:                              ;   in Loop: Header=BB33_6 Depth=1
	v_mov_b32_e32 v7, v18
	v_mov_b32_e32 v31, v0
	s_mov_b32 s84, 0
                                        ; implicit-def: $sgpr87
	s_set_inst_prefetch_distance 0x1
	s_branch .LBB33_161
	.p2align	6
.LBB33_160:                             ;   in Loop: Header=BB33_161 Depth=2
	s_or_b32 exec_lo, exec_lo, s88
	s_waitcnt lgkmcnt(0)
	s_barrier
	buffer_gl0_inv
	ds_load_b64 v[1:2], v8 offset:3072
	v_add_nc_u32_e32 v31, s46, v31
	v_add_nc_u32_e32 v7, s55, v7
	s_waitcnt lgkmcnt(0)
	s_barrier
	buffer_gl0_inv
	v_cmp_le_u32_e32 vcc_lo, s83, v31
	v_readfirstlane_b32 s88, v1
	s_delay_alu instid0(VALU_DEP_1) | instskip(SKIP_1) | instid1(SALU_CYCLE_1)
	s_cmp_lg_u32 s88, 0
	s_cselect_b32 s88, -1, 0
	s_or_b32 s89, vcc_lo, s88
	s_delay_alu instid0(SALU_CYCLE_1) | instskip(NEXT) | instid1(SALU_CYCLE_1)
	s_and_b32 s89, exec_lo, s89
	s_or_b32 s84, s89, s84
	s_and_not1_b32 s87, s87, exec_lo
	s_and_b32 s88, s88, exec_lo
	s_delay_alu instid0(SALU_CYCLE_1)
	s_or_b32 s87, s87, s88
	s_and_not1_b32 exec_lo, exec_lo, s84
	s_cbranch_execz .LBB33_167
.LBB33_161:                             ;   Parent Loop BB33_6 Depth=1
                                        ; =>  This Inner Loop Header: Depth=2
	s_delay_alu instid0(VALU_DEP_1)
	v_cmp_gt_u32_e32 vcc_lo, s11, v31
	v_mov_b32_e32 v14, 0
	s_and_saveexec_b32 s88, vcc_lo
	s_cbranch_execz .LBB33_163
; %bb.162:                              ;   in Loop: Header=BB33_161 Depth=2
	ds_load_b32 v14, v7
.LBB33_163:                             ;   in Loop: Header=BB33_161 Depth=2
	s_or_b32 exec_lo, exec_lo, s88
	s_and_saveexec_b32 s88, vcc_lo
	s_cbranch_execz .LBB33_160
; %bb.164:                              ;   in Loop: Header=BB33_161 Depth=2
	s_waitcnt lgkmcnt(0)
	v_xor_b32_e32 v1, 0x80000000, v14
	s_delay_alu instid0(VALU_DEP_1) | instskip(NEXT) | instid1(VALU_DEP_1)
	v_and_b32_e32 v1, v1, v4
	v_cmp_eq_u32_e32 vcc_lo, v1, v3
	s_and_b32 exec_lo, exec_lo, vcc_lo
	s_cbranch_execz .LBB33_160
; %bb.165:                              ;   in Loop: Header=BB33_161 Depth=2
	ds_store_b64 v8, v[13:14] offset:3072
	s_branch .LBB33_160
.LBB33_166:                             ;   in Loop: Header=BB33_6 Depth=1
	s_mov_b32 s82, -1
	s_mov_b32 s87, 0
                                        ; implicit-def: $sgpr83
                                        ; implicit-def: $vgpr2
	s_mov_b32 s84, s82
	s_cbranch_execnz .LBB33_169
	s_branch .LBB33_179
.LBB33_167:                             ;   in Loop: Header=BB33_6 Depth=1
	s_set_inst_prefetch_distance 0x2
	s_or_b32 exec_lo, exec_lo, s84
	s_delay_alu instid0(SALU_CYCLE_1)
	s_and_b32 s87, s87, exec_lo
.LBB33_168:                             ;   in Loop: Header=BB33_6 Depth=1
	s_or_b32 exec_lo, exec_lo, s82
	s_mov_b32 s83, -1
	s_mov_b32 s82, 0
	s_delay_alu instid0(SALU_CYCLE_1)
	s_mov_b32 s84, s82
	s_branch .LBB33_179
.LBB33_169:                             ;   in Loop: Header=BB33_6 Depth=1
	s_mov_b32 s87, 0
                                        ; implicit-def: $vgpr2
	s_and_saveexec_b32 s82, s9
	s_cbranch_execz .LBB33_178
; %bb.170:                              ;   in Loop: Header=BB33_6 Depth=1
	v_mov_b32_e32 v7, v9
	v_mov_b32_e32 v31, v0
	s_mov_b32 s83, 0
                                        ; implicit-def: $sgpr84
	s_set_inst_prefetch_distance 0x1
	s_branch .LBB33_172
	.p2align	6
.LBB33_171:                             ;   in Loop: Header=BB33_172 Depth=2
	s_or_b32 exec_lo, exec_lo, s11
	s_waitcnt vmcnt(0) lgkmcnt(0)
	s_barrier
	buffer_gl0_inv
	ds_load_b64 v[1:2], v8 offset:3072
	v_add_nc_u32_e32 v31, s46, v31
	v_add_nc_u32_e32 v7, s48, v7
	s_waitcnt lgkmcnt(0)
	s_barrier
	buffer_gl0_inv
	v_cmp_le_u32_e32 vcc_lo, s67, v31
	v_readfirstlane_b32 s11, v1
	s_delay_alu instid0(VALU_DEP_1) | instskip(SKIP_1) | instid1(SALU_CYCLE_1)
	s_cmp_lg_u32 s11, 0
	s_cselect_b32 s11, -1, 0
	s_or_b32 s87, vcc_lo, s11
	s_delay_alu instid0(SALU_CYCLE_1) | instskip(NEXT) | instid1(SALU_CYCLE_1)
	s_and_b32 s87, exec_lo, s87
	s_or_b32 s83, s87, s83
	s_and_not1_b32 s84, s84, exec_lo
	s_and_b32 s11, s11, exec_lo
	s_delay_alu instid0(SALU_CYCLE_1)
	s_or_b32 s84, s84, s11
	s_and_not1_b32 exec_lo, exec_lo, s83
	s_cbranch_execz .LBB33_177
.LBB33_172:                             ;   Parent Loop BB33_6 Depth=1
                                        ; =>  This Inner Loop Header: Depth=2
	s_delay_alu instid0(VALU_DEP_1)
	v_cmp_gt_u32_e32 vcc_lo, s36, v31
	v_mov_b32_e32 v14, 0
	s_and_saveexec_b32 s87, vcc_lo
	s_cbranch_execz .LBB33_174
; %bb.173:                              ;   in Loop: Header=BB33_172 Depth=2
	v_lshlrev_b64 v[1:2], 2, v[7:8]
	s_delay_alu instid0(VALU_DEP_1) | instskip(NEXT) | instid1(VALU_DEP_1)
	v_add_co_u32 v1, s11, s33, v1
	v_add_co_ci_u32_e64 v2, s11, s35, v2, s11
	global_load_b32 v14, v[1:2], off
.LBB33_174:                             ;   in Loop: Header=BB33_172 Depth=2
	s_or_b32 exec_lo, exec_lo, s87
	s_and_saveexec_b32 s11, vcc_lo
	s_cbranch_execz .LBB33_171
; %bb.175:                              ;   in Loop: Header=BB33_172 Depth=2
	s_waitcnt vmcnt(0)
	v_xor_b32_e32 v1, 0x80000000, v14
	s_delay_alu instid0(VALU_DEP_1) | instskip(NEXT) | instid1(VALU_DEP_1)
	v_and_b32_e32 v1, v1, v4
	v_cmp_eq_u32_e32 vcc_lo, v1, v3
	s_and_b32 exec_lo, exec_lo, vcc_lo
	s_cbranch_execz .LBB33_171
; %bb.176:                              ;   in Loop: Header=BB33_172 Depth=2
	ds_store_b64 v8, v[13:14] offset:3072
	s_branch .LBB33_171
.LBB33_177:                             ;   in Loop: Header=BB33_6 Depth=1
	s_set_inst_prefetch_distance 0x2
	s_or_b32 exec_lo, exec_lo, s83
	s_delay_alu instid0(SALU_CYCLE_1)
	s_and_b32 s87, s84, exec_lo
.LBB33_178:                             ;   in Loop: Header=BB33_6 Depth=1
	s_or_b32 exec_lo, exec_lo, s82
	s_mov_b32 s84, -1
	s_mov_b32 s82, 0
	s_mov_b32 s83, 0
.LBB33_179:                             ;   in Loop: Header=BB33_6 Depth=1
	s_or_not1_b32 s11, s87, exec_lo
.LBB33_180:                             ;   in Loop: Header=BB33_6 Depth=1
	s_or_b32 exec_lo, exec_lo, s85
	s_mov_b32 s87, 0
                                        ; implicit-def: $vgpr1
	s_and_saveexec_b32 s85, s11
	s_cbranch_execz .LBB33_233
; %bb.181:                              ;   in Loop: Header=BB33_6 Depth=1
	v_mov_b32_e32 v31, 1
	v_mov_b32_e32 v1, 1
	s_xor_b32 s86, s86, -1
	s_mov_b32 s88, 0
	s_and_saveexec_b32 s11, s86
	s_cbranch_execz .LBB33_191
; %bb.182:                              ;   in Loop: Header=BB33_6 Depth=1
	s_mov_b32 s87, exec_lo
                                        ; implicit-def: $sgpr88
                                        ; implicit-def: $sgpr86
	v_cmpx_ge_u32_e64 s18, v32
	s_xor_b32 s87, exec_lo, s87
	s_cbranch_execz .LBB33_188
; %bb.183:                              ;   in Loop: Header=BB33_6 Depth=1
	ds_load_b32 v1, v8 offset:4096
	s_waitcnt lgkmcnt(0)
	v_cmp_ne_u32_e32 vcc_lo, 0, v1
	s_cbranch_vccnz .LBB33_187
; %bb.184:                              ;   in Loop: Header=BB33_6 Depth=1
	s_and_saveexec_b32 s86, s5
	s_cbranch_execz .LBB33_186
; %bb.185:                              ;   in Loop: Header=BB33_6 Depth=1
	v_mov_b32_e32 v1, s18
	ds_store_b32 v8, v1 offset:4100
.LBB33_186:                             ;   in Loop: Header=BB33_6 Depth=1
	s_or_b32 exec_lo, exec_lo, s86
	s_waitcnt lgkmcnt(0)
	s_barrier
	buffer_gl0_inv
.LBB33_187:                             ;   in Loop: Header=BB33_6 Depth=1
	s_lshl_b32 s86, 2, s17
	v_or_b32_e32 v4, s13, v4
	v_and_or_b32 v3, v3, s14, s86
	s_mov_b32 s86, 0
	s_mov_b32 s88, 8
.LBB33_188:                             ;   in Loop: Header=BB33_6 Depth=1
	s_or_saveexec_b32 s87, s87
	v_mov_b32_e32 v1, s88
	s_xor_b32 exec_lo, exec_lo, s87
; %bb.189:                              ;   in Loop: Header=BB33_6 Depth=1
	v_subrev_nc_u32_e32 v32, s18, v32
	v_mov_b32_e32 v1, 0
	s_or_b32 s86, s86, exec_lo
; %bb.190:                              ;   in Loop: Header=BB33_6 Depth=1
	s_or_b32 exec_lo, exec_lo, s87
	s_delay_alu instid0(VALU_DEP_2)
	v_mov_b32_e32 v31, v32
	s_and_b32 s88, s86, exec_lo
.LBB33_191:                             ;   in Loop: Header=BB33_6 Depth=1
	s_or_b32 exec_lo, exec_lo, s11
	s_mov_b32 s87, -1
                                        ; implicit-def: $sgpr11
                                        ; implicit-def: $sgpr90
                                        ; implicit-def: $sgpr89
	s_and_saveexec_b32 s86, s88
	s_cbranch_execz .LBB33_232
; %bb.192:                              ;   in Loop: Header=BB33_6 Depth=1
	v_cmp_eq_u32_e32 vcc_lo, 1, v31
	s_cmp_eq_u32 s19, 1
	s_mov_b32 s91, -1
	s_cselect_b32 s11, -1, 0
                                        ; implicit-def: $sgpr90
                                        ; implicit-def: $sgpr89
	s_delay_alu instid0(SALU_CYCLE_1) | instskip(NEXT) | instid1(SALU_CYCLE_1)
	s_and_b32 s87, s11, vcc_lo
                                        ; implicit-def: $sgpr11
	s_and_saveexec_b32 s88, s87
	s_cbranch_execz .LBB33_219
; %bb.193:                              ;   in Loop: Header=BB33_6 Depth=1
	ds_load_b32 v1, v8 offset:4096
	s_waitcnt lgkmcnt(0)
	s_barrier
	buffer_gl0_inv
	v_readfirstlane_b32 s11, v1
	s_and_saveexec_b32 s89, s6
	s_cbranch_execz .LBB33_195
; %bb.194:                              ;   in Loop: Header=BB33_6 Depth=1
	ds_store_b32 v21, v8
.LBB33_195:                             ;   in Loop: Header=BB33_6 Depth=1
	s_or_b32 exec_lo, exec_lo, s89
	v_or_b32_e32 v3, s13, v3
	v_or_b32_e32 v4, s13, v4
	s_cmp_eq_u32 s11, 0
	s_waitcnt lgkmcnt(0)
	s_barrier
	buffer_gl0_inv
	s_cbranch_scc1 .LBB33_204
; %bb.196:                              ;   in Loop: Header=BB33_6 Depth=1
	s_add_i32 s89, s11, s59
                                        ; implicit-def: $vgpr2
	s_delay_alu instid0(SALU_CYCLE_1) | instskip(NEXT) | instid1(SALU_CYCLE_1)
	s_mul_hi_u32 s90, s89, s66
	s_mul_i32 s90, s90, s46
	s_delay_alu instid0(SALU_CYCLE_1) | instskip(NEXT) | instid1(SALU_CYCLE_1)
	s_sub_i32 s90, s89, s90
	s_sub_i32 s91, s90, s46
	s_cmp_ge_u32 s90, s46
	s_cselect_b32 s90, s91, s90
	s_delay_alu instid0(SALU_CYCLE_1)
	s_sub_i32 s91, s90, s46
	s_cmp_ge_u32 s90, s46
	s_cselect_b32 s90, s91, s90
	s_mov_b32 s91, 0
	s_sub_i32 s90, s89, s90
	s_mov_b32 s89, exec_lo
	v_cmpx_gt_u32_e64 s90, v0
	s_cbranch_execz .LBB33_206
; %bb.197:                              ;   in Loop: Header=BB33_6 Depth=1
	v_dual_mov_b32 v7, v18 :: v_dual_mov_b32 v32, v0
                                        ; implicit-def: $sgpr92
	s_set_inst_prefetch_distance 0x1
	s_branch .LBB33_199
	.p2align	6
.LBB33_198:                             ;   in Loop: Header=BB33_199 Depth=2
	s_or_b32 exec_lo, exec_lo, s93
	s_waitcnt lgkmcnt(0)
	s_barrier
	buffer_gl0_inv
	ds_load_b64 v[1:2], v8 offset:3072
	v_add_nc_u32_e32 v32, s46, v32
	v_add_nc_u32_e32 v7, s55, v7
	s_waitcnt lgkmcnt(0)
	s_barrier
	buffer_gl0_inv
	v_cmp_le_u32_e32 vcc_lo, s90, v32
	v_readfirstlane_b32 s93, v1
	s_delay_alu instid0(VALU_DEP_1) | instskip(SKIP_1) | instid1(SALU_CYCLE_1)
	s_cmp_lg_u32 s93, 0
	s_cselect_b32 s93, -1, 0
	s_or_b32 s94, vcc_lo, s93
	s_delay_alu instid0(SALU_CYCLE_1) | instskip(NEXT) | instid1(SALU_CYCLE_1)
	s_and_b32 s94, exec_lo, s94
	s_or_b32 s91, s94, s91
	s_and_not1_b32 s92, s92, exec_lo
	s_and_b32 s93, s93, exec_lo
	s_delay_alu instid0(SALU_CYCLE_1)
	s_or_b32 s92, s92, s93
	s_and_not1_b32 exec_lo, exec_lo, s91
	s_cbranch_execz .LBB33_205
.LBB33_199:                             ;   Parent Loop BB33_6 Depth=1
                                        ; =>  This Inner Loop Header: Depth=2
	s_delay_alu instid0(VALU_DEP_1)
	v_cmp_gt_u32_e32 vcc_lo, s11, v32
	v_mov_b32_e32 v14, 0
	s_and_saveexec_b32 s93, vcc_lo
	s_cbranch_execz .LBB33_201
; %bb.200:                              ;   in Loop: Header=BB33_199 Depth=2
	ds_load_b32 v14, v7
.LBB33_201:                             ;   in Loop: Header=BB33_199 Depth=2
	s_or_b32 exec_lo, exec_lo, s93
	s_and_saveexec_b32 s93, vcc_lo
	s_cbranch_execz .LBB33_198
; %bb.202:                              ;   in Loop: Header=BB33_199 Depth=2
	s_waitcnt lgkmcnt(0)
	v_xor_b32_e32 v1, 0x80000000, v14
	s_delay_alu instid0(VALU_DEP_1) | instskip(NEXT) | instid1(VALU_DEP_1)
	v_and_b32_e32 v1, v1, v4
	v_cmp_eq_u32_e32 vcc_lo, v1, v3
	s_and_b32 exec_lo, exec_lo, vcc_lo
	s_cbranch_execz .LBB33_198
; %bb.203:                              ;   in Loop: Header=BB33_199 Depth=2
	ds_store_b64 v8, v[13:14] offset:3072
	s_branch .LBB33_198
.LBB33_204:                             ;   in Loop: Header=BB33_6 Depth=1
	s_mov_b32 s11, -1
	s_mov_b32 s91, 0
                                        ; implicit-def: $sgpr89
                                        ; implicit-def: $vgpr2
	s_branch .LBB33_207
.LBB33_205:                             ;   in Loop: Header=BB33_6 Depth=1
	s_set_inst_prefetch_distance 0x2
	s_or_b32 exec_lo, exec_lo, s91
	s_delay_alu instid0(SALU_CYCLE_1)
	s_and_b32 s91, s92, exec_lo
.LBB33_206:                             ;   in Loop: Header=BB33_6 Depth=1
	s_or_b32 exec_lo, exec_lo, s89
	s_mov_b32 s89, -1
	s_mov_b32 s11, 0
.LBB33_207:                             ;   in Loop: Header=BB33_6 Depth=1
	s_delay_alu instid0(SALU_CYCLE_1)
	s_and_b32 vcc_lo, exec_lo, s11
	s_mov_b32 s90, s11
	s_cbranch_vccz .LBB33_218
; %bb.208:                              ;   in Loop: Header=BB33_6 Depth=1
	s_mov_b32 s91, 0
                                        ; implicit-def: $vgpr2
	s_and_saveexec_b32 s89, s9
	s_cbranch_execz .LBB33_217
; %bb.209:                              ;   in Loop: Header=BB33_6 Depth=1
	v_dual_mov_b32 v7, v9 :: v_dual_mov_b32 v32, v0
	s_mov_b32 s90, 0
                                        ; implicit-def: $sgpr91
	s_set_inst_prefetch_distance 0x1
	s_branch .LBB33_211
	.p2align	6
.LBB33_210:                             ;   in Loop: Header=BB33_211 Depth=2
	s_or_b32 exec_lo, exec_lo, s11
	s_waitcnt vmcnt(0) lgkmcnt(0)
	s_barrier
	buffer_gl0_inv
	ds_load_b64 v[1:2], v8 offset:3072
	v_add_nc_u32_e32 v32, s46, v32
	v_add_nc_u32_e32 v7, s48, v7
	s_waitcnt lgkmcnt(0)
	s_barrier
	buffer_gl0_inv
	v_cmp_le_u32_e32 vcc_lo, s67, v32
	v_readfirstlane_b32 s11, v1
	s_delay_alu instid0(VALU_DEP_1) | instskip(SKIP_1) | instid1(SALU_CYCLE_1)
	s_cmp_lg_u32 s11, 0
	s_cselect_b32 s11, -1, 0
	s_or_b32 s92, vcc_lo, s11
	s_delay_alu instid0(SALU_CYCLE_1) | instskip(NEXT) | instid1(SALU_CYCLE_1)
	s_and_b32 s92, exec_lo, s92
	s_or_b32 s90, s92, s90
	s_and_not1_b32 s91, s91, exec_lo
	s_and_b32 s11, s11, exec_lo
	s_delay_alu instid0(SALU_CYCLE_1)
	s_or_b32 s91, s91, s11
	s_and_not1_b32 exec_lo, exec_lo, s90
	s_cbranch_execz .LBB33_216
.LBB33_211:                             ;   Parent Loop BB33_6 Depth=1
                                        ; =>  This Inner Loop Header: Depth=2
	s_delay_alu instid0(VALU_DEP_1)
	v_cmp_gt_u32_e32 vcc_lo, s36, v32
	v_mov_b32_e32 v14, 0
	s_and_saveexec_b32 s92, vcc_lo
	s_cbranch_execz .LBB33_213
; %bb.212:                              ;   in Loop: Header=BB33_211 Depth=2
	v_lshlrev_b64 v[1:2], 2, v[7:8]
	s_delay_alu instid0(VALU_DEP_1) | instskip(NEXT) | instid1(VALU_DEP_1)
	v_add_co_u32 v1, s11, s33, v1
	v_add_co_ci_u32_e64 v2, s11, s35, v2, s11
	global_load_b32 v14, v[1:2], off
.LBB33_213:                             ;   in Loop: Header=BB33_211 Depth=2
	s_or_b32 exec_lo, exec_lo, s92
	s_and_saveexec_b32 s11, vcc_lo
	s_cbranch_execz .LBB33_210
; %bb.214:                              ;   in Loop: Header=BB33_211 Depth=2
	s_waitcnt vmcnt(0)
	v_xor_b32_e32 v1, 0x80000000, v14
	s_delay_alu instid0(VALU_DEP_1) | instskip(NEXT) | instid1(VALU_DEP_1)
	v_and_b32_e32 v1, v1, v4
	v_cmp_eq_u32_e32 vcc_lo, v1, v3
	s_and_b32 exec_lo, exec_lo, vcc_lo
	s_cbranch_execz .LBB33_210
; %bb.215:                              ;   in Loop: Header=BB33_211 Depth=2
	ds_store_b64 v8, v[13:14] offset:3072
	s_branch .LBB33_210
.LBB33_216:                             ;   in Loop: Header=BB33_6 Depth=1
	s_set_inst_prefetch_distance 0x2
	s_or_b32 exec_lo, exec_lo, s90
	s_delay_alu instid0(SALU_CYCLE_1)
	s_and_b32 s91, s91, exec_lo
.LBB33_217:                             ;   in Loop: Header=BB33_6 Depth=1
	s_or_b32 exec_lo, exec_lo, s89
	s_mov_b32 s90, -1
	s_mov_b32 s11, 0
	s_mov_b32 s89, 0
.LBB33_218:                             ;   in Loop: Header=BB33_6 Depth=1
	s_or_not1_b32 s91, s91, exec_lo
.LBB33_219:                             ;   in Loop: Header=BB33_6 Depth=1
	s_or_b32 exec_lo, exec_lo, s88
	s_mov_b32 s92, 0
                                        ; implicit-def: $vgpr1
                                        ; implicit-def: $vgpr7
	s_and_saveexec_b32 s88, s91
	s_cbranch_execz .LBB33_231
; %bb.220:                              ;   in Loop: Header=BB33_6 Depth=1
	v_mov_b32_e32 v1, 1
	v_mov_b32_e32 v7, 1
	s_xor_b32 s91, s87, -1
	s_delay_alu instid0(SALU_CYCLE_1)
	s_and_saveexec_b32 s87, s91
	s_cbranch_execz .LBB33_230
; %bb.221:                              ;   in Loop: Header=BB33_6 Depth=1
	s_mov_b32 s91, exec_lo
                                        ; implicit-def: $sgpr92
	v_cmpx_ge_u32_e64 s19, v31
	s_xor_b32 s91, exec_lo, s91
	s_cbranch_execz .LBB33_227
; %bb.222:                              ;   in Loop: Header=BB33_6 Depth=1
	ds_load_b32 v1, v8 offset:4096
	s_waitcnt lgkmcnt(0)
	v_cmp_ne_u32_e32 vcc_lo, 0, v1
	s_cbranch_vccnz .LBB33_226
; %bb.223:                              ;   in Loop: Header=BB33_6 Depth=1
	s_and_saveexec_b32 s92, s5
	s_cbranch_execz .LBB33_225
; %bb.224:                              ;   in Loop: Header=BB33_6 Depth=1
	v_mov_b32_e32 v1, s19
	ds_store_b32 v8, v1 offset:4100
.LBB33_225:                             ;   in Loop: Header=BB33_6 Depth=1
	s_or_b32 exec_lo, exec_lo, s92
	s_waitcnt lgkmcnt(0)
	s_barrier
	buffer_gl0_inv
.LBB33_226:                             ;   in Loop: Header=BB33_6 Depth=1
	v_or_b32_e32 v3, s13, v3
	v_or_b32_e32 v4, s13, v4
	s_mov_b32 s92, 8
.LBB33_227:                             ;   in Loop: Header=BB33_6 Depth=1
	s_or_saveexec_b32 s91, s91
	v_mov_b32_e32 v1, s92
	s_xor_b32 exec_lo, exec_lo, s91
; %bb.228:                              ;   in Loop: Header=BB33_6 Depth=1
	v_subrev_nc_u32_e32 v31, s19, v31
	v_mov_b32_e32 v1, 8
; %bb.229:                              ;   in Loop: Header=BB33_6 Depth=1
	s_or_b32 exec_lo, exec_lo, s91
	s_delay_alu instid0(VALU_DEP_2)
	v_mov_b32_e32 v7, v31
.LBB33_230:                             ;   in Loop: Header=BB33_6 Depth=1
	s_or_b32 exec_lo, exec_lo, s87
	s_delay_alu instid0(SALU_CYCLE_1)
	s_mov_b32 s92, exec_lo
.LBB33_231:                             ;   in Loop: Header=BB33_6 Depth=1
	s_or_b32 exec_lo, exec_lo, s88
	s_delay_alu instid0(VALU_DEP_1)
	v_mov_b32_e32 v31, v7
	s_or_not1_b32 s87, s92, exec_lo
.LBB33_232:                             ;   in Loop: Header=BB33_6 Depth=1
	s_or_b32 exec_lo, exec_lo, s86
	s_delay_alu instid0(SALU_CYCLE_1)
	s_and_not1_b32 s82, s82, exec_lo
	s_and_b32 s11, s11, exec_lo
	v_mov_b32_e32 v32, v31
	s_or_b32 s82, s82, s11
	s_and_not1_b32 s11, s84, exec_lo
	s_and_b32 s84, s90, exec_lo
	s_and_not1_b32 s83, s83, exec_lo
	s_and_b32 s86, s89, exec_lo
	s_or_b32 s84, s11, s84
	s_or_b32 s83, s83, s86
	s_and_b32 s87, s87, exec_lo
.LBB33_233:                             ;   in Loop: Header=BB33_6 Depth=1
	s_or_b32 exec_lo, exec_lo, s85
	s_delay_alu instid0(SALU_CYCLE_1)
	s_and_b32 s85, s82, exec_lo
	s_and_b32 s84, s84, exec_lo
	;; [unrolled: 1-line block ×3, first 2 shown]
	s_or_not1_b32 s11, s87, exec_lo
.LBB33_234:                             ;   in Loop: Header=BB33_6 Depth=1
	s_or_b32 exec_lo, exec_lo, s29
	s_delay_alu instid0(SALU_CYCLE_1)
	s_and_not1_b32 s25, s25, exec_lo
	s_and_b32 s29, s85, exec_lo
	v_mov_b32_e32 v31, v32
	s_or_b32 s25, s25, s29
	s_and_not1_b32 s27, s27, exec_lo
	s_and_b32 s29, s84, exec_lo
	s_and_not1_b32 s26, s26, exec_lo
	s_and_b32 s82, s82, exec_lo
	s_or_b32 s27, s27, s29
	s_or_b32 s26, s26, s82
	s_and_b32 s82, s11, exec_lo
.LBB33_235:                             ;   in Loop: Header=BB33_6 Depth=1
	s_or_b32 exec_lo, exec_lo, s28
	s_delay_alu instid0(SALU_CYCLE_1)
	s_and_b32 s28, s25, exec_lo
	s_and_b32 s27, s27, exec_lo
	;; [unrolled: 1-line block ×3, first 2 shown]
	s_or_not1_b32 s11, s82, exec_lo
.LBB33_236:                             ;   in Loop: Header=BB33_6 Depth=1
	s_or_b32 exec_lo, exec_lo, s20
	s_mov_b32 s20, 0
	s_mov_b32 s26, 0
	s_and_saveexec_b32 s29, s11
	s_delay_alu instid0(SALU_CYCLE_1)
	s_xor_b32 s29, exec_lo, s29
; %bb.237:                              ;   in Loop: Header=BB33_6 Depth=1
	v_cmp_ne_u32_e32 vcc_lo, 8, v1
	v_cmp_eq_u32_e64 s11, 8, v1
	s_and_not1_b32 s28, s28, exec_lo
	s_and_not1_b32 s27, s27, exec_lo
	;; [unrolled: 1-line block ×3, first 2 shown]
	s_and_b32 s26, vcc_lo, exec_lo
	s_and_b32 s20, s11, exec_lo
; %bb.238:                              ;   in Loop: Header=BB33_6 Depth=1
	s_or_b32 exec_lo, exec_lo, s29
	s_delay_alu instid0(SALU_CYCLE_1)
	s_and_not1_b32 s11, s15, exec_lo
	s_and_b32 s15, s28, exec_lo
	s_and_not1_b32 s21, s21, exec_lo
	s_or_b32 s15, s11, s15
	s_and_not1_b32 s11, s22, exec_lo
	s_and_b32 s22, s27, exec_lo
	s_and_b32 s25, s25, exec_lo
	s_or_b32 s22, s11, s22
	s_or_b32 s21, s21, s25
	s_and_b32 s11, s26, exec_lo
	s_and_b32 s20, s20, exec_lo
.LBB33_239:                             ;   in Loop: Header=BB33_6 Depth=1
	s_or_b32 exec_lo, exec_lo, s24
	s_delay_alu instid0(SALU_CYCLE_1)
	s_and_b32 vcc_lo, exec_lo, s23
	s_cbranch_vccz .LBB33_86
.LBB33_240:                             ;   in Loop: Header=BB33_6 Depth=1
	s_cmp_eq_u32 s19, 1
                                        ; implicit-def: $sgpr23
                                        ; implicit-def: $sgpr24
	s_cselect_b32 s15, -1, 0
	s_delay_alu instid0(SALU_CYCLE_1)
	s_and_b32 s22, s15, s10
	s_mov_b32 s10, -1
                                        ; implicit-def: $sgpr15
	s_and_saveexec_b32 s21, s22
	s_cbranch_execz .LBB33_266
; %bb.241:                              ;   in Loop: Header=BB33_6 Depth=1
	ds_load_b32 v1, v8 offset:4096
	s_waitcnt lgkmcnt(0)
	s_barrier
	buffer_gl0_inv
	v_readfirstlane_b32 s10, v1
	s_and_saveexec_b32 s15, s6
	s_cbranch_execz .LBB33_243
; %bb.242:                              ;   in Loop: Header=BB33_6 Depth=1
	ds_store_b32 v21, v8
.LBB33_243:                             ;   in Loop: Header=BB33_6 Depth=1
	s_or_b32 exec_lo, exec_lo, s15
	v_or_b32_e32 v29, s13, v29
	v_or_b32_e32 v28, s13, v28
	s_cmp_eq_u32 s10, 0
	s_waitcnt lgkmcnt(0)
	s_barrier
	buffer_gl0_inv
	s_cbranch_scc1 .LBB33_252
; %bb.244:                              ;   in Loop: Header=BB33_6 Depth=1
	s_add_i32 s15, s10, s59
	s_mov_b32 s25, 0
	s_mul_hi_u32 s23, s15, s66
                                        ; implicit-def: $vgpr15
	s_delay_alu instid0(SALU_CYCLE_1) | instskip(NEXT) | instid1(SALU_CYCLE_1)
	s_mul_i32 s23, s23, s46
	s_sub_i32 s23, s15, s23
	s_delay_alu instid0(SALU_CYCLE_1) | instskip(SKIP_2) | instid1(SALU_CYCLE_1)
	s_sub_i32 s24, s23, s46
	s_cmp_ge_u32 s23, s46
	s_cselect_b32 s23, s24, s23
	s_sub_i32 s24, s23, s46
	s_cmp_ge_u32 s23, s46
	s_cselect_b32 s23, s24, s23
	s_delay_alu instid0(SALU_CYCLE_1)
	s_sub_i32 s23, s15, s23
	s_mov_b32 s15, exec_lo
	v_cmpx_gt_u32_e64 s23, v0
	s_cbranch_execz .LBB33_254
; %bb.245:                              ;   in Loop: Header=BB33_6 Depth=1
	v_dual_mov_b32 v1, v18 :: v_dual_mov_b32 v2, v0
	s_mov_b32 s24, 0
                                        ; implicit-def: $sgpr25
	s_set_inst_prefetch_distance 0x1
	s_branch .LBB33_247
	.p2align	6
.LBB33_246:                             ;   in Loop: Header=BB33_247 Depth=2
	s_or_b32 exec_lo, exec_lo, s26
	s_waitcnt lgkmcnt(0)
	s_barrier
	buffer_gl0_inv
	ds_load_b64 v[14:15], v8 offset:3072
	v_add_nc_u32_e32 v2, s46, v2
	v_add_nc_u32_e32 v1, s55, v1
	s_waitcnt lgkmcnt(0)
	s_barrier
	buffer_gl0_inv
	v_cmp_le_u32_e32 vcc_lo, s23, v2
	v_readfirstlane_b32 s26, v14
	s_delay_alu instid0(VALU_DEP_1) | instskip(SKIP_1) | instid1(SALU_CYCLE_1)
	s_cmp_lg_u32 s26, 0
	s_cselect_b32 s26, -1, 0
	s_or_b32 s27, vcc_lo, s26
	s_delay_alu instid0(SALU_CYCLE_1) | instskip(NEXT) | instid1(SALU_CYCLE_1)
	s_and_b32 s27, exec_lo, s27
	s_or_b32 s24, s27, s24
	s_and_not1_b32 s25, s25, exec_lo
	s_and_b32 s26, s26, exec_lo
	s_delay_alu instid0(SALU_CYCLE_1)
	s_or_b32 s25, s25, s26
	s_and_not1_b32 exec_lo, exec_lo, s24
	s_cbranch_execz .LBB33_253
.LBB33_247:                             ;   Parent Loop BB33_6 Depth=1
                                        ; =>  This Inner Loop Header: Depth=2
	s_delay_alu instid0(VALU_DEP_1)
	v_cmp_gt_u32_e32 vcc_lo, s10, v2
	v_mov_b32_e32 v14, 0
	s_and_saveexec_b32 s26, vcc_lo
	s_cbranch_execz .LBB33_249
; %bb.248:                              ;   in Loop: Header=BB33_247 Depth=2
	ds_load_b32 v14, v1
.LBB33_249:                             ;   in Loop: Header=BB33_247 Depth=2
	s_or_b32 exec_lo, exec_lo, s26
	s_and_saveexec_b32 s26, vcc_lo
	s_cbranch_execz .LBB33_246
; %bb.250:                              ;   in Loop: Header=BB33_247 Depth=2
	s_waitcnt lgkmcnt(0)
	v_xor_b32_e32 v3, 0x80000000, v14
	s_delay_alu instid0(VALU_DEP_1) | instskip(NEXT) | instid1(VALU_DEP_1)
	v_and_b32_e32 v3, v3, v28
	v_cmp_eq_u32_e32 vcc_lo, v3, v29
	s_and_b32 exec_lo, exec_lo, vcc_lo
	s_cbranch_execz .LBB33_246
; %bb.251:                              ;   in Loop: Header=BB33_247 Depth=2
	ds_store_b64 v8, v[13:14] offset:3072
	s_branch .LBB33_246
.LBB33_252:                             ;   in Loop: Header=BB33_6 Depth=1
	s_mov_b32 s23, -1
	s_mov_b32 s25, 0
                                        ; implicit-def: $sgpr24
                                        ; implicit-def: $vgpr15
	s_mov_b32 s15, s23
	s_cbranch_execnz .LBB33_255
	s_branch .LBB33_265
.LBB33_253:                             ;   in Loop: Header=BB33_6 Depth=1
	s_set_inst_prefetch_distance 0x2
	s_or_b32 exec_lo, exec_lo, s24
	s_delay_alu instid0(SALU_CYCLE_1)
	s_and_b32 s25, s25, exec_lo
.LBB33_254:                             ;   in Loop: Header=BB33_6 Depth=1
	s_or_b32 exec_lo, exec_lo, s15
	s_mov_b32 s23, 0
	s_mov_b32 s24, -1
	s_mov_b32 s15, s23
	s_branch .LBB33_265
.LBB33_255:                             ;   in Loop: Header=BB33_6 Depth=1
	s_mov_b32 s25, 0
                                        ; implicit-def: $vgpr15
	s_and_saveexec_b32 s15, s9
	s_cbranch_execz .LBB33_264
; %bb.256:                              ;   in Loop: Header=BB33_6 Depth=1
	v_mov_b32_e32 v7, v9
	v_mov_b32_e32 v1, v0
	s_mov_b32 s23, 0
                                        ; implicit-def: $sgpr24
	s_set_inst_prefetch_distance 0x1
	s_branch .LBB33_258
	.p2align	6
.LBB33_257:                             ;   in Loop: Header=BB33_258 Depth=2
	s_or_b32 exec_lo, exec_lo, s10
	s_waitcnt vmcnt(0) lgkmcnt(0)
	s_barrier
	buffer_gl0_inv
	ds_load_b64 v[14:15], v8 offset:3072
	v_add_nc_u32_e32 v1, s46, v1
	v_add_nc_u32_e32 v7, s48, v7
	s_waitcnt lgkmcnt(0)
	s_barrier
	buffer_gl0_inv
	v_cmp_le_u32_e32 vcc_lo, s67, v1
	v_readfirstlane_b32 s10, v14
	s_delay_alu instid0(VALU_DEP_1) | instskip(SKIP_1) | instid1(SALU_CYCLE_1)
	s_cmp_lg_u32 s10, 0
	s_cselect_b32 s10, -1, 0
	s_or_b32 s25, vcc_lo, s10
	s_delay_alu instid0(SALU_CYCLE_1) | instskip(NEXT) | instid1(SALU_CYCLE_1)
	s_and_b32 s25, exec_lo, s25
	s_or_b32 s23, s25, s23
	s_and_not1_b32 s24, s24, exec_lo
	s_and_b32 s10, s10, exec_lo
	s_delay_alu instid0(SALU_CYCLE_1)
	s_or_b32 s24, s24, s10
	s_and_not1_b32 exec_lo, exec_lo, s23
	s_cbranch_execz .LBB33_263
.LBB33_258:                             ;   Parent Loop BB33_6 Depth=1
                                        ; =>  This Inner Loop Header: Depth=2
	s_delay_alu instid0(VALU_DEP_1)
	v_cmp_gt_u32_e32 vcc_lo, s36, v1
	v_mov_b32_e32 v14, 0
	s_and_saveexec_b32 s25, vcc_lo
	s_cbranch_execz .LBB33_260
; %bb.259:                              ;   in Loop: Header=BB33_258 Depth=2
	v_lshlrev_b64 v[2:3], 2, v[7:8]
	s_delay_alu instid0(VALU_DEP_1) | instskip(NEXT) | instid1(VALU_DEP_1)
	v_add_co_u32 v2, s10, s33, v2
	v_add_co_ci_u32_e64 v3, s10, s35, v3, s10
	global_load_b32 v14, v[2:3], off
.LBB33_260:                             ;   in Loop: Header=BB33_258 Depth=2
	s_or_b32 exec_lo, exec_lo, s25
	s_and_saveexec_b32 s10, vcc_lo
	s_cbranch_execz .LBB33_257
; %bb.261:                              ;   in Loop: Header=BB33_258 Depth=2
	s_waitcnt vmcnt(0)
	v_xor_b32_e32 v2, 0x80000000, v14
	s_delay_alu instid0(VALU_DEP_1) | instskip(NEXT) | instid1(VALU_DEP_1)
	v_and_b32_e32 v2, v2, v28
	v_cmp_eq_u32_e32 vcc_lo, v2, v29
	s_and_b32 exec_lo, exec_lo, vcc_lo
	s_cbranch_execz .LBB33_257
; %bb.262:                              ;   in Loop: Header=BB33_258 Depth=2
	ds_store_b64 v8, v[13:14] offset:3072
	s_branch .LBB33_257
.LBB33_263:                             ;   in Loop: Header=BB33_6 Depth=1
	s_set_inst_prefetch_distance 0x2
	s_or_b32 exec_lo, exec_lo, s23
	s_delay_alu instid0(SALU_CYCLE_1)
	s_and_b32 s25, s24, exec_lo
.LBB33_264:                             ;   in Loop: Header=BB33_6 Depth=1
	s_or_b32 exec_lo, exec_lo, s15
	s_mov_b32 s24, 0
	s_mov_b32 s23, -1
	s_mov_b32 s15, 0
.LBB33_265:                             ;   in Loop: Header=BB33_6 Depth=1
	s_or_not1_b32 s10, s25, exec_lo
.LBB33_266:                             ;   in Loop: Header=BB33_6 Depth=1
	s_or_b32 exec_lo, exec_lo, s21
                                        ; implicit-def: $vgpr1
                                        ; implicit-def: $vgpr31
                                        ; implicit-def: $vgpr3
                                        ; implicit-def: $vgpr4
                                        ; implicit-def: $vgpr2
	s_and_saveexec_b32 s21, s10
	s_cbranch_execz .LBB33_401
; %bb.267:                              ;   in Loop: Header=BB33_6 Depth=1
	v_mov_b32_e32 v31, 1
	v_mov_b32_e32 v1, 1
	s_xor_b32 s22, s22, -1
	s_mov_b32 s28, 0
	s_and_saveexec_b32 s10, s22
	s_cbranch_execz .LBB33_277
; %bb.268:                              ;   in Loop: Header=BB33_6 Depth=1
	s_mov_b32 s25, exec_lo
                                        ; implicit-def: $sgpr26
                                        ; implicit-def: $sgpr22
	v_cmpx_ge_u32_e64 s19, v30
	s_xor_b32 s25, exec_lo, s25
	s_cbranch_execz .LBB33_274
; %bb.269:                              ;   in Loop: Header=BB33_6 Depth=1
	ds_load_b32 v1, v8 offset:4096
	s_waitcnt lgkmcnt(0)
	v_cmp_ne_u32_e32 vcc_lo, 0, v1
	s_cbranch_vccnz .LBB33_273
; %bb.270:                              ;   in Loop: Header=BB33_6 Depth=1
	s_and_saveexec_b32 s22, s5
	s_cbranch_execz .LBB33_272
; %bb.271:                              ;   in Loop: Header=BB33_6 Depth=1
	v_mov_b32_e32 v1, s19
	ds_store_b32 v8, v1 offset:4100
.LBB33_272:                             ;   in Loop: Header=BB33_6 Depth=1
	s_or_b32 exec_lo, exec_lo, s22
	s_waitcnt lgkmcnt(0)
	s_barrier
	buffer_gl0_inv
.LBB33_273:                             ;   in Loop: Header=BB33_6 Depth=1
	v_or_b32_e32 v29, s13, v29
	v_or_b32_e32 v28, s13, v28
	s_mov_b32 s22, 0
	s_mov_b32 s26, 5
.LBB33_274:                             ;   in Loop: Header=BB33_6 Depth=1
	s_or_saveexec_b32 s25, s25
	v_mov_b32_e32 v1, s26
	s_xor_b32 exec_lo, exec_lo, s25
; %bb.275:                              ;   in Loop: Header=BB33_6 Depth=1
	v_subrev_nc_u32_e32 v30, s19, v30
	v_mov_b32_e32 v1, 0
	s_or_b32 s22, s22, exec_lo
; %bb.276:                              ;   in Loop: Header=BB33_6 Depth=1
	s_or_b32 exec_lo, exec_lo, s25
	s_delay_alu instid0(VALU_DEP_2)
	v_mov_b32_e32 v31, v30
	s_and_b32 s28, s22, exec_lo
.LBB33_277:                             ;   in Loop: Header=BB33_6 Depth=1
	s_or_b32 exec_lo, exec_lo, s10
	s_mov_b32 s26, -1
                                        ; implicit-def: $sgpr22
                                        ; implicit-def: $sgpr25
                                        ; implicit-def: $sgpr27
	s_and_saveexec_b32 s10, s28
	s_delay_alu instid0(SALU_CYCLE_1)
	s_xor_b32 s19, exec_lo, s10
	s_cbranch_execz .LBB33_398
; %bb.278:                              ;   in Loop: Header=BB33_6 Depth=1
	v_cmp_eq_u32_e32 vcc_lo, 1, v31
	s_cmp_eq_u32 s18, 1
                                        ; implicit-def: $sgpr22
                                        ; implicit-def: $sgpr25
                                        ; implicit-def: $sgpr26
	s_cselect_b32 s10, -1, 0
	s_delay_alu instid0(SALU_CYCLE_1)
	s_and_b32 s28, s10, vcc_lo
	s_mov_b32 s10, -1
	s_and_saveexec_b32 s27, s28
	s_cbranch_execz .LBB33_304
; %bb.279:                              ;   in Loop: Header=BB33_6 Depth=1
	ds_load_b32 v1, v8 offset:4096
	s_waitcnt lgkmcnt(0)
	s_barrier
	buffer_gl0_inv
	v_readfirstlane_b32 s10, v1
	s_and_saveexec_b32 s22, s6
	s_cbranch_execz .LBB33_281
; %bb.280:                              ;   in Loop: Header=BB33_6 Depth=1
	ds_store_b32 v21, v8
.LBB33_281:                             ;   in Loop: Header=BB33_6 Depth=1
	s_or_b32 exec_lo, exec_lo, s22
	s_lshl_b32 s22, 2, s17
	v_or_b32_e32 v28, s13, v28
	v_and_or_b32 v29, v29, s14, s22
	s_cmp_eq_u32 s10, 0
	s_waitcnt lgkmcnt(0)
	s_barrier
	buffer_gl0_inv
	s_cbranch_scc1 .LBB33_290
; %bb.282:                              ;   in Loop: Header=BB33_6 Depth=1
	s_add_i32 s22, s10, s59
	s_mov_b32 s29, 0
	s_mul_hi_u32 s25, s22, s66
                                        ; implicit-def: $vgpr15
	s_delay_alu instid0(SALU_CYCLE_1) | instskip(NEXT) | instid1(SALU_CYCLE_1)
	s_mul_i32 s25, s25, s46
	s_sub_i32 s25, s22, s25
	s_delay_alu instid0(SALU_CYCLE_1) | instskip(SKIP_2) | instid1(SALU_CYCLE_1)
	s_sub_i32 s26, s25, s46
	s_cmp_ge_u32 s25, s46
	s_cselect_b32 s25, s26, s25
	s_sub_i32 s26, s25, s46
	s_cmp_ge_u32 s25, s46
	s_cselect_b32 s25, s26, s25
	s_delay_alu instid0(SALU_CYCLE_1)
	s_sub_i32 s25, s22, s25
	s_mov_b32 s22, exec_lo
	v_cmpx_gt_u32_e64 s25, v0
	s_cbranch_execz .LBB33_292
; %bb.283:                              ;   in Loop: Header=BB33_6 Depth=1
	v_dual_mov_b32 v1, v18 :: v_dual_mov_b32 v2, v0
	s_mov_b32 s26, 0
                                        ; implicit-def: $sgpr29
	s_set_inst_prefetch_distance 0x1
	s_branch .LBB33_285
	.p2align	6
.LBB33_284:                             ;   in Loop: Header=BB33_285 Depth=2
	s_or_b32 exec_lo, exec_lo, s82
	s_waitcnt lgkmcnt(0)
	s_barrier
	buffer_gl0_inv
	ds_load_b64 v[14:15], v8 offset:3072
	v_add_nc_u32_e32 v2, s46, v2
	v_add_nc_u32_e32 v1, s55, v1
	s_waitcnt lgkmcnt(0)
	s_barrier
	buffer_gl0_inv
	v_cmp_le_u32_e32 vcc_lo, s25, v2
	v_readfirstlane_b32 s82, v14
	s_delay_alu instid0(VALU_DEP_1) | instskip(SKIP_1) | instid1(SALU_CYCLE_1)
	s_cmp_lg_u32 s82, 0
	s_cselect_b32 s82, -1, 0
	s_or_b32 s83, vcc_lo, s82
	s_delay_alu instid0(SALU_CYCLE_1) | instskip(NEXT) | instid1(SALU_CYCLE_1)
	s_and_b32 s83, exec_lo, s83
	s_or_b32 s26, s83, s26
	s_and_not1_b32 s29, s29, exec_lo
	s_and_b32 s82, s82, exec_lo
	s_delay_alu instid0(SALU_CYCLE_1)
	s_or_b32 s29, s29, s82
	s_and_not1_b32 exec_lo, exec_lo, s26
	s_cbranch_execz .LBB33_291
.LBB33_285:                             ;   Parent Loop BB33_6 Depth=1
                                        ; =>  This Inner Loop Header: Depth=2
	s_delay_alu instid0(VALU_DEP_1)
	v_cmp_gt_u32_e32 vcc_lo, s10, v2
	v_mov_b32_e32 v14, 0
	s_and_saveexec_b32 s82, vcc_lo
	s_cbranch_execz .LBB33_287
; %bb.286:                              ;   in Loop: Header=BB33_285 Depth=2
	ds_load_b32 v14, v1
.LBB33_287:                             ;   in Loop: Header=BB33_285 Depth=2
	s_or_b32 exec_lo, exec_lo, s82
	s_and_saveexec_b32 s82, vcc_lo
	s_cbranch_execz .LBB33_284
; %bb.288:                              ;   in Loop: Header=BB33_285 Depth=2
	s_waitcnt lgkmcnt(0)
	v_xor_b32_e32 v3, 0x80000000, v14
	s_delay_alu instid0(VALU_DEP_1) | instskip(NEXT) | instid1(VALU_DEP_1)
	v_and_b32_e32 v3, v3, v28
	v_cmp_eq_u32_e32 vcc_lo, v3, v29
	s_and_b32 exec_lo, exec_lo, vcc_lo
	s_cbranch_execz .LBB33_284
; %bb.289:                              ;   in Loop: Header=BB33_285 Depth=2
	ds_store_b64 v8, v[13:14] offset:3072
	s_branch .LBB33_284
.LBB33_290:                             ;   in Loop: Header=BB33_6 Depth=1
	s_mov_b32 s22, -1
	s_mov_b32 s29, 0
                                        ; implicit-def: $sgpr25
                                        ; implicit-def: $vgpr15
	s_mov_b32 s26, s22
	s_cbranch_execnz .LBB33_293
	s_branch .LBB33_303
.LBB33_291:                             ;   in Loop: Header=BB33_6 Depth=1
	s_set_inst_prefetch_distance 0x2
	s_or_b32 exec_lo, exec_lo, s26
	s_delay_alu instid0(SALU_CYCLE_1)
	s_and_b32 s29, s29, exec_lo
.LBB33_292:                             ;   in Loop: Header=BB33_6 Depth=1
	s_or_b32 exec_lo, exec_lo, s22
	s_mov_b32 s22, 0
	s_mov_b32 s25, -1
	s_mov_b32 s26, s22
	s_branch .LBB33_303
.LBB33_293:                             ;   in Loop: Header=BB33_6 Depth=1
	s_mov_b32 s29, 0
                                        ; implicit-def: $vgpr15
	s_and_saveexec_b32 s22, s9
	s_cbranch_execz .LBB33_302
; %bb.294:                              ;   in Loop: Header=BB33_6 Depth=1
	v_mov_b32_e32 v7, v9
	v_mov_b32_e32 v1, v0
	s_mov_b32 s25, 0
                                        ; implicit-def: $sgpr26
	s_set_inst_prefetch_distance 0x1
	s_branch .LBB33_296
	.p2align	6
.LBB33_295:                             ;   in Loop: Header=BB33_296 Depth=2
	s_or_b32 exec_lo, exec_lo, s10
	s_waitcnt vmcnt(0) lgkmcnt(0)
	s_barrier
	buffer_gl0_inv
	ds_load_b64 v[14:15], v8 offset:3072
	v_add_nc_u32_e32 v1, s46, v1
	v_add_nc_u32_e32 v7, s48, v7
	s_waitcnt lgkmcnt(0)
	s_barrier
	buffer_gl0_inv
	v_cmp_le_u32_e32 vcc_lo, s67, v1
	v_readfirstlane_b32 s10, v14
	s_delay_alu instid0(VALU_DEP_1) | instskip(SKIP_1) | instid1(SALU_CYCLE_1)
	s_cmp_lg_u32 s10, 0
	s_cselect_b32 s10, -1, 0
	s_or_b32 s29, vcc_lo, s10
	s_delay_alu instid0(SALU_CYCLE_1) | instskip(NEXT) | instid1(SALU_CYCLE_1)
	s_and_b32 s29, exec_lo, s29
	s_or_b32 s25, s29, s25
	s_and_not1_b32 s26, s26, exec_lo
	s_and_b32 s10, s10, exec_lo
	s_delay_alu instid0(SALU_CYCLE_1)
	s_or_b32 s26, s26, s10
	s_and_not1_b32 exec_lo, exec_lo, s25
	s_cbranch_execz .LBB33_301
.LBB33_296:                             ;   Parent Loop BB33_6 Depth=1
                                        ; =>  This Inner Loop Header: Depth=2
	s_delay_alu instid0(VALU_DEP_1)
	v_cmp_gt_u32_e32 vcc_lo, s36, v1
	v_mov_b32_e32 v14, 0
	s_and_saveexec_b32 s29, vcc_lo
	s_cbranch_execz .LBB33_298
; %bb.297:                              ;   in Loop: Header=BB33_296 Depth=2
	v_lshlrev_b64 v[2:3], 2, v[7:8]
	s_delay_alu instid0(VALU_DEP_1) | instskip(NEXT) | instid1(VALU_DEP_1)
	v_add_co_u32 v2, s10, s33, v2
	v_add_co_ci_u32_e64 v3, s10, s35, v3, s10
	global_load_b32 v14, v[2:3], off
.LBB33_298:                             ;   in Loop: Header=BB33_296 Depth=2
	s_or_b32 exec_lo, exec_lo, s29
	s_and_saveexec_b32 s10, vcc_lo
	s_cbranch_execz .LBB33_295
; %bb.299:                              ;   in Loop: Header=BB33_296 Depth=2
	s_waitcnt vmcnt(0)
	v_xor_b32_e32 v2, 0x80000000, v14
	s_delay_alu instid0(VALU_DEP_1) | instskip(NEXT) | instid1(VALU_DEP_1)
	v_and_b32_e32 v2, v2, v28
	v_cmp_eq_u32_e32 vcc_lo, v2, v29
	s_and_b32 exec_lo, exec_lo, vcc_lo
	s_cbranch_execz .LBB33_295
; %bb.300:                              ;   in Loop: Header=BB33_296 Depth=2
	ds_store_b64 v8, v[13:14] offset:3072
	s_branch .LBB33_295
.LBB33_301:                             ;   in Loop: Header=BB33_6 Depth=1
	s_set_inst_prefetch_distance 0x2
	s_or_b32 exec_lo, exec_lo, s25
	s_delay_alu instid0(SALU_CYCLE_1)
	s_and_b32 s29, s26, exec_lo
.LBB33_302:                             ;   in Loop: Header=BB33_6 Depth=1
	s_or_b32 exec_lo, exec_lo, s22
	s_mov_b32 s25, 0
	s_mov_b32 s22, -1
	s_mov_b32 s26, 0
.LBB33_303:                             ;   in Loop: Header=BB33_6 Depth=1
	s_or_not1_b32 s10, s29, exec_lo
.LBB33_304:                             ;   in Loop: Header=BB33_6 Depth=1
	s_or_b32 exec_lo, exec_lo, s27
	s_mov_b32 s29, 0
                                        ; implicit-def: $vgpr1
	s_and_saveexec_b32 s27, s10
	s_cbranch_execz .LBB33_397
; %bb.305:                              ;   in Loop: Header=BB33_6 Depth=1
	v_dual_mov_b32 v2, 1 :: v_dual_mov_b32 v1, 1
	s_xor_b32 s28, s28, -1
	s_mov_b32 s82, 0
	s_and_saveexec_b32 s10, s28
	s_cbranch_execz .LBB33_315
; %bb.306:                              ;   in Loop: Header=BB33_6 Depth=1
	s_mov_b32 s29, exec_lo
                                        ; implicit-def: $sgpr82
                                        ; implicit-def: $sgpr28
	v_cmpx_ge_u32_e64 s18, v31
	s_xor_b32 s29, exec_lo, s29
	s_cbranch_execz .LBB33_312
; %bb.307:                              ;   in Loop: Header=BB33_6 Depth=1
	ds_load_b32 v1, v8 offset:4096
	s_waitcnt lgkmcnt(0)
	v_cmp_ne_u32_e32 vcc_lo, 0, v1
	s_cbranch_vccnz .LBB33_311
; %bb.308:                              ;   in Loop: Header=BB33_6 Depth=1
	s_and_saveexec_b32 s28, s5
	s_cbranch_execz .LBB33_310
; %bb.309:                              ;   in Loop: Header=BB33_6 Depth=1
	v_mov_b32_e32 v1, s18
	ds_store_b32 v8, v1 offset:4100
.LBB33_310:                             ;   in Loop: Header=BB33_6 Depth=1
	s_or_b32 exec_lo, exec_lo, s28
	s_waitcnt lgkmcnt(0)
	s_barrier
	buffer_gl0_inv
.LBB33_311:                             ;   in Loop: Header=BB33_6 Depth=1
	s_lshl_b32 s28, 2, s17
	v_or_b32_e32 v28, s13, v28
	v_and_or_b32 v29, v29, s14, s28
	s_mov_b32 s28, 0
	s_mov_b32 s82, 5
.LBB33_312:                             ;   in Loop: Header=BB33_6 Depth=1
	s_or_saveexec_b32 s29, s29
	v_mov_b32_e32 v1, s82
	s_xor_b32 exec_lo, exec_lo, s29
; %bb.313:                              ;   in Loop: Header=BB33_6 Depth=1
	v_subrev_nc_u32_e32 v31, s18, v31
	v_mov_b32_e32 v1, 0
	s_or_b32 s28, s28, exec_lo
; %bb.314:                              ;   in Loop: Header=BB33_6 Depth=1
	s_or_b32 exec_lo, exec_lo, s29
	s_delay_alu instid0(VALU_DEP_2)
	v_mov_b32_e32 v2, v31
	s_and_b32 s82, s28, exec_lo
.LBB33_315:                             ;   in Loop: Header=BB33_6 Depth=1
	s_or_b32 exec_lo, exec_lo, s10
	s_mov_b32 s10, -1
                                        ; implicit-def: $sgpr28
                                        ; implicit-def: $sgpr29
                                        ; implicit-def: $sgpr83
	s_and_saveexec_b32 s18, s82
	s_cbranch_execz .LBB33_396
; %bb.316:                              ;   in Loop: Header=BB33_6 Depth=1
	v_cmp_eq_u32_e32 vcc_lo, 1, v2
	s_cmp_eq_u32 s16, 1
                                        ; implicit-def: $sgpr28
                                        ; implicit-def: $sgpr29
                                        ; implicit-def: $sgpr82
	s_cselect_b32 s10, -1, 0
	s_delay_alu instid0(SALU_CYCLE_1)
	s_and_b32 s84, s10, vcc_lo
	s_mov_b32 s10, -1
	s_and_saveexec_b32 s83, s84
	s_cbranch_execz .LBB33_342
; %bb.317:                              ;   in Loop: Header=BB33_6 Depth=1
	ds_load_b32 v1, v8 offset:4096
	s_waitcnt lgkmcnt(0)
	s_barrier
	buffer_gl0_inv
	v_readfirstlane_b32 s10, v1
	s_and_saveexec_b32 s28, s6
	s_cbranch_execz .LBB33_319
; %bb.318:                              ;   in Loop: Header=BB33_6 Depth=1
	ds_store_b32 v21, v8
.LBB33_319:                             ;   in Loop: Header=BB33_6 Depth=1
	s_or_b32 exec_lo, exec_lo, s28
	s_lshl_b32 s28, 1, s17
	v_or_b32_e32 v28, s13, v28
	v_and_or_b32 v29, v29, s14, s28
	s_cmp_eq_u32 s10, 0
	s_waitcnt lgkmcnt(0)
	s_barrier
	buffer_gl0_inv
	s_cbranch_scc1 .LBB33_328
; %bb.320:                              ;   in Loop: Header=BB33_6 Depth=1
	s_add_i32 s28, s10, s59
	s_mov_b32 s85, 0
	s_mul_hi_u32 s29, s28, s66
                                        ; implicit-def: $vgpr15
	s_delay_alu instid0(SALU_CYCLE_1) | instskip(NEXT) | instid1(SALU_CYCLE_1)
	s_mul_i32 s29, s29, s46
	s_sub_i32 s29, s28, s29
	s_delay_alu instid0(SALU_CYCLE_1) | instskip(SKIP_2) | instid1(SALU_CYCLE_1)
	s_sub_i32 s82, s29, s46
	s_cmp_ge_u32 s29, s46
	s_cselect_b32 s29, s82, s29
	s_sub_i32 s82, s29, s46
	s_cmp_ge_u32 s29, s46
	s_cselect_b32 s29, s82, s29
	s_delay_alu instid0(SALU_CYCLE_1)
	s_sub_i32 s29, s28, s29
	s_mov_b32 s28, exec_lo
	v_cmpx_gt_u32_e64 s29, v0
	s_cbranch_execz .LBB33_330
; %bb.321:                              ;   in Loop: Header=BB33_6 Depth=1
	v_mov_b32_e32 v1, v18
	v_mov_b32_e32 v3, v0
	s_mov_b32 s82, 0
                                        ; implicit-def: $sgpr85
	s_set_inst_prefetch_distance 0x1
	s_branch .LBB33_323
	.p2align	6
.LBB33_322:                             ;   in Loop: Header=BB33_323 Depth=2
	s_or_b32 exec_lo, exec_lo, s86
	s_waitcnt lgkmcnt(0)
	s_barrier
	buffer_gl0_inv
	ds_load_b64 v[14:15], v8 offset:3072
	v_add_nc_u32_e32 v3, s46, v3
	v_add_nc_u32_e32 v1, s55, v1
	s_waitcnt lgkmcnt(0)
	s_barrier
	buffer_gl0_inv
	v_cmp_le_u32_e32 vcc_lo, s29, v3
	v_readfirstlane_b32 s86, v14
	s_delay_alu instid0(VALU_DEP_1) | instskip(SKIP_1) | instid1(SALU_CYCLE_1)
	s_cmp_lg_u32 s86, 0
	s_cselect_b32 s86, -1, 0
	s_or_b32 s87, vcc_lo, s86
	s_delay_alu instid0(SALU_CYCLE_1) | instskip(NEXT) | instid1(SALU_CYCLE_1)
	s_and_b32 s87, exec_lo, s87
	s_or_b32 s82, s87, s82
	s_and_not1_b32 s85, s85, exec_lo
	s_and_b32 s86, s86, exec_lo
	s_delay_alu instid0(SALU_CYCLE_1)
	s_or_b32 s85, s85, s86
	s_and_not1_b32 exec_lo, exec_lo, s82
	s_cbranch_execz .LBB33_329
.LBB33_323:                             ;   Parent Loop BB33_6 Depth=1
                                        ; =>  This Inner Loop Header: Depth=2
	s_delay_alu instid0(VALU_DEP_1)
	v_cmp_gt_u32_e32 vcc_lo, s10, v3
	v_mov_b32_e32 v14, 0
	s_and_saveexec_b32 s86, vcc_lo
	s_cbranch_execz .LBB33_325
; %bb.324:                              ;   in Loop: Header=BB33_323 Depth=2
	ds_load_b32 v14, v1
.LBB33_325:                             ;   in Loop: Header=BB33_323 Depth=2
	s_or_b32 exec_lo, exec_lo, s86
	s_and_saveexec_b32 s86, vcc_lo
	s_cbranch_execz .LBB33_322
; %bb.326:                              ;   in Loop: Header=BB33_323 Depth=2
	s_waitcnt lgkmcnt(0)
	v_xor_b32_e32 v4, 0x80000000, v14
	s_delay_alu instid0(VALU_DEP_1) | instskip(NEXT) | instid1(VALU_DEP_1)
	v_and_b32_e32 v4, v4, v28
	v_cmp_eq_u32_e32 vcc_lo, v4, v29
	s_and_b32 exec_lo, exec_lo, vcc_lo
	s_cbranch_execz .LBB33_322
; %bb.327:                              ;   in Loop: Header=BB33_323 Depth=2
	ds_store_b64 v8, v[13:14] offset:3072
	s_branch .LBB33_322
.LBB33_328:                             ;   in Loop: Header=BB33_6 Depth=1
	s_mov_b32 s28, -1
	s_mov_b32 s85, 0
                                        ; implicit-def: $sgpr29
                                        ; implicit-def: $vgpr15
	s_mov_b32 s82, s28
	s_cbranch_execnz .LBB33_331
	s_branch .LBB33_341
.LBB33_329:                             ;   in Loop: Header=BB33_6 Depth=1
	s_set_inst_prefetch_distance 0x2
	s_or_b32 exec_lo, exec_lo, s82
	s_delay_alu instid0(SALU_CYCLE_1)
	s_and_b32 s85, s85, exec_lo
.LBB33_330:                             ;   in Loop: Header=BB33_6 Depth=1
	s_or_b32 exec_lo, exec_lo, s28
	s_mov_b32 s28, 0
	s_mov_b32 s29, -1
	s_mov_b32 s82, s28
	s_branch .LBB33_341
.LBB33_331:                             ;   in Loop: Header=BB33_6 Depth=1
	s_mov_b32 s85, 0
                                        ; implicit-def: $vgpr15
	s_and_saveexec_b32 s28, s9
	s_cbranch_execz .LBB33_340
; %bb.332:                              ;   in Loop: Header=BB33_6 Depth=1
	v_mov_b32_e32 v7, v9
	v_mov_b32_e32 v1, v0
	s_mov_b32 s29, 0
                                        ; implicit-def: $sgpr82
	s_set_inst_prefetch_distance 0x1
	s_branch .LBB33_334
	.p2align	6
.LBB33_333:                             ;   in Loop: Header=BB33_334 Depth=2
	s_or_b32 exec_lo, exec_lo, s10
	s_waitcnt vmcnt(0) lgkmcnt(0)
	s_barrier
	buffer_gl0_inv
	ds_load_b64 v[14:15], v8 offset:3072
	v_add_nc_u32_e32 v1, s46, v1
	v_add_nc_u32_e32 v7, s48, v7
	s_waitcnt lgkmcnt(0)
	s_barrier
	buffer_gl0_inv
	v_cmp_le_u32_e32 vcc_lo, s67, v1
	v_readfirstlane_b32 s10, v14
	s_delay_alu instid0(VALU_DEP_1) | instskip(SKIP_1) | instid1(SALU_CYCLE_1)
	s_cmp_lg_u32 s10, 0
	s_cselect_b32 s10, -1, 0
	s_or_b32 s85, vcc_lo, s10
	s_delay_alu instid0(SALU_CYCLE_1) | instskip(NEXT) | instid1(SALU_CYCLE_1)
	s_and_b32 s85, exec_lo, s85
	s_or_b32 s29, s85, s29
	s_and_not1_b32 s82, s82, exec_lo
	s_and_b32 s10, s10, exec_lo
	s_delay_alu instid0(SALU_CYCLE_1)
	s_or_b32 s82, s82, s10
	s_and_not1_b32 exec_lo, exec_lo, s29
	s_cbranch_execz .LBB33_339
.LBB33_334:                             ;   Parent Loop BB33_6 Depth=1
                                        ; =>  This Inner Loop Header: Depth=2
	s_delay_alu instid0(VALU_DEP_1)
	v_cmp_gt_u32_e32 vcc_lo, s36, v1
	v_mov_b32_e32 v14, 0
	s_and_saveexec_b32 s85, vcc_lo
	s_cbranch_execz .LBB33_336
; %bb.335:                              ;   in Loop: Header=BB33_334 Depth=2
	v_lshlrev_b64 v[3:4], 2, v[7:8]
	s_delay_alu instid0(VALU_DEP_1) | instskip(NEXT) | instid1(VALU_DEP_1)
	v_add_co_u32 v3, s10, s33, v3
	v_add_co_ci_u32_e64 v4, s10, s35, v4, s10
	global_load_b32 v14, v[3:4], off
.LBB33_336:                             ;   in Loop: Header=BB33_334 Depth=2
	s_or_b32 exec_lo, exec_lo, s85
	s_and_saveexec_b32 s10, vcc_lo
	s_cbranch_execz .LBB33_333
; %bb.337:                              ;   in Loop: Header=BB33_334 Depth=2
	s_waitcnt vmcnt(0)
	v_xor_b32_e32 v3, 0x80000000, v14
	s_delay_alu instid0(VALU_DEP_1) | instskip(NEXT) | instid1(VALU_DEP_1)
	v_and_b32_e32 v3, v3, v28
	v_cmp_eq_u32_e32 vcc_lo, v3, v29
	s_and_b32 exec_lo, exec_lo, vcc_lo
	s_cbranch_execz .LBB33_333
; %bb.338:                              ;   in Loop: Header=BB33_334 Depth=2
	ds_store_b64 v8, v[13:14] offset:3072
	s_branch .LBB33_333
.LBB33_339:                             ;   in Loop: Header=BB33_6 Depth=1
	s_set_inst_prefetch_distance 0x2
	s_or_b32 exec_lo, exec_lo, s29
	s_delay_alu instid0(SALU_CYCLE_1)
	s_and_b32 s85, s82, exec_lo
.LBB33_340:                             ;   in Loop: Header=BB33_6 Depth=1
	s_or_b32 exec_lo, exec_lo, s28
	s_mov_b32 s29, 0
	s_mov_b32 s28, -1
	s_mov_b32 s82, 0
.LBB33_341:                             ;   in Loop: Header=BB33_6 Depth=1
	s_or_not1_b32 s10, s85, exec_lo
.LBB33_342:                             ;   in Loop: Header=BB33_6 Depth=1
	s_or_b32 exec_lo, exec_lo, s83
	s_mov_b32 s85, 0
                                        ; implicit-def: $vgpr1
	s_and_saveexec_b32 s83, s10
	s_cbranch_execz .LBB33_395
; %bb.343:                              ;   in Loop: Header=BB33_6 Depth=1
	v_mov_b32_e32 v3, 1
	v_mov_b32_e32 v1, 1
	s_xor_b32 s85, s84, -1
	s_mov_b32 s84, 0
	s_and_saveexec_b32 s10, s85
	s_cbranch_execz .LBB33_353
; %bb.344:                              ;   in Loop: Header=BB33_6 Depth=1
	s_mov_b32 s85, exec_lo
                                        ; implicit-def: $sgpr86
                                        ; implicit-def: $sgpr84
	v_cmpx_ge_u32_e64 s16, v2
	s_xor_b32 s85, exec_lo, s85
	s_cbranch_execz .LBB33_350
; %bb.345:                              ;   in Loop: Header=BB33_6 Depth=1
	ds_load_b32 v1, v8 offset:4096
	s_waitcnt lgkmcnt(0)
	v_cmp_ne_u32_e32 vcc_lo, 0, v1
	s_cbranch_vccnz .LBB33_349
; %bb.346:                              ;   in Loop: Header=BB33_6 Depth=1
	s_and_saveexec_b32 s84, s5
	s_cbranch_execz .LBB33_348
; %bb.347:                              ;   in Loop: Header=BB33_6 Depth=1
	v_mov_b32_e32 v1, s16
	ds_store_b32 v8, v1 offset:4100
.LBB33_348:                             ;   in Loop: Header=BB33_6 Depth=1
	s_or_b32 exec_lo, exec_lo, s84
	s_waitcnt lgkmcnt(0)
	s_barrier
	buffer_gl0_inv
.LBB33_349:                             ;   in Loop: Header=BB33_6 Depth=1
	s_lshl_b32 s17, 1, s17
	v_or_b32_e32 v28, s13, v28
	v_and_or_b32 v29, v29, s14, s17
	s_mov_b32 s84, 0
	s_mov_b32 s86, 5
.LBB33_350:                             ;   in Loop: Header=BB33_6 Depth=1
	s_or_saveexec_b32 s17, s85
	v_mov_b32_e32 v1, s86
	s_xor_b32 exec_lo, exec_lo, s17
; %bb.351:                              ;   in Loop: Header=BB33_6 Depth=1
	v_subrev_nc_u32_e32 v2, s16, v2
	v_mov_b32_e32 v1, 0
	s_or_b32 s84, s84, exec_lo
; %bb.352:                              ;   in Loop: Header=BB33_6 Depth=1
	s_or_b32 exec_lo, exec_lo, s17
	s_delay_alu instid0(VALU_DEP_2)
	v_mov_b32_e32 v3, v2
	s_and_b32 s84, s84, exec_lo
.LBB33_353:                             ;   in Loop: Header=BB33_6 Depth=1
	s_or_b32 exec_lo, exec_lo, s10
	s_mov_b32 s17, -1
                                        ; implicit-def: $sgpr10
                                        ; implicit-def: $sgpr85
                                        ; implicit-def: $sgpr86
	s_and_saveexec_b32 s16, s84
	s_cbranch_execz .LBB33_394
; %bb.354:                              ;   in Loop: Header=BB33_6 Depth=1
	v_cmp_eq_u32_e32 vcc_lo, 1, v3
	s_cmp_eq_u32 s12, 1
	s_mov_b32 s87, -1
	s_cselect_b32 s10, -1, 0
                                        ; implicit-def: $sgpr85
                                        ; implicit-def: $sgpr86
	s_delay_alu instid0(SALU_CYCLE_1) | instskip(NEXT) | instid1(SALU_CYCLE_1)
	s_and_b32 s17, s10, vcc_lo
                                        ; implicit-def: $sgpr10
	s_and_saveexec_b32 s84, s17
	s_cbranch_execz .LBB33_381
; %bb.355:                              ;   in Loop: Header=BB33_6 Depth=1
	ds_load_b32 v1, v8 offset:4096
	s_waitcnt lgkmcnt(0)
	s_barrier
	buffer_gl0_inv
	v_readfirstlane_b32 s10, v1
	s_and_saveexec_b32 s85, s6
	s_cbranch_execz .LBB33_357
; %bb.356:                              ;   in Loop: Header=BB33_6 Depth=1
	ds_store_b32 v21, v8
.LBB33_357:                             ;   in Loop: Header=BB33_6 Depth=1
	s_or_b32 exec_lo, exec_lo, s85
	v_and_b32_e32 v29, s14, v29
	v_or_b32_e32 v28, s13, v28
	s_cmp_eq_u32 s10, 0
	s_waitcnt lgkmcnt(0)
	s_barrier
	buffer_gl0_inv
	s_cbranch_scc1 .LBB33_366
; %bb.358:                              ;   in Loop: Header=BB33_6 Depth=1
	s_add_i32 s85, s10, s59
                                        ; implicit-def: $vgpr15
	s_delay_alu instid0(SALU_CYCLE_1) | instskip(NEXT) | instid1(SALU_CYCLE_1)
	s_mul_hi_u32 s86, s85, s66
	s_mul_i32 s86, s86, s46
	s_delay_alu instid0(SALU_CYCLE_1) | instskip(NEXT) | instid1(SALU_CYCLE_1)
	s_sub_i32 s86, s85, s86
	s_sub_i32 s87, s86, s46
	s_cmp_ge_u32 s86, s46
	s_cselect_b32 s86, s87, s86
	s_delay_alu instid0(SALU_CYCLE_1)
	s_sub_i32 s87, s86, s46
	s_cmp_ge_u32 s86, s46
	s_cselect_b32 s86, s87, s86
	s_mov_b32 s87, 0
	s_sub_i32 s86, s85, s86
	s_mov_b32 s85, exec_lo
	v_cmpx_gt_u32_e64 s86, v0
	s_cbranch_execz .LBB33_368
; %bb.359:                              ;   in Loop: Header=BB33_6 Depth=1
	v_dual_mov_b32 v1, v18 :: v_dual_mov_b32 v2, v0
                                        ; implicit-def: $sgpr88
	s_set_inst_prefetch_distance 0x1
	s_branch .LBB33_361
	.p2align	6
.LBB33_360:                             ;   in Loop: Header=BB33_361 Depth=2
	s_or_b32 exec_lo, exec_lo, s89
	s_waitcnt lgkmcnt(0)
	s_barrier
	buffer_gl0_inv
	ds_load_b64 v[14:15], v8 offset:3072
	v_add_nc_u32_e32 v2, s46, v2
	v_add_nc_u32_e32 v1, s55, v1
	s_waitcnt lgkmcnt(0)
	s_barrier
	buffer_gl0_inv
	v_cmp_le_u32_e32 vcc_lo, s86, v2
	v_readfirstlane_b32 s89, v14
	s_delay_alu instid0(VALU_DEP_1) | instskip(SKIP_1) | instid1(SALU_CYCLE_1)
	s_cmp_lg_u32 s89, 0
	s_cselect_b32 s89, -1, 0
	s_or_b32 s90, vcc_lo, s89
	s_delay_alu instid0(SALU_CYCLE_1) | instskip(NEXT) | instid1(SALU_CYCLE_1)
	s_and_b32 s90, exec_lo, s90
	s_or_b32 s87, s90, s87
	s_and_not1_b32 s88, s88, exec_lo
	s_and_b32 s89, s89, exec_lo
	s_delay_alu instid0(SALU_CYCLE_1)
	s_or_b32 s88, s88, s89
	s_and_not1_b32 exec_lo, exec_lo, s87
	s_cbranch_execz .LBB33_367
.LBB33_361:                             ;   Parent Loop BB33_6 Depth=1
                                        ; =>  This Inner Loop Header: Depth=2
	s_delay_alu instid0(VALU_DEP_1)
	v_cmp_gt_u32_e32 vcc_lo, s10, v2
	v_mov_b32_e32 v14, 0
	s_and_saveexec_b32 s89, vcc_lo
	s_cbranch_execz .LBB33_363
; %bb.362:                              ;   in Loop: Header=BB33_361 Depth=2
	ds_load_b32 v14, v1
.LBB33_363:                             ;   in Loop: Header=BB33_361 Depth=2
	s_or_b32 exec_lo, exec_lo, s89
	s_and_saveexec_b32 s89, vcc_lo
	s_cbranch_execz .LBB33_360
; %bb.364:                              ;   in Loop: Header=BB33_361 Depth=2
	s_waitcnt lgkmcnt(0)
	v_xor_b32_e32 v4, 0x80000000, v14
	s_delay_alu instid0(VALU_DEP_1) | instskip(NEXT) | instid1(VALU_DEP_1)
	v_and_b32_e32 v4, v4, v28
	v_cmp_eq_u32_e32 vcc_lo, v4, v29
	s_and_b32 exec_lo, exec_lo, vcc_lo
	s_cbranch_execz .LBB33_360
; %bb.365:                              ;   in Loop: Header=BB33_361 Depth=2
	ds_store_b64 v8, v[13:14] offset:3072
	s_branch .LBB33_360
.LBB33_366:                             ;   in Loop: Header=BB33_6 Depth=1
	s_mov_b32 s10, -1
	s_mov_b32 s87, 0
                                        ; implicit-def: $sgpr85
                                        ; implicit-def: $vgpr15
	s_branch .LBB33_369
.LBB33_367:                             ;   in Loop: Header=BB33_6 Depth=1
	s_set_inst_prefetch_distance 0x2
	s_or_b32 exec_lo, exec_lo, s87
	s_delay_alu instid0(SALU_CYCLE_1)
	s_and_b32 s87, s88, exec_lo
.LBB33_368:                             ;   in Loop: Header=BB33_6 Depth=1
	s_or_b32 exec_lo, exec_lo, s85
	s_mov_b32 s10, 0
	s_mov_b32 s85, -1
.LBB33_369:                             ;   in Loop: Header=BB33_6 Depth=1
	s_and_b32 vcc_lo, exec_lo, s10
	s_mov_b32 s86, s10
	s_cbranch_vccz .LBB33_380
; %bb.370:                              ;   in Loop: Header=BB33_6 Depth=1
	s_mov_b32 s87, 0
                                        ; implicit-def: $vgpr15
	s_and_saveexec_b32 s85, s9
	s_cbranch_execz .LBB33_379
; %bb.371:                              ;   in Loop: Header=BB33_6 Depth=1
	v_mov_b32_e32 v7, v9
	v_mov_b32_e32 v1, v0
	s_mov_b32 s86, 0
                                        ; implicit-def: $sgpr87
	s_set_inst_prefetch_distance 0x1
	s_branch .LBB33_373
	.p2align	6
.LBB33_372:                             ;   in Loop: Header=BB33_373 Depth=2
	s_or_b32 exec_lo, exec_lo, s10
	s_waitcnt vmcnt(0) lgkmcnt(0)
	s_barrier
	buffer_gl0_inv
	ds_load_b64 v[14:15], v8 offset:3072
	v_add_nc_u32_e32 v1, s46, v1
	v_add_nc_u32_e32 v7, s48, v7
	s_waitcnt lgkmcnt(0)
	s_barrier
	buffer_gl0_inv
	v_cmp_le_u32_e32 vcc_lo, s67, v1
	v_readfirstlane_b32 s10, v14
	s_delay_alu instid0(VALU_DEP_1) | instskip(SKIP_1) | instid1(SALU_CYCLE_1)
	s_cmp_lg_u32 s10, 0
	s_cselect_b32 s10, -1, 0
	s_or_b32 s88, vcc_lo, s10
	s_delay_alu instid0(SALU_CYCLE_1) | instskip(NEXT) | instid1(SALU_CYCLE_1)
	s_and_b32 s88, exec_lo, s88
	s_or_b32 s86, s88, s86
	s_and_not1_b32 s87, s87, exec_lo
	s_and_b32 s10, s10, exec_lo
	s_delay_alu instid0(SALU_CYCLE_1)
	s_or_b32 s87, s87, s10
	s_and_not1_b32 exec_lo, exec_lo, s86
	s_cbranch_execz .LBB33_378
.LBB33_373:                             ;   Parent Loop BB33_6 Depth=1
                                        ; =>  This Inner Loop Header: Depth=2
	s_delay_alu instid0(VALU_DEP_1)
	v_cmp_gt_u32_e32 vcc_lo, s36, v1
	v_mov_b32_e32 v14, 0
	s_and_saveexec_b32 s88, vcc_lo
	s_cbranch_execz .LBB33_375
; %bb.374:                              ;   in Loop: Header=BB33_373 Depth=2
	v_lshlrev_b64 v[14:15], 2, v[7:8]
	s_delay_alu instid0(VALU_DEP_1) | instskip(NEXT) | instid1(VALU_DEP_1)
	v_add_co_u32 v14, s10, s33, v14
	v_add_co_ci_u32_e64 v15, s10, s35, v15, s10
	global_load_b32 v14, v[14:15], off
.LBB33_375:                             ;   in Loop: Header=BB33_373 Depth=2
	s_or_b32 exec_lo, exec_lo, s88
	s_and_saveexec_b32 s10, vcc_lo
	s_cbranch_execz .LBB33_372
; %bb.376:                              ;   in Loop: Header=BB33_373 Depth=2
	s_waitcnt vmcnt(0)
	v_xor_b32_e32 v2, 0x80000000, v14
	s_delay_alu instid0(VALU_DEP_1) | instskip(NEXT) | instid1(VALU_DEP_1)
	v_and_b32_e32 v2, v2, v28
	v_cmp_eq_u32_e32 vcc_lo, v2, v29
	s_and_b32 exec_lo, exec_lo, vcc_lo
	s_cbranch_execz .LBB33_372
; %bb.377:                              ;   in Loop: Header=BB33_373 Depth=2
	ds_store_b64 v8, v[13:14] offset:3072
	s_branch .LBB33_372
.LBB33_378:                             ;   in Loop: Header=BB33_6 Depth=1
	s_set_inst_prefetch_distance 0x2
	s_or_b32 exec_lo, exec_lo, s86
	s_delay_alu instid0(SALU_CYCLE_1)
	s_and_b32 s87, s87, exec_lo
.LBB33_379:                             ;   in Loop: Header=BB33_6 Depth=1
	s_or_b32 exec_lo, exec_lo, s85
	s_mov_b32 s85, 0
	s_mov_b32 s10, -1
	s_mov_b32 s86, 0
.LBB33_380:                             ;   in Loop: Header=BB33_6 Depth=1
	s_or_not1_b32 s87, s87, exec_lo
.LBB33_381:                             ;   in Loop: Header=BB33_6 Depth=1
	s_or_b32 exec_lo, exec_lo, s84
	s_mov_b32 s88, 0
                                        ; implicit-def: $vgpr1
                                        ; implicit-def: $vgpr2
	s_and_saveexec_b32 s84, s87
	s_cbranch_execz .LBB33_393
; %bb.382:                              ;   in Loop: Header=BB33_6 Depth=1
	v_dual_mov_b32 v1, 1 :: v_dual_mov_b32 v2, 1
	s_xor_b32 s87, s17, -1
	s_delay_alu instid0(SALU_CYCLE_1)
	s_and_saveexec_b32 s17, s87
	s_cbranch_execz .LBB33_392
; %bb.383:                              ;   in Loop: Header=BB33_6 Depth=1
	s_mov_b32 s87, exec_lo
                                        ; implicit-def: $sgpr88
	v_cmpx_ge_u32_e64 s12, v3
	s_xor_b32 s87, exec_lo, s87
	s_cbranch_execz .LBB33_389
; %bb.384:                              ;   in Loop: Header=BB33_6 Depth=1
	ds_load_b32 v1, v8 offset:4096
	s_waitcnt lgkmcnt(0)
	v_cmp_ne_u32_e32 vcc_lo, 0, v1
	s_cbranch_vccnz .LBB33_388
; %bb.385:                              ;   in Loop: Header=BB33_6 Depth=1
	s_and_saveexec_b32 s88, s5
	s_cbranch_execz .LBB33_387
; %bb.386:                              ;   in Loop: Header=BB33_6 Depth=1
	v_mov_b32_e32 v1, s12
	ds_store_b32 v8, v1 offset:4100
.LBB33_387:                             ;   in Loop: Header=BB33_6 Depth=1
	s_or_b32 exec_lo, exec_lo, s88
	s_waitcnt lgkmcnt(0)
	s_barrier
	buffer_gl0_inv
.LBB33_388:                             ;   in Loop: Header=BB33_6 Depth=1
	v_and_b32_e32 v29, s14, v29
	v_or_b32_e32 v28, s13, v28
	s_mov_b32 s88, 5
.LBB33_389:                             ;   in Loop: Header=BB33_6 Depth=1
	s_or_saveexec_b32 s13, s87
	v_mov_b32_e32 v1, s88
	s_xor_b32 exec_lo, exec_lo, s13
; %bb.390:                              ;   in Loop: Header=BB33_6 Depth=1
	v_subrev_nc_u32_e32 v3, s12, v3
	v_mov_b32_e32 v1, 5
; %bb.391:                              ;   in Loop: Header=BB33_6 Depth=1
	s_or_b32 exec_lo, exec_lo, s13
	s_delay_alu instid0(VALU_DEP_2)
	v_mov_b32_e32 v2, v3
.LBB33_392:                             ;   in Loop: Header=BB33_6 Depth=1
	s_or_b32 exec_lo, exec_lo, s17
	s_delay_alu instid0(SALU_CYCLE_1)
	s_mov_b32 s88, exec_lo
.LBB33_393:                             ;   in Loop: Header=BB33_6 Depth=1
	s_or_b32 exec_lo, exec_lo, s84
	s_delay_alu instid0(VALU_DEP_1)
	v_mov_b32_e32 v3, v2
	s_or_not1_b32 s17, s88, exec_lo
.LBB33_394:                             ;   in Loop: Header=BB33_6 Depth=1
	s_or_b32 exec_lo, exec_lo, s16
	s_delay_alu instid0(SALU_CYCLE_1)
	s_and_not1_b32 s12, s28, exec_lo
	s_and_b32 s10, s10, exec_lo
	s_and_not1_b32 s13, s82, exec_lo
	s_or_b32 s28, s12, s10
	s_and_not1_b32 s10, s29, exec_lo
	s_and_b32 s12, s85, exec_lo
	s_and_b32 s14, s86, exec_lo
	v_mov_b32_e32 v2, v3
	s_or_b32 s29, s10, s12
	s_or_b32 s82, s13, s14
	s_and_b32 s85, s17, exec_lo
.LBB33_395:                             ;   in Loop: Header=BB33_6 Depth=1
	s_or_b32 exec_lo, exec_lo, s83
	s_delay_alu instid0(SALU_CYCLE_1)
	s_and_b32 s83, s28, exec_lo
	s_and_b32 s29, s29, exec_lo
	s_and_b32 s28, s82, exec_lo
	s_or_not1_b32 s10, s85, exec_lo
.LBB33_396:                             ;   in Loop: Header=BB33_6 Depth=1
	s_or_b32 exec_lo, exec_lo, s18
	s_delay_alu instid0(SALU_CYCLE_1)
	s_and_not1_b32 s12, s22, exec_lo
	s_and_b32 s13, s83, exec_lo
	s_and_not1_b32 s14, s26, exec_lo
	s_or_b32 s22, s12, s13
	s_and_not1_b32 s12, s25, exec_lo
	s_and_b32 s13, s29, exec_lo
	s_and_b32 s16, s28, exec_lo
	v_mov_b32_e32 v31, v2
	s_or_b32 s25, s12, s13
	s_or_b32 s26, s14, s16
	s_and_b32 s29, s10, exec_lo
.LBB33_397:                             ;   in Loop: Header=BB33_6 Depth=1
	s_or_b32 exec_lo, exec_lo, s27
	s_delay_alu instid0(SALU_CYCLE_1)
	s_and_b32 s27, s22, exec_lo
	s_and_b32 s25, s25, exec_lo
	;; [unrolled: 1-line block ×3, first 2 shown]
	s_or_not1_b32 s26, s29, exec_lo
.LBB33_398:                             ;   in Loop: Header=BB33_6 Depth=1
	s_or_b32 exec_lo, exec_lo, s19
	s_mov_b32 s10, s20
	s_mov_b32 s12, s11
	s_and_saveexec_b32 s13, s26
; %bb.399:                              ;   in Loop: Header=BB33_6 Depth=1
	v_cmp_eq_u32_e32 vcc_lo, 5, v1
	v_cmp_ne_u32_e64 s10, 5, v1
	s_and_not1_b32 s12, s11, exec_lo
	s_and_not1_b32 s14, s20, exec_lo
	;; [unrolled: 1-line block ×3, first 2 shown]
	s_and_b32 s16, vcc_lo, exec_lo
	s_and_b32 s10, s10, exec_lo
	s_and_not1_b32 s25, s25, exec_lo
	s_and_not1_b32 s22, s22, exec_lo
	s_or_b32 s12, s12, s10
	s_or_b32 s10, s14, s16
; %bb.400:                              ;   in Loop: Header=BB33_6 Depth=1
	s_or_b32 exec_lo, exec_lo, s13
	s_delay_alu instid0(SALU_CYCLE_1)
	s_and_not1_b32 s13, s23, exec_lo
	s_and_b32 s14, s27, exec_lo
	v_dual_mov_b32 v3, v29 :: v_dual_mov_b32 v4, v28
	s_or_b32 s23, s13, s14
	s_and_not1_b32 s13, s24, exec_lo
	s_and_b32 s14, s25, exec_lo
	v_mov_b32_e32 v2, v15
	s_and_not1_b32 s15, s15, exec_lo
	s_and_b32 s16, s22, exec_lo
	s_or_b32 s24, s13, s14
	s_and_not1_b32 s11, s11, exec_lo
	s_and_b32 s12, s12, exec_lo
	s_and_not1_b32 s13, s20, exec_lo
	s_and_b32 s10, s10, exec_lo
	s_or_b32 s15, s15, s16
	s_or_b32 s11, s11, s12
	;; [unrolled: 1-line block ×3, first 2 shown]
.LBB33_401:                             ;   in Loop: Header=BB33_6 Depth=1
	s_or_b32 exec_lo, exec_lo, s21
	s_mov_b32 s22, s15
	s_mov_b32 s21, s15
	s_and_saveexec_b32 s10, s20
.LBB33_402:                             ;   in Loop: Header=BB33_6 Depth=1
	v_mov_b32_e32 v1, 0
	s_and_not1_b32 s15, s15, exec_lo
	s_and_not1_b32 s23, s23, exec_lo
	;; [unrolled: 1-line block ×5, first 2 shown]
	s_or_b32 s11, s11, exec_lo
.LBB33_403:                             ;   in Loop: Header=BB33_6 Depth=1
	s_or_b32 exec_lo, exec_lo, s10
	s_delay_alu instid0(SALU_CYCLE_1)
	s_and_not1_b32 s10, s81, exec_lo
	s_and_b32 s13, s15, exec_lo
	s_and_not1_b32 s14, s78, exec_lo
	s_or_b32 s81, s10, s13
	s_and_not1_b32 s10, s80, exec_lo
	s_and_b32 s13, s23, exec_lo
	s_and_b32 s15, s24, exec_lo
	s_or_b32 s80, s10, s13
	s_or_b32 s78, s14, s15
	s_and_not1_b32 s10, s79, exec_lo
	s_and_b32 s13, s22, exec_lo
	s_and_not1_b32 s14, s77, exec_lo
	s_and_b32 s15, s21, exec_lo
	s_mov_b32 s12, -1
	s_or_b32 s79, s10, s13
	s_or_b32 s77, s14, s15
                                        ; implicit-def: $vgpr28
                                        ; implicit-def: $vgpr29
                                        ; implicit-def: $vgpr30
                                        ; implicit-def: $vgpr15
	s_and_saveexec_b32 s10, s11
	s_delay_alu instid0(SALU_CYCLE_1)
	s_xor_b32 s10, exec_lo, s10
	s_cbranch_execz .LBB33_5
; %bb.404:                              ;   in Loop: Header=BB33_6 Depth=1
	s_mov_b32 s11, -1
	s_mov_b32 s13, exec_lo
	v_cmpx_eq_u32_e32 0, v1
	s_cbranch_execz .LBB33_4
; %bb.405:                              ;   in Loop: Header=BB33_6 Depth=1
	s_xor_b32 s71, s71, 1
	s_add_i32 s14, s76, -2
	s_cmp_eq_u32 s76, 0
	s_mov_b32 s76, s14
	s_cselect_b32 s11, -1, 0
	s_xor_b32 s12, exec_lo, -1
	s_or_not1_b32 s11, s11, exec_lo
	s_branch .LBB33_4
.LBB33_406:
	s_or_b32 exec_lo, exec_lo, s47
	s_xor_b32 s7, s75, -1
	s_xor_b32 s12, s73, -1
	;; [unrolled: 1-line block ×5, first 2 shown]
	s_mov_b32 s9, 0
	s_and_saveexec_b32 s10, s8
	s_delay_alu instid0(SALU_CYCLE_1)
	s_xor_b32 s8, exec_lo, s10
	s_cbranch_execz .LBB33_463
; %bb.407:
	s_mov_b32 s10, 0
	s_and_saveexec_b32 s9, s11
	s_delay_alu instid0(SALU_CYCLE_1)
	s_xor_b32 s9, exec_lo, s9
	s_cbranch_execz .LBB33_461
; %bb.408:
	;; [unrolled: 6-line block ×4, first 2 shown]
	s_and_saveexec_b32 s7, s6
	s_delay_alu instid0(SALU_CYCLE_1)
	s_xor_b32 s6, exec_lo, s7
; %bb.411:
	v_xor_b32_e32 v2, 0x80000000, v3
; %bb.412:
	s_or_b32 exec_lo, exec_lo, s6
	s_and_saveexec_b32 s6, s5
	s_cbranch_execz .LBB33_414
; %bb.413:
	v_mov_b32_e32 v1, 0
	ds_store_b32 v1, v1 offset:4108
.LBB33_414:
	s_or_b32 exec_lo, exec_lo, s6
	v_mov_b32_e32 v1, 0
	s_waitcnt lgkmcnt(0)
	s_barrier
	buffer_gl0_inv
	s_and_saveexec_b32 s5, s4
	s_cbranch_execz .LBB33_416
; %bb.415:
	global_load_b32 v1, v[5:6], off
.LBB33_416:
	s_or_b32 exec_lo, exec_lo, s5
	s_mul_i32 s6, s53, s51
	s_add_i32 s5, s36, 31
	s_sub_i32 s6, s49, s6
	s_and_not1_b32 s5, s5, 31
	s_add_i32 s7, s53, 1
	s_sub_i32 s12, s6, s51
	s_cmp_ge_u32 s6, s51
	v_add_nc_u32_e32 v4, s46, v0
	s_cselect_b32 s7, s7, s53
	s_cselect_b32 s6, s12, s6
	s_add_i32 s12, s7, 1
	s_cmp_ge_u32 s6, s51
	s_mul_i32 s6, s52, s50
	s_cselect_b32 s7, s12, s7
	s_sub_i32 s12, s49, s6
	s_mul_i32 s6, s7, s51
	s_mul_i32 s7, s7, s44
	s_sub_i32 s6, s49, s6
	s_add_i32 s13, s52, 1
	s_mul_i32 s6, s6, s45
	s_sub_i32 s14, s12, s50
	s_add_i32 s6, s7, s6
	s_cmp_ge_u32 s12, s50
	v_mul_lo_u32 v3, s34, v4
	s_cselect_b32 s13, s13, s52
	s_cselect_b32 s7, s14, s12
	s_add_i32 s12, s13, 1
	s_cmp_ge_u32 s7, s50
	s_mov_b32 s7, 0
	s_cselect_b32 s13, s12, s13
	s_clause 0x1
	s_load_b32 s12, s[0:1], 0x1c8
	s_load_b32 s1, s[0:1], 0x2a8
	s_mul_i32 s0, s13, s50
	s_mul_i32 s13, s13, s42
	s_sub_i32 s0, s49, s0
	s_lshl_b64 s[14:15], s[6:7], 2
	s_mul_i32 s0, s0, s43
	s_mov_b32 s17, s7
	s_add_i32 s16, s13, s0
	s_add_u32 s6, s30, s14
	s_addc_u32 s13, s31, s15
	s_lshl_b64 s[14:15], s[16:17], 3
	s_mov_b32 s0, -1
	s_add_u32 s14, s40, s14
	s_addc_u32 s15, s41, s15
	s_mov_b32 s16, 0
	s_mov_b32 s17, exec_lo
	v_cmpx_gt_u32_e64 s5, v0
	s_cbranch_execz .LBB33_432
; %bb.417:
	v_mul_lo_u32 v7, s34, v4
	v_xor_b32_e32 v4, 0x80000000, v2
	v_dual_mov_b32 v8, 0 :: v_dual_mov_b32 v9, v0
                                        ; implicit-def: $sgpr18
                                        ; implicit-def: $vgpr12
	s_branch .LBB33_419
.LBB33_418:                             ;   in Loop: Header=BB33_419 Depth=1
	s_or_b32 exec_lo, exec_lo, s19
	s_xor_b32 s19, s21, -1
	s_and_b32 s0, exec_lo, s0
	v_mov_b32_e32 v1, v13
	s_or_b32 s16, s0, s16
	v_mov_b32_e32 v9, v11
	s_and_not1_b32 s0, s18, exec_lo
	s_and_b32 s18, s19, exec_lo
	s_delay_alu instid0(SALU_CYCLE_1)
	s_or_b32 s18, s0, s18
	s_and_not1_b32 exec_lo, exec_lo, s16
	s_cbranch_execz .LBB33_431
.LBB33_419:                             ; =>This Inner Loop Header: Depth=1
	s_delay_alu instid0(VALU_DEP_1) | instskip(SKIP_2) | instid1(VALU_DEP_2)
	v_add_nc_u32_e32 v11, s46, v9
	v_mov_b32_e32 v13, 0
	s_mov_b32 s0, exec_lo
	v_cmpx_gt_u32_e64 s36, v11
	s_cbranch_execz .LBB33_421
; %bb.420:                              ;   in Loop: Header=BB33_419 Depth=1
	v_lshlrev_b64 v[13:14], 2, v[7:8]
	s_delay_alu instid0(VALU_DEP_1) | instskip(NEXT) | instid1(VALU_DEP_2)
	v_add_co_u32 v13, vcc_lo, s33, v13
	v_add_co_ci_u32_e32 v14, vcc_lo, s35, v14, vcc_lo
	global_load_b32 v13, v[13:14], off
.LBB33_421:                             ;   in Loop: Header=BB33_419 Depth=1
	s_or_b32 exec_lo, exec_lo, s0
	s_waitcnt vmcnt(0)
	v_xor_b32_e32 v10, 0x80000000, v1
	s_delay_alu instid0(VALU_DEP_1) | instskip(SKIP_4) | instid1(VALU_DEP_2)
	v_cmp_gt_u32_e32 vcc_lo, v10, v4
	v_cndmask_b32_e64 v14, 0, 1, vcc_lo
	v_cmp_lt_u32_e32 vcc_lo, v10, v4
	v_cndmask_b32_e64 v10, 0, 1, vcc_lo
	v_cmp_gt_u32_e32 vcc_lo, s36, v9
	v_cndmask_b32_e64 v10, v10, v14, s3
	s_delay_alu instid0(VALU_DEP_1) | instskip(NEXT) | instid1(VALU_DEP_1)
	v_and_b32_e32 v10, 1, v10
	v_cmp_eq_u32_e64 s0, 1, v10
	s_delay_alu instid0(VALU_DEP_1) | instskip(NEXT) | instid1(SALU_CYCLE_1)
	s_and_b32 s20, vcc_lo, s0
	v_cndmask_b32_e64 v10, 0, 1, s20
	s_delay_alu instid0(VALU_DEP_1) | instskip(SKIP_2) | instid1(SALU_CYCLE_1)
	v_cmp_ne_u32_e32 vcc_lo, 0, v10
	s_cmp_lg_u32 vcc_lo, 0
	s_cselect_b32 s0, -1, 0
	s_and_b32 s0, s2, s0
	s_delay_alu instid0(SALU_CYCLE_1)
	s_and_saveexec_b32 s19, s0
	s_cbranch_execz .LBB33_425
; %bb.422:                              ;   in Loop: Header=BB33_419 Depth=1
	s_mov_b32 s23, exec_lo
	s_bcnt1_i32_b32 s21, vcc_lo
	v_mbcnt_lo_u32_b32 v10, s23, 0
	s_mov_b32 s22, exec_lo
                                        ; implicit-def: $vgpr12
	s_delay_alu instid0(VALU_DEP_1)
	v_cmpx_eq_u32_e32 0, v10
	s_cbranch_execz .LBB33_424
; %bb.423:                              ;   in Loop: Header=BB33_419 Depth=1
	s_bcnt1_i32_b32 s0, s23
	s_delay_alu instid0(SALU_CYCLE_1)
	s_mul_i32 s0, s21, s0
	s_waitcnt lgkmcnt(0)
	v_mov_b32_e32 v12, s0
	ds_add_rtn_u32 v12, v8, v12 offset:4108
.LBB33_424:                             ;   in Loop: Header=BB33_419 Depth=1
	s_or_b32 exec_lo, exec_lo, s22
	s_waitcnt lgkmcnt(0)
	v_readfirstlane_b32 s0, v12
	s_delay_alu instid0(VALU_DEP_1)
	v_mad_u32_u24 v12, s21, v10, s0
.LBB33_425:                             ;   in Loop: Header=BB33_419 Depth=1
	s_or_b32 exec_lo, exec_lo, s19
	s_waitcnt lgkmcnt(0)
	ds_bpermute_b32 v12, v8, v12
	s_mov_b32 s0, -1
	s_mov_b32 s22, -1
                                        ; implicit-def: $sgpr21
	s_and_saveexec_b32 s19, s20
	s_cbranch_execz .LBB33_429
; %bb.426:                              ;   in Loop: Header=BB33_419 Depth=1
	v_and_b32_e32 v10, vcc_lo, v16
	s_mov_b32 s20, 0
	s_mov_b32 s21, exec_lo
	s_waitcnt lgkmcnt(0)
	s_delay_alu instid0(VALU_DEP_1) | instskip(NEXT) | instid1(VALU_DEP_1)
	v_bcnt_u32_b32 v10, v10, v12
	v_cmpx_gt_u32_e64 s37, v10
	s_cbranch_execz .LBB33_428
; %bb.427:                              ;   in Loop: Header=BB33_419 Depth=1
	v_mul_lo_u32 v14, v10, s12
	v_mov_b32_e32 v15, v8
	v_mul_lo_u32 v17, v10, s1
	v_mov_b32_e32 v18, v8
	v_mov_b32_e32 v10, v8
	s_mov_b32 s20, exec_lo
	v_lshlrev_b64 v[14:15], 2, v[14:15]
	s_delay_alu instid0(VALU_DEP_3) | instskip(NEXT) | instid1(VALU_DEP_2)
	v_lshlrev_b64 v[17:18], 3, v[17:18]
	v_add_co_u32 v14, vcc_lo, s6, v14
	s_delay_alu instid0(VALU_DEP_3) | instskip(NEXT) | instid1(VALU_DEP_3)
	v_add_co_ci_u32_e32 v15, vcc_lo, s13, v15, vcc_lo
	v_add_co_u32 v17, vcc_lo, s14, v17
	s_delay_alu instid0(VALU_DEP_4)
	v_add_co_ci_u32_e32 v18, vcc_lo, s15, v18, vcc_lo
	global_store_b32 v[14:15], v1, off
	global_store_b64 v[17:18], v[9:10], off
.LBB33_428:                             ;   in Loop: Header=BB33_419 Depth=1
	s_or_b32 exec_lo, exec_lo, s21
	s_mov_b32 s21, -1
	s_or_not1_b32 s22, s20, exec_lo
.LBB33_429:                             ;   in Loop: Header=BB33_419 Depth=1
	s_or_b32 exec_lo, exec_lo, s19
	s_and_saveexec_b32 s19, s22
	s_cbranch_execz .LBB33_418
; %bb.430:                              ;   in Loop: Header=BB33_419 Depth=1
	v_cmp_le_u32_e32 vcc_lo, s5, v11
	v_add_nc_u32_e32 v7, s48, v7
	s_and_not1_b32 s21, s21, exec_lo
	s_or_not1_b32 s0, vcc_lo, exec_lo
	s_branch .LBB33_418
.LBB33_431:
	s_or_b32 exec_lo, exec_lo, s16
	s_delay_alu instid0(SALU_CYCLE_1)
	s_mov_b32 s16, exec_lo
	s_or_not1_b32 s0, s18, exec_lo
.LBB33_432:
	s_or_b32 exec_lo, exec_lo, s17
	s_and_saveexec_b32 s3, s0
	s_cbranch_execz .LBB33_455
; %bb.433:
	s_waitcnt vmcnt(0)
	v_dual_mov_b32 v4, 0 :: v_dual_mov_b32 v1, 0
	s_waitcnt lgkmcnt(0)
	s_waitcnt_vscnt null, 0x0
	s_barrier
	buffer_gl0_inv
	s_and_saveexec_b32 s0, s4
	s_cbranch_execz .LBB33_435
; %bb.434:
	global_load_b32 v1, v[5:6], off
.LBB33_435:
	s_or_b32 exec_lo, exec_lo, s0
	s_mov_b32 s7, 0
                                        ; implicit-def: $sgpr4
                                        ; implicit-def: $sgpr17
                                        ; implicit-def: $sgpr18
                                        ; implicit-def: $vgpr5
	s_branch .LBB33_438
.LBB33_436:                             ;   in Loop: Header=BB33_438 Depth=1
	s_or_b32 exec_lo, exec_lo, s21
	v_mov_b32_e32 v0, v6
	s_and_not1_b32 s0, s18, exec_lo
	s_and_b32 s18, s23, exec_lo
	s_and_not1_b32 s17, s17, exec_lo
	s_and_b32 s20, s20, exec_lo
	s_or_b32 s18, s0, s18
	s_or_b32 s17, s17, s20
.LBB33_437:                             ;   in Loop: Header=BB33_438 Depth=1
	s_or_b32 exec_lo, exec_lo, s19
	s_xor_b32 s0, s18, -1
	s_and_b32 s19, exec_lo, s17
	s_delay_alu instid0(SALU_CYCLE_1) | instskip(SKIP_2) | instid1(SALU_CYCLE_1)
	s_or_b32 s7, s19, s7
	s_and_not1_b32 s4, s4, exec_lo
	s_and_b32 s0, s0, exec_lo
	s_or_b32 s4, s4, s0
	s_and_not1_b32 exec_lo, exec_lo, s7
	s_cbranch_execz .LBB33_453
.LBB33_438:                             ; =>This Inner Loop Header: Depth=1
	s_or_b32 s18, s18, exec_lo
	s_or_b32 s17, s17, exec_lo
	s_mov_b32 s19, exec_lo
	v_cmpx_gt_u32_e64 s5, v0
	s_cbranch_execz .LBB33_437
; %bb.439:                              ;   in Loop: Header=BB33_438 Depth=1
	v_dual_mov_b32 v7, 0 :: v_dual_add_nc_u32 v6, s46, v0
	s_mov_b32 s0, exec_lo
	s_delay_alu instid0(VALU_DEP_1)
	v_cmpx_gt_u32_e64 s36, v6
	s_cbranch_execz .LBB33_441
; %bb.440:                              ;   in Loop: Header=BB33_438 Depth=1
	v_lshlrev_b64 v[7:8], 2, v[3:4]
	s_delay_alu instid0(VALU_DEP_1) | instskip(NEXT) | instid1(VALU_DEP_2)
	v_add_co_u32 v7, vcc_lo, s33, v7
	v_add_co_ci_u32_e32 v8, vcc_lo, s35, v8, vcc_lo
	global_load_b32 v7, v[7:8], off
.LBB33_441:                             ;   in Loop: Header=BB33_438 Depth=1
	s_or_b32 exec_lo, exec_lo, s0
	v_cmp_gt_u32_e32 vcc_lo, s36, v0
	s_waitcnt vmcnt(0)
	v_cmp_eq_u32_e64 s0, v1, v2
	s_delay_alu instid0(VALU_DEP_1) | instskip(NEXT) | instid1(SALU_CYCLE_1)
	s_and_b32 s21, vcc_lo, s0
	v_cndmask_b32_e64 v8, 0, 1, s21
	s_delay_alu instid0(VALU_DEP_1) | instskip(SKIP_2) | instid1(SALU_CYCLE_1)
	v_cmp_ne_u32_e32 vcc_lo, 0, v8
	s_cmp_lg_u32 vcc_lo, 0
	s_cselect_b32 s0, -1, 0
	s_and_b32 s0, s2, s0
	s_delay_alu instid0(SALU_CYCLE_1)
	s_and_saveexec_b32 s20, s0
	s_cbranch_execz .LBB33_445
; %bb.442:                              ;   in Loop: Header=BB33_438 Depth=1
	s_mov_b32 s24, exec_lo
	s_bcnt1_i32_b32 s22, vcc_lo
	v_mbcnt_lo_u32_b32 v5, s24, 0
	s_mov_b32 s23, exec_lo
                                        ; implicit-def: $vgpr8
	s_delay_alu instid0(VALU_DEP_1)
	v_cmpx_eq_u32_e32 0, v5
	s_cbranch_execz .LBB33_444
; %bb.443:                              ;   in Loop: Header=BB33_438 Depth=1
	s_bcnt1_i32_b32 s0, s24
	s_delay_alu instid0(SALU_CYCLE_1) | instskip(NEXT) | instid1(SALU_CYCLE_1)
	s_mul_i32 s0, s22, s0
	v_mov_b32_e32 v8, s0
	ds_add_rtn_u32 v8, v4, v8 offset:4108
.LBB33_444:                             ;   in Loop: Header=BB33_438 Depth=1
	s_or_b32 exec_lo, exec_lo, s23
	s_waitcnt lgkmcnt(0)
	v_readfirstlane_b32 s0, v8
	s_delay_alu instid0(VALU_DEP_1)
	v_mad_u32_u24 v5, s22, v5, s0
.LBB33_445:                             ;   in Loop: Header=BB33_438 Depth=1
	s_or_b32 exec_lo, exec_lo, s20
	ds_bpermute_b32 v5, v4, v5
	s_cmp_eq_u32 vcc_lo, 0
	s_mov_b32 s20, -1
	s_cselect_b32 s22, -1, 0
	s_mov_b32 s23, -1
	s_waitcnt lgkmcnt(0)
	v_cmp_gt_u32_e64 s0, s37, v5
	s_delay_alu instid0(VALU_DEP_1) | instskip(SKIP_3) | instid1(SALU_CYCLE_1)
	s_or_b32 s0, s22, s0
	s_mov_b32 s22, -1
	v_cndmask_b32_e64 v1, v1, v7, s0
	s_and_b32 s24, s21, s0
	s_and_saveexec_b32 s21, s24
	s_cbranch_execz .LBB33_451
; %bb.446:                              ;   in Loop: Header=BB33_438 Depth=1
	v_and_b32_e32 v1, vcc_lo, v16
	v_sub_nc_u32_e32 v8, s37, v5
	s_mov_b32 s24, -1
	s_mov_b32 s23, exec_lo
	s_delay_alu instid0(VALU_DEP_2) | instskip(NEXT) | instid1(VALU_DEP_1)
	v_bcnt_u32_b32 v1, v1, 0
	v_cmp_le_u32_e64 s22, v8, v1
	v_cmpx_gt_u32_e64 v8, v1
	s_cbranch_execz .LBB33_450
; %bb.447:                              ;   in Loop: Header=BB33_438 Depth=1
	v_add_nc_u32_e32 v1, v5, v1
	s_delay_alu instid0(VALU_DEP_3) | instskip(SKIP_1) | instid1(VALU_DEP_1)
	s_mov_b32 s25, s22
	s_mov_b32 s24, exec_lo
	v_cmpx_gt_u32_e64 s37, v1
	s_cbranch_execz .LBB33_449
; %bb.448:                              ;   in Loop: Header=BB33_438 Depth=1
	v_mul_lo_u32 v8, v1, s12
	v_mov_b32_e32 v9, v4
	v_mul_lo_u32 v10, v1, s1
	v_mov_b32_e32 v11, v4
	v_mov_b32_e32 v1, v4
	s_or_b32 s25, s22, exec_lo
	v_lshlrev_b64 v[8:9], 2, v[8:9]
	s_delay_alu instid0(VALU_DEP_3) | instskip(NEXT) | instid1(VALU_DEP_2)
	v_lshlrev_b64 v[10:11], 3, v[10:11]
	v_add_co_u32 v8, vcc_lo, s6, v8
	s_delay_alu instid0(VALU_DEP_3) | instskip(NEXT) | instid1(VALU_DEP_3)
	v_add_co_ci_u32_e32 v9, vcc_lo, s13, v9, vcc_lo
	v_add_co_u32 v10, vcc_lo, s14, v10
	s_delay_alu instid0(VALU_DEP_4)
	v_add_co_ci_u32_e32 v11, vcc_lo, s15, v11, vcc_lo
	global_store_b32 v[8:9], v2, off
	global_store_b64 v[10:11], v[0:1], off
.LBB33_449:                             ;   in Loop: Header=BB33_438 Depth=1
	s_or_b32 exec_lo, exec_lo, s24
	s_delay_alu instid0(SALU_CYCLE_1)
	s_and_not1_b32 s22, s22, exec_lo
	s_and_b32 s25, s25, exec_lo
	s_xor_b32 s24, exec_lo, -1
	s_or_b32 s22, s22, s25
.LBB33_450:                             ;   in Loop: Header=BB33_438 Depth=1
	s_or_b32 exec_lo, exec_lo, s23
	v_mov_b32_e32 v1, v7
	s_or_not1_b32 s23, s24, exec_lo
	s_or_b32 s0, s0, exec_lo
	s_or_not1_b32 s22, s22, exec_lo
.LBB33_451:                             ;   in Loop: Header=BB33_438 Depth=1
	s_or_b32 exec_lo, exec_lo, s21
	s_and_saveexec_b32 s21, s22
	s_cbranch_execz .LBB33_436
; %bb.452:                              ;   in Loop: Header=BB33_438 Depth=1
	v_add_nc_u32_e32 v3, s48, v3
	s_xor_b32 s0, s0, -1
	s_or_b32 s23, s23, exec_lo
	s_or_not1_b32 s20, s0, exec_lo
	s_branch .LBB33_436
.LBB33_453:
	s_or_b32 exec_lo, exec_lo, s7
	s_mov_b32 s0, 0
	s_and_saveexec_b32 s1, s4
	s_delay_alu instid0(SALU_CYCLE_1)
	s_xor_b32 s1, exec_lo, s1
	s_cbranch_execnz .LBB33_485
.LBB33_454:
	s_or_b32 exec_lo, exec_lo, s1
	s_delay_alu instid0(SALU_CYCLE_1)
	s_and_b32 s7, s0, exec_lo
	s_and_not1_b32 s16, s16, exec_lo
.LBB33_455:
	s_or_b32 exec_lo, exec_lo, s3
	s_and_saveexec_b32 s0, s16
	s_delay_alu instid0(SALU_CYCLE_1)
	s_xor_b32 s0, exec_lo, s0
	s_cbranch_execnz .LBB33_481
.LBB33_456:
	s_or_b32 exec_lo, exec_lo, s0
	s_waitcnt lgkmcnt(0)
	s_and_b32 s12, s7, exec_lo
.LBB33_457:
	s_and_not1_saveexec_b32 s0, s11
	s_cbranch_execnz .LBB33_477
.LBB33_458:
	s_or_b32 exec_lo, exec_lo, s0
	s_delay_alu instid0(SALU_CYCLE_1)
	s_and_b32 s11, s12, exec_lo
.LBB33_459:
	s_and_not1_saveexec_b32 s0, s10
	s_cbranch_execnz .LBB33_473
.LBB33_460:
	s_or_b32 exec_lo, exec_lo, s0
	s_delay_alu instid0(SALU_CYCLE_1)
	s_and_b32 s10, s11, exec_lo
.LBB33_461:
	s_and_not1_saveexec_b32 s0, s9
	s_cbranch_execnz .LBB33_469
.LBB33_462:
	s_or_b32 exec_lo, exec_lo, s0
	s_delay_alu instid0(SALU_CYCLE_1)
	s_and_b32 s9, s10, exec_lo
.LBB33_463:
	s_and_not1_saveexec_b32 s0, s8
	s_cbranch_execnz .LBB33_467
; %bb.464:
	s_or_b32 exec_lo, exec_lo, s0
	s_and_saveexec_b32 s0, s9
.LBB33_465:
	; divergent unreachable
.LBB33_466:
	s_nop 0
	s_sendmsg sendmsg(MSG_DEALLOC_VGPRS)
	s_endpgm
.LBB33_467:
	s_cbranch_execnz .LBB33_471
; %bb.468:
	s_or_b32 s9, s9, exec_lo
	s_or_b32 exec_lo, exec_lo, s0
	s_and_saveexec_b32 s0, s9
	s_cbranch_execnz .LBB33_465
	s_branch .LBB33_466
.LBB33_469:
	s_cbranch_execnz .LBB33_475
; %bb.470:
	s_or_b32 s10, s10, exec_lo
	s_branch .LBB33_462
.LBB33_471:
	s_trap 2
	s_sendmsg_rtn_b32 s0, sendmsg(MSG_RTN_GET_DOORBELL)
	s_mov_b32 ttmp2, m0
	s_waitcnt lgkmcnt(0)
	s_and_b32 s0, s0, 0x3ff
	s_delay_alu instid0(SALU_CYCLE_1) | instskip(NEXT) | instid1(SALU_CYCLE_1)
	s_bitset1_b32 s0, 10
	s_mov_b32 m0, s0
	s_sendmsg sendmsg(MSG_INTERRUPT)
	s_mov_b32 m0, ttmp2
.LBB33_472:                             ; =>This Inner Loop Header: Depth=1
	s_sethalt 5
	s_branch .LBB33_472
.LBB33_473:
	s_cbranch_execnz .LBB33_479
; %bb.474:
	s_or_b32 s11, s11, exec_lo
	s_branch .LBB33_460
.LBB33_475:
	s_trap 2
	s_sendmsg_rtn_b32 s0, sendmsg(MSG_RTN_GET_DOORBELL)
	s_mov_b32 ttmp2, m0
	s_waitcnt lgkmcnt(0)
	s_and_b32 s0, s0, 0x3ff
	s_delay_alu instid0(SALU_CYCLE_1) | instskip(NEXT) | instid1(SALU_CYCLE_1)
	s_bitset1_b32 s0, 10
	s_mov_b32 m0, s0
	s_sendmsg sendmsg(MSG_INTERRUPT)
	s_mov_b32 m0, ttmp2
.LBB33_476:                             ; =>This Inner Loop Header: Depth=1
	s_sethalt 5
	s_branch .LBB33_476
.LBB33_477:
	s_cbranch_execnz .LBB33_483
; %bb.478:
	s_or_b32 s12, s12, exec_lo
	s_branch .LBB33_458
.LBB33_479:
	s_trap 2
	s_sendmsg_rtn_b32 s0, sendmsg(MSG_RTN_GET_DOORBELL)
	s_mov_b32 ttmp2, m0
	s_waitcnt lgkmcnt(0)
	s_and_b32 s0, s0, 0x3ff
	s_delay_alu instid0(SALU_CYCLE_1) | instskip(NEXT) | instid1(SALU_CYCLE_1)
	s_bitset1_b32 s0, 10
	s_mov_b32 m0, s0
	s_sendmsg sendmsg(MSG_INTERRUPT)
	s_mov_b32 m0, ttmp2
.LBB33_480:                             ; =>This Inner Loop Header: Depth=1
	s_sethalt 5
	s_branch .LBB33_480
.LBB33_481:
	s_cbranch_execnz .LBB33_487
; %bb.482:
	s_or_b32 s7, s7, exec_lo
	s_branch .LBB33_456
.LBB33_483:
	s_trap 2
	s_sendmsg_rtn_b32 s0, sendmsg(MSG_RTN_GET_DOORBELL)
	s_mov_b32 ttmp2, m0
	s_waitcnt lgkmcnt(0)
	s_and_b32 s0, s0, 0x3ff
	s_delay_alu instid0(SALU_CYCLE_1) | instskip(NEXT) | instid1(SALU_CYCLE_1)
	s_bitset1_b32 s0, 10
	s_mov_b32 m0, s0
	s_sendmsg sendmsg(MSG_INTERRUPT)
	s_mov_b32 m0, ttmp2
.LBB33_484:                             ; =>This Inner Loop Header: Depth=1
	s_sethalt 5
	s_branch .LBB33_484
.LBB33_485:
	s_cbranch_execnz .LBB33_489
; %bb.486:
	s_mov_b32 s0, exec_lo
	s_branch .LBB33_454
.LBB33_487:
	s_trap 2
	s_sendmsg_rtn_b32 s0, sendmsg(MSG_RTN_GET_DOORBELL)
	s_mov_b32 ttmp2, m0
	s_waitcnt lgkmcnt(0)
	s_and_b32 s0, s0, 0x3ff
	s_delay_alu instid0(SALU_CYCLE_1) | instskip(NEXT) | instid1(SALU_CYCLE_1)
	s_bitset1_b32 s0, 10
	s_mov_b32 m0, s0
	s_sendmsg sendmsg(MSG_INTERRUPT)
	s_mov_b32 m0, ttmp2
.LBB33_488:                             ; =>This Inner Loop Header: Depth=1
	s_sethalt 5
	s_branch .LBB33_488
.LBB33_489:
	s_trap 2
	s_sendmsg_rtn_b32 s0, sendmsg(MSG_RTN_GET_DOORBELL)
	s_mov_b32 ttmp2, m0
	s_waitcnt lgkmcnt(0)
	s_and_b32 s0, s0, 0x3ff
	s_delay_alu instid0(SALU_CYCLE_1) | instskip(NEXT) | instid1(SALU_CYCLE_1)
	s_bitset1_b32 s0, 10
	s_mov_b32 m0, s0
	s_sendmsg sendmsg(MSG_INTERRUPT)
	s_mov_b32 m0, ttmp2
.LBB33_490:                             ; =>This Inner Loop Header: Depth=1
	s_sethalt 5
	s_branch .LBB33_490
	.section	.rodata,"a",@progbits
	.p2align	6, 0x0
	.amdhsa_kernel _ZN2at6native6sbtopk10gatherTopKIijLi2ELb0EEEvNS_4cuda6detail10TensorInfoIKT_T0_EES8_S8_bS8_S8_NS5_IS6_S8_EES8_NS5_IlS8_EES8_PS6_
		.amdhsa_group_segment_fixed_size 4112
		.amdhsa_private_segment_fixed_size 0
		.amdhsa_kernarg_size 952
		.amdhsa_user_sgpr_count 13
		.amdhsa_user_sgpr_dispatch_ptr 0
		.amdhsa_user_sgpr_queue_ptr 0
		.amdhsa_user_sgpr_kernarg_segment_ptr 1
		.amdhsa_user_sgpr_dispatch_id 0
		.amdhsa_user_sgpr_private_segment_size 0
		.amdhsa_wavefront_size32 1
		.amdhsa_uses_dynamic_stack 0
		.amdhsa_enable_private_segment 0
		.amdhsa_system_sgpr_workgroup_id_x 1
		.amdhsa_system_sgpr_workgroup_id_y 1
		.amdhsa_system_sgpr_workgroup_id_z 1
		.amdhsa_system_sgpr_workgroup_info 0
		.amdhsa_system_vgpr_workitem_id 0
		.amdhsa_next_free_vgpr 43
		.amdhsa_next_free_sgpr 95
		.amdhsa_reserve_vcc 1
		.amdhsa_float_round_mode_32 0
		.amdhsa_float_round_mode_16_64 0
		.amdhsa_float_denorm_mode_32 3
		.amdhsa_float_denorm_mode_16_64 3
		.amdhsa_dx10_clamp 1
		.amdhsa_ieee_mode 1
		.amdhsa_fp16_overflow 0
		.amdhsa_workgroup_processor_mode 1
		.amdhsa_memory_ordered 1
		.amdhsa_forward_progress 0
		.amdhsa_shared_vgpr_count 0
		.amdhsa_exception_fp_ieee_invalid_op 0
		.amdhsa_exception_fp_denorm_src 0
		.amdhsa_exception_fp_ieee_div_zero 0
		.amdhsa_exception_fp_ieee_overflow 0
		.amdhsa_exception_fp_ieee_underflow 0
		.amdhsa_exception_fp_ieee_inexact 0
		.amdhsa_exception_int_div_zero 0
	.end_amdhsa_kernel
	.section	.text._ZN2at6native6sbtopk10gatherTopKIijLi2ELb0EEEvNS_4cuda6detail10TensorInfoIKT_T0_EES8_S8_bS8_S8_NS5_IS6_S8_EES8_NS5_IlS8_EES8_PS6_,"axG",@progbits,_ZN2at6native6sbtopk10gatherTopKIijLi2ELb0EEEvNS_4cuda6detail10TensorInfoIKT_T0_EES8_S8_bS8_S8_NS5_IS6_S8_EES8_NS5_IlS8_EES8_PS6_,comdat
.Lfunc_end33:
	.size	_ZN2at6native6sbtopk10gatherTopKIijLi2ELb0EEEvNS_4cuda6detail10TensorInfoIKT_T0_EES8_S8_bS8_S8_NS5_IS6_S8_EES8_NS5_IlS8_EES8_PS6_, .Lfunc_end33-_ZN2at6native6sbtopk10gatherTopKIijLi2ELb0EEEvNS_4cuda6detail10TensorInfoIKT_T0_EES8_S8_bS8_S8_NS5_IS6_S8_EES8_NS5_IlS8_EES8_PS6_
                                        ; -- End function
	.section	.AMDGPU.csdata,"",@progbits
; Kernel info:
; codeLenInByte = 15624
; NumSgprs: 97
; NumVgprs: 43
; ScratchSize: 0
; MemoryBound: 0
; FloatMode: 240
; IeeeMode: 1
; LDSByteSize: 4112 bytes/workgroup (compile time only)
; SGPRBlocks: 12
; VGPRBlocks: 5
; NumSGPRsForWavesPerEU: 97
; NumVGPRsForWavesPerEU: 43
; Occupancy: 16
; WaveLimiterHint : 1
; COMPUTE_PGM_RSRC2:SCRATCH_EN: 0
; COMPUTE_PGM_RSRC2:USER_SGPR: 13
; COMPUTE_PGM_RSRC2:TRAP_HANDLER: 0
; COMPUTE_PGM_RSRC2:TGID_X_EN: 1
; COMPUTE_PGM_RSRC2:TGID_Y_EN: 1
; COMPUTE_PGM_RSRC2:TGID_Z_EN: 1
; COMPUTE_PGM_RSRC2:TIDIG_COMP_CNT: 0
	.section	.text._ZN2at6native6mbtopk23computeBlockDigitCountsIijjLi3EEEvNS_4cuda6detail10TensorInfoIKT_T0_EEjPjjS8_iijT1_PSB_Ps,"axG",@progbits,_ZN2at6native6mbtopk23computeBlockDigitCountsIijjLi3EEEvNS_4cuda6detail10TensorInfoIKT_T0_EEjPjjS8_iijT1_PSB_Ps,comdat
	.protected	_ZN2at6native6mbtopk23computeBlockDigitCountsIijjLi3EEEvNS_4cuda6detail10TensorInfoIKT_T0_EEjPjjS8_iijT1_PSB_Ps ; -- Begin function _ZN2at6native6mbtopk23computeBlockDigitCountsIijjLi3EEEvNS_4cuda6detail10TensorInfoIKT_T0_EEjPjjS8_iijT1_PSB_Ps
	.globl	_ZN2at6native6mbtopk23computeBlockDigitCountsIijjLi3EEEvNS_4cuda6detail10TensorInfoIKT_T0_EEjPjjS8_iijT1_PSB_Ps
	.p2align	8
	.type	_ZN2at6native6mbtopk23computeBlockDigitCountsIijjLi3EEEvNS_4cuda6detail10TensorInfoIKT_T0_EEjPjjS8_iijT1_PSB_Ps,@function
_ZN2at6native6mbtopk23computeBlockDigitCountsIijjLi3EEEvNS_4cuda6detail10TensorInfoIKT_T0_EEjPjjS8_iijT1_PSB_Ps: ; @_ZN2at6native6mbtopk23computeBlockDigitCountsIijjLi3EEEvNS_4cuda6detail10TensorInfoIKT_T0_EEjPjjS8_iijT1_PSB_Ps
; %bb.0:
	s_clause 0x2
	s_load_b64 s[2:3], s[0:1], 0xf8
	s_load_b128 s[8:11], s[0:1], 0xe8
	s_load_b64 s[4:5], s[0:1], 0x110
	s_waitcnt lgkmcnt(0)
	v_cvt_f32_u32_e32 v1, s2
	s_sub_i32 s7, 0, s2
	s_mul_i32 s5, s5, s15
	s_mov_b32 s15, 0
	s_add_i32 s5, s5, s14
	v_rcp_iflag_f32_e32 v1, v1
	s_mul_i32 s18, s5, s4
	s_delay_alu instid0(SALU_CYCLE_1) | instskip(SKIP_2) | instid1(VALU_DEP_1)
	s_add_i32 s18, s18, s13
	s_waitcnt_depctr 0xfff
	v_mul_f32_e32 v1, 0x4f7ffffe, v1
	v_cvt_u32_f32_e32 v1, v1
	s_delay_alu instid0(VALU_DEP_1) | instskip(NEXT) | instid1(VALU_DEP_1)
	v_readfirstlane_b32 s6, v1
	s_mul_i32 s7, s7, s6
	s_delay_alu instid0(SALU_CYCLE_1) | instskip(NEXT) | instid1(SALU_CYCLE_1)
	s_mul_hi_u32 s4, s6, s7
	s_add_i32 s6, s6, s4
	s_delay_alu instid0(SALU_CYCLE_1) | instskip(NEXT) | instid1(SALU_CYCLE_1)
	s_mul_hi_u32 s4, s18, s6
	s_mul_i32 s5, s4, s2
	s_add_i32 s6, s4, 1
	s_sub_i32 s5, s18, s5
	s_delay_alu instid0(SALU_CYCLE_1)
	s_sub_i32 s7, s5, s2
	s_cmp_ge_u32 s5, s2
	s_cselect_b32 s4, s6, s4
	s_cselect_b32 s5, s7, s5
	s_add_i32 s6, s4, 1
	s_cmp_ge_u32 s5, s2
	s_cselect_b32 s14, s6, s4
	s_delay_alu instid0(SALU_CYCLE_1)
	s_cmp_ge_u32 s14, s8
	s_cbranch_scc1 .LBB34_29
; %bb.1:
	s_clause 0x1
	s_load_b64 s[12:13], s[0:1], 0xc
	s_load_b128 s[4:7], s[0:1], 0x100
	s_lshl_b64 s[16:17], s[14:15], 2
	v_cmp_gt_u32_e32 vcc_lo, 0x100, v0
	v_lshlrev_b32_e32 v3, 2, v0
	s_waitcnt lgkmcnt(0)
	v_cvt_f32_u32_e32 v1, s13
	v_cvt_f32_u32_e32 v2, s12
	s_add_u32 s16, s4, s16
	s_addc_u32 s17, s5, s17
	s_sub_i32 s4, 0, s13
	v_rcp_iflag_f32_e32 v1, v1
	v_rcp_iflag_f32_e32 v2, v2
	s_waitcnt_depctr 0xfff
	v_mul_f32_e32 v1, 0x4f7ffffe, v1
	s_delay_alu instid0(VALU_DEP_1) | instskip(NEXT) | instid1(VALU_DEP_1)
	v_cvt_u32_f32_e32 v1, v1
	v_readfirstlane_b32 s8, v1
	v_mul_f32_e32 v1, 0x4f7ffffe, v2
	s_delay_alu instid0(VALU_DEP_2) | instskip(NEXT) | instid1(VALU_DEP_1)
	s_mul_i32 s4, s4, s8
	v_cvt_u32_f32_e32 v1, v1
	s_mul_hi_u32 s4, s8, s4
	s_delay_alu instid0(SALU_CYCLE_1) | instskip(NEXT) | instid1(VALU_DEP_1)
	s_add_i32 s8, s8, s4
	v_readfirstlane_b32 s19, v1
	s_mul_hi_u32 s4, s14, s8
	s_delay_alu instid0(SALU_CYCLE_1) | instskip(SKIP_2) | instid1(SALU_CYCLE_1)
	s_mul_i32 s5, s4, s13
	s_add_i32 s8, s4, 1
	s_sub_i32 s5, s14, s5
	s_sub_i32 s15, s5, s13
	s_cmp_ge_u32 s5, s13
	s_cselect_b32 s4, s8, s4
	s_cselect_b32 s5, s15, s5
	s_add_i32 s8, s4, 1
	s_cmp_ge_u32 s5, s13
	s_cselect_b32 s4, s8, s4
	s_and_saveexec_b32 s5, vcc_lo
	s_cbranch_execz .LBB34_3
; %bb.2:
	v_mov_b32_e32 v1, 0
	ds_store_b32 v3, v1
.LBB34_3:
	s_or_b32 exec_lo, exec_lo, s5
	s_load_b32 s8, s[0:1], 0xd8
	s_mul_i32 s5, s14, s2
	s_waitcnt lgkmcnt(0)
	s_sub_i32 s5, s18, s5
	s_barrier
	s_mul_i32 s15, s11, s5
	s_add_i32 s5, s5, 1
	s_lshl_b32 s15, s15, 8
	buffer_gl0_inv
	s_sub_i32 s20, s8, s15
	s_delay_alu instid0(SALU_CYCLE_1) | instskip(SKIP_4) | instid1(VALU_DEP_1)
	s_add_u32 s20, s20, 0xff
	s_addc_u32 s21, 0, 0
	s_cmp_lt_u32 s5, s2
	v_alignbit_b32 v1, s21, s20, 8
	s_mov_b32 s5, 0
	v_readfirstlane_b32 s20, v1
	s_delay_alu instid0(VALU_DEP_1) | instskip(NEXT) | instid1(SALU_CYCLE_1)
	s_cselect_b32 s11, s11, s20
	s_cmp_lt_i32 s11, 1
	s_cbranch_scc1 .LBB34_25
; %bb.4:
	s_sub_i32 s2, 0, s12
	s_clause 0x1
	s_load_b128 s[20:23], s[0:1], 0x6c
	s_load_b64 s[24:25], s[0:1], 0x0
	s_mul_i32 s2, s2, s19
	s_mul_i32 s13, s4, s13
	s_mul_hi_u32 s2, s19, s2
	s_sub_i32 s13, s14, s13
	s_add_i32 s19, s19, s2
	s_delay_alu instid0(SALU_CYCLE_1) | instskip(NEXT) | instid1(SALU_CYCLE_1)
	s_mul_hi_u32 s2, s4, s19
	s_mul_i32 s19, s2, s12
	s_delay_alu instid0(SALU_CYCLE_1)
	s_sub_i32 s14, s4, s19
	s_add_i32 s19, s2, 1
	s_waitcnt lgkmcnt(0)
	s_sub_i32 s23, s14, s12
	s_cmp_ge_u32 s14, s12
	s_cselect_b32 s0, s19, s2
	s_cselect_b32 s1, s23, s14
	s_add_i32 s2, s0, 1
	s_cmp_ge_u32 s1, s12
	s_load_b32 s1, s[16:17], 0x0
	s_cselect_b32 s0, s2, s0
	s_mul_i32 s13, s13, s22
	s_mul_i32 s2, s0, s12
	;; [unrolled: 1-line block ×3, first 2 shown]
	s_sub_i32 s2, s4, s2
	s_delay_alu instid0(SALU_CYCLE_1) | instskip(NEXT) | instid1(SALU_CYCLE_1)
	s_mul_i32 s2, s2, s21
	s_add_i32 s2, s2, s13
	s_delay_alu instid0(SALU_CYCLE_1) | instskip(NEXT) | instid1(SALU_CYCLE_1)
	s_add_i32 s4, s2, s0
	s_lshl_b64 s[12:13], s[4:5], 2
	s_delay_alu instid0(SALU_CYCLE_1)
	s_add_u32 s2, s24, s12
	s_addc_u32 s4, s25, s13
	s_and_b32 s10, s10, 0xff
	s_cmp_lt_u32 s11, 4
	s_cbranch_scc1 .LBB34_19
; %bb.5:
	v_add_nc_u32_e32 v1, s15, v0
	s_and_b32 s5, s11, 0x7ffffffc
	s_lshl_b32 s12, s9, 10
	s_mov_b32 s13, 0
	s_mov_b32 s14, 0
	v_dual_mov_b32 v9, 1 :: v_dual_add_nc_u32 v2, 0x200, v1
	s_delay_alu instid0(VALU_DEP_1) | instskip(SKIP_4) | instid1(VALU_DEP_3)
	v_mul_lo_u32 v6, s9, v2
	v_mov_b32_e32 v2, 0
	v_add_nc_u32_e32 v4, 0x300, v1
	v_add_nc_u32_e32 v7, 0x100, v1
	v_mul_lo_u32 v8, s9, v1
	v_mul_lo_u32 v5, s9, v4
	s_delay_alu instid0(VALU_DEP_3)
	v_mul_lo_u32 v7, s9, v7
	s_branch .LBB34_7
.LBB34_6:                               ;   in Loop: Header=BB34_7 Depth=1
	s_or_b32 exec_lo, exec_lo, s16
	v_add_nc_u32_e32 v4, 0x400, v4
	s_add_i32 s14, s14, 4
	s_add_i32 s13, s13, s12
	s_cmp_eq_u32 s5, s14
	s_cbranch_scc1 .LBB34_19
.LBB34_7:                               ; =>This Inner Loop Header: Depth=1
	v_add_nc_u32_e32 v1, 0xfffffd00, v4
	s_mov_b32 s16, exec_lo
	s_delay_alu instid0(VALU_DEP_1)
	v_cmpx_gt_u32_e64 s8, v1
	s_cbranch_execz .LBB34_10
; %bb.8:                                ;   in Loop: Header=BB34_7 Depth=1
	v_add_nc_u32_e32 v1, s13, v8
	s_delay_alu instid0(VALU_DEP_1) | instskip(NEXT) | instid1(VALU_DEP_1)
	v_lshlrev_b64 v[10:11], 2, v[1:2]
	v_add_co_u32 v10, s0, s2, v10
	s_delay_alu instid0(VALU_DEP_1) | instskip(SKIP_4) | instid1(VALU_DEP_1)
	v_add_co_ci_u32_e64 v11, s0, s4, v11, s0
	global_load_b32 v1, v[10:11], off
	s_waitcnt vmcnt(0)
	v_xor_b32_e32 v1, 0x80000000, v1
	s_waitcnt lgkmcnt(0)
	v_xor_b32_e32 v10, s1, v1
	s_delay_alu instid0(VALU_DEP_1) | instskip(NEXT) | instid1(VALU_DEP_1)
	v_and_b32_e32 v10, s3, v10
	v_cmp_eq_u32_e64 s0, 0, v10
	s_delay_alu instid0(VALU_DEP_1)
	s_and_b32 exec_lo, exec_lo, s0
	s_cbranch_execz .LBB34_10
; %bb.9:                                ;   in Loop: Header=BB34_7 Depth=1
	v_bfe_u32 v1, v1, s10, 8
	s_delay_alu instid0(VALU_DEP_1)
	v_lshlrev_b32_e32 v1, 2, v1
	ds_add_u32 v1, v9
.LBB34_10:                              ;   in Loop: Header=BB34_7 Depth=1
	s_or_b32 exec_lo, exec_lo, s16
	v_add_nc_u32_e32 v1, 0xfffffe00, v4
	s_mov_b32 s16, exec_lo
	s_delay_alu instid0(VALU_DEP_1)
	v_cmpx_gt_u32_e64 s8, v1
	s_cbranch_execz .LBB34_13
; %bb.11:                               ;   in Loop: Header=BB34_7 Depth=1
	v_add_nc_u32_e32 v1, s13, v7
	s_delay_alu instid0(VALU_DEP_1) | instskip(NEXT) | instid1(VALU_DEP_1)
	v_lshlrev_b64 v[10:11], 2, v[1:2]
	v_add_co_u32 v10, s0, s2, v10
	s_delay_alu instid0(VALU_DEP_1) | instskip(SKIP_4) | instid1(VALU_DEP_1)
	v_add_co_ci_u32_e64 v11, s0, s4, v11, s0
	global_load_b32 v1, v[10:11], off
	s_waitcnt vmcnt(0)
	v_xor_b32_e32 v1, 0x80000000, v1
	s_waitcnt lgkmcnt(0)
	v_xor_b32_e32 v10, s1, v1
	s_delay_alu instid0(VALU_DEP_1) | instskip(NEXT) | instid1(VALU_DEP_1)
	v_and_b32_e32 v10, s3, v10
	v_cmp_eq_u32_e64 s0, 0, v10
	s_delay_alu instid0(VALU_DEP_1)
	s_and_b32 exec_lo, exec_lo, s0
	s_cbranch_execz .LBB34_13
; %bb.12:                               ;   in Loop: Header=BB34_7 Depth=1
	v_bfe_u32 v1, v1, s10, 8
	s_delay_alu instid0(VALU_DEP_1)
	v_lshlrev_b32_e32 v1, 2, v1
	ds_add_u32 v1, v9
.LBB34_13:                              ;   in Loop: Header=BB34_7 Depth=1
	s_or_b32 exec_lo, exec_lo, s16
	v_add_nc_u32_e32 v1, 0xffffff00, v4
	s_mov_b32 s16, exec_lo
	s_delay_alu instid0(VALU_DEP_1)
	v_cmpx_gt_u32_e64 s8, v1
	s_cbranch_execz .LBB34_16
; %bb.14:                               ;   in Loop: Header=BB34_7 Depth=1
	v_add_nc_u32_e32 v1, s13, v6
	s_delay_alu instid0(VALU_DEP_1) | instskip(NEXT) | instid1(VALU_DEP_1)
	v_lshlrev_b64 v[10:11], 2, v[1:2]
	v_add_co_u32 v10, s0, s2, v10
	s_delay_alu instid0(VALU_DEP_1) | instskip(SKIP_4) | instid1(VALU_DEP_1)
	v_add_co_ci_u32_e64 v11, s0, s4, v11, s0
	global_load_b32 v1, v[10:11], off
	s_waitcnt vmcnt(0)
	v_xor_b32_e32 v1, 0x80000000, v1
	s_waitcnt lgkmcnt(0)
	v_xor_b32_e32 v10, s1, v1
	s_delay_alu instid0(VALU_DEP_1) | instskip(NEXT) | instid1(VALU_DEP_1)
	v_and_b32_e32 v10, s3, v10
	v_cmp_eq_u32_e64 s0, 0, v10
	s_delay_alu instid0(VALU_DEP_1)
	s_and_b32 exec_lo, exec_lo, s0
	s_cbranch_execz .LBB34_16
; %bb.15:                               ;   in Loop: Header=BB34_7 Depth=1
	v_bfe_u32 v1, v1, s10, 8
	s_delay_alu instid0(VALU_DEP_1)
	v_lshlrev_b32_e32 v1, 2, v1
	ds_add_u32 v1, v9
.LBB34_16:                              ;   in Loop: Header=BB34_7 Depth=1
	s_or_b32 exec_lo, exec_lo, s16
	s_delay_alu instid0(SALU_CYCLE_1)
	s_mov_b32 s16, exec_lo
	v_cmpx_gt_u32_e64 s8, v4
	s_cbranch_execz .LBB34_6
; %bb.17:                               ;   in Loop: Header=BB34_7 Depth=1
	v_add_nc_u32_e32 v1, s13, v5
	s_delay_alu instid0(VALU_DEP_1) | instskip(NEXT) | instid1(VALU_DEP_1)
	v_lshlrev_b64 v[10:11], 2, v[1:2]
	v_add_co_u32 v10, s0, s2, v10
	s_delay_alu instid0(VALU_DEP_1) | instskip(SKIP_4) | instid1(VALU_DEP_1)
	v_add_co_ci_u32_e64 v11, s0, s4, v11, s0
	global_load_b32 v1, v[10:11], off
	s_waitcnt vmcnt(0)
	v_xor_b32_e32 v1, 0x80000000, v1
	s_waitcnt lgkmcnt(0)
	v_xor_b32_e32 v10, s1, v1
	s_delay_alu instid0(VALU_DEP_1) | instskip(NEXT) | instid1(VALU_DEP_1)
	v_and_b32_e32 v10, s3, v10
	v_cmp_eq_u32_e64 s0, 0, v10
	s_delay_alu instid0(VALU_DEP_1)
	s_and_b32 exec_lo, exec_lo, s0
	s_cbranch_execz .LBB34_6
; %bb.18:                               ;   in Loop: Header=BB34_7 Depth=1
	v_bfe_u32 v1, v1, s10, 8
	s_delay_alu instid0(VALU_DEP_1)
	v_lshlrev_b32_e32 v1, 2, v1
	ds_add_u32 v1, v9
	s_branch .LBB34_6
.LBB34_19:
	s_and_b32 s11, s11, 3
	s_delay_alu instid0(SALU_CYCLE_1)
	s_cmp_eq_u32 s11, 0
	s_cbranch_scc1 .LBB34_25
; %bb.20:
	s_lshl_b32 s0, s5, 8
	v_dual_mov_b32 v2, 0 :: v_dual_mov_b32 v5, 1
	v_add3_u32 v4, s0, s15, v0
	s_lshl_b32 s5, s9, 8
	s_delay_alu instid0(VALU_DEP_1)
	v_mul_lo_u32 v1, s9, v4
	s_set_inst_prefetch_distance 0x1
	s_branch .LBB34_22
	.p2align	6
.LBB34_21:                              ;   in Loop: Header=BB34_22 Depth=1
	s_or_b32 exec_lo, exec_lo, s9
	s_delay_alu instid0(VALU_DEP_2) | instskip(SKIP_2) | instid1(SALU_CYCLE_1)
	v_add_nc_u32_e32 v1, s5, v1
	v_add_nc_u32_e32 v4, 0x100, v4
	s_add_i32 s11, s11, -1
	s_cmp_lg_u32 s11, 0
	s_cbranch_scc0 .LBB34_25
.LBB34_22:                              ; =>This Inner Loop Header: Depth=1
	s_mov_b32 s9, exec_lo
	v_cmpx_gt_u32_e64 s8, v4
	s_cbranch_execz .LBB34_21
; %bb.23:                               ;   in Loop: Header=BB34_22 Depth=1
	s_delay_alu instid0(VALU_DEP_2) | instskip(NEXT) | instid1(VALU_DEP_1)
	v_lshlrev_b64 v[6:7], 2, v[1:2]
	v_add_co_u32 v6, s0, s2, v6
	s_delay_alu instid0(VALU_DEP_1) | instskip(SKIP_4) | instid1(VALU_DEP_1)
	v_add_co_ci_u32_e64 v7, s0, s4, v7, s0
	global_load_b32 v6, v[6:7], off
	s_waitcnt vmcnt(0)
	v_xor_b32_e32 v6, 0x80000000, v6
	s_waitcnt lgkmcnt(0)
	v_xor_b32_e32 v7, s1, v6
	s_delay_alu instid0(VALU_DEP_1) | instskip(NEXT) | instid1(VALU_DEP_1)
	v_and_b32_e32 v7, s3, v7
	v_cmp_eq_u32_e64 s0, 0, v7
	s_delay_alu instid0(VALU_DEP_1)
	s_and_b32 exec_lo, exec_lo, s0
	s_cbranch_execz .LBB34_21
; %bb.24:                               ;   in Loop: Header=BB34_22 Depth=1
	v_bfe_u32 v6, v6, s10, 8
	s_delay_alu instid0(VALU_DEP_1)
	v_lshlrev_b32_e32 v6, 2, v6
	ds_add_u32 v6, v5
	s_branch .LBB34_21
.LBB34_25:
	s_set_inst_prefetch_distance 0x2
	v_mov_b32_e32 v1, 0
	s_waitcnt lgkmcnt(0)
	s_barrier
	buffer_gl0_inv
	s_and_saveexec_b32 s0, vcc_lo
	s_cbranch_execz .LBB34_27
; %bb.26:
	ds_load_b32 v1, v3
.LBB34_27:
	s_or_b32 exec_lo, exec_lo, s0
	s_and_saveexec_b32 s0, vcc_lo
	s_cbranch_execz .LBB34_29
; %bb.28:
	v_lshl_or_b32 v2, s18, 8, v0
	v_mov_b32_e32 v3, 0
	s_delay_alu instid0(VALU_DEP_1) | instskip(NEXT) | instid1(VALU_DEP_1)
	v_lshlrev_b64 v[2:3], 1, v[2:3]
	v_add_co_u32 v2, vcc_lo, s6, v2
	s_delay_alu instid0(VALU_DEP_2)
	v_add_co_ci_u32_e32 v3, vcc_lo, s7, v3, vcc_lo
	s_waitcnt lgkmcnt(0)
	global_store_b16 v[2:3], v1, off
.LBB34_29:
	s_nop 0
	s_sendmsg sendmsg(MSG_DEALLOC_VGPRS)
	s_endpgm
	.section	.rodata,"a",@progbits
	.p2align	6, 0x0
	.amdhsa_kernel _ZN2at6native6mbtopk23computeBlockDigitCountsIijjLi3EEEvNS_4cuda6detail10TensorInfoIKT_T0_EEjPjjS8_iijT1_PSB_Ps
		.amdhsa_group_segment_fixed_size 1024
		.amdhsa_private_segment_fixed_size 0
		.amdhsa_kernarg_size 528
		.amdhsa_user_sgpr_count 13
		.amdhsa_user_sgpr_dispatch_ptr 0
		.amdhsa_user_sgpr_queue_ptr 0
		.amdhsa_user_sgpr_kernarg_segment_ptr 1
		.amdhsa_user_sgpr_dispatch_id 0
		.amdhsa_user_sgpr_private_segment_size 0
		.amdhsa_wavefront_size32 1
		.amdhsa_uses_dynamic_stack 0
		.amdhsa_enable_private_segment 0
		.amdhsa_system_sgpr_workgroup_id_x 1
		.amdhsa_system_sgpr_workgroup_id_y 1
		.amdhsa_system_sgpr_workgroup_id_z 1
		.amdhsa_system_sgpr_workgroup_info 0
		.amdhsa_system_vgpr_workitem_id 0
		.amdhsa_next_free_vgpr 12
		.amdhsa_next_free_sgpr 26
		.amdhsa_reserve_vcc 1
		.amdhsa_float_round_mode_32 0
		.amdhsa_float_round_mode_16_64 0
		.amdhsa_float_denorm_mode_32 3
		.amdhsa_float_denorm_mode_16_64 3
		.amdhsa_dx10_clamp 1
		.amdhsa_ieee_mode 1
		.amdhsa_fp16_overflow 0
		.amdhsa_workgroup_processor_mode 1
		.amdhsa_memory_ordered 1
		.amdhsa_forward_progress 0
		.amdhsa_shared_vgpr_count 0
		.amdhsa_exception_fp_ieee_invalid_op 0
		.amdhsa_exception_fp_denorm_src 0
		.amdhsa_exception_fp_ieee_div_zero 0
		.amdhsa_exception_fp_ieee_overflow 0
		.amdhsa_exception_fp_ieee_underflow 0
		.amdhsa_exception_fp_ieee_inexact 0
		.amdhsa_exception_int_div_zero 0
	.end_amdhsa_kernel
	.section	.text._ZN2at6native6mbtopk23computeBlockDigitCountsIijjLi3EEEvNS_4cuda6detail10TensorInfoIKT_T0_EEjPjjS8_iijT1_PSB_Ps,"axG",@progbits,_ZN2at6native6mbtopk23computeBlockDigitCountsIijjLi3EEEvNS_4cuda6detail10TensorInfoIKT_T0_EEjPjjS8_iijT1_PSB_Ps,comdat
.Lfunc_end34:
	.size	_ZN2at6native6mbtopk23computeBlockDigitCountsIijjLi3EEEvNS_4cuda6detail10TensorInfoIKT_T0_EEjPjjS8_iijT1_PSB_Ps, .Lfunc_end34-_ZN2at6native6mbtopk23computeBlockDigitCountsIijjLi3EEEvNS_4cuda6detail10TensorInfoIKT_T0_EEjPjjS8_iijT1_PSB_Ps
                                        ; -- End function
	.section	.AMDGPU.csdata,"",@progbits
; Kernel info:
; codeLenInByte = 1700
; NumSgprs: 28
; NumVgprs: 12
; ScratchSize: 0
; MemoryBound: 0
; FloatMode: 240
; IeeeMode: 1
; LDSByteSize: 1024 bytes/workgroup (compile time only)
; SGPRBlocks: 3
; VGPRBlocks: 1
; NumSGPRsForWavesPerEU: 28
; NumVGPRsForWavesPerEU: 12
; Occupancy: 16
; WaveLimiterHint : 1
; COMPUTE_PGM_RSRC2:SCRATCH_EN: 0
; COMPUTE_PGM_RSRC2:USER_SGPR: 13
; COMPUTE_PGM_RSRC2:TRAP_HANDLER: 0
; COMPUTE_PGM_RSRC2:TGID_X_EN: 1
; COMPUTE_PGM_RSRC2:TGID_Y_EN: 1
; COMPUTE_PGM_RSRC2:TGID_Z_EN: 1
; COMPUTE_PGM_RSRC2:TIDIG_COMP_CNT: 0
	.section	.text._ZN2at6native6mbtopk10gatherTopKIijLi3EEEvNS_4cuda6detail10TensorInfoIKT_T0_EES8_S8_bjS8_NS5_IS6_S8_EES8_NS5_IlS8_EES8_jjPS6_PjSD_j,"axG",@progbits,_ZN2at6native6mbtopk10gatherTopKIijLi3EEEvNS_4cuda6detail10TensorInfoIKT_T0_EES8_S8_bjS8_NS5_IS6_S8_EES8_NS5_IlS8_EES8_jjPS6_PjSD_j,comdat
	.protected	_ZN2at6native6mbtopk10gatherTopKIijLi3EEEvNS_4cuda6detail10TensorInfoIKT_T0_EES8_S8_bjS8_NS5_IS6_S8_EES8_NS5_IlS8_EES8_jjPS6_PjSD_j ; -- Begin function _ZN2at6native6mbtopk10gatherTopKIijLi3EEEvNS_4cuda6detail10TensorInfoIKT_T0_EES8_S8_bjS8_NS5_IS6_S8_EES8_NS5_IlS8_EES8_jjPS6_PjSD_j
	.globl	_ZN2at6native6mbtopk10gatherTopKIijLi3EEEvNS_4cuda6detail10TensorInfoIKT_T0_EES8_S8_bjS8_NS5_IS6_S8_EES8_NS5_IlS8_EES8_jjPS6_PjSD_j
	.p2align	8
	.type	_ZN2at6native6mbtopk10gatherTopKIijLi3EEEvNS_4cuda6detail10TensorInfoIKT_T0_EES8_S8_bjS8_NS5_IS6_S8_EES8_NS5_IlS8_EES8_jjPS6_PjSD_j,@function
_ZN2at6native6mbtopk10gatherTopKIijLi3EEEvNS_4cuda6detail10TensorInfoIKT_T0_EES8_S8_bjS8_NS5_IS6_S8_EES8_NS5_IlS8_EES8_jjPS6_PjSD_j: ; @_ZN2at6native6mbtopk10gatherTopKIijLi3EEEvNS_4cuda6detail10TensorInfoIKT_T0_EES8_S8_bjS8_NS5_IS6_S8_EES8_NS5_IlS8_EES8_jjPS6_PjSD_j
; %bb.0:
	s_clause 0x1
	s_load_b64 s[2:3], s[0:1], 0x2d8
	s_load_b32 s4, s[0:1], 0x2d0
	s_waitcnt lgkmcnt(0)
	s_mul_i32 s3, s3, s15
	s_delay_alu instid0(SALU_CYCLE_1) | instskip(NEXT) | instid1(SALU_CYCLE_1)
	s_add_i32 s3, s3, s14
	s_mul_i32 s2, s3, s2
	s_delay_alu instid0(SALU_CYCLE_1) | instskip(NEXT) | instid1(SALU_CYCLE_1)
	s_add_i32 s2, s2, s13
	s_cmp_ge_u32 s2, s4
	s_cbranch_scc1 .LBB35_40
; %bb.1:
	s_clause 0x6
	s_load_b256 s[4:11], s[0:1], 0x2a8
	s_load_b64 s[38:39], s[0:1], 0xc
	s_load_b64 s[36:37], s[0:1], 0xfc
	;; [unrolled: 1-line block ×4, first 2 shown]
	s_load_b128 s[16:19], s[0:1], 0x15c
	s_load_b64 s[28:29], s[0:1], 0x1d0
	s_mov_b32 s41, 0
	s_waitcnt lgkmcnt(0)
	v_cvt_f32_u32_e32 v1, s6
	v_cvt_f32_u32_e32 v2, s39
	s_sub_i32 s3, 0, s6
	v_cvt_f32_u32_e32 v3, s38
	v_cvt_f32_u32_e32 v4, s37
	v_rcp_iflag_f32_e32 v1, v1
	v_rcp_iflag_f32_e32 v2, v2
	v_cvt_f32_u32_e32 v5, s36
	v_rcp_iflag_f32_e32 v3, v3
	v_rcp_iflag_f32_e32 v4, v4
	v_cvt_f32_u32_e32 v6, s35
	s_delay_alu instid0(VALU_DEP_2) | instskip(NEXT) | instid1(VALU_DEP_1)
	v_rcp_iflag_f32_e32 v5, v5
	v_rcp_iflag_f32_e32 v6, v6
	v_dual_mul_f32 v1, 0x4f7ffffe, v1 :: v_dual_mul_f32 v2, 0x4f7ffffe, v2
	v_mul_f32_e32 v3, 0x4f7ffffe, v3
	s_delay_alu instid0(VALU_DEP_2) | instskip(NEXT) | instid1(VALU_DEP_3)
	v_cvt_u32_f32_e32 v1, v1
	v_cvt_u32_f32_e32 v2, v2
	s_delay_alu instid0(VALU_DEP_2) | instskip(NEXT) | instid1(VALU_DEP_2)
	v_readfirstlane_b32 s7, v1
	v_readfirstlane_b32 s14, v2
	v_mul_f32_e32 v2, 0x4f7ffffe, v4
	v_cvt_u32_f32_e32 v3, v3
	s_delay_alu instid0(TRANS32_DEP_1) | instskip(SKIP_1) | instid1(VALU_DEP_3)
	v_dual_mul_f32 v4, 0x4f7ffffe, v5 :: v_dual_mul_f32 v5, 0x4f7ffffe, v6
	s_mul_i32 s3, s3, s7
	v_cvt_u32_f32_e32 v2, v2
	s_mul_hi_u32 s3, s7, s3
	v_cvt_f32_u32_e32 v1, s34
	s_add_i32 s7, s7, s3
	s_delay_alu instid0(SALU_CYCLE_1) | instskip(NEXT) | instid1(SALU_CYCLE_1)
	s_mul_hi_u32 s3, s2, s7
	s_mul_i32 s7, s3, s6
	s_add_i32 s12, s3, 1
	s_sub_i32 s7, s2, s7
	v_rcp_iflag_f32_e32 v1, v1
	s_sub_i32 s13, s7, s6
	s_cmp_ge_u32 s7, s6
	s_cselect_b32 s3, s12, s3
	s_cselect_b32 s7, s13, s7
	s_add_i32 s12, s3, 1
	s_cmp_ge_u32 s7, s6
	s_cselect_b32 s40, s12, s3
	s_sub_i32 s3, 0, s39
	s_mul_i32 s24, s40, s6
	s_mul_i32 s3, s3, s14
	s_sub_i32 s7, s2, s24
	s_mul_hi_u32 s3, s14, s3
	s_waitcnt_depctr 0xfff
	v_mul_f32_e32 v1, 0x4f7ffffe, v1
	s_add_i32 s14, s14, s3
	s_delay_alu instid0(SALU_CYCLE_1)
	s_mul_hi_u32 s3, s40, s14
	v_readfirstlane_b32 s14, v2
	s_mul_i32 s12, s3, s39
	v_cvt_u32_f32_e32 v2, v4
	s_sub_i32 s2, s40, s12
	s_add_i32 s12, s3, 1
	s_sub_i32 s13, s2, s39
	s_cmp_ge_u32 s2, s39
	v_cvt_u32_f32_e32 v1, v1
	s_cselect_b32 s3, s12, s3
	s_cselect_b32 s2, s13, s2
	s_add_i32 s12, s3, 1
	s_cmp_ge_u32 s2, s39
	v_readfirstlane_b32 s20, v1
	s_cselect_b32 s48, s12, s3
	s_sub_i32 s2, 0, s37
	v_readfirstlane_b32 s3, v3
	s_mul_i32 s2, s2, s14
	s_sub_i32 s12, 0, s38
	s_mul_hi_u32 s2, s14, s2
	v_cvt_u32_f32_e32 v3, v5
	s_add_i32 s14, s14, s2
	s_mul_i32 s12, s12, s3
	s_mul_hi_u32 s2, s40, s14
	s_mul_hi_u32 s12, s3, s12
	s_mul_i32 s13, s2, s37
	s_add_i32 s25, s3, s12
	s_sub_i32 s3, s40, s13
	s_add_i32 s12, s2, 1
	s_sub_i32 s13, s3, s37
	s_cmp_ge_u32 s3, s37
	v_readfirstlane_b32 s14, v3
	s_cselect_b32 s2, s12, s2
	s_cselect_b32 s3, s13, s3
	s_add_i32 s12, s2, 1
	s_cmp_ge_u32 s3, s37
	v_readfirstlane_b32 s3, v2
	s_cselect_b32 s33, s12, s2
	s_sub_i32 s2, 0, s35
	s_sub_i32 s12, 0, s36
	s_mul_i32 s2, s2, s14
	s_mul_i32 s12, s12, s3
	s_mul_hi_u32 s2, s14, s2
	s_mul_hi_u32 s12, s3, s12
	s_add_i32 s14, s14, s2
	s_add_i32 s26, s3, s12
	s_mul_hi_u32 s2, s40, s14
	s_mul_hi_u32 s50, s48, s25
	s_mul_i32 s13, s2, s35
	s_add_i32 s12, s2, 1
	s_sub_i32 s3, s40, s13
	s_mul_hi_u32 s49, s33, s26
	s_sub_i32 s13, s3, s35
	s_cmp_ge_u32 s3, s35
	s_cselect_b32 s2, s12, s2
	s_cselect_b32 s3, s13, s3
	s_add_i32 s12, s2, 1
	s_cmp_ge_u32 s3, s35
	s_cselect_b32 s19, s12, s2
	s_sub_i32 s2, 0, s34
	s_load_b128 s[12:15], s[0:1], 0x23c
	s_mul_i32 s2, s2, s20
	s_waitcnt lgkmcnt(0)
	s_mul_hi_u32 s15, s20, s2
	s_lshl_b64 s[2:3], s[40:41], 2
	s_add_i32 s27, s20, s15
	s_add_u32 s2, s8, s2
	s_addc_u32 s3, s9, s3
	s_clause 0x1
	s_load_b64 s[42:43], s[0:1], 0xf0
	s_load_b128 s[20:23], s[0:1], 0x6c
	s_load_b32 s15, s[2:3], 0x0
	v_cmp_ne_u32_e64 s2, 0, v0
	v_cmp_eq_u32_e64 s3, 0, v0
	s_waitcnt lgkmcnt(0)
	s_mul_hi_u32 s23, s19, s27
	s_delay_alu instid0(VALU_DEP_1)
	s_and_saveexec_b32 s51, s3
	s_cbranch_execz .LBB35_17
; %bb.2:
	s_load_b64 s[8:9], s[0:1], 0x2c8
	s_mov_b32 s25, s41
	s_delay_alu instid0(SALU_CYCLE_1) | instskip(NEXT) | instid1(SALU_CYCLE_1)
	s_lshl_b64 s[44:45], s[24:25], 2
	s_add_u32 s24, s10, s44
	s_addc_u32 s25, s11, s45
	s_waitcnt lgkmcnt(0)
	s_add_u32 s26, s8, s44
	s_addc_u32 s27, s9, s45
	s_cmp_lt_u32 s6, 4
	s_cbranch_scc1 .LBB35_14
; %bb.3:
	s_mov_b32 s52, s41
	s_mov_b32 s53, s41
	s_mov_b32 s54, s41
.LBB35_4:                               ; =>This Inner Loop Header: Depth=1
	s_add_u32 s24, s10, s44
	s_addc_u32 s25, s11, s45
	s_add_u32 s46, s8, s44
	s_load_b128 s[24:27], s[24:25], 0x0
	s_addc_u32 s47, s9, s45
	s_cmp_ge_u32 s54, s7
	s_cbranch_scc0 .LBB35_11
; %bb.5:                                ;   in Loop: Header=BB35_4 Depth=1
	s_add_i32 s55, s54, 1
	s_delay_alu instid0(SALU_CYCLE_1)
	s_cmp_ge_u32 s55, s7
	s_cbranch_scc0 .LBB35_12
.LBB35_6:                               ;   in Loop: Header=BB35_4 Depth=1
	s_add_i32 s55, s55, 1
	s_delay_alu instid0(SALU_CYCLE_1)
	s_cmp_ge_u32 s55, s7
	s_cbranch_scc0 .LBB35_13
.LBB35_7:                               ;   in Loop: Header=BB35_4 Depth=1
	s_add_i32 s55, s55, 1
	s_delay_alu instid0(SALU_CYCLE_1)
	s_cmp_ge_u32 s55, s7
	s_cbranch_scc1 .LBB35_9
.LBB35_8:                               ;   in Loop: Header=BB35_4 Depth=1
	s_load_b32 s46, s[46:47], 0xc
	s_waitcnt lgkmcnt(0)
	s_add_i32 s41, s41, s27
	s_add_i32 s52, s46, s52
.LBB35_9:                               ;   in Loop: Header=BB35_4 Depth=1
	s_waitcnt lgkmcnt(0)
	s_add_i32 s24, s24, s53
	s_delay_alu instid0(SALU_CYCLE_1) | instskip(NEXT) | instid1(SALU_CYCLE_1)
	s_add_i32 s24, s24, s25
	s_add_i32 s24, s24, s26
	s_delay_alu instid0(SALU_CYCLE_1)
	s_add_i32 s53, s24, s27
	s_add_u32 s10, s10, 16
	s_addc_u32 s11, s11, 0
	s_add_u32 s8, s8, 16
	s_addc_u32 s9, s9, 0
	s_add_i32 s47, s55, 4
	s_add_u32 s26, s8, s44
	s_addc_u32 s27, s9, s45
	s_add_u32 s24, s10, s44
	s_addc_u32 s25, s11, s45
	s_add_i32 s46, s55, 1
	s_cmp_ge_u32 s47, s6
	s_cbranch_scc1 .LBB35_15
; %bb.10:                               ;   in Loop: Header=BB35_4 Depth=1
	s_mov_b32 s54, s46
	s_branch .LBB35_4
.LBB35_11:                              ;   in Loop: Header=BB35_4 Depth=1
	s_load_b32 s55, s[46:47], 0x0
	s_waitcnt lgkmcnt(0)
	s_add_i32 s41, s24, s41
	s_add_i32 s52, s55, s52
	;; [unrolled: 1-line block ×3, first 2 shown]
	s_delay_alu instid0(SALU_CYCLE_1)
	s_cmp_ge_u32 s55, s7
	s_cbranch_scc1 .LBB35_6
.LBB35_12:                              ;   in Loop: Header=BB35_4 Depth=1
	s_load_b32 s56, s[46:47], 0x4
	s_waitcnt lgkmcnt(0)
	s_add_i32 s41, s41, s25
	s_add_i32 s52, s56, s52
	s_add_i32 s55, s55, 1
	s_delay_alu instid0(SALU_CYCLE_1)
	s_cmp_ge_u32 s55, s7
	s_cbranch_scc1 .LBB35_7
.LBB35_13:                              ;   in Loop: Header=BB35_4 Depth=1
	s_load_b32 s56, s[46:47], 0x8
	s_waitcnt lgkmcnt(0)
	s_add_i32 s41, s41, s26
	s_add_i32 s52, s56, s52
	;; [unrolled: 1-line block ×3, first 2 shown]
	s_delay_alu instid0(SALU_CYCLE_1)
	s_cmp_ge_u32 s55, s7
	s_cbranch_scc0 .LBB35_8
	s_branch .LBB35_9
.LBB35_14:
	s_mov_b32 s52, 0
	s_mov_b32 s53, 0
	;; [unrolled: 1-line block ×3, first 2 shown]
	s_delay_alu instid0(SALU_CYCLE_1)
	s_cmp_ge_u32 s8, s6
	s_cbranch_scc0 .LBB35_38
	s_branch .LBB35_16
.LBB35_15:
	s_add_i32 s8, s54, 4
	s_delay_alu instid0(SALU_CYCLE_1)
	s_cmp_ge_u32 s8, s6
	s_cbranch_scc0 .LBB35_38
.LBB35_16:
	v_dual_mov_b32 v1, s52 :: v_dual_mov_b32 v2, s53
	v_dual_mov_b32 v3, s41 :: v_dual_mov_b32 v4, 0
	ds_store_b96 v4, v[1:3] offset:1056
.LBB35_17:
	s_or_b32 exec_lo, exec_lo, s51
	s_load_b128 s[8:11], s[0:1], 0xd8
	s_waitcnt lgkmcnt(0)
	s_mul_i32 s11, s5, s7
	s_add_i32 s7, s7, 1
	s_lshl_b32 s24, s11, 8
	s_barrier
	buffer_gl0_inv
	s_sub_i32 s11, s8, s24
	s_delay_alu instid0(SALU_CYCLE_1) | instskip(SKIP_4) | instid1(VALU_DEP_1)
	s_add_u32 s11, s11, 0xff
	s_addc_u32 s25, 0, 0
	s_cmp_lt_u32 s7, s6
	v_alignbit_b32 v1, s25, s11, 8
	s_mov_b32 s7, 0
	v_readfirstlane_b32 s11, v1
	s_delay_alu instid0(VALU_DEP_1) | instskip(NEXT) | instid1(SALU_CYCLE_1)
	s_cselect_b32 s5, s5, s11
	s_cmp_eq_u32 s5, 0
	s_cbranch_scc1 .LBB35_40
; %bb.18:
	s_mul_i32 s11, s50, s38
	s_mul_i32 s6, s48, s39
	s_sub_i32 s11, s48, s11
	s_sub_i32 s6, s40, s6
	s_add_i32 s25, s50, 1
	s_sub_i32 s26, s11, s38
	s_cmp_ge_u32 s11, s38
	s_mul_i32 s6, s6, s22
	s_cselect_b32 s25, s25, s50
	s_cselect_b32 s11, s26, s11
	s_add_i32 s26, s25, 1
	s_cmp_ge_u32 s11, s38
	s_mul_i32 s11, s33, s37
	s_cselect_b32 s25, s26, s25
	s_mul_i32 s26, s49, s36
	s_mul_i32 s27, s25, s38
	;; [unrolled: 1-line block ×3, first 2 shown]
	s_sub_i32 s22, s48, s27
	s_sub_i32 s20, s33, s26
	s_mul_i32 s21, s22, s21
	s_sub_i32 s11, s40, s11
	s_add_i32 s6, s21, s6
	s_add_i32 s21, s49, 1
	;; [unrolled: 1-line block ×3, first 2 shown]
	s_sub_i32 s22, s20, s36
	s_cmp_ge_u32 s20, s36
	s_mul_i32 s11, s11, s18
	s_cselect_b32 s21, s21, s49
	s_cselect_b32 s20, s22, s20
	s_add_i32 s22, s21, 1
	s_cmp_ge_u32 s20, s36
	s_mul_i32 s25, s23, s34
	s_cselect_b32 s20, s22, s21
	s_mul_i32 s21, s19, s35
	s_mul_i32 s22, s20, s36
	;; [unrolled: 1-line block ×3, first 2 shown]
	s_sub_i32 s22, s33, s22
	s_add_i32 s18, s23, 1
	s_mul_i32 s17, s22, s17
	v_mov_b32_e32 v5, 0
	s_add_i32 s11, s17, s11
	s_sub_i32 s17, s40, s21
	s_add_i32 s16, s11, s20
	s_sub_i32 s11, s19, s25
	s_mul_i32 s17, s17, s14
	s_sub_i32 s20, s11, s34
	s_cmp_ge_u32 s11, s34
	ds_load_b96 v[1:3], v5 offset:1056
	s_cselect_b32 s18, s18, s23
	s_cselect_b32 s11, s20, s11
	s_add_i32 s20, s18, 1
	s_cmp_ge_u32 s11, s34
	v_lshrrev_b32_e32 v4, 5, v0
	s_cselect_b32 s11, s20, s18
	s_load_b32 s20, s[0:1], 0xe8
	s_mul_i32 s18, s11, s34
	s_mul_i32 s11, s11, s12
	s_sub_i32 s18, s19, s18
	s_mov_b32 s19, s7
	s_mul_i32 s13, s18, s13
	v_add_nc_u32_e32 v9, -1, v0
	s_add_i32 s14, s13, s17
	s_lshl_b64 s[12:13], s[6:7], 2
	s_add_i32 s18, s14, s11
	s_mov_b32 s17, s7
	s_add_u32 s6, s30, s12
	s_addc_u32 s11, s31, s13
	s_lshl_b64 s[12:13], s[16:17], 2
	s_waitcnt lgkmcnt(0)
	v_add_nc_u32_e32 v6, v1, v2
	s_add_u32 s12, s42, s12
	s_addc_u32 s13, s43, s13
	s_lshl_b64 s[16:17], s[18:19], 3
	v_add_lshl_u32 v7, v4, v0, 2
	s_add_u32 s7, s28, s16
	s_addc_u32 s14, s29, s17
	s_xor_b32 s16, s15, 0x80000000
	s_bitcmp1_b32 s10, 0
	s_load_b32 s10, s[0:1], 0x1c8
	v_lshlrev_b32_e32 v2, 3, v0
	v_lshrrev_b32_e32 v4, 2, v0
	v_add_nc_u32_e32 v1, s24, v0
	v_lshrrev_b32_e32 v10, 5, v9
	v_mbcnt_lo_u32_b32 v8, -1, 0
	v_cmp_gt_u32_e64 s0, 32, v0
	v_add_lshl_u32 v0, v4, v2, 2
	v_mul_lo_u32 v4, s20, v1
	v_add_lshl_u32 v9, v10, v9, 2
	v_and_b32_e32 v10, 15, v8
	v_bfe_i32 v11, v8, 4, 1
	v_add_nc_u32_e32 v12, -1, v8
	s_cselect_b32 s1, -1, 0
	s_lshl_b32 s17, s20, 8
                                        ; implicit-def: $vgpr13
	s_branch .LBB35_21
.LBB35_19:                              ;   in Loop: Header=BB35_21 Depth=1
	s_or_b32 exec_lo, exec_lo, s18
	v_add_nc_u32_e32 v6, v16, v6
.LBB35_20:                              ;   in Loop: Header=BB35_21 Depth=1
	v_add_nc_u32_e32 v3, v15, v3
	v_add_nc_u32_e32 v4, s17, v4
	v_add_nc_u32_e32 v1, 0x100, v1
	s_add_i32 s5, s5, -1
	s_delay_alu instid0(SALU_CYCLE_1)
	s_cmp_lg_u32 s5, 0
	s_cbranch_scc0 .LBB35_40
.LBB35_21:                              ; =>This Inner Loop Header: Depth=1
	v_mov_b32_e32 v2, 0
	v_mov_b32_e32 v14, 0
	s_mov_b32 s18, exec_lo
	v_cmpx_gt_u32_e64 s8, v1
	s_cbranch_execz .LBB35_23
; %bb.22:                               ;   in Loop: Header=BB35_21 Depth=1
	v_lshlrev_b64 v[13:14], 2, v[4:5]
	s_delay_alu instid0(VALU_DEP_1) | instskip(NEXT) | instid1(VALU_DEP_2)
	v_add_co_u32 v13, vcc_lo, s6, v13
	v_add_co_ci_u32_e32 v14, vcc_lo, s11, v14, vcc_lo
	global_load_b32 v13, v[13:14], off
	s_waitcnt vmcnt(0)
	v_xor_b32_e32 v2, 0x80000000, v13
	s_delay_alu instid0(VALU_DEP_1) | instskip(SKIP_4) | instid1(VALU_DEP_2)
	v_cmp_lt_u32_e32 vcc_lo, s16, v2
	v_cndmask_b32_e64 v14, 0, 1, vcc_lo
	v_cmp_gt_u32_e32 vcc_lo, s16, v2
	v_cndmask_b32_e64 v2, 0, 1, vcc_lo
	v_cmp_eq_u32_e32 vcc_lo, s15, v13
	v_cndmask_b32_e64 v2, v2, v14, s1
	v_cndmask_b32_e64 v14, 0, 1, vcc_lo
	s_delay_alu instid0(VALU_DEP_2)
	v_and_b32_e32 v2, 1, v2
.LBB35_23:                              ;   in Loop: Header=BB35_21 Depth=1
	s_or_b32 exec_lo, exec_lo, s18
	ds_store_b32 v7, v2
	s_waitcnt lgkmcnt(0)
	s_waitcnt_vscnt null, 0x0
	s_barrier
	buffer_gl0_inv
	s_and_saveexec_b32 s18, s0
	s_cbranch_execz .LBB35_25
; %bb.24:                               ;   in Loop: Header=BB35_21 Depth=1
	ds_load_2addr_b32 v[15:16], v0 offset1:1
	ds_load_2addr_b32 v[17:18], v0 offset0:2 offset1:3
	ds_load_2addr_b32 v[19:20], v0 offset0:4 offset1:5
	;; [unrolled: 1-line block ×3, first 2 shown]
	v_cmp_ne_u32_e32 vcc_lo, 0, v10
	; wave barrier
	s_waitcnt lgkmcnt(3)
	v_add_nc_u32_e32 v16, v16, v15
	s_waitcnt lgkmcnt(2)
	s_delay_alu instid0(VALU_DEP_1) | instskip(SKIP_1) | instid1(VALU_DEP_1)
	v_add3_u32 v16, v16, v17, v18
	s_waitcnt lgkmcnt(1)
	v_add3_u32 v16, v16, v19, v20
	s_waitcnt lgkmcnt(0)
	s_delay_alu instid0(VALU_DEP_1) | instskip(NEXT) | instid1(VALU_DEP_1)
	v_add3_u32 v16, v16, v21, v22
	v_mov_b32_dpp v17, v16 row_shr:1 row_mask:0xf bank_mask:0xf
	s_delay_alu instid0(VALU_DEP_1) | instskip(SKIP_1) | instid1(VALU_DEP_2)
	v_cndmask_b32_e32 v17, 0, v17, vcc_lo
	v_cmp_lt_u32_e32 vcc_lo, 1, v10
	v_add_nc_u32_e32 v16, v17, v16
	s_delay_alu instid0(VALU_DEP_1) | instskip(NEXT) | instid1(VALU_DEP_1)
	v_mov_b32_dpp v17, v16 row_shr:2 row_mask:0xf bank_mask:0xf
	v_cndmask_b32_e32 v17, 0, v17, vcc_lo
	v_cmp_lt_u32_e32 vcc_lo, 3, v10
	s_delay_alu instid0(VALU_DEP_2) | instskip(NEXT) | instid1(VALU_DEP_1)
	v_add_nc_u32_e32 v16, v16, v17
	v_mov_b32_dpp v17, v16 row_shr:4 row_mask:0xf bank_mask:0xf
	s_delay_alu instid0(VALU_DEP_1) | instskip(SKIP_1) | instid1(VALU_DEP_2)
	v_cndmask_b32_e32 v17, 0, v17, vcc_lo
	v_cmp_lt_u32_e32 vcc_lo, 7, v10
	v_add_nc_u32_e32 v16, v16, v17
	s_delay_alu instid0(VALU_DEP_1) | instskip(NEXT) | instid1(VALU_DEP_1)
	v_mov_b32_dpp v17, v16 row_shr:8 row_mask:0xf bank_mask:0xf
	v_cndmask_b32_e32 v17, 0, v17, vcc_lo
	v_cmp_gt_i32_e32 vcc_lo, 0, v12
	v_cndmask_b32_e32 v18, v12, v8, vcc_lo
	s_delay_alu instid0(VALU_DEP_1) | instskip(NEXT) | instid1(VALU_DEP_4)
	v_lshlrev_b32_e32 v18, 2, v18
	v_add_nc_u32_e32 v16, v16, v17
	ds_swizzle_b32 v17, v16 offset:swizzle(BROADCAST,32,15)
	s_waitcnt lgkmcnt(0)
	v_and_b32_e32 v17, v11, v17
	s_delay_alu instid0(VALU_DEP_1) | instskip(SKIP_3) | instid1(VALU_DEP_1)
	v_add_nc_u32_e32 v16, v16, v17
	ds_bpermute_b32 v16, v18, v16
	s_waitcnt lgkmcnt(0)
	v_add_nc_u32_e32 v15, v16, v15
	v_cndmask_b32_e64 v21, v15, v2, s3
	ds_store_b32 v0, v21
	; wave barrier
	ds_load_2addr_b32 v[15:16], v0 offset0:1 offset1:2
	ds_load_2addr_b32 v[17:18], v0 offset0:3 offset1:4
	;; [unrolled: 1-line block ×3, first 2 shown]
	ds_load_b32 v22, v0 offset:28
	s_waitcnt lgkmcnt(3)
	v_add_nc_u32_e32 v15, v15, v21
	s_delay_alu instid0(VALU_DEP_1) | instskip(SKIP_1) | instid1(VALU_DEP_1)
	v_add_nc_u32_e32 v16, v16, v15
	s_waitcnt lgkmcnt(2)
	v_add_nc_u32_e32 v17, v17, v16
	s_delay_alu instid0(VALU_DEP_1) | instskip(SKIP_1) | instid1(VALU_DEP_1)
	v_add_nc_u32_e32 v18, v18, v17
	;; [unrolled: 4-line block ×3, first 2 shown]
	s_waitcnt lgkmcnt(0)
	v_add_nc_u32_e32 v21, v22, v20
	ds_store_2addr_b32 v0, v15, v16 offset0:1 offset1:2
	ds_store_2addr_b32 v0, v17, v18 offset0:3 offset1:4
	;; [unrolled: 1-line block ×3, first 2 shown]
	ds_store_b32 v0, v21 offset:28
.LBB35_25:                              ;   in Loop: Header=BB35_21 Depth=1
	s_or_b32 exec_lo, exec_lo, s18
	v_mov_b32_e32 v16, 0
	s_waitcnt lgkmcnt(0)
	s_barrier
	buffer_gl0_inv
	s_and_saveexec_b32 s18, s2
	s_cbranch_execz .LBB35_27
; %bb.26:                               ;   in Loop: Header=BB35_21 Depth=1
	ds_load_b32 v16, v9
.LBB35_27:                              ;   in Loop: Header=BB35_21 Depth=1
	s_or_b32 exec_lo, exec_lo, s18
	ds_load_b32 v15, v5 offset:1048
	s_mov_b32 s18, exec_lo
	s_waitcnt lgkmcnt(0)
	s_barrier
	buffer_gl0_inv
	v_cmpx_ne_u32_e32 0, v2
	s_cbranch_execz .LBB35_29
; %bb.28:                               ;   in Loop: Header=BB35_21 Depth=1
	v_dual_mov_b32 v17, v5 :: v_dual_add_nc_u32 v2, v16, v3
	v_mov_b32_e32 v19, v5
	s_delay_alu instid0(VALU_DEP_2) | instskip(SKIP_2) | instid1(VALU_DEP_3)
	v_mul_lo_u32 v16, v2, s10
	v_mul_lo_u32 v18, v2, s4
	v_mov_b32_e32 v2, v5
	v_lshlrev_b64 v[16:17], 2, v[16:17]
	s_delay_alu instid0(VALU_DEP_3) | instskip(NEXT) | instid1(VALU_DEP_2)
	v_lshlrev_b64 v[18:19], 3, v[18:19]
	v_add_co_u32 v16, vcc_lo, s12, v16
	s_delay_alu instid0(VALU_DEP_3) | instskip(NEXT) | instid1(VALU_DEP_3)
	v_add_co_ci_u32_e32 v17, vcc_lo, s13, v17, vcc_lo
	v_add_co_u32 v18, vcc_lo, s7, v18
	s_delay_alu instid0(VALU_DEP_4)
	v_add_co_ci_u32_e32 v19, vcc_lo, s14, v19, vcc_lo
	global_store_b32 v[16:17], v13, off
	global_store_b64 v[18:19], v[1:2], off
.LBB35_29:                              ;   in Loop: Header=BB35_21 Depth=1
	s_or_b32 exec_lo, exec_lo, s18
	v_cmp_le_u32_e32 vcc_lo, s9, v6
	s_cbranch_vccnz .LBB35_20
; %bb.30:                               ;   in Loop: Header=BB35_21 Depth=1
	ds_store_b32 v7, v14
	s_waitcnt lgkmcnt(0)
	s_waitcnt_vscnt null, 0x0
	s_barrier
	buffer_gl0_inv
	s_and_saveexec_b32 s18, s0
	s_cbranch_execz .LBB35_32
; %bb.31:                               ;   in Loop: Header=BB35_21 Depth=1
	ds_load_2addr_b32 v[16:17], v0 offset1:1
	ds_load_2addr_b32 v[18:19], v0 offset0:2 offset1:3
	ds_load_2addr_b32 v[20:21], v0 offset0:4 offset1:5
	;; [unrolled: 1-line block ×3, first 2 shown]
	v_cmp_ne_u32_e32 vcc_lo, 0, v10
	; wave barrier
	s_waitcnt lgkmcnt(3)
	v_add_nc_u32_e32 v2, v17, v16
	s_waitcnt lgkmcnt(2)
	s_delay_alu instid0(VALU_DEP_1) | instskip(SKIP_1) | instid1(VALU_DEP_1)
	v_add3_u32 v2, v2, v18, v19
	s_waitcnt lgkmcnt(1)
	v_add3_u32 v2, v2, v20, v21
	s_waitcnt lgkmcnt(0)
	s_delay_alu instid0(VALU_DEP_1) | instskip(NEXT) | instid1(VALU_DEP_1)
	v_add3_u32 v2, v2, v22, v23
	v_mov_b32_dpp v17, v2 row_shr:1 row_mask:0xf bank_mask:0xf
	s_delay_alu instid0(VALU_DEP_1) | instskip(SKIP_1) | instid1(VALU_DEP_2)
	v_cndmask_b32_e32 v17, 0, v17, vcc_lo
	v_cmp_lt_u32_e32 vcc_lo, 1, v10
	v_add_nc_u32_e32 v2, v17, v2
	s_delay_alu instid0(VALU_DEP_1) | instskip(NEXT) | instid1(VALU_DEP_1)
	v_mov_b32_dpp v17, v2 row_shr:2 row_mask:0xf bank_mask:0xf
	v_cndmask_b32_e32 v17, 0, v17, vcc_lo
	v_cmp_lt_u32_e32 vcc_lo, 3, v10
	s_delay_alu instid0(VALU_DEP_2) | instskip(NEXT) | instid1(VALU_DEP_1)
	v_add_nc_u32_e32 v2, v2, v17
	v_mov_b32_dpp v17, v2 row_shr:4 row_mask:0xf bank_mask:0xf
	s_delay_alu instid0(VALU_DEP_1) | instskip(SKIP_1) | instid1(VALU_DEP_2)
	v_cndmask_b32_e32 v17, 0, v17, vcc_lo
	v_cmp_lt_u32_e32 vcc_lo, 7, v10
	v_add_nc_u32_e32 v2, v2, v17
	s_delay_alu instid0(VALU_DEP_1) | instskip(NEXT) | instid1(VALU_DEP_1)
	v_mov_b32_dpp v17, v2 row_shr:8 row_mask:0xf bank_mask:0xf
	v_cndmask_b32_e32 v17, 0, v17, vcc_lo
	v_cmp_gt_i32_e32 vcc_lo, 0, v12
	v_cndmask_b32_e32 v18, v12, v8, vcc_lo
	s_delay_alu instid0(VALU_DEP_1) | instskip(NEXT) | instid1(VALU_DEP_4)
	v_lshlrev_b32_e32 v18, 2, v18
	v_add_nc_u32_e32 v2, v2, v17
	ds_swizzle_b32 v17, v2 offset:swizzle(BROADCAST,32,15)
	s_waitcnt lgkmcnt(0)
	v_and_b32_e32 v17, v11, v17
	s_delay_alu instid0(VALU_DEP_1) | instskip(SKIP_3) | instid1(VALU_DEP_1)
	v_add_nc_u32_e32 v2, v2, v17
	ds_bpermute_b32 v2, v18, v2
	s_waitcnt lgkmcnt(0)
	v_add_nc_u32_e32 v2, v2, v16
	v_cndmask_b32_e64 v2, v2, v14, s3
	ds_store_b32 v0, v2
	; wave barrier
	ds_load_2addr_b32 v[16:17], v0 offset0:1 offset1:2
	ds_load_2addr_b32 v[18:19], v0 offset0:3 offset1:4
	;; [unrolled: 1-line block ×3, first 2 shown]
	ds_load_b32 v22, v0 offset:28
	s_waitcnt lgkmcnt(3)
	v_add_nc_u32_e32 v2, v16, v2
	s_delay_alu instid0(VALU_DEP_1) | instskip(SKIP_1) | instid1(VALU_DEP_1)
	v_add_nc_u32_e32 v16, v17, v2
	s_waitcnt lgkmcnt(2)
	v_add_nc_u32_e32 v17, v18, v16
	s_delay_alu instid0(VALU_DEP_1) | instskip(SKIP_1) | instid1(VALU_DEP_1)
	v_add_nc_u32_e32 v18, v19, v17
	;; [unrolled: 4-line block ×3, first 2 shown]
	s_waitcnt lgkmcnt(0)
	v_add_nc_u32_e32 v21, v22, v20
	ds_store_2addr_b32 v0, v2, v16 offset0:1 offset1:2
	ds_store_2addr_b32 v0, v17, v18 offset0:3 offset1:4
	;; [unrolled: 1-line block ×3, first 2 shown]
	ds_store_b32 v0, v21 offset:28
.LBB35_32:                              ;   in Loop: Header=BB35_21 Depth=1
	s_or_b32 exec_lo, exec_lo, s18
	v_mov_b32_e32 v2, 0
	s_waitcnt lgkmcnt(0)
	s_barrier
	buffer_gl0_inv
	s_and_saveexec_b32 s18, s2
	s_cbranch_execz .LBB35_34
; %bb.33:                               ;   in Loop: Header=BB35_21 Depth=1
	ds_load_b32 v2, v9
.LBB35_34:                              ;   in Loop: Header=BB35_21 Depth=1
	s_or_b32 exec_lo, exec_lo, s18
	ds_load_b32 v16, v5 offset:1048
	s_mov_b32 s18, exec_lo
	s_waitcnt lgkmcnt(0)
	s_barrier
	buffer_gl0_inv
	v_cmpx_ne_u32_e32 0, v14
	s_cbranch_execz .LBB35_19
; %bb.35:                               ;   in Loop: Header=BB35_21 Depth=1
	v_add_nc_u32_e32 v2, v2, v6
	s_delay_alu instid0(VALU_DEP_1)
	v_cmp_gt_u32_e32 vcc_lo, s9, v2
	s_and_b32 exec_lo, exec_lo, vcc_lo
	s_cbranch_execz .LBB35_19
; %bb.36:                               ;   in Loop: Header=BB35_21 Depth=1
	v_mul_lo_u32 v17, v2, s10
	v_mov_b32_e32 v18, v5
	v_mul_lo_u32 v19, v2, s4
	v_mov_b32_e32 v20, v5
	v_mov_b32_e32 v2, v5
	s_delay_alu instid0(VALU_DEP_4) | instskip(NEXT) | instid1(VALU_DEP_3)
	v_lshlrev_b64 v[17:18], 2, v[17:18]
	v_lshlrev_b64 v[19:20], 3, v[19:20]
	s_delay_alu instid0(VALU_DEP_2) | instskip(NEXT) | instid1(VALU_DEP_3)
	v_add_co_u32 v17, vcc_lo, s12, v17
	v_add_co_ci_u32_e32 v18, vcc_lo, s13, v18, vcc_lo
	s_delay_alu instid0(VALU_DEP_3) | instskip(NEXT) | instid1(VALU_DEP_4)
	v_add_co_u32 v19, vcc_lo, s7, v19
	v_add_co_ci_u32_e32 v20, vcc_lo, s14, v20, vcc_lo
	global_store_b32 v[17:18], v13, off
	global_store_b64 v[19:20], v[1:2], off
	s_branch .LBB35_19
	.p2align	6
.LBB35_37:                              ;   in Loop: Header=BB35_38 Depth=1
	s_add_u32 s24, s24, 4
	s_addc_u32 s25, s25, 0
	s_waitcnt lgkmcnt(0)
	s_add_i32 s53, s9, s53
	s_add_u32 s26, s26, 4
	s_addc_u32 s27, s27, 0
	s_add_i32 s8, s8, 1
	s_delay_alu instid0(SALU_CYCLE_1)
	s_cmp_lt_u32 s8, s6
	s_cbranch_scc0 .LBB35_16
.LBB35_38:                              ; =>This Inner Loop Header: Depth=1
	s_load_b32 s9, s[24:25], 0x0
	s_cmp_ge_u32 s8, s7
	s_cbranch_scc1 .LBB35_37
; %bb.39:                               ;   in Loop: Header=BB35_38 Depth=1
	s_load_b32 s10, s[26:27], 0x0
	s_waitcnt lgkmcnt(0)
	s_add_i32 s41, s9, s41
	s_add_i32 s52, s10, s52
	s_branch .LBB35_37
.LBB35_40:
	s_nop 0
	s_sendmsg sendmsg(MSG_DEALLOC_VGPRS)
	s_endpgm
	.section	.rodata,"a",@progbits
	.p2align	6, 0x0
	.amdhsa_kernel _ZN2at6native6mbtopk10gatherTopKIijLi3EEEvNS_4cuda6detail10TensorInfoIKT_T0_EES8_S8_bjS8_NS5_IS6_S8_EES8_NS5_IlS8_EES8_jjPS6_PjSD_j
		.amdhsa_group_segment_fixed_size 1068
		.amdhsa_private_segment_fixed_size 0
		.amdhsa_kernarg_size 984
		.amdhsa_user_sgpr_count 13
		.amdhsa_user_sgpr_dispatch_ptr 0
		.amdhsa_user_sgpr_queue_ptr 0
		.amdhsa_user_sgpr_kernarg_segment_ptr 1
		.amdhsa_user_sgpr_dispatch_id 0
		.amdhsa_user_sgpr_private_segment_size 0
		.amdhsa_wavefront_size32 1
		.amdhsa_uses_dynamic_stack 0
		.amdhsa_enable_private_segment 0
		.amdhsa_system_sgpr_workgroup_id_x 1
		.amdhsa_system_sgpr_workgroup_id_y 1
		.amdhsa_system_sgpr_workgroup_id_z 1
		.amdhsa_system_sgpr_workgroup_info 0
		.amdhsa_system_vgpr_workitem_id 0
		.amdhsa_next_free_vgpr 24
		.amdhsa_next_free_sgpr 57
		.amdhsa_reserve_vcc 1
		.amdhsa_float_round_mode_32 0
		.amdhsa_float_round_mode_16_64 0
		.amdhsa_float_denorm_mode_32 3
		.amdhsa_float_denorm_mode_16_64 3
		.amdhsa_dx10_clamp 1
		.amdhsa_ieee_mode 1
		.amdhsa_fp16_overflow 0
		.amdhsa_workgroup_processor_mode 1
		.amdhsa_memory_ordered 1
		.amdhsa_forward_progress 0
		.amdhsa_shared_vgpr_count 0
		.amdhsa_exception_fp_ieee_invalid_op 0
		.amdhsa_exception_fp_denorm_src 0
		.amdhsa_exception_fp_ieee_div_zero 0
		.amdhsa_exception_fp_ieee_overflow 0
		.amdhsa_exception_fp_ieee_underflow 0
		.amdhsa_exception_fp_ieee_inexact 0
		.amdhsa_exception_int_div_zero 0
	.end_amdhsa_kernel
	.section	.text._ZN2at6native6mbtopk10gatherTopKIijLi3EEEvNS_4cuda6detail10TensorInfoIKT_T0_EES8_S8_bjS8_NS5_IS6_S8_EES8_NS5_IlS8_EES8_jjPS6_PjSD_j,"axG",@progbits,_ZN2at6native6mbtopk10gatherTopKIijLi3EEEvNS_4cuda6detail10TensorInfoIKT_T0_EES8_S8_bjS8_NS5_IS6_S8_EES8_NS5_IlS8_EES8_jjPS6_PjSD_j,comdat
.Lfunc_end35:
	.size	_ZN2at6native6mbtopk10gatherTopKIijLi3EEEvNS_4cuda6detail10TensorInfoIKT_T0_EES8_S8_bjS8_NS5_IS6_S8_EES8_NS5_IlS8_EES8_jjPS6_PjSD_j, .Lfunc_end35-_ZN2at6native6mbtopk10gatherTopKIijLi3EEEvNS_4cuda6detail10TensorInfoIKT_T0_EES8_S8_bjS8_NS5_IS6_S8_EES8_NS5_IlS8_EES8_jjPS6_PjSD_j
                                        ; -- End function
	.section	.AMDGPU.csdata,"",@progbits
; Kernel info:
; codeLenInByte = 3124
; NumSgprs: 59
; NumVgprs: 24
; ScratchSize: 0
; MemoryBound: 0
; FloatMode: 240
; IeeeMode: 1
; LDSByteSize: 1068 bytes/workgroup (compile time only)
; SGPRBlocks: 7
; VGPRBlocks: 2
; NumSGPRsForWavesPerEU: 59
; NumVGPRsForWavesPerEU: 24
; Occupancy: 16
; WaveLimiterHint : 1
; COMPUTE_PGM_RSRC2:SCRATCH_EN: 0
; COMPUTE_PGM_RSRC2:USER_SGPR: 13
; COMPUTE_PGM_RSRC2:TRAP_HANDLER: 0
; COMPUTE_PGM_RSRC2:TGID_X_EN: 1
; COMPUTE_PGM_RSRC2:TGID_Y_EN: 1
; COMPUTE_PGM_RSRC2:TGID_Z_EN: 1
; COMPUTE_PGM_RSRC2:TIDIG_COMP_CNT: 0
	.section	.text._ZN2at6native6sbtopk10gatherTopKIijLi3ELb0EEEvNS_4cuda6detail10TensorInfoIKT_T0_EES8_S8_bS8_S8_NS5_IS6_S8_EES8_NS5_IlS8_EES8_PS6_,"axG",@progbits,_ZN2at6native6sbtopk10gatherTopKIijLi3ELb0EEEvNS_4cuda6detail10TensorInfoIKT_T0_EES8_S8_bS8_S8_NS5_IS6_S8_EES8_NS5_IlS8_EES8_PS6_,comdat
	.protected	_ZN2at6native6sbtopk10gatherTopKIijLi3ELb0EEEvNS_4cuda6detail10TensorInfoIKT_T0_EES8_S8_bS8_S8_NS5_IS6_S8_EES8_NS5_IlS8_EES8_PS6_ ; -- Begin function _ZN2at6native6sbtopk10gatherTopKIijLi3ELb0EEEvNS_4cuda6detail10TensorInfoIKT_T0_EES8_S8_bS8_S8_NS5_IS6_S8_EES8_NS5_IlS8_EES8_PS6_
	.globl	_ZN2at6native6sbtopk10gatherTopKIijLi3ELb0EEEvNS_4cuda6detail10TensorInfoIKT_T0_EES8_S8_bS8_S8_NS5_IS6_S8_EES8_NS5_IlS8_EES8_PS6_
	.p2align	8
	.type	_ZN2at6native6sbtopk10gatherTopKIijLi3ELb0EEEvNS_4cuda6detail10TensorInfoIKT_T0_EES8_S8_bS8_S8_NS5_IS6_S8_EES8_NS5_IlS8_EES8_PS6_,@function
_ZN2at6native6sbtopk10gatherTopKIijLi3ELb0EEEvNS_4cuda6detail10TensorInfoIKT_T0_EES8_S8_bS8_S8_NS5_IS6_S8_EES8_NS5_IlS8_EES8_PS6_: ; @_ZN2at6native6sbtopk10gatherTopKIijLi3ELb0EEEvNS_4cuda6detail10TensorInfoIKT_T0_EES8_S8_bS8_S8_NS5_IS6_S8_EES8_NS5_IlS8_EES8_PS6_
; %bb.0:
	s_clause 0x1
	s_load_b64 s[4:5], s[0:1], 0x2b8
	s_load_b128 s[36:39], s[0:1], 0xd8
	s_add_u32 s6, s0, 0x2b8
	s_addc_u32 s7, s1, 0
	s_waitcnt lgkmcnt(0)
	s_mul_i32 s2, s5, s15
	s_delay_alu instid0(SALU_CYCLE_1) | instskip(NEXT) | instid1(SALU_CYCLE_1)
	s_add_i32 s2, s2, s14
	s_mul_i32 s56, s2, s4
	s_delay_alu instid0(SALU_CYCLE_1) | instskip(NEXT) | instid1(SALU_CYCLE_1)
	s_add_i32 s56, s56, s13
	s_cmp_ge_u32 s56, s39
	s_cbranch_scc1 .LBB36_466
; %bb.1:
	s_clause 0x9
	s_load_b64 s[14:15], s[0:1], 0xc
	s_load_b64 s[50:51], s[0:1], 0xfc
	;; [unrolled: 1-line block ×4, first 2 shown]
	s_load_b128 s[40:43], s[0:1], 0x23c
	s_load_b64 s[30:31], s[0:1], 0x1d0
	s_load_b128 s[44:47], s[0:1], 0x15c
	s_load_b64 s[34:35], s[0:1], 0xf0
	s_load_b32 s52, s[0:1], 0xe8
	s_load_b128 s[8:11], s[0:1], 0x6c
	s_mov_b32 s55, 0
	s_waitcnt lgkmcnt(0)
	v_cvt_f32_u32_e32 v1, s15
	v_cvt_f32_u32_e32 v2, s14
	;; [unrolled: 1-line block ×4, first 2 shown]
	s_sub_i32 s11, 0, s15
	v_rcp_iflag_f32_e32 v1, v1
	v_rcp_iflag_f32_e32 v2, v2
	;; [unrolled: 1-line block ×4, first 2 shown]
	v_cvt_f32_u32_e32 v5, s49
	v_cvt_f32_u32_e32 v6, s48
	s_delay_alu instid0(VALU_DEP_2)
	v_rcp_iflag_f32_e32 v5, v5
	v_dual_mul_f32 v1, 0x4f7ffffe, v1 :: v_dual_mul_f32 v2, 0x4f7ffffe, v2
	s_waitcnt_depctr 0xfff
	v_dual_mul_f32 v3, 0x4f7ffffe, v3 :: v_dual_mul_f32 v4, 0x4f7ffffe, v4
	v_cvt_u32_f32_e32 v1, v1
	v_cvt_u32_f32_e32 v2, v2
	s_delay_alu instid0(VALU_DEP_3) | instskip(SKIP_1) | instid1(VALU_DEP_4)
	v_cvt_u32_f32_e32 v3, v3
	v_mul_f32_e32 v5, 0x4f7ffffe, v5
	v_readfirstlane_b32 s5, v1
	v_rcp_iflag_f32_e32 v1, v6
	s_delay_alu instid0(VALU_DEP_3) | instskip(SKIP_1) | instid1(VALU_DEP_3)
	v_readfirstlane_b32 s17, v3
	v_cvt_u32_f32_e32 v3, v4
	s_mul_i32 s11, s11, s5
	s_delay_alu instid0(SALU_CYCLE_1) | instskip(NEXT) | instid1(SALU_CYCLE_1)
	s_mul_hi_u32 s11, s5, s11
	s_add_i32 s5, s5, s11
	s_waitcnt_depctr 0xfff
	v_mul_f32_e32 v1, 0x4f7ffffe, v1
	s_mul_hi_u32 s5, s56, s5
	s_delay_alu instid0(SALU_CYCLE_1)
	s_mul_i32 s11, s5, s15
	s_add_i32 s12, s5, 1
	s_sub_i32 s11, s56, s11
	v_cvt_u32_f32_e32 v1, v1
	s_sub_i32 s16, s11, s15
	s_cmp_ge_u32 s11, s15
	s_cselect_b32 s5, s12, s5
	s_cselect_b32 s11, s16, s11
	s_add_i32 s12, s5, 1
	s_cmp_ge_u32 s11, s15
	v_readfirstlane_b32 s20, v1
	s_cselect_b32 s11, s12, s5
	s_sub_i32 s5, 0, s51
	v_readfirstlane_b32 s12, v2
	s_mul_i32 s5, s5, s17
	s_sub_i32 s16, 0, s14
	s_mul_hi_u32 s5, s17, s5
	v_cvt_u32_f32_e32 v2, v5
	s_add_i32 s17, s17, s5
	s_mul_i32 s16, s16, s12
	s_mul_hi_u32 s5, s56, s17
	s_mul_hi_u32 s16, s12, s16
	s_mul_i32 s17, s5, s51
	s_add_i32 s12, s12, s16
	s_sub_i32 s16, s56, s17
	s_add_i32 s17, s5, 1
	s_sub_i32 s18, s16, s51
	s_cmp_ge_u32 s16, s51
	v_readfirstlane_b32 s19, v2
	s_cselect_b32 s5, s17, s5
	s_cselect_b32 s16, s18, s16
	s_add_i32 s17, s5, 1
	s_cmp_ge_u32 s16, s51
	v_readfirstlane_b32 s16, v3
	s_cselect_b32 s57, s17, s5
	s_sub_i32 s5, 0, s49
	s_sub_i32 s17, 0, s50
	s_mul_i32 s5, s5, s19
	s_mul_i32 s17, s17, s16
	s_mul_hi_u32 s5, s19, s5
	s_mul_hi_u32 s17, s16, s17
	s_add_i32 s19, s19, s5
	s_add_i32 s16, s16, s17
	s_mul_hi_u32 s5, s56, s19
	s_mul_hi_u32 s12, s11, s12
	s_mul_i32 s18, s5, s49
	s_mul_hi_u32 s60, s57, s16
	s_sub_i32 s17, s56, s18
	s_add_i32 s18, s5, 1
	s_sub_i32 s19, s17, s49
	s_cmp_ge_u32 s17, s49
	s_cselect_b32 s5, s18, s5
	s_cselect_b32 s17, s19, s17
	s_add_i32 s18, s5, 1
	s_cmp_ge_u32 s17, s49
	s_cselect_b32 s58, s18, s5
	s_sub_i32 s5, 0, s48
	s_delay_alu instid0(SALU_CYCLE_1) | instskip(NEXT) | instid1(SALU_CYCLE_1)
	s_mul_i32 s5, s5, s20
	s_mul_hi_u32 s17, s20, s5
	v_cmp_eq_u32_e64 s5, 0, v0
	s_add_i32 s20, s20, s17
	s_delay_alu instid0(SALU_CYCLE_1) | instskip(NEXT) | instid1(VALU_DEP_1)
	s_mul_hi_u32 s59, s58, s20
	s_and_saveexec_b32 s16, s5
	s_cbranch_execz .LBB36_3
; %bb.2:
	v_dual_mov_b32 v1, 0 :: v_dual_mov_b32 v2, s36
	s_delay_alu instid0(VALU_DEP_1)
	v_mov_b32_e32 v3, v1
	ds_store_b96 v1, v[1:3] offset:4096
.LBB36_3:
	s_or_b32 exec_lo, exec_lo, s16
	s_mul_i32 s16, s12, s14
	s_mul_i32 s15, s11, s15
	s_sub_i32 s16, s11, s16
	s_sub_i32 s15, s56, s15
	s_add_i32 s17, s12, 1
	s_sub_i32 s18, s16, s14
	s_cmp_ge_u32 s16, s14
	s_waitcnt lgkmcnt(0)
	s_cselect_b32 s12, s17, s12
	s_cselect_b32 s16, s18, s16
	s_add_i32 s17, s12, 1
	s_cmp_ge_u32 s16, s14
	s_barrier
	buffer_gl0_inv
	s_load_b32 s16, s[6:7], 0xc
	s_cselect_b32 s12, s17, s12
	s_mul_i32 s15, s15, s10
	s_mul_i32 s14, s12, s14
	;; [unrolled: 1-line block ×3, first 2 shown]
	s_sub_i32 s11, s11, s14
	v_mbcnt_lo_u32_b32 v17, -1, 0
	s_mul_i32 s9, s11, s9
	v_cmp_gt_u32_e32 vcc_lo, 32, v0
	s_add_i32 s8, s9, s15
	v_mul_lo_u32 v9, v0, s52
	s_add_i32 s54, s8, s12
	v_dual_mov_b32 v29, 0 :: v_dual_lshlrev_b32 v26, 4, v0
	s_lshl_b64 s[8:9], s[54:55], 2
	v_lshl_or_b32 v27, v17, 2, 0xc00
	s_add_u32 s33, s2, s8
	s_addc_u32 s43, s3, s9
	s_bitcmp1_b32 s38, 0
	v_cmp_gt_i32_e64 s2, 4, v17
	s_cselect_b32 s3, -1, 0
	s_waitcnt lgkmcnt(0)
	s_and_b32 s47, s16, 0xffff
	s_xor_b32 s54, s3, -1
	s_lshl_b32 s61, s47, 2
	s_bfe_u32 s8, s16, 0xb0005
	v_cvt_f32_u32_e32 v1, s61
	s_and_b32 s62, vcc_lo, s2
	s_cmpk_gt_u32 s36, 0x300
	v_cvt_f32_u32_e32 v2, s47
	s_cselect_b32 s63, -1, 0
	v_rcp_iflag_f32_e32 v1, v1
	s_cmp_gt_u32 s47, 31
	v_lshlrev_b32_e32 v18, 2, v0
	s_cselect_b32 s64, -1, 0
	s_add_i32 s65, s47, -1
	v_dual_mov_b32 v15, 0 :: v_dual_lshlrev_b32 v24, 2, v9
	s_add_i32 s9, s65, s36
	s_cmp_lt_u32 s13, s4
	s_waitcnt_depctr 0xfff
	v_dual_mov_b32 v30, s37 :: v_dual_mul_f32 v1, 0x4f7ffffe, v1
	s_cselect_b32 s2, 12, 18
	v_mad_u64_u32 v[12:13], null, s52, v18, s[52:53]
	s_add_u32 s38, s6, s2
	s_delay_alu instid0(VALU_DEP_2)
	v_cvt_u32_f32_e32 v1, v1
	s_addc_u32 s39, s7, 0
	s_add_i32 s2, s8, -1
	s_bfe_u32 s66, s47, 0x30005
	s_cmp_gt_u32 s2, 6
	v_readfirstlane_b32 s2, v1
	s_cselect_b32 s67, -1, 0
	s_and_b32 s68, s8, 0x7f8
	s_cmp_lg_u32 s66, 0
	v_rcp_iflag_f32_e32 v1, v2
	s_cselect_b32 s69, -1, 0
	s_sub_i32 s4, 0, s61
	v_mov_b32_e32 v8, 0
	s_mul_i32 s6, s4, s2
	v_cmp_gt_u32_e64 s4, s36, v0
	s_mul_hi_u32 s6, s2, s6
	v_add_nc_u32_e32 v21, 0xc00, v18
	s_add_i32 s70, s2, s6
	v_cmp_eq_u32_e64 s2, 0, v17
	s_mul_hi_u32 s6, s36, s70
	s_waitcnt_depctr 0xfff
	v_mul_f32_e32 v3, 0x4f7ffffe, v1
	s_mul_i32 s6, s6, s61
	v_mov_b32_e32 v28, 0
	s_sub_i32 s6, s36, s6
	s_mul_i32 s53, s52, s47
	s_sub_i32 s7, s6, s61
	s_cmp_ge_u32 s6, s61
	v_cvt_u32_f32_e32 v3, v3
	s_cselect_b32 s6, s7, s6
	s_mov_b32 s82, 30
	s_sub_i32 s7, s6, s61
	s_cmp_ge_u32 s6, s61
	v_readfirstlane_b32 s8, v3
	s_cselect_b32 s10, s7, s6
	s_sub_i32 s6, 0, s47
	s_sub_i32 s71, s36, s10
	s_delay_alu instid0(SALU_CYCLE_1) | instskip(SKIP_3) | instid1(VALU_DEP_2)
	v_dual_mov_b32 v10, v8 :: v_dual_add_nc_u32 v19, s71, v0
	s_mul_i32 s6, s6, s8
	v_or_b32_e32 v3, 3, v18
	s_mul_hi_u32 s6, s8, s6
	v_lshlrev_b64 v[1:2], 2, v[9:10]
	v_mul_lo_u32 v7, v19, s52
	s_add_i32 s72, s8, s6
	v_mul_lo_u32 v23, s52, v3
	s_mul_hi_u32 s6, s9, s72
	v_mov_b32_e32 v13, 1
	v_add_co_u32 v5, vcc_lo, s33, v1
	v_lshrrev_b32_e32 v1, 3, v0
	v_add_co_ci_u32_e32 v6, vcc_lo, s43, v2, vcc_lo
	s_mul_i32 s7, s6, s47
	v_cmp_gt_u32_e64 s6, 2, v0
	s_delay_alu instid0(VALU_DEP_3)
	v_and_b32_e32 v20, 0x7c, v1
	v_lshlrev_b64 v[1:2], v17, -1
	s_sub_i32 s7, s9, s7
	s_mov_b32 s77, 0
	s_sub_i32 s8, s7, s47
	s_cmp_ge_u32 s7, s47
                                        ; implicit-def: $sgpr76
                                        ; implicit-def: $sgpr80
                                        ; implicit-def: $sgpr79
                                        ; implicit-def: $sgpr81
                                        ; implicit-def: $sgpr78
                                        ; implicit-def: $sgpr83
                                        ; implicit-def: $sgpr85
                                        ; implicit-def: $sgpr84
                                        ; implicit-def: $sgpr86
                                        ; implicit-def: $sgpr87
	s_delay_alu instid0(VALU_DEP_1)
	v_not_b32_e32 v16, v1
	v_lshlrev_b64 v[1:2], 2, v[7:8]
	s_cselect_b32 s8, s8, s7
	v_cmp_gt_u32_e64 s7, s71, v18
	s_sub_i32 s11, s8, s47
	s_cmp_ge_u32 s8, s47
	s_delay_alu instid0(VALU_DEP_2) | instskip(SKIP_4) | instid1(VALU_DEP_3)
	v_add_co_u32 v10, vcc_lo, s33, v1
	v_add3_u32 v1, s47, s36, v0
	v_add_co_ci_u32_e32 v11, vcc_lo, s43, v2, vcc_lo
	v_or_b32_e32 v2, 2, v18
	s_cselect_b32 s11, s11, s8
	v_subrev_nc_u32_e32 v1, s10, v1
	s_sub_i32 s73, s9, s11
	v_cmp_gt_u32_e64 s8, s36, v19
	v_mul_lo_u32 v22, s52, v2
	v_cmp_gt_u32_e64 s9, s73, v0
	v_mul_lo_u32 v25, s52, v1
	s_lshl_b32 s74, s53, 2
	s_lshl_b32 s75, s47, 4
	s_branch .LBB36_6
.LBB36_4:                               ;   in Loop: Header=BB36_6 Depth=1
	s_or_b32 exec_lo, exec_lo, s13
	v_dual_mov_b32 v28, v4 :: v_dual_mov_b32 v29, v3
	v_dual_mov_b32 v30, v31 :: v_dual_mov_b32 v15, v2
	s_and_not1_b32 s13, s87, exec_lo
	s_and_b32 s12, s12, exec_lo
	s_and_not1_b32 s86, s86, exec_lo
	s_or_b32 s87, s13, s12
	s_and_not1_b32 s84, s84, exec_lo
	s_and_not1_b32 s85, s85, exec_lo
	;; [unrolled: 1-line block ×3, first 2 shown]
	s_or_not1_b32 s12, s11, exec_lo
.LBB36_5:                               ;   in Loop: Header=BB36_6 Depth=1
	s_or_b32 exec_lo, exec_lo, s10
	s_delay_alu instid0(SALU_CYCLE_1) | instskip(NEXT) | instid1(SALU_CYCLE_1)
	s_and_b32 s10, exec_lo, s12
	s_or_b32 s55, s10, s55
	s_and_not1_b32 s10, s78, exec_lo
	s_and_b32 s11, s87, exec_lo
	s_and_not1_b32 s12, s81, exec_lo
	s_or_b32 s78, s10, s11
	s_and_b32 s10, s86, exec_lo
	s_and_not1_b32 s11, s79, exec_lo
	s_and_b32 s13, s84, exec_lo
	s_or_b32 s81, s12, s10
	s_or_b32 s79, s11, s13
	s_and_not1_b32 s10, s80, exec_lo
	s_and_b32 s11, s85, exec_lo
	s_and_not1_b32 s12, s76, exec_lo
	s_and_b32 s13, s83, exec_lo
	s_or_b32 s80, s10, s11
	s_or_b32 s76, s12, s13
	s_and_not1_b32 exec_lo, exec_lo, s55
	s_cbranch_execz .LBB36_406
.LBB36_6:                               ; =>This Loop Header: Depth=1
                                        ;     Child Loop BB36_14 Depth 2
                                        ;     Child Loop BB36_29 Depth 2
	;; [unrolled: 1-line block ×24, first 2 shown]
	ds_load_b64 v[1:2], v8 offset:4096
	s_waitcnt lgkmcnt(0)
	v_readfirstlane_b32 s88, v1
	s_delay_alu instid0(VALU_DEP_1)
	s_cmp_lg_u32 s88, 0
	s_cbranch_scc1 .LBB36_36
; %bb.7:                                ;   in Loop: Header=BB36_6 Depth=1
	s_and_b32 vcc_lo, exec_lo, s63
	s_cbranch_vccz .LBB36_22
; %bb.8:                                ;   in Loop: Header=BB36_6 Depth=1
	v_cmp_gt_u32_e32 vcc_lo, 0x301, v2
	s_mov_b32 s88, 0
	s_mov_b32 s10, 0
	s_cbranch_vccz .LBB36_23
; %bb.9:                                ;   in Loop: Header=BB36_6 Depth=1
	v_mov_b32_e32 v1, 0
	s_and_saveexec_b32 s10, s4
	s_cbranch_execz .LBB36_11
; %bb.10:                               ;   in Loop: Header=BB36_6 Depth=1
	global_load_b32 v1, v[5:6], off
.LBB36_11:                              ;   in Loop: Header=BB36_6 Depth=1
	s_or_b32 exec_lo, exec_lo, s10
	s_and_saveexec_b32 s12, s4
	s_cbranch_execz .LBB36_87
; %bb.12:                               ;   in Loop: Header=BB36_6 Depth=1
	global_load_u16 v2, v8, s[38:39]
	v_mov_b32_e32 v4, v0
	s_mov_b32 s13, 0
	s_waitcnt vmcnt(0)
	v_add_nc_u32_e32 v3, v0, v2
	s_delay_alu instid0(VALU_DEP_1)
	v_mul_lo_u32 v7, s52, v3
	v_mul_lo_u32 v3, s52, v2
	s_branch .LBB36_14
.LBB36_13:                              ;   in Loop: Header=BB36_14 Depth=2
	s_or_b32 exec_lo, exec_lo, s11
	v_add_nc_u32_e32 v7, v7, v3
	s_waitcnt vmcnt(0)
	v_mov_b32_e32 v1, v14
	s_and_not1_b32 exec_lo, exec_lo, s13
	s_cbranch_execz .LBB36_87
.LBB36_14:                              ;   Parent Loop BB36_6 Depth=1
                                        ; =>  This Inner Loop Header: Depth=2
	s_waitcnt lgkmcnt(0)
	v_dual_mov_b32 v31, 0 :: v_dual_add_nc_u32 v4, v4, v2
	v_mov_b32_e32 v14, 0
	s_mov_b32 s11, exec_lo
	s_delay_alu instid0(VALU_DEP_2)
	v_cmp_le_u32_e32 vcc_lo, s36, v4
	v_cmpx_gt_u32_e64 s36, v4
	s_cbranch_execz .LBB36_16
; %bb.15:                               ;   in Loop: Header=BB36_14 Depth=2
	v_lshlrev_b64 v[32:33], 2, v[7:8]
	s_delay_alu instid0(VALU_DEP_1) | instskip(NEXT) | instid1(VALU_DEP_1)
	v_add_co_u32 v32, s10, s33, v32
	v_add_co_ci_u32_e64 v33, s10, s43, v33, s10
	global_load_b32 v14, v[32:33], off
.LBB36_16:                              ;   in Loop: Header=BB36_14 Depth=2
	s_or_b32 exec_lo, exec_lo, s11
	v_xor_b32_e32 v32, 0x80000000, v1
	s_delay_alu instid0(VALU_DEP_1) | instskip(NEXT) | instid1(VALU_DEP_1)
	v_and_b32_e32 v32, v32, v28
	v_cmp_eq_u32_e64 s10, v32, v29
	s_delay_alu instid0(VALU_DEP_1) | instskip(SKIP_1) | instid1(SALU_CYCLE_1)
	s_cmp_lg_u32 s10, 0
	s_cselect_b32 s11, -1, 0
	s_and_b32 s11, s2, s11
	s_delay_alu instid0(SALU_CYCLE_1)
	s_and_saveexec_b32 s14, s11
	s_cbranch_execz .LBB36_20
; %bb.17:                               ;   in Loop: Header=BB36_14 Depth=2
	s_mov_b32 s17, exec_lo
	s_bcnt1_i32_b32 s15, s10
	v_mbcnt_lo_u32_b32 v31, s17, 0
	s_mov_b32 s16, exec_lo
                                        ; implicit-def: $vgpr32
	s_delay_alu instid0(VALU_DEP_1)
	v_cmpx_eq_u32_e32 0, v31
	s_cbranch_execz .LBB36_19
; %bb.18:                               ;   in Loop: Header=BB36_14 Depth=2
	s_bcnt1_i32_b32 s11, s17
	s_delay_alu instid0(SALU_CYCLE_1) | instskip(NEXT) | instid1(SALU_CYCLE_1)
	s_mul_i32 s11, s15, s11
	v_mov_b32_e32 v32, s11
	ds_add_rtn_u32 v32, v8, v32 offset:4104
.LBB36_19:                              ;   in Loop: Header=BB36_14 Depth=2
	s_or_b32 exec_lo, exec_lo, s16
	s_waitcnt lgkmcnt(0)
	v_readfirstlane_b32 s11, v32
	s_delay_alu instid0(VALU_DEP_1)
	v_mad_u32_u24 v31, s15, v31, s11
.LBB36_20:                              ;   in Loop: Header=BB36_14 Depth=2
	s_or_b32 exec_lo, exec_lo, s14
	ds_bpermute_b32 v31, v8, v31
	s_and_b32 s11, exec_lo, vcc_lo
	s_delay_alu instid0(SALU_CYCLE_1)
	s_or_b32 s13, s11, s13
	s_and_saveexec_b32 s11, s10
	s_cbranch_execz .LBB36_13
; %bb.21:                               ;   in Loop: Header=BB36_14 Depth=2
	v_and_b32_e32 v32, s10, v16
	s_delay_alu instid0(VALU_DEP_1) | instskip(NEXT) | instid1(VALU_DEP_1)
	v_bcnt_u32_b32 v32, v32, 0
	v_lshlrev_b32_e32 v32, 2, v32
	s_waitcnt lgkmcnt(0)
	s_delay_alu instid0(VALU_DEP_1)
	v_lshl_add_u32 v31, v31, 2, v32
	ds_store_b32 v31, v1
	s_branch .LBB36_13
.LBB36_22:                              ;   in Loop: Header=BB36_6 Depth=1
	s_mov_b32 s88, -1
	s_mov_b32 s10, 0
.LBB36_23:                              ;   in Loop: Header=BB36_6 Depth=1
	s_and_b32 vcc_lo, exec_lo, s88
	s_cbranch_vccz .LBB36_34
.LBB36_24:                              ;   in Loop: Header=BB36_6 Depth=1
	v_mov_b32_e32 v1, 0
	s_and_saveexec_b32 s10, s4
	s_cbranch_execz .LBB36_26
; %bb.25:                               ;   in Loop: Header=BB36_6 Depth=1
	global_load_b32 v1, v[5:6], off
.LBB36_26:                              ;   in Loop: Header=BB36_6 Depth=1
	s_or_b32 exec_lo, exec_lo, s10
	s_and_saveexec_b32 s11, s4
	s_cbranch_execz .LBB36_31
; %bb.27:                               ;   in Loop: Header=BB36_6 Depth=1
	global_load_u16 v2, v8, s[38:39]
	s_mov_b32 s12, 0
	v_dual_mov_b32 v14, v18 :: v_dual_mov_b32 v31, v0
	s_waitcnt vmcnt(0)
	v_add_nc_u32_e32 v3, v0, v2
	v_lshlrev_b32_e32 v4, 2, v2
	s_delay_alu instid0(VALU_DEP_2)
	v_mul_lo_u32 v7, s52, v3
	v_mul_lo_u32 v3, s52, v2
	s_set_inst_prefetch_distance 0x1
	s_branch .LBB36_29
	.p2align	6
.LBB36_28:                              ;   in Loop: Header=BB36_29 Depth=2
	s_or_b32 exec_lo, exec_lo, s13
	ds_store_b32 v14, v1
	s_waitcnt vmcnt(0)
	v_dual_mov_b32 v1, v32 :: v_dual_add_nc_u32 v14, v14, v4
	v_add_nc_u32_e32 v7, v7, v3
	s_and_b32 s10, exec_lo, vcc_lo
	s_delay_alu instid0(SALU_CYCLE_1) | instskip(NEXT) | instid1(SALU_CYCLE_1)
	s_or_b32 s12, s10, s12
	s_and_not1_b32 exec_lo, exec_lo, s12
	s_cbranch_execz .LBB36_31
.LBB36_29:                              ;   Parent Loop BB36_6 Depth=1
                                        ; =>  This Inner Loop Header: Depth=2
	v_dual_mov_b32 v32, 0 :: v_dual_add_nc_u32 v31, v31, v2
	s_mov_b32 s13, exec_lo
	s_delay_alu instid0(VALU_DEP_1)
	v_cmp_le_u32_e32 vcc_lo, s36, v31
	v_cmpx_gt_u32_e64 s36, v31
	s_cbranch_execz .LBB36_28
; %bb.30:                               ;   in Loop: Header=BB36_29 Depth=2
	v_lshlrev_b64 v[32:33], 2, v[7:8]
	s_delay_alu instid0(VALU_DEP_1) | instskip(NEXT) | instid1(VALU_DEP_1)
	v_add_co_u32 v32, s10, s33, v32
	v_add_co_ci_u32_e64 v33, s10, s43, v33, s10
	global_load_b32 v32, v[32:33], off
	s_branch .LBB36_28
.LBB36_31:                              ;   in Loop: Header=BB36_6 Depth=1
	s_set_inst_prefetch_distance 0x2
	s_or_b32 exec_lo, exec_lo, s11
	s_waitcnt vmcnt(0) lgkmcnt(0)
	s_barrier
	buffer_gl0_inv
	s_and_saveexec_b32 s10, s5
	s_cbranch_execz .LBB36_33
; %bb.32:                               ;   in Loop: Header=BB36_6 Depth=1
	v_mov_b32_e32 v1, s36
	ds_store_b32 v8, v1 offset:4096
.LBB36_33:                              ;   in Loop: Header=BB36_6 Depth=1
	s_or_b32 exec_lo, exec_lo, s10
	s_mov_b32 s10, -1
	s_waitcnt lgkmcnt(0)
	s_barrier
                                        ; implicit-def: $sgpr88
.LBB36_34:                              ;   in Loop: Header=BB36_6 Depth=1
	s_and_b32 vcc_lo, exec_lo, s10
	s_cbranch_vccz .LBB36_36
; %bb.35:                               ;   in Loop: Header=BB36_6 Depth=1
	buffer_gl0_inv
	ds_load_b32 v1, v8 offset:4096
	s_waitcnt lgkmcnt(0)
	v_readfirstlane_b32 s88, v1
.LBB36_36:                              ;   in Loop: Header=BB36_6 Depth=1
	s_delay_alu instid0(VALU_DEP_1)
	s_cmp_lt_i32 s88, 1
	s_cbranch_scc0 .LBB36_40
; %bb.37:                               ;   in Loop: Header=BB36_6 Depth=1
	v_dual_mov_b32 v1, 0 :: v_dual_mov_b32 v2, 0
	v_dual_mov_b32 v3, 0 :: v_dual_mov_b32 v4, 0
	s_mov_b32 s22, 0
	s_and_saveexec_b32 s21, s7
	s_cbranch_execnz .LBB36_41
; %bb.38:                               ;   in Loop: Header=BB36_6 Depth=1
	s_or_b32 exec_lo, exec_lo, s21
	v_mov_b32_e32 v31, 0
	s_and_saveexec_b32 s10, s8
	s_cbranch_execnz .LBB36_44
.LBB36_39:                              ;   in Loop: Header=BB36_6 Depth=1
	s_or_b32 exec_lo, exec_lo, s10
	s_and_saveexec_b32 s14, s8
	s_cbranch_execnz .LBB36_45
	s_branch .LBB36_50
.LBB36_40:                              ;   in Loop: Header=BB36_6 Depth=1
                                        ; implicit-def: $vgpr4
	s_cbranch_execnz .LBB36_51
	s_branch .LBB36_60
.LBB36_41:                              ;   in Loop: Header=BB36_6 Depth=1
	v_mov_b32_e32 v14, v18
	s_and_b32 s23, s82, 0xfe
	s_mov_b32 s24, 0
	s_mov_b32 s25, 0
	s_mov_b32 s26, 0
	s_mov_b32 s27, 0
	s_mov_b32 s28, 0
.LBB36_42:                              ;   Parent Loop BB36_6 Depth=1
                                        ; =>  This Inner Loop Header: Depth=2
	v_add_nc_u32_e32 v7, s24, v24
	s_delay_alu instid0(VALU_DEP_1) | instskip(SKIP_1) | instid1(VALU_DEP_1)
	v_lshlrev_b64 v[1:2], 2, v[7:8]
	v_add_nc_u32_e32 v7, s24, v12
	v_lshlrev_b64 v[3:4], 2, v[7:8]
	v_add_nc_u32_e32 v7, s24, v22
	s_delay_alu instid0(VALU_DEP_4) | instskip(SKIP_1) | instid1(VALU_DEP_3)
	v_add_co_u32 v1, vcc_lo, s33, v1
	v_add_co_ci_u32_e32 v2, vcc_lo, s43, v2, vcc_lo
	v_lshlrev_b64 v[31:32], 2, v[7:8]
	v_add_nc_u32_e32 v7, s24, v23
	s_add_i32 s24, s24, s74
	global_load_b32 v33, v[1:2], off
	v_add_co_u32 v1, vcc_lo, s33, v3
	v_add_co_ci_u32_e32 v2, vcc_lo, s43, v4, vcc_lo
	v_add_co_u32 v31, vcc_lo, s33, v31
	v_lshlrev_b64 v[3:4], 2, v[7:8]
	v_add_co_ci_u32_e32 v32, vcc_lo, s43, v32, vcc_lo
	s_clause 0x1
	global_load_b32 v7, v[1:2], off
	global_load_b32 v31, v[31:32], off
	v_add_co_u32 v1, vcc_lo, s33, v3
	v_add_co_ci_u32_e32 v2, vcc_lo, s43, v4, vcc_lo
	global_load_b32 v1, v[1:2], off
	s_waitcnt vmcnt(3)
	v_xor_b32_e32 v2, 0x80000000, v33
	s_delay_alu instid0(VALU_DEP_1) | instskip(SKIP_1) | instid1(VALU_DEP_2)
	v_and_b32_e32 v3, v2, v28
	v_bfe_u32 v2, v2, s23, 2
	v_cmp_eq_u32_e64 s10, v3, v29
	s_waitcnt vmcnt(2)
	v_xor_b32_e32 v4, 0x80000000, v7
	s_delay_alu instid0(VALU_DEP_3)
	v_cmp_eq_u32_e64 s11, 0, v2
	s_waitcnt vmcnt(1)
	v_xor_b32_e32 v7, 0x80000000, v31
	v_cmp_eq_u32_e64 s12, 1, v2
	v_cmp_eq_u32_e64 s13, 2, v2
	v_and_b32_e32 v3, v4, v28
	v_bfe_u32 v4, v4, s23, 2
	v_cmp_eq_u32_e64 s14, 3, v2
	s_and_b32 s11, s10, s11
	s_waitcnt vmcnt(0)
	v_xor_b32_e32 v1, 0x80000000, v1
	v_cmp_eq_u32_e64 s15, v3, v29
	v_and_b32_e32 v2, v7, v28
	v_bfe_u32 v3, v7, s23, 2
	v_cmp_eq_u32_e64 s16, 0, v4
	v_cndmask_b32_e64 v7, 0, 1, s11
	v_cmp_eq_u32_e64 s11, 1, v4
	s_and_b32 s12, s10, s12
	s_and_b32 s13, s10, s13
	v_cndmask_b32_e64 v31, 0, 1, s12
	v_cmp_eq_u32_e64 s12, 2, v4
	v_cndmask_b32_e64 v32, 0, 1, s13
	v_cmp_eq_u32_e64 s13, 3, v4
	s_and_b32 s10, s10, s14
	v_cmp_eq_u32_e64 s14, 0, v3
	v_cndmask_b32_e64 v4, 0, 1, s10
	v_cmp_eq_u32_e64 s10, v2, v29
	v_and_b32_e32 v2, v1, v28
	v_bfe_u32 v1, v1, s23, 2
	s_and_b32 s16, s15, s16
	s_and_b32 s11, s15, s11
	v_cmp_ne_u32_e64 s17, 0, v7
	v_cndmask_b32_e64 v7, 0, 1, s16
	v_cmp_eq_u32_e64 s16, 1, v3
	v_cmp_ne_u32_e64 s18, 0, v31
	v_cndmask_b32_e64 v31, 0, 1, s11
	v_cmp_eq_u32_e64 s11, 2, v3
	s_and_b32 s12, s15, s12
	s_and_b32 s13, s15, s13
	v_cmp_ne_u32_e64 s19, 0, v32
	v_cndmask_b32_e64 v32, 0, 1, s12
	v_cmp_eq_u32_e64 s12, 3, v3
	v_cndmask_b32_e64 v3, 0, 1, s13
	v_cmp_eq_u32_e64 s13, v2, v29
	v_cmp_eq_u32_e64 s15, 0, v1
	s_and_b32 s14, s10, s14
	v_cmp_ne_u32_e64 s20, 0, v4
	v_cndmask_b32_e64 v2, 0, 1, s14
	s_and_b32 s16, s10, s16
	s_and_b32 s11, s10, s11
	s_bcnt1_i32_b32 s29, s17
	v_cmp_ne_u32_e64 s17, 0, v7
	v_cmp_eq_u32_e64 s14, 1, v1
	v_cndmask_b32_e64 v4, 0, 1, s16
	v_cmp_eq_u32_e64 s16, 2, v1
	v_cndmask_b32_e64 v7, 0, 1, s11
	v_cmp_eq_u32_e64 s11, 3, v1
	s_and_b32 s10, s10, s12
	s_and_b32 s12, s13, s15
	s_bcnt1_i32_b32 s91, s20
	v_cmp_ne_u32_e64 s20, 0, v3
	v_cndmask_b32_e64 v1, 0, 1, s10
	v_cmp_ne_u32_e64 s10, 0, v2
	v_cndmask_b32_e64 v2, 0, 1, s12
	s_and_b32 s14, s13, s14
	s_and_b32 s15, s13, s16
	;; [unrolled: 1-line block ×3, first 2 shown]
	v_cmp_ne_u32_e64 s12, 0, v4
	v_cndmask_b32_e64 v3, 0, 1, s14
	v_cndmask_b32_e64 v4, 0, 1, s15
	s_bcnt1_i32_b32 s16, s20
	v_cmp_ne_u32_e64 s15, 0, v1
	v_cndmask_b32_e64 v1, 0, 1, s11
	s_bcnt1_i32_b32 s20, s10
	v_cmp_ne_u32_e64 s10, 0, v2
	s_bcnt1_i32_b32 s89, s18
	v_cmp_ne_u32_e64 s18, 0, v31
	;; [unrolled: 2-line block ×3, first 2 shown]
	s_add_i32 s28, s29, s28
	s_bcnt1_i32_b32 s17, s17
	s_add_i32 s25, s91, s25
	v_cmp_ne_u32_e64 s14, 0, v7
	s_add_i32 s17, s28, s17
	s_add_i32 s16, s25, s16
	s_bcnt1_i32_b32 s25, s12
	v_cmp_ne_u32_e64 s11, 0, v3
	v_cmp_ne_u32_e64 s12, 0, v4
	;; [unrolled: 1-line block ×3, first 2 shown]
	s_add_i32 s17, s17, s20
	s_bcnt1_i32_b32 s10, s10
	s_add_i32 s27, s89, s27
	s_add_i32 s26, s90, s26
	s_bcnt1_i32_b32 s18, s18
	s_bcnt1_i32_b32 s19, s19
	s_add_i32 s28, s17, s10
	s_delay_alu instid0(SALU_CYCLE_1)
	v_dual_mov_b32 v1, s28 :: v_dual_add_nc_u32 v14, s61, v14
	s_add_i32 s18, s27, s18
	s_add_i32 s19, s26, s19
	s_bcnt1_i32_b32 s14, s14
	s_bcnt1_i32_b32 s15, s15
	s_add_i32 s18, s18, s25
	s_add_i32 s14, s19, s14
	s_add_i32 s15, s16, s15
	s_bcnt1_i32_b32 s11, s11
	s_bcnt1_i32_b32 s12, s12
	;; [unrolled: 1-line block ×3, first 2 shown]
	v_cmp_le_u32_e32 vcc_lo, s71, v14
	s_add_i32 s27, s18, s11
	s_add_i32 s26, s14, s12
	;; [unrolled: 1-line block ×3, first 2 shown]
	v_dual_mov_b32 v2, s27 :: v_dual_mov_b32 v3, s26
	v_mov_b32_e32 v4, s25
	s_or_b32 s22, vcc_lo, s22
	s_delay_alu instid0(SALU_CYCLE_1)
	s_and_not1_b32 exec_lo, exec_lo, s22
	s_cbranch_execnz .LBB36_42
; %bb.43:                               ;   in Loop: Header=BB36_6 Depth=1
	s_or_b32 exec_lo, exec_lo, s22
	s_delay_alu instid0(SALU_CYCLE_1)
	s_or_b32 exec_lo, exec_lo, s21
	v_mov_b32_e32 v31, 0
	s_and_saveexec_b32 s10, s8
	s_cbranch_execz .LBB36_39
.LBB36_44:                              ;   in Loop: Header=BB36_6 Depth=1
	global_load_b32 v31, v[10:11], off
	s_or_b32 exec_lo, exec_lo, s10
	s_and_saveexec_b32 s14, s8
	s_cbranch_execz .LBB36_50
.LBB36_45:                              ;   in Loop: Header=BB36_6 Depth=1
	v_dual_mov_b32 v7, v25 :: v_dual_mov_b32 v14, v19
	s_and_b32 s16, s82, 0xfe
	s_mov_b32 s15, 0
	s_branch .LBB36_47
.LBB36_46:                              ;   in Loop: Header=BB36_47 Depth=2
	s_or_b32 exec_lo, exec_lo, s11
	s_waitcnt vmcnt(0)
	v_xor_b32_e32 v31, 0x80000000, v31
	s_and_b32 s11, exec_lo, vcc_lo
	v_add_nc_u32_e32 v7, s53, v7
	s_or_b32 s15, s11, s15
	s_delay_alu instid0(VALU_DEP_2) | instskip(SKIP_1) | instid1(VALU_DEP_2)
	v_and_b32_e32 v33, v31, v28
	v_bfe_u32 v31, v31, s16, 2
	v_cmp_eq_u32_e32 vcc_lo, v33, v29
	s_delay_alu instid0(VALU_DEP_2) | instskip(SKIP_3) | instid1(VALU_DEP_4)
	v_cmp_eq_u32_e64 s10, 0, v31
	v_cmp_eq_u32_e64 s11, 1, v31
	;; [unrolled: 1-line block ×4, first 2 shown]
	s_and_b32 s10, vcc_lo, s10
	s_delay_alu instid0(SALU_CYCLE_1) | instskip(SKIP_1) | instid1(SALU_CYCLE_1)
	v_cndmask_b32_e64 v31, 0, 1, s10
	s_and_b32 s10, vcc_lo, s11
	v_cndmask_b32_e64 v33, 0, 1, s10
	s_and_b32 s10, vcc_lo, s12
	s_delay_alu instid0(SALU_CYCLE_1)
	v_cndmask_b32_e64 v34, 0, 1, s10
	s_and_b32 s10, vcc_lo, s13
	v_cmp_ne_u32_e32 vcc_lo, 0, v31
	v_cndmask_b32_e64 v35, 0, 1, s10
	v_cmp_ne_u32_e64 s10, 0, v33
	v_cmp_ne_u32_e64 s11, 0, v34
	v_mov_b32_e32 v31, v32
	s_bcnt1_i32_b32 s13, vcc_lo
	v_cmp_ne_u32_e64 s12, 0, v35
	s_bcnt1_i32_b32 s10, s10
	s_bcnt1_i32_b32 s11, s11
	v_add_nc_u32_e32 v1, s13, v1
	v_add_nc_u32_e32 v2, s10, v2
	s_bcnt1_i32_b32 s12, s12
	v_add_nc_u32_e32 v3, s11, v3
	v_add_nc_u32_e32 v4, s12, v4
	s_and_not1_b32 exec_lo, exec_lo, s15
	s_cbranch_execz .LBB36_49
.LBB36_47:                              ;   Parent Loop BB36_6 Depth=1
                                        ; =>  This Inner Loop Header: Depth=2
	s_delay_alu instid0(VALU_DEP_1) | instskip(SKIP_2) | instid1(VALU_DEP_2)
	v_add_nc_u32_e32 v14, s47, v14
	v_mov_b32_e32 v32, 0
	s_mov_b32 s11, exec_lo
	v_cmp_le_u32_e32 vcc_lo, s36, v14
	v_cmpx_gt_u32_e64 s36, v14
	s_cbranch_execz .LBB36_46
; %bb.48:                               ;   in Loop: Header=BB36_47 Depth=2
	v_lshlrev_b64 v[32:33], 2, v[7:8]
	s_delay_alu instid0(VALU_DEP_1) | instskip(NEXT) | instid1(VALU_DEP_1)
	v_add_co_u32 v32, s10, s33, v32
	v_add_co_ci_u32_e64 v33, s10, s43, v33, s10
	global_load_b32 v32, v[32:33], off
	s_branch .LBB36_46
.LBB36_49:                              ;   in Loop: Header=BB36_6 Depth=1
	s_or_b32 exec_lo, exec_lo, s15
.LBB36_50:                              ;   in Loop: Header=BB36_6 Depth=1
	s_delay_alu instid0(SALU_CYCLE_1)
	s_or_b32 exec_lo, exec_lo, s14
	s_branch .LBB36_60
.LBB36_51:                              ;   in Loop: Header=BB36_6 Depth=1
	s_mul_hi_u32 s10, s88, s70
	v_dual_mov_b32 v1, 0 :: v_dual_mov_b32 v2, 0
	s_mul_i32 s10, s10, s61
	v_dual_mov_b32 v3, 0 :: v_dual_mov_b32 v4, 0
	s_sub_i32 s10, s88, s10
	s_mov_b32 s91, 0
	s_sub_i32 s11, s10, s61
	s_cmp_ge_u32 s10, s61
	s_mov_b32 s90, exec_lo
	s_cselect_b32 s10, s11, s10
	s_delay_alu instid0(SALU_CYCLE_1) | instskip(SKIP_2) | instid1(SALU_CYCLE_1)
	s_sub_i32 s11, s10, s61
	s_cmp_ge_u32 s10, s61
	s_cselect_b32 s10, s11, s10
	s_sub_i32 s89, s88, s10
	s_delay_alu instid0(SALU_CYCLE_1)
	v_cmpx_gt_u32_e64 s89, v18
	s_cbranch_execz .LBB36_55
; %bb.52:                               ;   in Loop: Header=BB36_6 Depth=1
	v_mov_b32_e32 v7, v26
	v_mov_b32_e32 v14, v18
	s_and_b32 s92, s82, 0xfe
	s_mov_b32 s93, 0
	s_mov_b32 s94, 0
	;; [unrolled: 1-line block ×4, first 2 shown]
.LBB36_53:                              ;   Parent Loop BB36_6 Depth=1
                                        ; =>  This Inner Loop Header: Depth=2
	ds_load_b128 v[1:4], v7
	s_waitcnt lgkmcnt(0)
	v_xor_b32_e32 v1, 0x80000000, v1
	v_xor_b32_e32 v2, 0x80000000, v2
	;; [unrolled: 1-line block ×4, first 2 shown]
	s_waitcnt vmcnt(0)
	v_and_b32_e32 v31, v1, v28
	v_bfe_u32 v1, v1, s92, 2
	v_and_b32_e32 v32, v2, v28
	v_bfe_u32 v2, v2, s92, 2
	v_and_b32_e32 v33, v3, v28
	v_bfe_u32 v3, v3, s92, 2
	v_cmp_eq_u32_e64 s10, v31, v29
	v_cmp_eq_u32_e64 s14, 0, v1
	v_and_b32_e32 v34, v4, v28
	v_bfe_u32 v4, v4, s92, 2
	v_cmp_eq_u32_e64 s11, v32, v29
	v_cmp_eq_u32_e64 s15, 0, v2
	;; [unrolled: 1-line block ×4, first 2 shown]
	s_and_b32 s14, s10, s14
	v_cmp_eq_u32_e64 s13, v34, v29
	v_cmp_eq_u32_e64 s17, 0, v4
	;; [unrolled: 1-line block ×5, first 2 shown]
	v_cndmask_b32_e64 v1, 0, 1, s14
	s_and_b32 s14, s11, s15
	v_cmp_eq_u32_e64 s19, 1, v2
	v_cmp_eq_u32_e64 s23, 2, v2
	v_cmp_eq_u32_e64 s27, 3, v2
	v_cndmask_b32_e64 v2, 0, 1, s14
	s_and_b32 s14, s12, s16
	v_cmp_eq_u32_e64 s20, 1, v3
	v_cmp_eq_u32_e64 s24, 2, v3
	v_cmp_eq_u32_e64 s28, 3, v3
	;; [unrolled: 5-line block ×3, first 2 shown]
	v_cndmask_b32_e64 v4, 0, 1, s14
	s_and_b32 s14, s10, s18
	s_delay_alu instid0(SALU_CYCLE_1) | instskip(SKIP_1) | instid1(SALU_CYCLE_1)
	v_cndmask_b32_e64 v31, 0, 1, s14
	s_and_b32 s14, s11, s19
	v_cndmask_b32_e64 v32, 0, 1, s14
	s_and_b32 s14, s12, s20
	s_delay_alu instid0(SALU_CYCLE_1) | instskip(SKIP_1) | instid1(VALU_DEP_2)
	v_cndmask_b32_e64 v33, 0, 1, s14
	s_and_b32 s14, s13, s21
	v_cmp_ne_u32_e64 s15, 0, v32
	v_cndmask_b32_e64 v34, 0, 1, s14
	s_and_b32 s14, s10, s22
	s_and_b32 s10, s10, s26
	v_cndmask_b32_e64 v35, 0, 1, s14
	v_cndmask_b32_e64 v39, 0, 1, s10
	s_and_b32 s10, s11, s27
	s_and_b32 s14, s11, s23
	v_cndmask_b32_e64 v40, 0, 1, s10
	s_and_b32 s10, s12, s28
	v_cndmask_b32_e64 v36, 0, 1, s14
	v_cndmask_b32_e64 v41, 0, 1, s10
	s_and_b32 s10, s13, s29
	s_and_b32 s14, s12, s24
	v_cndmask_b32_e64 v42, 0, 1, s10
	v_cmp_ne_u32_e64 s10, 0, v1
	v_cmp_ne_u32_e64 s11, 0, v2
	v_cndmask_b32_e64 v37, 0, 1, s14
	s_and_b32 s14, s13, s25
	v_cmp_ne_u32_e64 s12, 0, v3
	v_cndmask_b32_e64 v38, 0, 1, s14
	v_cmp_ne_u32_e64 s14, 0, v31
	v_cmp_ne_u32_e64 s18, 0, v35
	v_cmp_ne_u32_e64 s22, 0, v39
	s_bcnt1_i32_b32 s10, s10
	v_cmp_ne_u32_e64 s13, 0, v4
	v_cmp_ne_u32_e64 s19, 0, v36
	;; [unrolled: 1-line block ×3, first 2 shown]
	s_bcnt1_i32_b32 s11, s11
	s_add_i32 s10, s10, s96
	v_cmp_ne_u32_e64 s16, 0, v33
	v_cmp_ne_u32_e64 s20, 0, v37
	;; [unrolled: 1-line block ×3, first 2 shown]
	s_bcnt1_i32_b32 s12, s12
	s_add_i32 s10, s10, s11
	s_bcnt1_i32_b32 s14, s14
	s_bcnt1_i32_b32 s18, s18
	s_bcnt1_i32_b32 s22, s22
	v_cmp_ne_u32_e64 s17, 0, v34
	v_cmp_ne_u32_e64 s21, 0, v38
	;; [unrolled: 1-line block ×3, first 2 shown]
	s_bcnt1_i32_b32 s13, s13
	s_add_i32 s10, s10, s12
	s_bcnt1_i32_b32 s15, s15
	s_bcnt1_i32_b32 s19, s19
	s_bcnt1_i32_b32 s23, s23
	s_add_i32 s14, s14, s95
	s_add_i32 s18, s18, s94
	;; [unrolled: 1-line block ×4, first 2 shown]
	s_delay_alu instid0(SALU_CYCLE_1)
	v_dual_mov_b32 v1, s96 :: v_dual_add_nc_u32 v14, s61, v14
	s_bcnt1_i32_b32 s16, s16
	s_bcnt1_i32_b32 s20, s20
	;; [unrolled: 1-line block ×3, first 2 shown]
	s_add_i32 s11, s14, s15
	s_add_i32 s14, s18, s19
	;; [unrolled: 1-line block ×3, first 2 shown]
	s_bcnt1_i32_b32 s17, s17
	s_bcnt1_i32_b32 s21, s21
	;; [unrolled: 1-line block ×3, first 2 shown]
	s_add_i32 s11, s11, s16
	s_add_i32 s12, s14, s20
	;; [unrolled: 1-line block ×3, first 2 shown]
	v_cmp_le_u32_e32 vcc_lo, s89, v14
	s_add_i32 s95, s11, s17
	s_add_i32 s94, s12, s21
	;; [unrolled: 1-line block ×3, first 2 shown]
	v_dual_mov_b32 v2, s95 :: v_dual_add_nc_u32 v7, s75, v7
	v_dual_mov_b32 v3, s94 :: v_dual_mov_b32 v4, s93
	s_or_b32 s91, vcc_lo, s91
	s_delay_alu instid0(SALU_CYCLE_1)
	s_and_not1_b32 exec_lo, exec_lo, s91
	s_cbranch_execnz .LBB36_53
; %bb.54:                               ;   in Loop: Header=BB36_6 Depth=1
	s_or_b32 exec_lo, exec_lo, s91
.LBB36_55:                              ;   in Loop: Header=BB36_6 Depth=1
	s_delay_alu instid0(SALU_CYCLE_1) | instskip(SKIP_2) | instid1(VALU_DEP_1)
	s_or_b32 exec_lo, exec_lo, s90
	v_add_nc_u32_e32 v7, s89, v0
	s_mov_b32 s15, exec_lo
	v_cmpx_gt_u32_e64 s88, v7
	s_cbranch_execz .LBB36_59
; %bb.56:                               ;   in Loop: Header=BB36_6 Depth=1
	v_lshlrev_b32_e32 v14, 2, v7
	s_and_b32 s17, s82, 0xfe
	s_mov_b32 s16, 0
.LBB36_57:                              ;   Parent Loop BB36_6 Depth=1
                                        ; =>  This Inner Loop Header: Depth=2
	s_waitcnt vmcnt(0)
	ds_load_b32 v31, v14
	v_add_nc_u32_e32 v7, s47, v7
	v_add_nc_u32_e32 v14, s61, v14
	s_delay_alu instid0(VALU_DEP_2) | instskip(SKIP_2) | instid1(VALU_DEP_1)
	v_cmp_le_u32_e32 vcc_lo, s88, v7
	s_waitcnt lgkmcnt(0)
	v_xor_b32_e32 v31, 0x80000000, v31
	v_and_b32_e32 v32, v31, v28
	v_bfe_u32 v31, v31, s17, 2
	s_delay_alu instid0(VALU_DEP_2) | instskip(NEXT) | instid1(VALU_DEP_2)
	v_cmp_eq_u32_e64 s10, v32, v29
	v_cmp_eq_u32_e64 s11, 0, v31
	;; [unrolled: 1-line block ×5, first 2 shown]
	s_delay_alu instid0(VALU_DEP_4) | instskip(NEXT) | instid1(SALU_CYCLE_1)
	s_and_b32 s11, s10, s11
	v_cndmask_b32_e64 v31, 0, 1, s11
	s_and_b32 s11, s10, s12
	s_delay_alu instid0(SALU_CYCLE_1)
	v_cndmask_b32_e64 v32, 0, 1, s11
	s_and_b32 s11, s10, s13
	s_and_b32 s10, s10, s14
	v_cndmask_b32_e64 v33, 0, 1, s11
	v_cndmask_b32_e64 v34, 0, 1, s10
	v_cmp_ne_u32_e64 s10, 0, v31
	v_cmp_ne_u32_e64 s11, 0, v32
	s_delay_alu instid0(VALU_DEP_4) | instskip(NEXT) | instid1(VALU_DEP_4)
	v_cmp_ne_u32_e64 s12, 0, v33
	v_cmp_ne_u32_e64 s13, 0, v34
	s_delay_alu instid0(VALU_DEP_4) | instskip(NEXT) | instid1(VALU_DEP_3)
	s_bcnt1_i32_b32 s10, s10
	s_bcnt1_i32_b32 s11, s11
	v_add_nc_u32_e32 v1, s10, v1
	s_bcnt1_i32_b32 s12, s12
	s_bcnt1_i32_b32 s13, s13
	v_add_nc_u32_e32 v2, s11, v2
	v_add_nc_u32_e32 v3, s12, v3
	v_add_nc_u32_e32 v4, s13, v4
	s_or_b32 s16, vcc_lo, s16
	s_delay_alu instid0(SALU_CYCLE_1)
	s_and_not1_b32 exec_lo, exec_lo, s16
	s_cbranch_execnz .LBB36_57
; %bb.58:                               ;   in Loop: Header=BB36_6 Depth=1
	s_or_b32 exec_lo, exec_lo, s16
.LBB36_59:                              ;   in Loop: Header=BB36_6 Depth=1
	s_delay_alu instid0(SALU_CYCLE_1)
	s_or_b32 exec_lo, exec_lo, s15
.LBB36_60:                              ;   in Loop: Header=BB36_6 Depth=1
	s_lshl_b32 s10, s77, 7
	s_and_saveexec_b32 s11, s2
	s_cbranch_execz .LBB36_62
; %bb.61:                               ;   in Loop: Header=BB36_6 Depth=1
	v_or_b32_e32 v7, s10, v20
	s_delay_alu instid0(VALU_DEP_1)
	v_lshlrev_b32_e32 v7, 2, v7
	ds_store_b128 v7, v[1:4] offset:3072
.LBB36_62:                              ;   in Loop: Header=BB36_6 Depth=1
	s_or_b32 exec_lo, exec_lo, s11
	s_waitcnt vmcnt(0) lgkmcnt(0)
	s_barrier
	buffer_gl0_inv
	s_and_saveexec_b32 s11, s62
	s_cbranch_execz .LBB36_72
; %bb.63:                               ;   in Loop: Header=BB36_6 Depth=1
	v_mov_b32_e32 v1, 0
	s_and_not1_b32 vcc_lo, exec_lo, s64
	s_cbranch_vccnz .LBB36_71
; %bb.64:                               ;   in Loop: Header=BB36_6 Depth=1
	v_mov_b32_e32 v1, 0
	s_and_not1_b32 vcc_lo, exec_lo, s67
	s_mov_b32 s12, 0
	s_cbranch_vccnz .LBB36_68
; %bb.65:                               ;   in Loop: Header=BB36_6 Depth=1
	v_lshl_add_u32 v2, s77, 9, v27
	v_mov_b32_e32 v1, 0
	.p2align	6
.LBB36_66:                              ;   Parent Loop BB36_6 Depth=1
                                        ; =>  This Inner Loop Header: Depth=2
	ds_load_2addr_b32 v[3:4], v2 offset1:4
	ds_load_2addr_b32 v[31:32], v2 offset0:8 offset1:12
	ds_load_2addr_b32 v[33:34], v2 offset0:16 offset1:20
	;; [unrolled: 1-line block ×3, first 2 shown]
	v_add_nc_u32_e32 v2, 0x80, v2
	s_add_i32 s12, s12, 8
	s_delay_alu instid0(SALU_CYCLE_1) | instskip(SKIP_3) | instid1(VALU_DEP_1)
	s_cmp_eq_u32 s68, s12
	s_waitcnt lgkmcnt(3)
	v_add3_u32 v1, v3, v1, v4
	s_waitcnt lgkmcnt(2)
	v_add3_u32 v1, v31, v1, v32
	s_waitcnt lgkmcnt(1)
	s_delay_alu instid0(VALU_DEP_1) | instskip(SKIP_1) | instid1(VALU_DEP_1)
	v_add3_u32 v1, v33, v1, v34
	s_waitcnt lgkmcnt(0)
	v_add3_u32 v1, v35, v1, v36
	s_cbranch_scc0 .LBB36_66
; %bb.67:                               ;   in Loop: Header=BB36_6 Depth=1
	s_mov_b32 s12, s68
.LBB36_68:                              ;   in Loop: Header=BB36_6 Depth=1
	s_and_not1_b32 vcc_lo, exec_lo, s69
	s_cbranch_vccnz .LBB36_71
; %bb.69:                               ;   in Loop: Header=BB36_6 Depth=1
	s_lshl_b32 s13, s77, 9
	s_lshl_b32 s12, s12, 4
	s_delay_alu instid0(SALU_CYCLE_1)
	v_add3_u32 v2, s13, s12, v27
	s_mov_b32 s12, s66
.LBB36_70:                              ;   Parent Loop BB36_6 Depth=1
                                        ; =>  This Inner Loop Header: Depth=2
	ds_load_b32 v3, v2
	v_add_nc_u32_e32 v2, 16, v2
	s_add_i32 s12, s12, -1
	s_delay_alu instid0(SALU_CYCLE_1)
	s_cmp_lg_u32 s12, 0
	s_waitcnt lgkmcnt(0)
	v_add_nc_u32_e32 v1, v3, v1
	s_cbranch_scc1 .LBB36_70
.LBB36_71:                              ;   in Loop: Header=BB36_6 Depth=1
	v_add_lshl_u32 v2, s10, v17, 2
	ds_store_b32 v2, v1 offset:3072
.LBB36_72:                              ;   in Loop: Header=BB36_6 Depth=1
	s_or_b32 exec_lo, exec_lo, s11
	s_lshl_b32 s10, s10, 2
	s_waitcnt lgkmcnt(0)
	v_mov_b32_e32 v1, s10
	s_barrier
	buffer_gl0_inv
	s_and_b32 s17, s82, 0xfe
	v_cmp_eq_u32_e64 s10, 1, v30
	ds_load_b128 v[1:4], v1 offset:3072
	s_lshl_b32 s13, 3, s17
	s_and_not1_b32 vcc_lo, exec_lo, s54
	s_not_b32 s14, s13
	s_waitcnt lgkmcnt(0)
	v_readfirstlane_b32 s12, v1
	v_readfirstlane_b32 s16, v2
	;; [unrolled: 1-line block ×4, first 2 shown]
	s_cbranch_vccnz .LBB36_85
; %bb.73:                               ;   in Loop: Header=BB36_6 Depth=1
	s_cmp_eq_u32 s12, 1
	v_dual_mov_b32 v3, v29 :: v_dual_mov_b32 v4, v28
	v_mov_b32_e32 v2, v15
	s_cselect_b32 s11, -1, 0
	s_mov_b32 s26, -1
	s_and_b32 s25, s11, s10
                                        ; implicit-def: $sgpr15
                                        ; implicit-def: $sgpr22
                                        ; implicit-def: $sgpr21
	s_delay_alu instid0(SALU_CYCLE_1)
	s_and_saveexec_b32 s20, s25
	s_cbranch_execz .LBB36_104
; %bb.74:                               ;   in Loop: Header=BB36_6 Depth=1
	ds_load_b32 v1, v8 offset:4096
	s_waitcnt lgkmcnt(0)
	s_barrier
	buffer_gl0_inv
	v_readfirstlane_b32 s11, v1
	s_and_saveexec_b32 s15, s6
	s_cbranch_execz .LBB36_76
; %bb.75:                               ;   in Loop: Header=BB36_6 Depth=1
	ds_store_b32 v21, v8
.LBB36_76:                              ;   in Loop: Header=BB36_6 Depth=1
	s_or_b32 exec_lo, exec_lo, s15
	v_and_b32_e32 v3, s14, v29
	v_or_b32_e32 v4, s13, v28
	s_cmp_eq_u32 s11, 0
	s_waitcnt lgkmcnt(0)
	s_barrier
	buffer_gl0_inv
	s_cbranch_scc1 .LBB36_90
; %bb.77:                               ;   in Loop: Header=BB36_6 Depth=1
	s_add_i32 s15, s11, s65
	s_mov_b32 s23, 0
	s_mul_hi_u32 s21, s15, s72
                                        ; implicit-def: $vgpr2
	s_delay_alu instid0(SALU_CYCLE_1) | instskip(NEXT) | instid1(SALU_CYCLE_1)
	s_mul_i32 s21, s21, s47
	s_sub_i32 s21, s15, s21
	s_delay_alu instid0(SALU_CYCLE_1) | instskip(SKIP_2) | instid1(SALU_CYCLE_1)
	s_sub_i32 s22, s21, s47
	s_cmp_ge_u32 s21, s47
	s_cselect_b32 s21, s22, s21
	s_sub_i32 s22, s21, s47
	s_cmp_ge_u32 s21, s47
	s_cselect_b32 s21, s22, s21
	s_delay_alu instid0(SALU_CYCLE_1)
	s_sub_i32 s21, s15, s21
	s_mov_b32 s15, exec_lo
	v_cmpx_gt_u32_e64 s21, v0
	s_cbranch_execz .LBB36_92
; %bb.78:                               ;   in Loop: Header=BB36_6 Depth=1
	v_mov_b32_e32 v7, v18
	v_mov_b32_e32 v31, v0
	s_mov_b32 s22, 0
                                        ; implicit-def: $sgpr23
	s_set_inst_prefetch_distance 0x1
	s_branch .LBB36_80
	.p2align	6
.LBB36_79:                              ;   in Loop: Header=BB36_80 Depth=2
	s_or_b32 exec_lo, exec_lo, s24
	s_waitcnt lgkmcnt(0)
	s_barrier
	buffer_gl0_inv
	ds_load_b64 v[1:2], v8 offset:3072
	v_add_nc_u32_e32 v31, s47, v31
	v_add_nc_u32_e32 v7, s61, v7
	s_waitcnt lgkmcnt(0)
	s_barrier
	buffer_gl0_inv
	v_cmp_le_u32_e32 vcc_lo, s21, v31
	v_readfirstlane_b32 s24, v1
	s_delay_alu instid0(VALU_DEP_1) | instskip(SKIP_1) | instid1(SALU_CYCLE_1)
	s_cmp_lg_u32 s24, 0
	s_cselect_b32 s24, -1, 0
	s_or_b32 s26, vcc_lo, s24
	s_delay_alu instid0(SALU_CYCLE_1) | instskip(NEXT) | instid1(SALU_CYCLE_1)
	s_and_b32 s26, exec_lo, s26
	s_or_b32 s22, s26, s22
	s_and_not1_b32 s23, s23, exec_lo
	s_and_b32 s24, s24, exec_lo
	s_delay_alu instid0(SALU_CYCLE_1)
	s_or_b32 s23, s23, s24
	s_and_not1_b32 exec_lo, exec_lo, s22
	s_cbranch_execz .LBB36_91
.LBB36_80:                              ;   Parent Loop BB36_6 Depth=1
                                        ; =>  This Inner Loop Header: Depth=2
	s_delay_alu instid0(VALU_DEP_1)
	v_cmp_gt_u32_e32 vcc_lo, s11, v31
	v_mov_b32_e32 v14, 0
	s_and_saveexec_b32 s24, vcc_lo
	s_cbranch_execz .LBB36_82
; %bb.81:                               ;   in Loop: Header=BB36_80 Depth=2
	ds_load_b32 v14, v7
.LBB36_82:                              ;   in Loop: Header=BB36_80 Depth=2
	s_or_b32 exec_lo, exec_lo, s24
	s_and_saveexec_b32 s24, vcc_lo
	s_cbranch_execz .LBB36_79
; %bb.83:                               ;   in Loop: Header=BB36_80 Depth=2
	s_waitcnt lgkmcnt(0)
	v_xor_b32_e32 v1, 0x80000000, v14
	s_delay_alu instid0(VALU_DEP_1) | instskip(NEXT) | instid1(VALU_DEP_1)
	v_and_b32_e32 v1, v1, v4
	v_cmp_eq_u32_e32 vcc_lo, v1, v3
	s_and_b32 exec_lo, exec_lo, vcc_lo
	s_cbranch_execz .LBB36_79
; %bb.84:                               ;   in Loop: Header=BB36_80 Depth=2
	ds_store_b64 v8, v[13:14] offset:3072
	s_branch .LBB36_79
.LBB36_85:                              ;   in Loop: Header=BB36_6 Depth=1
	s_mov_b32 s20, 0
	s_mov_b32 s11, 0
                                        ; implicit-def: $sgpr21
                                        ; implicit-def: $sgpr22
                                        ; implicit-def: $sgpr15
                                        ; implicit-def: $vgpr1
                                        ; implicit-def: $vgpr31
                                        ; implicit-def: $vgpr3
                                        ; implicit-def: $vgpr4
                                        ; implicit-def: $vgpr2
	s_cbranch_execnz .LBB36_240
.LBB36_86:                              ;   in Loop: Header=BB36_6 Depth=1
	s_mov_b32 s23, s15
	s_mov_b32 s24, s15
	s_and_saveexec_b32 s10, s20
	s_cbranch_execnz .LBB36_402
	s_branch .LBB36_403
.LBB36_87:                              ;   in Loop: Header=BB36_6 Depth=1
	s_or_b32 exec_lo, exec_lo, s12
	s_waitcnt vmcnt(0) lgkmcnt(0)
	s_barrier
	buffer_gl0_inv
	s_and_saveexec_b32 s10, s5
	s_cbranch_execz .LBB36_89
; %bb.88:                               ;   in Loop: Header=BB36_6 Depth=1
	ds_load_b32 v1, v8 offset:4104
	s_waitcnt lgkmcnt(0)
	ds_store_b32 v8, v1 offset:4096
.LBB36_89:                              ;   in Loop: Header=BB36_6 Depth=1
	s_or_b32 exec_lo, exec_lo, s10
	s_waitcnt lgkmcnt(0)
	s_mov_b32 s10, -1
	s_barrier
	s_and_b32 vcc_lo, exec_lo, s88
	s_cbranch_vccnz .LBB36_24
	s_branch .LBB36_34
.LBB36_90:                              ;   in Loop: Header=BB36_6 Depth=1
	s_mov_b32 s15, -1
	s_mov_b32 s23, 0
                                        ; implicit-def: $sgpr21
                                        ; implicit-def: $vgpr2
	s_mov_b32 s22, s15
	s_cbranch_execnz .LBB36_93
	s_branch .LBB36_103
.LBB36_91:                              ;   in Loop: Header=BB36_6 Depth=1
	s_set_inst_prefetch_distance 0x2
	s_or_b32 exec_lo, exec_lo, s22
	s_delay_alu instid0(SALU_CYCLE_1)
	s_and_b32 s23, s23, exec_lo
.LBB36_92:                              ;   in Loop: Header=BB36_6 Depth=1
	s_or_b32 exec_lo, exec_lo, s15
	s_mov_b32 s21, -1
	s_mov_b32 s15, 0
	s_delay_alu instid0(SALU_CYCLE_1)
	s_mov_b32 s22, s15
	s_branch .LBB36_103
.LBB36_93:                              ;   in Loop: Header=BB36_6 Depth=1
	s_mov_b32 s23, 0
                                        ; implicit-def: $vgpr2
	s_and_saveexec_b32 s15, s9
	s_cbranch_execz .LBB36_102
; %bb.94:                               ;   in Loop: Header=BB36_6 Depth=1
	v_mov_b32_e32 v7, v9
	v_mov_b32_e32 v31, v0
	s_mov_b32 s21, 0
                                        ; implicit-def: $sgpr22
	s_set_inst_prefetch_distance 0x1
	s_branch .LBB36_96
	.p2align	6
.LBB36_95:                              ;   in Loop: Header=BB36_96 Depth=2
	s_or_b32 exec_lo, exec_lo, s11
	s_waitcnt vmcnt(0) lgkmcnt(0)
	s_barrier
	buffer_gl0_inv
	ds_load_b64 v[1:2], v8 offset:3072
	v_add_nc_u32_e32 v31, s47, v31
	v_add_nc_u32_e32 v7, s53, v7
	s_waitcnt lgkmcnt(0)
	s_barrier
	buffer_gl0_inv
	v_cmp_le_u32_e32 vcc_lo, s73, v31
	v_readfirstlane_b32 s11, v1
	s_delay_alu instid0(VALU_DEP_1) | instskip(SKIP_1) | instid1(SALU_CYCLE_1)
	s_cmp_lg_u32 s11, 0
	s_cselect_b32 s11, -1, 0
	s_or_b32 s23, vcc_lo, s11
	s_delay_alu instid0(SALU_CYCLE_1) | instskip(NEXT) | instid1(SALU_CYCLE_1)
	s_and_b32 s23, exec_lo, s23
	s_or_b32 s21, s23, s21
	s_and_not1_b32 s22, s22, exec_lo
	s_and_b32 s11, s11, exec_lo
	s_delay_alu instid0(SALU_CYCLE_1)
	s_or_b32 s22, s22, s11
	s_and_not1_b32 exec_lo, exec_lo, s21
	s_cbranch_execz .LBB36_101
.LBB36_96:                              ;   Parent Loop BB36_6 Depth=1
                                        ; =>  This Inner Loop Header: Depth=2
	s_delay_alu instid0(VALU_DEP_1)
	v_cmp_gt_u32_e32 vcc_lo, s36, v31
	v_mov_b32_e32 v14, 0
	s_and_saveexec_b32 s23, vcc_lo
	s_cbranch_execz .LBB36_98
; %bb.97:                               ;   in Loop: Header=BB36_96 Depth=2
	v_lshlrev_b64 v[1:2], 2, v[7:8]
	s_delay_alu instid0(VALU_DEP_1) | instskip(NEXT) | instid1(VALU_DEP_1)
	v_add_co_u32 v1, s11, s33, v1
	v_add_co_ci_u32_e64 v2, s11, s43, v2, s11
	global_load_b32 v14, v[1:2], off
.LBB36_98:                              ;   in Loop: Header=BB36_96 Depth=2
	s_or_b32 exec_lo, exec_lo, s23
	s_and_saveexec_b32 s11, vcc_lo
	s_cbranch_execz .LBB36_95
; %bb.99:                               ;   in Loop: Header=BB36_96 Depth=2
	s_waitcnt vmcnt(0)
	v_xor_b32_e32 v1, 0x80000000, v14
	s_delay_alu instid0(VALU_DEP_1) | instskip(NEXT) | instid1(VALU_DEP_1)
	v_and_b32_e32 v1, v1, v4
	v_cmp_eq_u32_e32 vcc_lo, v1, v3
	s_and_b32 exec_lo, exec_lo, vcc_lo
	s_cbranch_execz .LBB36_95
; %bb.100:                              ;   in Loop: Header=BB36_96 Depth=2
	ds_store_b64 v8, v[13:14] offset:3072
	s_branch .LBB36_95
.LBB36_101:                             ;   in Loop: Header=BB36_6 Depth=1
	s_set_inst_prefetch_distance 0x2
	s_or_b32 exec_lo, exec_lo, s21
	s_delay_alu instid0(SALU_CYCLE_1)
	s_and_b32 s23, s22, exec_lo
.LBB36_102:                             ;   in Loop: Header=BB36_6 Depth=1
	s_or_b32 exec_lo, exec_lo, s15
	s_mov_b32 s22, -1
	s_mov_b32 s15, 0
	s_mov_b32 s21, 0
.LBB36_103:                             ;   in Loop: Header=BB36_6 Depth=1
	s_or_not1_b32 s26, s23, exec_lo
.LBB36_104:                             ;   in Loop: Header=BB36_6 Depth=1
	s_or_b32 exec_lo, exec_lo, s20
	s_mov_b32 s23, 0
	s_mov_b32 s20, 0
	;; [unrolled: 1-line block ×3, first 2 shown]
                                        ; implicit-def: $vgpr1
                                        ; implicit-def: $vgpr31
	s_and_saveexec_b32 s24, s26
	s_cbranch_execz .LBB36_239
; %bb.105:                              ;   in Loop: Header=BB36_6 Depth=1
	v_mov_b32_e32 v31, 1
	v_mov_b32_e32 v1, 1
	s_xor_b32 s25, s25, -1
	s_delay_alu instid0(SALU_CYCLE_1)
	s_and_saveexec_b32 s11, s25
	s_cbranch_execz .LBB36_115
; %bb.106:                              ;   in Loop: Header=BB36_6 Depth=1
	s_mov_b32 s25, exec_lo
                                        ; implicit-def: $sgpr26
                                        ; implicit-def: $sgpr20
	v_cmpx_ge_u32_e64 s12, v30
	s_xor_b32 s25, exec_lo, s25
	s_cbranch_execz .LBB36_112
; %bb.107:                              ;   in Loop: Header=BB36_6 Depth=1
	ds_load_b32 v1, v8 offset:4096
	s_waitcnt lgkmcnt(0)
	v_cmp_ne_u32_e32 vcc_lo, 0, v1
	s_cbranch_vccnz .LBB36_111
; %bb.108:                              ;   in Loop: Header=BB36_6 Depth=1
	s_and_saveexec_b32 s20, s5
	s_cbranch_execz .LBB36_110
; %bb.109:                              ;   in Loop: Header=BB36_6 Depth=1
	v_mov_b32_e32 v1, s12
	ds_store_b32 v8, v1 offset:4100
.LBB36_110:                             ;   in Loop: Header=BB36_6 Depth=1
	s_or_b32 exec_lo, exec_lo, s20
	s_waitcnt lgkmcnt(0)
	s_barrier
	buffer_gl0_inv
.LBB36_111:                             ;   in Loop: Header=BB36_6 Depth=1
	v_and_b32_e32 v3, s14, v3
	v_or_b32_e32 v4, s13, v4
	s_mov_b32 s20, 0
	s_mov_b32 s26, 8
.LBB36_112:                             ;   in Loop: Header=BB36_6 Depth=1
	s_or_saveexec_b32 s25, s25
	v_mov_b32_e32 v1, s26
	v_mov_b32_e32 v31, v30
	s_xor_b32 exec_lo, exec_lo, s25
; %bb.113:                              ;   in Loop: Header=BB36_6 Depth=1
	v_subrev_nc_u32_e32 v31, s12, v30
	v_mov_b32_e32 v1, 0
	s_or_b32 s20, s20, exec_lo
; %bb.114:                              ;   in Loop: Header=BB36_6 Depth=1
	s_or_b32 exec_lo, exec_lo, s25
	s_delay_alu instid0(SALU_CYCLE_1)
	s_and_b32 s20, s20, exec_lo
.LBB36_115:                             ;   in Loop: Header=BB36_6 Depth=1
	s_or_b32 exec_lo, exec_lo, s11
	s_mov_b32 s11, -1
                                        ; implicit-def: $sgpr25
                                        ; implicit-def: $sgpr27
                                        ; implicit-def: $sgpr28
	s_and_saveexec_b32 s26, s20
	s_delay_alu instid0(SALU_CYCLE_1)
	s_xor_b32 s20, exec_lo, s26
	s_cbranch_execz .LBB36_236
; %bb.116:                              ;   in Loop: Header=BB36_6 Depth=1
	v_cmp_eq_u32_e32 vcc_lo, 1, v31
	s_cmp_eq_u32 s16, 1
                                        ; implicit-def: $sgpr25
                                        ; implicit-def: $sgpr27
                                        ; implicit-def: $sgpr26
	s_cselect_b32 s11, -1, 0
	s_delay_alu instid0(SALU_CYCLE_1)
	s_and_b32 s29, s11, vcc_lo
	s_mov_b32 s11, -1
	s_and_saveexec_b32 s28, s29
	s_cbranch_execz .LBB36_142
; %bb.117:                              ;   in Loop: Header=BB36_6 Depth=1
	ds_load_b32 v1, v8 offset:4096
	s_waitcnt lgkmcnt(0)
	s_barrier
	buffer_gl0_inv
	v_readfirstlane_b32 s11, v1
	s_and_saveexec_b32 s25, s6
	s_cbranch_execz .LBB36_119
; %bb.118:                              ;   in Loop: Header=BB36_6 Depth=1
	ds_store_b32 v21, v8
.LBB36_119:                             ;   in Loop: Header=BB36_6 Depth=1
	s_or_b32 exec_lo, exec_lo, s25
	s_lshl_b32 s25, 1, s17
	v_or_b32_e32 v4, s13, v4
	v_and_or_b32 v3, v3, s14, s25
	s_cmp_eq_u32 s11, 0
	s_waitcnt lgkmcnt(0)
	s_barrier
	buffer_gl0_inv
	s_cbranch_scc1 .LBB36_128
; %bb.120:                              ;   in Loop: Header=BB36_6 Depth=1
	s_add_i32 s25, s11, s65
	s_mov_b32 s88, 0
	s_mul_hi_u32 s26, s25, s72
                                        ; implicit-def: $vgpr2
	s_delay_alu instid0(SALU_CYCLE_1) | instskip(NEXT) | instid1(SALU_CYCLE_1)
	s_mul_i32 s26, s26, s47
	s_sub_i32 s26, s25, s26
	s_delay_alu instid0(SALU_CYCLE_1) | instskip(SKIP_2) | instid1(SALU_CYCLE_1)
	s_sub_i32 s27, s26, s47
	s_cmp_ge_u32 s26, s47
	s_cselect_b32 s26, s27, s26
	s_sub_i32 s27, s26, s47
	s_cmp_ge_u32 s26, s47
	s_cselect_b32 s26, s27, s26
	s_delay_alu instid0(SALU_CYCLE_1)
	s_sub_i32 s26, s25, s26
	s_mov_b32 s25, exec_lo
	v_cmpx_gt_u32_e64 s26, v0
	s_cbranch_execz .LBB36_130
; %bb.121:                              ;   in Loop: Header=BB36_6 Depth=1
	v_dual_mov_b32 v7, v18 :: v_dual_mov_b32 v32, v0
	s_mov_b32 s27, 0
                                        ; implicit-def: $sgpr88
	s_set_inst_prefetch_distance 0x1
	s_branch .LBB36_123
	.p2align	6
.LBB36_122:                             ;   in Loop: Header=BB36_123 Depth=2
	s_or_b32 exec_lo, exec_lo, s89
	s_waitcnt lgkmcnt(0)
	s_barrier
	buffer_gl0_inv
	ds_load_b64 v[1:2], v8 offset:3072
	v_add_nc_u32_e32 v32, s47, v32
	v_add_nc_u32_e32 v7, s61, v7
	s_waitcnt lgkmcnt(0)
	s_barrier
	buffer_gl0_inv
	v_cmp_le_u32_e32 vcc_lo, s26, v32
	v_readfirstlane_b32 s89, v1
	s_delay_alu instid0(VALU_DEP_1) | instskip(SKIP_1) | instid1(SALU_CYCLE_1)
	s_cmp_lg_u32 s89, 0
	s_cselect_b32 s89, -1, 0
	s_or_b32 s90, vcc_lo, s89
	s_delay_alu instid0(SALU_CYCLE_1) | instskip(NEXT) | instid1(SALU_CYCLE_1)
	s_and_b32 s90, exec_lo, s90
	s_or_b32 s27, s90, s27
	s_and_not1_b32 s88, s88, exec_lo
	s_and_b32 s89, s89, exec_lo
	s_delay_alu instid0(SALU_CYCLE_1)
	s_or_b32 s88, s88, s89
	s_and_not1_b32 exec_lo, exec_lo, s27
	s_cbranch_execz .LBB36_129
.LBB36_123:                             ;   Parent Loop BB36_6 Depth=1
                                        ; =>  This Inner Loop Header: Depth=2
	s_delay_alu instid0(VALU_DEP_1)
	v_cmp_gt_u32_e32 vcc_lo, s11, v32
	v_mov_b32_e32 v14, 0
	s_and_saveexec_b32 s89, vcc_lo
	s_cbranch_execz .LBB36_125
; %bb.124:                              ;   in Loop: Header=BB36_123 Depth=2
	ds_load_b32 v14, v7
.LBB36_125:                             ;   in Loop: Header=BB36_123 Depth=2
	s_or_b32 exec_lo, exec_lo, s89
	s_and_saveexec_b32 s89, vcc_lo
	s_cbranch_execz .LBB36_122
; %bb.126:                              ;   in Loop: Header=BB36_123 Depth=2
	s_waitcnt lgkmcnt(0)
	v_xor_b32_e32 v1, 0x80000000, v14
	s_delay_alu instid0(VALU_DEP_1) | instskip(NEXT) | instid1(VALU_DEP_1)
	v_and_b32_e32 v1, v1, v4
	v_cmp_eq_u32_e32 vcc_lo, v1, v3
	s_and_b32 exec_lo, exec_lo, vcc_lo
	s_cbranch_execz .LBB36_122
; %bb.127:                              ;   in Loop: Header=BB36_123 Depth=2
	ds_store_b64 v8, v[13:14] offset:3072
	s_branch .LBB36_122
.LBB36_128:                             ;   in Loop: Header=BB36_6 Depth=1
	s_mov_b32 s25, -1
	s_mov_b32 s88, 0
                                        ; implicit-def: $sgpr26
                                        ; implicit-def: $vgpr2
	s_mov_b32 s27, s25
	s_cbranch_execnz .LBB36_131
	s_branch .LBB36_141
.LBB36_129:                             ;   in Loop: Header=BB36_6 Depth=1
	s_set_inst_prefetch_distance 0x2
	s_or_b32 exec_lo, exec_lo, s27
	s_delay_alu instid0(SALU_CYCLE_1)
	s_and_b32 s88, s88, exec_lo
.LBB36_130:                             ;   in Loop: Header=BB36_6 Depth=1
	s_or_b32 exec_lo, exec_lo, s25
	s_mov_b32 s26, -1
	s_mov_b32 s25, 0
	s_delay_alu instid0(SALU_CYCLE_1)
	s_mov_b32 s27, s25
	s_branch .LBB36_141
.LBB36_131:                             ;   in Loop: Header=BB36_6 Depth=1
	s_mov_b32 s88, 0
                                        ; implicit-def: $vgpr2
	s_and_saveexec_b32 s25, s9
	s_cbranch_execz .LBB36_140
; %bb.132:                              ;   in Loop: Header=BB36_6 Depth=1
	v_dual_mov_b32 v7, v9 :: v_dual_mov_b32 v32, v0
	s_mov_b32 s26, 0
                                        ; implicit-def: $sgpr27
	s_set_inst_prefetch_distance 0x1
	s_branch .LBB36_134
	.p2align	6
.LBB36_133:                             ;   in Loop: Header=BB36_134 Depth=2
	s_or_b32 exec_lo, exec_lo, s11
	s_waitcnt vmcnt(0) lgkmcnt(0)
	s_barrier
	buffer_gl0_inv
	ds_load_b64 v[1:2], v8 offset:3072
	v_add_nc_u32_e32 v32, s47, v32
	v_add_nc_u32_e32 v7, s53, v7
	s_waitcnt lgkmcnt(0)
	s_barrier
	buffer_gl0_inv
	v_cmp_le_u32_e32 vcc_lo, s73, v32
	v_readfirstlane_b32 s11, v1
	s_delay_alu instid0(VALU_DEP_1) | instskip(SKIP_1) | instid1(SALU_CYCLE_1)
	s_cmp_lg_u32 s11, 0
	s_cselect_b32 s11, -1, 0
	s_or_b32 s88, vcc_lo, s11
	s_delay_alu instid0(SALU_CYCLE_1) | instskip(NEXT) | instid1(SALU_CYCLE_1)
	s_and_b32 s88, exec_lo, s88
	s_or_b32 s26, s88, s26
	s_and_not1_b32 s27, s27, exec_lo
	s_and_b32 s11, s11, exec_lo
	s_delay_alu instid0(SALU_CYCLE_1)
	s_or_b32 s27, s27, s11
	s_and_not1_b32 exec_lo, exec_lo, s26
	s_cbranch_execz .LBB36_139
.LBB36_134:                             ;   Parent Loop BB36_6 Depth=1
                                        ; =>  This Inner Loop Header: Depth=2
	s_delay_alu instid0(VALU_DEP_1)
	v_cmp_gt_u32_e32 vcc_lo, s36, v32
	v_mov_b32_e32 v14, 0
	s_and_saveexec_b32 s88, vcc_lo
	s_cbranch_execz .LBB36_136
; %bb.135:                              ;   in Loop: Header=BB36_134 Depth=2
	v_lshlrev_b64 v[1:2], 2, v[7:8]
	s_delay_alu instid0(VALU_DEP_1) | instskip(NEXT) | instid1(VALU_DEP_1)
	v_add_co_u32 v1, s11, s33, v1
	v_add_co_ci_u32_e64 v2, s11, s43, v2, s11
	global_load_b32 v14, v[1:2], off
.LBB36_136:                             ;   in Loop: Header=BB36_134 Depth=2
	s_or_b32 exec_lo, exec_lo, s88
	s_and_saveexec_b32 s11, vcc_lo
	s_cbranch_execz .LBB36_133
; %bb.137:                              ;   in Loop: Header=BB36_134 Depth=2
	s_waitcnt vmcnt(0)
	v_xor_b32_e32 v1, 0x80000000, v14
	s_delay_alu instid0(VALU_DEP_1) | instskip(NEXT) | instid1(VALU_DEP_1)
	v_and_b32_e32 v1, v1, v4
	v_cmp_eq_u32_e32 vcc_lo, v1, v3
	s_and_b32 exec_lo, exec_lo, vcc_lo
	s_cbranch_execz .LBB36_133
; %bb.138:                              ;   in Loop: Header=BB36_134 Depth=2
	ds_store_b64 v8, v[13:14] offset:3072
	s_branch .LBB36_133
.LBB36_139:                             ;   in Loop: Header=BB36_6 Depth=1
	s_set_inst_prefetch_distance 0x2
	s_or_b32 exec_lo, exec_lo, s26
	s_delay_alu instid0(SALU_CYCLE_1)
	s_and_b32 s88, s27, exec_lo
.LBB36_140:                             ;   in Loop: Header=BB36_6 Depth=1
	s_or_b32 exec_lo, exec_lo, s25
	s_mov_b32 s27, -1
	s_mov_b32 s25, 0
	s_mov_b32 s26, 0
.LBB36_141:                             ;   in Loop: Header=BB36_6 Depth=1
	s_or_not1_b32 s11, s88, exec_lo
.LBB36_142:                             ;   in Loop: Header=BB36_6 Depth=1
	s_or_b32 exec_lo, exec_lo, s28
	s_mov_b32 s88, 0
                                        ; implicit-def: $vgpr1
	s_and_saveexec_b32 s28, s11
	s_cbranch_execz .LBB36_235
; %bb.143:                              ;   in Loop: Header=BB36_6 Depth=1
	v_dual_mov_b32 v32, 1 :: v_dual_mov_b32 v1, 1
	s_xor_b32 s29, s29, -1
	s_mov_b32 s89, 0
	s_and_saveexec_b32 s11, s29
	s_cbranch_execz .LBB36_153
; %bb.144:                              ;   in Loop: Header=BB36_6 Depth=1
	s_mov_b32 s88, exec_lo
                                        ; implicit-def: $sgpr89
                                        ; implicit-def: $sgpr29
	v_cmpx_ge_u32_e64 s16, v31
	s_xor_b32 s88, exec_lo, s88
	s_cbranch_execz .LBB36_150
; %bb.145:                              ;   in Loop: Header=BB36_6 Depth=1
	ds_load_b32 v1, v8 offset:4096
	s_waitcnt lgkmcnt(0)
	v_cmp_ne_u32_e32 vcc_lo, 0, v1
	s_cbranch_vccnz .LBB36_149
; %bb.146:                              ;   in Loop: Header=BB36_6 Depth=1
	s_and_saveexec_b32 s29, s5
	s_cbranch_execz .LBB36_148
; %bb.147:                              ;   in Loop: Header=BB36_6 Depth=1
	v_mov_b32_e32 v1, s16
	ds_store_b32 v8, v1 offset:4100
.LBB36_148:                             ;   in Loop: Header=BB36_6 Depth=1
	s_or_b32 exec_lo, exec_lo, s29
	s_waitcnt lgkmcnt(0)
	s_barrier
	buffer_gl0_inv
.LBB36_149:                             ;   in Loop: Header=BB36_6 Depth=1
	s_lshl_b32 s29, 1, s17
	v_or_b32_e32 v4, s13, v4
	v_and_or_b32 v3, v3, s14, s29
	s_mov_b32 s29, 0
	s_mov_b32 s89, 8
.LBB36_150:                             ;   in Loop: Header=BB36_6 Depth=1
	s_or_saveexec_b32 s88, s88
	v_mov_b32_e32 v1, s89
	s_xor_b32 exec_lo, exec_lo, s88
; %bb.151:                              ;   in Loop: Header=BB36_6 Depth=1
	v_subrev_nc_u32_e32 v31, s16, v31
	v_mov_b32_e32 v1, 0
	s_or_b32 s29, s29, exec_lo
; %bb.152:                              ;   in Loop: Header=BB36_6 Depth=1
	s_or_b32 exec_lo, exec_lo, s88
	s_delay_alu instid0(VALU_DEP_2)
	v_mov_b32_e32 v32, v31
	s_and_b32 s89, s29, exec_lo
.LBB36_153:                             ;   in Loop: Header=BB36_6 Depth=1
	s_or_b32 exec_lo, exec_lo, s11
	s_mov_b32 s11, -1
                                        ; implicit-def: $sgpr88
                                        ; implicit-def: $sgpr90
                                        ; implicit-def: $sgpr91
	s_and_saveexec_b32 s29, s89
	s_cbranch_execz .LBB36_234
; %bb.154:                              ;   in Loop: Header=BB36_6 Depth=1
	v_cmp_eq_u32_e32 vcc_lo, 1, v32
	s_cmp_eq_u32 s18, 1
                                        ; implicit-def: $sgpr88
                                        ; implicit-def: $sgpr90
                                        ; implicit-def: $sgpr89
	s_cselect_b32 s11, -1, 0
	s_delay_alu instid0(SALU_CYCLE_1)
	s_and_b32 s92, s11, vcc_lo
	s_mov_b32 s11, -1
	s_and_saveexec_b32 s91, s92
	s_cbranch_execz .LBB36_180
; %bb.155:                              ;   in Loop: Header=BB36_6 Depth=1
	ds_load_b32 v1, v8 offset:4096
	s_waitcnt lgkmcnt(0)
	s_barrier
	buffer_gl0_inv
	v_readfirstlane_b32 s11, v1
	s_and_saveexec_b32 s88, s6
	s_cbranch_execz .LBB36_157
; %bb.156:                              ;   in Loop: Header=BB36_6 Depth=1
	ds_store_b32 v21, v8
.LBB36_157:                             ;   in Loop: Header=BB36_6 Depth=1
	s_or_b32 exec_lo, exec_lo, s88
	s_lshl_b32 s88, 2, s17
	v_or_b32_e32 v4, s13, v4
	v_and_or_b32 v3, v3, s14, s88
	s_cmp_eq_u32 s11, 0
	s_waitcnt lgkmcnt(0)
	s_barrier
	buffer_gl0_inv
	s_cbranch_scc1 .LBB36_166
; %bb.158:                              ;   in Loop: Header=BB36_6 Depth=1
	s_add_i32 s88, s11, s65
	s_mov_b32 s93, 0
	s_mul_hi_u32 s89, s88, s72
                                        ; implicit-def: $vgpr2
	s_delay_alu instid0(SALU_CYCLE_1) | instskip(NEXT) | instid1(SALU_CYCLE_1)
	s_mul_i32 s89, s89, s47
	s_sub_i32 s89, s88, s89
	s_delay_alu instid0(SALU_CYCLE_1) | instskip(SKIP_2) | instid1(SALU_CYCLE_1)
	s_sub_i32 s90, s89, s47
	s_cmp_ge_u32 s89, s47
	s_cselect_b32 s89, s90, s89
	s_sub_i32 s90, s89, s47
	s_cmp_ge_u32 s89, s47
	s_cselect_b32 s89, s90, s89
	s_delay_alu instid0(SALU_CYCLE_1)
	s_sub_i32 s89, s88, s89
	s_mov_b32 s88, exec_lo
	v_cmpx_gt_u32_e64 s89, v0
	s_cbranch_execz .LBB36_168
; %bb.159:                              ;   in Loop: Header=BB36_6 Depth=1
	v_mov_b32_e32 v7, v18
	v_mov_b32_e32 v31, v0
	s_mov_b32 s90, 0
                                        ; implicit-def: $sgpr93
	s_set_inst_prefetch_distance 0x1
	s_branch .LBB36_161
	.p2align	6
.LBB36_160:                             ;   in Loop: Header=BB36_161 Depth=2
	s_or_b32 exec_lo, exec_lo, s94
	s_waitcnt lgkmcnt(0)
	s_barrier
	buffer_gl0_inv
	ds_load_b64 v[1:2], v8 offset:3072
	v_add_nc_u32_e32 v31, s47, v31
	v_add_nc_u32_e32 v7, s61, v7
	s_waitcnt lgkmcnt(0)
	s_barrier
	buffer_gl0_inv
	v_cmp_le_u32_e32 vcc_lo, s89, v31
	v_readfirstlane_b32 s94, v1
	s_delay_alu instid0(VALU_DEP_1) | instskip(SKIP_1) | instid1(SALU_CYCLE_1)
	s_cmp_lg_u32 s94, 0
	s_cselect_b32 s94, -1, 0
	s_or_b32 s95, vcc_lo, s94
	s_delay_alu instid0(SALU_CYCLE_1) | instskip(NEXT) | instid1(SALU_CYCLE_1)
	s_and_b32 s95, exec_lo, s95
	s_or_b32 s90, s95, s90
	s_and_not1_b32 s93, s93, exec_lo
	s_and_b32 s94, s94, exec_lo
	s_delay_alu instid0(SALU_CYCLE_1)
	s_or_b32 s93, s93, s94
	s_and_not1_b32 exec_lo, exec_lo, s90
	s_cbranch_execz .LBB36_167
.LBB36_161:                             ;   Parent Loop BB36_6 Depth=1
                                        ; =>  This Inner Loop Header: Depth=2
	s_delay_alu instid0(VALU_DEP_1)
	v_cmp_gt_u32_e32 vcc_lo, s11, v31
	v_mov_b32_e32 v14, 0
	s_and_saveexec_b32 s94, vcc_lo
	s_cbranch_execz .LBB36_163
; %bb.162:                              ;   in Loop: Header=BB36_161 Depth=2
	ds_load_b32 v14, v7
.LBB36_163:                             ;   in Loop: Header=BB36_161 Depth=2
	s_or_b32 exec_lo, exec_lo, s94
	s_and_saveexec_b32 s94, vcc_lo
	s_cbranch_execz .LBB36_160
; %bb.164:                              ;   in Loop: Header=BB36_161 Depth=2
	s_waitcnt lgkmcnt(0)
	v_xor_b32_e32 v1, 0x80000000, v14
	s_delay_alu instid0(VALU_DEP_1) | instskip(NEXT) | instid1(VALU_DEP_1)
	v_and_b32_e32 v1, v1, v4
	v_cmp_eq_u32_e32 vcc_lo, v1, v3
	s_and_b32 exec_lo, exec_lo, vcc_lo
	s_cbranch_execz .LBB36_160
; %bb.165:                              ;   in Loop: Header=BB36_161 Depth=2
	ds_store_b64 v8, v[13:14] offset:3072
	s_branch .LBB36_160
.LBB36_166:                             ;   in Loop: Header=BB36_6 Depth=1
	s_mov_b32 s88, -1
	s_mov_b32 s93, 0
                                        ; implicit-def: $sgpr89
                                        ; implicit-def: $vgpr2
	s_mov_b32 s90, s88
	s_cbranch_execnz .LBB36_169
	s_branch .LBB36_179
.LBB36_167:                             ;   in Loop: Header=BB36_6 Depth=1
	s_set_inst_prefetch_distance 0x2
	s_or_b32 exec_lo, exec_lo, s90
	s_delay_alu instid0(SALU_CYCLE_1)
	s_and_b32 s93, s93, exec_lo
.LBB36_168:                             ;   in Loop: Header=BB36_6 Depth=1
	s_or_b32 exec_lo, exec_lo, s88
	s_mov_b32 s89, -1
	s_mov_b32 s88, 0
	s_delay_alu instid0(SALU_CYCLE_1)
	s_mov_b32 s90, s88
	s_branch .LBB36_179
.LBB36_169:                             ;   in Loop: Header=BB36_6 Depth=1
	s_mov_b32 s93, 0
                                        ; implicit-def: $vgpr2
	s_and_saveexec_b32 s88, s9
	s_cbranch_execz .LBB36_178
; %bb.170:                              ;   in Loop: Header=BB36_6 Depth=1
	v_mov_b32_e32 v7, v9
	v_mov_b32_e32 v31, v0
	s_mov_b32 s89, 0
                                        ; implicit-def: $sgpr90
	s_set_inst_prefetch_distance 0x1
	s_branch .LBB36_172
	.p2align	6
.LBB36_171:                             ;   in Loop: Header=BB36_172 Depth=2
	s_or_b32 exec_lo, exec_lo, s11
	s_waitcnt vmcnt(0) lgkmcnt(0)
	s_barrier
	buffer_gl0_inv
	ds_load_b64 v[1:2], v8 offset:3072
	v_add_nc_u32_e32 v31, s47, v31
	v_add_nc_u32_e32 v7, s53, v7
	s_waitcnt lgkmcnt(0)
	s_barrier
	buffer_gl0_inv
	v_cmp_le_u32_e32 vcc_lo, s73, v31
	v_readfirstlane_b32 s11, v1
	s_delay_alu instid0(VALU_DEP_1) | instskip(SKIP_1) | instid1(SALU_CYCLE_1)
	s_cmp_lg_u32 s11, 0
	s_cselect_b32 s11, -1, 0
	s_or_b32 s93, vcc_lo, s11
	s_delay_alu instid0(SALU_CYCLE_1) | instskip(NEXT) | instid1(SALU_CYCLE_1)
	s_and_b32 s93, exec_lo, s93
	s_or_b32 s89, s93, s89
	s_and_not1_b32 s90, s90, exec_lo
	s_and_b32 s11, s11, exec_lo
	s_delay_alu instid0(SALU_CYCLE_1)
	s_or_b32 s90, s90, s11
	s_and_not1_b32 exec_lo, exec_lo, s89
	s_cbranch_execz .LBB36_177
.LBB36_172:                             ;   Parent Loop BB36_6 Depth=1
                                        ; =>  This Inner Loop Header: Depth=2
	s_delay_alu instid0(VALU_DEP_1)
	v_cmp_gt_u32_e32 vcc_lo, s36, v31
	v_mov_b32_e32 v14, 0
	s_and_saveexec_b32 s93, vcc_lo
	s_cbranch_execz .LBB36_174
; %bb.173:                              ;   in Loop: Header=BB36_172 Depth=2
	v_lshlrev_b64 v[1:2], 2, v[7:8]
	s_delay_alu instid0(VALU_DEP_1) | instskip(NEXT) | instid1(VALU_DEP_1)
	v_add_co_u32 v1, s11, s33, v1
	v_add_co_ci_u32_e64 v2, s11, s43, v2, s11
	global_load_b32 v14, v[1:2], off
.LBB36_174:                             ;   in Loop: Header=BB36_172 Depth=2
	s_or_b32 exec_lo, exec_lo, s93
	s_and_saveexec_b32 s11, vcc_lo
	s_cbranch_execz .LBB36_171
; %bb.175:                              ;   in Loop: Header=BB36_172 Depth=2
	s_waitcnt vmcnt(0)
	v_xor_b32_e32 v1, 0x80000000, v14
	s_delay_alu instid0(VALU_DEP_1) | instskip(NEXT) | instid1(VALU_DEP_1)
	v_and_b32_e32 v1, v1, v4
	v_cmp_eq_u32_e32 vcc_lo, v1, v3
	s_and_b32 exec_lo, exec_lo, vcc_lo
	s_cbranch_execz .LBB36_171
; %bb.176:                              ;   in Loop: Header=BB36_172 Depth=2
	ds_store_b64 v8, v[13:14] offset:3072
	s_branch .LBB36_171
.LBB36_177:                             ;   in Loop: Header=BB36_6 Depth=1
	s_set_inst_prefetch_distance 0x2
	s_or_b32 exec_lo, exec_lo, s89
	s_delay_alu instid0(SALU_CYCLE_1)
	s_and_b32 s93, s90, exec_lo
.LBB36_178:                             ;   in Loop: Header=BB36_6 Depth=1
	s_or_b32 exec_lo, exec_lo, s88
	s_mov_b32 s90, -1
	s_mov_b32 s88, 0
	s_mov_b32 s89, 0
.LBB36_179:                             ;   in Loop: Header=BB36_6 Depth=1
	s_or_not1_b32 s11, s93, exec_lo
.LBB36_180:                             ;   in Loop: Header=BB36_6 Depth=1
	s_or_b32 exec_lo, exec_lo, s91
	s_mov_b32 s93, 0
                                        ; implicit-def: $vgpr1
	s_and_saveexec_b32 s91, s11
	s_cbranch_execz .LBB36_233
; %bb.181:                              ;   in Loop: Header=BB36_6 Depth=1
	v_mov_b32_e32 v31, 1
	v_mov_b32_e32 v1, 1
	s_xor_b32 s92, s92, -1
	s_mov_b32 s94, 0
	s_and_saveexec_b32 s11, s92
	s_cbranch_execz .LBB36_191
; %bb.182:                              ;   in Loop: Header=BB36_6 Depth=1
	s_mov_b32 s93, exec_lo
                                        ; implicit-def: $sgpr94
                                        ; implicit-def: $sgpr92
	v_cmpx_ge_u32_e64 s18, v32
	s_xor_b32 s93, exec_lo, s93
	s_cbranch_execz .LBB36_188
; %bb.183:                              ;   in Loop: Header=BB36_6 Depth=1
	ds_load_b32 v1, v8 offset:4096
	s_waitcnt lgkmcnt(0)
	v_cmp_ne_u32_e32 vcc_lo, 0, v1
	s_cbranch_vccnz .LBB36_187
; %bb.184:                              ;   in Loop: Header=BB36_6 Depth=1
	s_and_saveexec_b32 s92, s5
	s_cbranch_execz .LBB36_186
; %bb.185:                              ;   in Loop: Header=BB36_6 Depth=1
	v_mov_b32_e32 v1, s18
	ds_store_b32 v8, v1 offset:4100
.LBB36_186:                             ;   in Loop: Header=BB36_6 Depth=1
	s_or_b32 exec_lo, exec_lo, s92
	s_waitcnt lgkmcnt(0)
	s_barrier
	buffer_gl0_inv
.LBB36_187:                             ;   in Loop: Header=BB36_6 Depth=1
	s_lshl_b32 s92, 2, s17
	v_or_b32_e32 v4, s13, v4
	v_and_or_b32 v3, v3, s14, s92
	s_mov_b32 s92, 0
	s_mov_b32 s94, 8
.LBB36_188:                             ;   in Loop: Header=BB36_6 Depth=1
	s_or_saveexec_b32 s93, s93
	v_mov_b32_e32 v1, s94
	s_xor_b32 exec_lo, exec_lo, s93
; %bb.189:                              ;   in Loop: Header=BB36_6 Depth=1
	v_subrev_nc_u32_e32 v32, s18, v32
	v_mov_b32_e32 v1, 0
	s_or_b32 s92, s92, exec_lo
; %bb.190:                              ;   in Loop: Header=BB36_6 Depth=1
	s_or_b32 exec_lo, exec_lo, s93
	s_delay_alu instid0(VALU_DEP_2)
	v_mov_b32_e32 v31, v32
	s_and_b32 s94, s92, exec_lo
.LBB36_191:                             ;   in Loop: Header=BB36_6 Depth=1
	s_or_b32 exec_lo, exec_lo, s11
	s_mov_b32 s93, -1
                                        ; implicit-def: $sgpr11
                                        ; implicit-def: $sgpr96
                                        ; implicit-def: $sgpr95
	s_and_saveexec_b32 s92, s94
	s_cbranch_execz .LBB36_232
; %bb.192:                              ;   in Loop: Header=BB36_6 Depth=1
	v_cmp_eq_u32_e32 vcc_lo, 1, v31
	s_cmp_eq_u32 s19, 1
	s_mov_b32 s97, -1
	s_cselect_b32 s11, -1, 0
                                        ; implicit-def: $sgpr96
                                        ; implicit-def: $sgpr95
	s_delay_alu instid0(SALU_CYCLE_1) | instskip(NEXT) | instid1(SALU_CYCLE_1)
	s_and_b32 s93, s11, vcc_lo
                                        ; implicit-def: $sgpr11
	s_and_saveexec_b32 s94, s93
	s_cbranch_execz .LBB36_219
; %bb.193:                              ;   in Loop: Header=BB36_6 Depth=1
	ds_load_b32 v1, v8 offset:4096
	s_waitcnt lgkmcnt(0)
	s_barrier
	buffer_gl0_inv
	v_readfirstlane_b32 s11, v1
	s_and_saveexec_b32 s95, s6
	s_cbranch_execz .LBB36_195
; %bb.194:                              ;   in Loop: Header=BB36_6 Depth=1
	ds_store_b32 v21, v8
.LBB36_195:                             ;   in Loop: Header=BB36_6 Depth=1
	s_or_b32 exec_lo, exec_lo, s95
	v_or_b32_e32 v3, s13, v3
	v_or_b32_e32 v4, s13, v4
	s_cmp_eq_u32 s11, 0
	s_waitcnt lgkmcnt(0)
	s_barrier
	buffer_gl0_inv
	s_cbranch_scc1 .LBB36_204
; %bb.196:                              ;   in Loop: Header=BB36_6 Depth=1
	s_add_i32 s95, s11, s65
                                        ; implicit-def: $vgpr2
	s_delay_alu instid0(SALU_CYCLE_1) | instskip(NEXT) | instid1(SALU_CYCLE_1)
	s_mul_hi_u32 s96, s95, s72
	s_mul_i32 s96, s96, s47
	s_delay_alu instid0(SALU_CYCLE_1) | instskip(NEXT) | instid1(SALU_CYCLE_1)
	s_sub_i32 s96, s95, s96
	s_sub_i32 s97, s96, s47
	s_cmp_ge_u32 s96, s47
	s_cselect_b32 s96, s97, s96
	s_delay_alu instid0(SALU_CYCLE_1)
	s_sub_i32 s97, s96, s47
	s_cmp_ge_u32 s96, s47
	s_cselect_b32 s96, s97, s96
	s_mov_b32 s97, 0
	s_sub_i32 s96, s95, s96
	s_mov_b32 s95, exec_lo
	v_cmpx_gt_u32_e64 s96, v0
	s_cbranch_execz .LBB36_206
; %bb.197:                              ;   in Loop: Header=BB36_6 Depth=1
	v_dual_mov_b32 v7, v18 :: v_dual_mov_b32 v32, v0
                                        ; implicit-def: $sgpr98
	s_set_inst_prefetch_distance 0x1
	s_branch .LBB36_199
	.p2align	6
.LBB36_198:                             ;   in Loop: Header=BB36_199 Depth=2
	s_or_b32 exec_lo, exec_lo, s99
	s_waitcnt lgkmcnt(0)
	s_barrier
	buffer_gl0_inv
	ds_load_b64 v[1:2], v8 offset:3072
	v_add_nc_u32_e32 v32, s47, v32
	v_add_nc_u32_e32 v7, s61, v7
	s_waitcnt lgkmcnt(0)
	s_barrier
	buffer_gl0_inv
	v_cmp_le_u32_e32 vcc_lo, s96, v32
	v_readfirstlane_b32 s99, v1
	s_delay_alu instid0(VALU_DEP_1) | instskip(SKIP_1) | instid1(SALU_CYCLE_1)
	s_cmp_lg_u32 s99, 0
	s_cselect_b32 s99, -1, 0
	s_or_b32 s100, vcc_lo, s99
	s_delay_alu instid0(SALU_CYCLE_1) | instskip(NEXT) | instid1(SALU_CYCLE_1)
	s_and_b32 s100, exec_lo, s100
	s_or_b32 s97, s100, s97
	s_and_not1_b32 s98, s98, exec_lo
	s_and_b32 s99, s99, exec_lo
	s_delay_alu instid0(SALU_CYCLE_1)
	s_or_b32 s98, s98, s99
	s_and_not1_b32 exec_lo, exec_lo, s97
	s_cbranch_execz .LBB36_205
.LBB36_199:                             ;   Parent Loop BB36_6 Depth=1
                                        ; =>  This Inner Loop Header: Depth=2
	s_delay_alu instid0(VALU_DEP_1)
	v_cmp_gt_u32_e32 vcc_lo, s11, v32
	v_mov_b32_e32 v14, 0
	s_and_saveexec_b32 s99, vcc_lo
	s_cbranch_execz .LBB36_201
; %bb.200:                              ;   in Loop: Header=BB36_199 Depth=2
	ds_load_b32 v14, v7
.LBB36_201:                             ;   in Loop: Header=BB36_199 Depth=2
	s_or_b32 exec_lo, exec_lo, s99
	s_and_saveexec_b32 s99, vcc_lo
	s_cbranch_execz .LBB36_198
; %bb.202:                              ;   in Loop: Header=BB36_199 Depth=2
	s_waitcnt lgkmcnt(0)
	v_xor_b32_e32 v1, 0x80000000, v14
	s_delay_alu instid0(VALU_DEP_1) | instskip(NEXT) | instid1(VALU_DEP_1)
	v_and_b32_e32 v1, v1, v4
	v_cmp_eq_u32_e32 vcc_lo, v1, v3
	s_and_b32 exec_lo, exec_lo, vcc_lo
	s_cbranch_execz .LBB36_198
; %bb.203:                              ;   in Loop: Header=BB36_199 Depth=2
	ds_store_b64 v8, v[13:14] offset:3072
	s_branch .LBB36_198
.LBB36_204:                             ;   in Loop: Header=BB36_6 Depth=1
	s_mov_b32 s11, -1
	s_mov_b32 s97, 0
                                        ; implicit-def: $sgpr95
                                        ; implicit-def: $vgpr2
	s_branch .LBB36_207
.LBB36_205:                             ;   in Loop: Header=BB36_6 Depth=1
	s_set_inst_prefetch_distance 0x2
	s_or_b32 exec_lo, exec_lo, s97
	s_delay_alu instid0(SALU_CYCLE_1)
	s_and_b32 s97, s98, exec_lo
.LBB36_206:                             ;   in Loop: Header=BB36_6 Depth=1
	s_or_b32 exec_lo, exec_lo, s95
	s_mov_b32 s95, -1
	s_mov_b32 s11, 0
.LBB36_207:                             ;   in Loop: Header=BB36_6 Depth=1
	s_delay_alu instid0(SALU_CYCLE_1)
	s_and_b32 vcc_lo, exec_lo, s11
	s_mov_b32 s96, s11
	s_cbranch_vccz .LBB36_218
; %bb.208:                              ;   in Loop: Header=BB36_6 Depth=1
	s_mov_b32 s97, 0
                                        ; implicit-def: $vgpr2
	s_and_saveexec_b32 s95, s9
	s_cbranch_execz .LBB36_217
; %bb.209:                              ;   in Loop: Header=BB36_6 Depth=1
	v_dual_mov_b32 v7, v9 :: v_dual_mov_b32 v32, v0
	s_mov_b32 s96, 0
                                        ; implicit-def: $sgpr97
	s_set_inst_prefetch_distance 0x1
	s_branch .LBB36_211
	.p2align	6
.LBB36_210:                             ;   in Loop: Header=BB36_211 Depth=2
	s_or_b32 exec_lo, exec_lo, s11
	s_waitcnt vmcnt(0) lgkmcnt(0)
	s_barrier
	buffer_gl0_inv
	ds_load_b64 v[1:2], v8 offset:3072
	v_add_nc_u32_e32 v32, s47, v32
	v_add_nc_u32_e32 v7, s53, v7
	s_waitcnt lgkmcnt(0)
	s_barrier
	buffer_gl0_inv
	v_cmp_le_u32_e32 vcc_lo, s73, v32
	v_readfirstlane_b32 s11, v1
	s_delay_alu instid0(VALU_DEP_1) | instskip(SKIP_1) | instid1(SALU_CYCLE_1)
	s_cmp_lg_u32 s11, 0
	s_cselect_b32 s11, -1, 0
	s_or_b32 s98, vcc_lo, s11
	s_delay_alu instid0(SALU_CYCLE_1) | instskip(NEXT) | instid1(SALU_CYCLE_1)
	s_and_b32 s98, exec_lo, s98
	s_or_b32 s96, s98, s96
	s_and_not1_b32 s97, s97, exec_lo
	s_and_b32 s11, s11, exec_lo
	s_delay_alu instid0(SALU_CYCLE_1)
	s_or_b32 s97, s97, s11
	s_and_not1_b32 exec_lo, exec_lo, s96
	s_cbranch_execz .LBB36_216
.LBB36_211:                             ;   Parent Loop BB36_6 Depth=1
                                        ; =>  This Inner Loop Header: Depth=2
	s_delay_alu instid0(VALU_DEP_1)
	v_cmp_gt_u32_e32 vcc_lo, s36, v32
	v_mov_b32_e32 v14, 0
	s_and_saveexec_b32 s98, vcc_lo
	s_cbranch_execz .LBB36_213
; %bb.212:                              ;   in Loop: Header=BB36_211 Depth=2
	v_lshlrev_b64 v[1:2], 2, v[7:8]
	s_delay_alu instid0(VALU_DEP_1) | instskip(NEXT) | instid1(VALU_DEP_1)
	v_add_co_u32 v1, s11, s33, v1
	v_add_co_ci_u32_e64 v2, s11, s43, v2, s11
	global_load_b32 v14, v[1:2], off
.LBB36_213:                             ;   in Loop: Header=BB36_211 Depth=2
	s_or_b32 exec_lo, exec_lo, s98
	s_and_saveexec_b32 s11, vcc_lo
	s_cbranch_execz .LBB36_210
; %bb.214:                              ;   in Loop: Header=BB36_211 Depth=2
	s_waitcnt vmcnt(0)
	v_xor_b32_e32 v1, 0x80000000, v14
	s_delay_alu instid0(VALU_DEP_1) | instskip(NEXT) | instid1(VALU_DEP_1)
	v_and_b32_e32 v1, v1, v4
	v_cmp_eq_u32_e32 vcc_lo, v1, v3
	s_and_b32 exec_lo, exec_lo, vcc_lo
	s_cbranch_execz .LBB36_210
; %bb.215:                              ;   in Loop: Header=BB36_211 Depth=2
	ds_store_b64 v8, v[13:14] offset:3072
	s_branch .LBB36_210
.LBB36_216:                             ;   in Loop: Header=BB36_6 Depth=1
	s_set_inst_prefetch_distance 0x2
	s_or_b32 exec_lo, exec_lo, s96
	s_delay_alu instid0(SALU_CYCLE_1)
	s_and_b32 s97, s97, exec_lo
.LBB36_217:                             ;   in Loop: Header=BB36_6 Depth=1
	s_or_b32 exec_lo, exec_lo, s95
	s_mov_b32 s96, -1
	s_mov_b32 s11, 0
	s_mov_b32 s95, 0
.LBB36_218:                             ;   in Loop: Header=BB36_6 Depth=1
	s_or_not1_b32 s97, s97, exec_lo
.LBB36_219:                             ;   in Loop: Header=BB36_6 Depth=1
	s_or_b32 exec_lo, exec_lo, s94
	s_mov_b32 s98, 0
                                        ; implicit-def: $vgpr1
                                        ; implicit-def: $vgpr7
	s_and_saveexec_b32 s94, s97
	s_cbranch_execz .LBB36_231
; %bb.220:                              ;   in Loop: Header=BB36_6 Depth=1
	v_mov_b32_e32 v1, 1
	v_mov_b32_e32 v7, 1
	s_xor_b32 s97, s93, -1
	s_delay_alu instid0(SALU_CYCLE_1)
	s_and_saveexec_b32 s93, s97
	s_cbranch_execz .LBB36_230
; %bb.221:                              ;   in Loop: Header=BB36_6 Depth=1
	s_mov_b32 s97, exec_lo
                                        ; implicit-def: $sgpr98
	v_cmpx_ge_u32_e64 s19, v31
	s_xor_b32 s97, exec_lo, s97
	s_cbranch_execz .LBB36_227
; %bb.222:                              ;   in Loop: Header=BB36_6 Depth=1
	ds_load_b32 v1, v8 offset:4096
	s_waitcnt lgkmcnt(0)
	v_cmp_ne_u32_e32 vcc_lo, 0, v1
	s_cbranch_vccnz .LBB36_226
; %bb.223:                              ;   in Loop: Header=BB36_6 Depth=1
	s_and_saveexec_b32 s98, s5
	s_cbranch_execz .LBB36_225
; %bb.224:                              ;   in Loop: Header=BB36_6 Depth=1
	v_mov_b32_e32 v1, s19
	ds_store_b32 v8, v1 offset:4100
.LBB36_225:                             ;   in Loop: Header=BB36_6 Depth=1
	s_or_b32 exec_lo, exec_lo, s98
	s_waitcnt lgkmcnt(0)
	s_barrier
	buffer_gl0_inv
.LBB36_226:                             ;   in Loop: Header=BB36_6 Depth=1
	v_or_b32_e32 v3, s13, v3
	v_or_b32_e32 v4, s13, v4
	s_mov_b32 s98, 8
.LBB36_227:                             ;   in Loop: Header=BB36_6 Depth=1
	s_or_saveexec_b32 s97, s97
	v_mov_b32_e32 v1, s98
	s_xor_b32 exec_lo, exec_lo, s97
; %bb.228:                              ;   in Loop: Header=BB36_6 Depth=1
	v_subrev_nc_u32_e32 v31, s19, v31
	v_mov_b32_e32 v1, 8
; %bb.229:                              ;   in Loop: Header=BB36_6 Depth=1
	s_or_b32 exec_lo, exec_lo, s97
	s_delay_alu instid0(VALU_DEP_2)
	v_mov_b32_e32 v7, v31
.LBB36_230:                             ;   in Loop: Header=BB36_6 Depth=1
	s_or_b32 exec_lo, exec_lo, s93
	s_delay_alu instid0(SALU_CYCLE_1)
	s_mov_b32 s98, exec_lo
.LBB36_231:                             ;   in Loop: Header=BB36_6 Depth=1
	s_or_b32 exec_lo, exec_lo, s94
	s_delay_alu instid0(VALU_DEP_1)
	v_mov_b32_e32 v31, v7
	s_or_not1_b32 s93, s98, exec_lo
.LBB36_232:                             ;   in Loop: Header=BB36_6 Depth=1
	s_or_b32 exec_lo, exec_lo, s92
	s_delay_alu instid0(SALU_CYCLE_1)
	s_and_not1_b32 s88, s88, exec_lo
	s_and_b32 s11, s11, exec_lo
	v_mov_b32_e32 v32, v31
	s_or_b32 s88, s88, s11
	s_and_not1_b32 s11, s90, exec_lo
	s_and_b32 s90, s96, exec_lo
	s_and_not1_b32 s89, s89, exec_lo
	s_and_b32 s92, s95, exec_lo
	s_or_b32 s90, s11, s90
	s_or_b32 s89, s89, s92
	s_and_b32 s93, s93, exec_lo
.LBB36_233:                             ;   in Loop: Header=BB36_6 Depth=1
	s_or_b32 exec_lo, exec_lo, s91
	s_delay_alu instid0(SALU_CYCLE_1)
	s_and_b32 s91, s88, exec_lo
	s_and_b32 s90, s90, exec_lo
	;; [unrolled: 1-line block ×3, first 2 shown]
	s_or_not1_b32 s11, s93, exec_lo
.LBB36_234:                             ;   in Loop: Header=BB36_6 Depth=1
	s_or_b32 exec_lo, exec_lo, s29
	s_delay_alu instid0(SALU_CYCLE_1)
	s_and_not1_b32 s25, s25, exec_lo
	s_and_b32 s29, s91, exec_lo
	v_mov_b32_e32 v31, v32
	s_or_b32 s25, s25, s29
	s_and_not1_b32 s27, s27, exec_lo
	s_and_b32 s29, s90, exec_lo
	s_and_not1_b32 s26, s26, exec_lo
	s_and_b32 s88, s88, exec_lo
	s_or_b32 s27, s27, s29
	s_or_b32 s26, s26, s88
	s_and_b32 s88, s11, exec_lo
.LBB36_235:                             ;   in Loop: Header=BB36_6 Depth=1
	s_or_b32 exec_lo, exec_lo, s28
	s_delay_alu instid0(SALU_CYCLE_1)
	s_and_b32 s28, s25, exec_lo
	s_and_b32 s27, s27, exec_lo
	;; [unrolled: 1-line block ×3, first 2 shown]
	s_or_not1_b32 s11, s88, exec_lo
.LBB36_236:                             ;   in Loop: Header=BB36_6 Depth=1
	s_or_b32 exec_lo, exec_lo, s20
	s_mov_b32 s20, 0
	s_mov_b32 s26, 0
	s_and_saveexec_b32 s29, s11
	s_delay_alu instid0(SALU_CYCLE_1)
	s_xor_b32 s29, exec_lo, s29
; %bb.237:                              ;   in Loop: Header=BB36_6 Depth=1
	v_cmp_ne_u32_e32 vcc_lo, 8, v1
	v_cmp_eq_u32_e64 s11, 8, v1
	s_and_not1_b32 s28, s28, exec_lo
	s_and_not1_b32 s27, s27, exec_lo
	;; [unrolled: 1-line block ×3, first 2 shown]
	s_and_b32 s26, vcc_lo, exec_lo
	s_and_b32 s20, s11, exec_lo
; %bb.238:                              ;   in Loop: Header=BB36_6 Depth=1
	s_or_b32 exec_lo, exec_lo, s29
	s_delay_alu instid0(SALU_CYCLE_1)
	s_and_not1_b32 s11, s15, exec_lo
	s_and_b32 s15, s28, exec_lo
	s_and_not1_b32 s21, s21, exec_lo
	s_or_b32 s15, s11, s15
	s_and_not1_b32 s11, s22, exec_lo
	s_and_b32 s22, s27, exec_lo
	s_and_b32 s25, s25, exec_lo
	s_or_b32 s22, s11, s22
	s_or_b32 s21, s21, s25
	s_and_b32 s11, s26, exec_lo
	s_and_b32 s20, s20, exec_lo
.LBB36_239:                             ;   in Loop: Header=BB36_6 Depth=1
	s_or_b32 exec_lo, exec_lo, s24
	s_delay_alu instid0(SALU_CYCLE_1)
	s_and_b32 vcc_lo, exec_lo, s23
	s_cbranch_vccz .LBB36_86
.LBB36_240:                             ;   in Loop: Header=BB36_6 Depth=1
	s_cmp_eq_u32 s19, 1
                                        ; implicit-def: $sgpr23
                                        ; implicit-def: $sgpr24
	s_cselect_b32 s15, -1, 0
	s_delay_alu instid0(SALU_CYCLE_1)
	s_and_b32 s22, s15, s10
	s_mov_b32 s10, -1
                                        ; implicit-def: $sgpr15
	s_and_saveexec_b32 s21, s22
	s_cbranch_execz .LBB36_266
; %bb.241:                              ;   in Loop: Header=BB36_6 Depth=1
	ds_load_b32 v1, v8 offset:4096
	s_waitcnt lgkmcnt(0)
	s_barrier
	buffer_gl0_inv
	v_readfirstlane_b32 s10, v1
	s_and_saveexec_b32 s15, s6
	s_cbranch_execz .LBB36_243
; %bb.242:                              ;   in Loop: Header=BB36_6 Depth=1
	ds_store_b32 v21, v8
.LBB36_243:                             ;   in Loop: Header=BB36_6 Depth=1
	s_or_b32 exec_lo, exec_lo, s15
	v_or_b32_e32 v29, s13, v29
	v_or_b32_e32 v28, s13, v28
	s_cmp_eq_u32 s10, 0
	s_waitcnt lgkmcnt(0)
	s_barrier
	buffer_gl0_inv
	s_cbranch_scc1 .LBB36_252
; %bb.244:                              ;   in Loop: Header=BB36_6 Depth=1
	s_add_i32 s15, s10, s65
	s_mov_b32 s25, 0
	s_mul_hi_u32 s23, s15, s72
                                        ; implicit-def: $vgpr15
	s_delay_alu instid0(SALU_CYCLE_1) | instskip(NEXT) | instid1(SALU_CYCLE_1)
	s_mul_i32 s23, s23, s47
	s_sub_i32 s23, s15, s23
	s_delay_alu instid0(SALU_CYCLE_1) | instskip(SKIP_2) | instid1(SALU_CYCLE_1)
	s_sub_i32 s24, s23, s47
	s_cmp_ge_u32 s23, s47
	s_cselect_b32 s23, s24, s23
	s_sub_i32 s24, s23, s47
	s_cmp_ge_u32 s23, s47
	s_cselect_b32 s23, s24, s23
	s_delay_alu instid0(SALU_CYCLE_1)
	s_sub_i32 s23, s15, s23
	s_mov_b32 s15, exec_lo
	v_cmpx_gt_u32_e64 s23, v0
	s_cbranch_execz .LBB36_254
; %bb.245:                              ;   in Loop: Header=BB36_6 Depth=1
	v_dual_mov_b32 v1, v18 :: v_dual_mov_b32 v2, v0
	s_mov_b32 s24, 0
                                        ; implicit-def: $sgpr25
	s_set_inst_prefetch_distance 0x1
	s_branch .LBB36_247
	.p2align	6
.LBB36_246:                             ;   in Loop: Header=BB36_247 Depth=2
	s_or_b32 exec_lo, exec_lo, s26
	s_waitcnt lgkmcnt(0)
	s_barrier
	buffer_gl0_inv
	ds_load_b64 v[14:15], v8 offset:3072
	v_add_nc_u32_e32 v2, s47, v2
	v_add_nc_u32_e32 v1, s61, v1
	s_waitcnt lgkmcnt(0)
	s_barrier
	buffer_gl0_inv
	v_cmp_le_u32_e32 vcc_lo, s23, v2
	v_readfirstlane_b32 s26, v14
	s_delay_alu instid0(VALU_DEP_1) | instskip(SKIP_1) | instid1(SALU_CYCLE_1)
	s_cmp_lg_u32 s26, 0
	s_cselect_b32 s26, -1, 0
	s_or_b32 s27, vcc_lo, s26
	s_delay_alu instid0(SALU_CYCLE_1) | instskip(NEXT) | instid1(SALU_CYCLE_1)
	s_and_b32 s27, exec_lo, s27
	s_or_b32 s24, s27, s24
	s_and_not1_b32 s25, s25, exec_lo
	s_and_b32 s26, s26, exec_lo
	s_delay_alu instid0(SALU_CYCLE_1)
	s_or_b32 s25, s25, s26
	s_and_not1_b32 exec_lo, exec_lo, s24
	s_cbranch_execz .LBB36_253
.LBB36_247:                             ;   Parent Loop BB36_6 Depth=1
                                        ; =>  This Inner Loop Header: Depth=2
	s_delay_alu instid0(VALU_DEP_1)
	v_cmp_gt_u32_e32 vcc_lo, s10, v2
	v_mov_b32_e32 v14, 0
	s_and_saveexec_b32 s26, vcc_lo
	s_cbranch_execz .LBB36_249
; %bb.248:                              ;   in Loop: Header=BB36_247 Depth=2
	ds_load_b32 v14, v1
.LBB36_249:                             ;   in Loop: Header=BB36_247 Depth=2
	s_or_b32 exec_lo, exec_lo, s26
	s_and_saveexec_b32 s26, vcc_lo
	s_cbranch_execz .LBB36_246
; %bb.250:                              ;   in Loop: Header=BB36_247 Depth=2
	s_waitcnt lgkmcnt(0)
	v_xor_b32_e32 v3, 0x80000000, v14
	s_delay_alu instid0(VALU_DEP_1) | instskip(NEXT) | instid1(VALU_DEP_1)
	v_and_b32_e32 v3, v3, v28
	v_cmp_eq_u32_e32 vcc_lo, v3, v29
	s_and_b32 exec_lo, exec_lo, vcc_lo
	s_cbranch_execz .LBB36_246
; %bb.251:                              ;   in Loop: Header=BB36_247 Depth=2
	ds_store_b64 v8, v[13:14] offset:3072
	s_branch .LBB36_246
.LBB36_252:                             ;   in Loop: Header=BB36_6 Depth=1
	s_mov_b32 s23, -1
	s_mov_b32 s25, 0
                                        ; implicit-def: $sgpr24
                                        ; implicit-def: $vgpr15
	s_mov_b32 s15, s23
	s_cbranch_execnz .LBB36_255
	s_branch .LBB36_265
.LBB36_253:                             ;   in Loop: Header=BB36_6 Depth=1
	s_set_inst_prefetch_distance 0x2
	s_or_b32 exec_lo, exec_lo, s24
	s_delay_alu instid0(SALU_CYCLE_1)
	s_and_b32 s25, s25, exec_lo
.LBB36_254:                             ;   in Loop: Header=BB36_6 Depth=1
	s_or_b32 exec_lo, exec_lo, s15
	s_mov_b32 s23, 0
	s_mov_b32 s24, -1
	s_mov_b32 s15, s23
	s_branch .LBB36_265
.LBB36_255:                             ;   in Loop: Header=BB36_6 Depth=1
	s_mov_b32 s25, 0
                                        ; implicit-def: $vgpr15
	s_and_saveexec_b32 s15, s9
	s_cbranch_execz .LBB36_264
; %bb.256:                              ;   in Loop: Header=BB36_6 Depth=1
	v_mov_b32_e32 v7, v9
	v_mov_b32_e32 v1, v0
	s_mov_b32 s23, 0
                                        ; implicit-def: $sgpr24
	s_set_inst_prefetch_distance 0x1
	s_branch .LBB36_258
	.p2align	6
.LBB36_257:                             ;   in Loop: Header=BB36_258 Depth=2
	s_or_b32 exec_lo, exec_lo, s10
	s_waitcnt vmcnt(0) lgkmcnt(0)
	s_barrier
	buffer_gl0_inv
	ds_load_b64 v[14:15], v8 offset:3072
	v_add_nc_u32_e32 v1, s47, v1
	v_add_nc_u32_e32 v7, s53, v7
	s_waitcnt lgkmcnt(0)
	s_barrier
	buffer_gl0_inv
	v_cmp_le_u32_e32 vcc_lo, s73, v1
	v_readfirstlane_b32 s10, v14
	s_delay_alu instid0(VALU_DEP_1) | instskip(SKIP_1) | instid1(SALU_CYCLE_1)
	s_cmp_lg_u32 s10, 0
	s_cselect_b32 s10, -1, 0
	s_or_b32 s25, vcc_lo, s10
	s_delay_alu instid0(SALU_CYCLE_1) | instskip(NEXT) | instid1(SALU_CYCLE_1)
	s_and_b32 s25, exec_lo, s25
	s_or_b32 s23, s25, s23
	s_and_not1_b32 s24, s24, exec_lo
	s_and_b32 s10, s10, exec_lo
	s_delay_alu instid0(SALU_CYCLE_1)
	s_or_b32 s24, s24, s10
	s_and_not1_b32 exec_lo, exec_lo, s23
	s_cbranch_execz .LBB36_263
.LBB36_258:                             ;   Parent Loop BB36_6 Depth=1
                                        ; =>  This Inner Loop Header: Depth=2
	s_delay_alu instid0(VALU_DEP_1)
	v_cmp_gt_u32_e32 vcc_lo, s36, v1
	v_mov_b32_e32 v14, 0
	s_and_saveexec_b32 s25, vcc_lo
	s_cbranch_execz .LBB36_260
; %bb.259:                              ;   in Loop: Header=BB36_258 Depth=2
	v_lshlrev_b64 v[2:3], 2, v[7:8]
	s_delay_alu instid0(VALU_DEP_1) | instskip(NEXT) | instid1(VALU_DEP_1)
	v_add_co_u32 v2, s10, s33, v2
	v_add_co_ci_u32_e64 v3, s10, s43, v3, s10
	global_load_b32 v14, v[2:3], off
.LBB36_260:                             ;   in Loop: Header=BB36_258 Depth=2
	s_or_b32 exec_lo, exec_lo, s25
	s_and_saveexec_b32 s10, vcc_lo
	s_cbranch_execz .LBB36_257
; %bb.261:                              ;   in Loop: Header=BB36_258 Depth=2
	s_waitcnt vmcnt(0)
	v_xor_b32_e32 v2, 0x80000000, v14
	s_delay_alu instid0(VALU_DEP_1) | instskip(NEXT) | instid1(VALU_DEP_1)
	v_and_b32_e32 v2, v2, v28
	v_cmp_eq_u32_e32 vcc_lo, v2, v29
	s_and_b32 exec_lo, exec_lo, vcc_lo
	s_cbranch_execz .LBB36_257
; %bb.262:                              ;   in Loop: Header=BB36_258 Depth=2
	ds_store_b64 v8, v[13:14] offset:3072
	s_branch .LBB36_257
.LBB36_263:                             ;   in Loop: Header=BB36_6 Depth=1
	s_set_inst_prefetch_distance 0x2
	s_or_b32 exec_lo, exec_lo, s23
	s_delay_alu instid0(SALU_CYCLE_1)
	s_and_b32 s25, s24, exec_lo
.LBB36_264:                             ;   in Loop: Header=BB36_6 Depth=1
	s_or_b32 exec_lo, exec_lo, s15
	s_mov_b32 s24, 0
	s_mov_b32 s23, -1
	s_mov_b32 s15, 0
.LBB36_265:                             ;   in Loop: Header=BB36_6 Depth=1
	s_or_not1_b32 s10, s25, exec_lo
.LBB36_266:                             ;   in Loop: Header=BB36_6 Depth=1
	s_or_b32 exec_lo, exec_lo, s21
                                        ; implicit-def: $vgpr1
                                        ; implicit-def: $vgpr31
                                        ; implicit-def: $vgpr3
                                        ; implicit-def: $vgpr4
                                        ; implicit-def: $vgpr2
	s_and_saveexec_b32 s21, s10
	s_cbranch_execz .LBB36_401
; %bb.267:                              ;   in Loop: Header=BB36_6 Depth=1
	v_mov_b32_e32 v31, 1
	v_mov_b32_e32 v1, 1
	s_xor_b32 s22, s22, -1
	s_mov_b32 s28, 0
	s_and_saveexec_b32 s10, s22
	s_cbranch_execz .LBB36_277
; %bb.268:                              ;   in Loop: Header=BB36_6 Depth=1
	s_mov_b32 s25, exec_lo
                                        ; implicit-def: $sgpr26
                                        ; implicit-def: $sgpr22
	v_cmpx_ge_u32_e64 s19, v30
	s_xor_b32 s25, exec_lo, s25
	s_cbranch_execz .LBB36_274
; %bb.269:                              ;   in Loop: Header=BB36_6 Depth=1
	ds_load_b32 v1, v8 offset:4096
	s_waitcnt lgkmcnt(0)
	v_cmp_ne_u32_e32 vcc_lo, 0, v1
	s_cbranch_vccnz .LBB36_273
; %bb.270:                              ;   in Loop: Header=BB36_6 Depth=1
	s_and_saveexec_b32 s22, s5
	s_cbranch_execz .LBB36_272
; %bb.271:                              ;   in Loop: Header=BB36_6 Depth=1
	v_mov_b32_e32 v1, s19
	ds_store_b32 v8, v1 offset:4100
.LBB36_272:                             ;   in Loop: Header=BB36_6 Depth=1
	s_or_b32 exec_lo, exec_lo, s22
	s_waitcnt lgkmcnt(0)
	s_barrier
	buffer_gl0_inv
.LBB36_273:                             ;   in Loop: Header=BB36_6 Depth=1
	v_or_b32_e32 v29, s13, v29
	v_or_b32_e32 v28, s13, v28
	s_mov_b32 s22, 0
	s_mov_b32 s26, 5
.LBB36_274:                             ;   in Loop: Header=BB36_6 Depth=1
	s_or_saveexec_b32 s25, s25
	v_mov_b32_e32 v1, s26
	s_xor_b32 exec_lo, exec_lo, s25
; %bb.275:                              ;   in Loop: Header=BB36_6 Depth=1
	v_subrev_nc_u32_e32 v30, s19, v30
	v_mov_b32_e32 v1, 0
	s_or_b32 s22, s22, exec_lo
; %bb.276:                              ;   in Loop: Header=BB36_6 Depth=1
	s_or_b32 exec_lo, exec_lo, s25
	s_delay_alu instid0(VALU_DEP_2)
	v_mov_b32_e32 v31, v30
	s_and_b32 s28, s22, exec_lo
.LBB36_277:                             ;   in Loop: Header=BB36_6 Depth=1
	s_or_b32 exec_lo, exec_lo, s10
	s_mov_b32 s26, -1
                                        ; implicit-def: $sgpr22
                                        ; implicit-def: $sgpr25
                                        ; implicit-def: $sgpr27
	s_and_saveexec_b32 s10, s28
	s_delay_alu instid0(SALU_CYCLE_1)
	s_xor_b32 s19, exec_lo, s10
	s_cbranch_execz .LBB36_398
; %bb.278:                              ;   in Loop: Header=BB36_6 Depth=1
	v_cmp_eq_u32_e32 vcc_lo, 1, v31
	s_cmp_eq_u32 s18, 1
                                        ; implicit-def: $sgpr22
                                        ; implicit-def: $sgpr25
                                        ; implicit-def: $sgpr26
	s_cselect_b32 s10, -1, 0
	s_delay_alu instid0(SALU_CYCLE_1)
	s_and_b32 s28, s10, vcc_lo
	s_mov_b32 s10, -1
	s_and_saveexec_b32 s27, s28
	s_cbranch_execz .LBB36_304
; %bb.279:                              ;   in Loop: Header=BB36_6 Depth=1
	ds_load_b32 v1, v8 offset:4096
	s_waitcnt lgkmcnt(0)
	s_barrier
	buffer_gl0_inv
	v_readfirstlane_b32 s10, v1
	s_and_saveexec_b32 s22, s6
	s_cbranch_execz .LBB36_281
; %bb.280:                              ;   in Loop: Header=BB36_6 Depth=1
	ds_store_b32 v21, v8
.LBB36_281:                             ;   in Loop: Header=BB36_6 Depth=1
	s_or_b32 exec_lo, exec_lo, s22
	s_lshl_b32 s22, 2, s17
	v_or_b32_e32 v28, s13, v28
	v_and_or_b32 v29, v29, s14, s22
	s_cmp_eq_u32 s10, 0
	s_waitcnt lgkmcnt(0)
	s_barrier
	buffer_gl0_inv
	s_cbranch_scc1 .LBB36_290
; %bb.282:                              ;   in Loop: Header=BB36_6 Depth=1
	s_add_i32 s22, s10, s65
	s_mov_b32 s29, 0
	s_mul_hi_u32 s25, s22, s72
                                        ; implicit-def: $vgpr15
	s_delay_alu instid0(SALU_CYCLE_1) | instskip(NEXT) | instid1(SALU_CYCLE_1)
	s_mul_i32 s25, s25, s47
	s_sub_i32 s25, s22, s25
	s_delay_alu instid0(SALU_CYCLE_1) | instskip(SKIP_2) | instid1(SALU_CYCLE_1)
	s_sub_i32 s26, s25, s47
	s_cmp_ge_u32 s25, s47
	s_cselect_b32 s25, s26, s25
	s_sub_i32 s26, s25, s47
	s_cmp_ge_u32 s25, s47
	s_cselect_b32 s25, s26, s25
	s_delay_alu instid0(SALU_CYCLE_1)
	s_sub_i32 s25, s22, s25
	s_mov_b32 s22, exec_lo
	v_cmpx_gt_u32_e64 s25, v0
	s_cbranch_execz .LBB36_292
; %bb.283:                              ;   in Loop: Header=BB36_6 Depth=1
	v_dual_mov_b32 v1, v18 :: v_dual_mov_b32 v2, v0
	s_mov_b32 s26, 0
                                        ; implicit-def: $sgpr29
	s_set_inst_prefetch_distance 0x1
	s_branch .LBB36_285
	.p2align	6
.LBB36_284:                             ;   in Loop: Header=BB36_285 Depth=2
	s_or_b32 exec_lo, exec_lo, s88
	s_waitcnt lgkmcnt(0)
	s_barrier
	buffer_gl0_inv
	ds_load_b64 v[14:15], v8 offset:3072
	v_add_nc_u32_e32 v2, s47, v2
	v_add_nc_u32_e32 v1, s61, v1
	s_waitcnt lgkmcnt(0)
	s_barrier
	buffer_gl0_inv
	v_cmp_le_u32_e32 vcc_lo, s25, v2
	v_readfirstlane_b32 s88, v14
	s_delay_alu instid0(VALU_DEP_1) | instskip(SKIP_1) | instid1(SALU_CYCLE_1)
	s_cmp_lg_u32 s88, 0
	s_cselect_b32 s88, -1, 0
	s_or_b32 s89, vcc_lo, s88
	s_delay_alu instid0(SALU_CYCLE_1) | instskip(NEXT) | instid1(SALU_CYCLE_1)
	s_and_b32 s89, exec_lo, s89
	s_or_b32 s26, s89, s26
	s_and_not1_b32 s29, s29, exec_lo
	s_and_b32 s88, s88, exec_lo
	s_delay_alu instid0(SALU_CYCLE_1)
	s_or_b32 s29, s29, s88
	s_and_not1_b32 exec_lo, exec_lo, s26
	s_cbranch_execz .LBB36_291
.LBB36_285:                             ;   Parent Loop BB36_6 Depth=1
                                        ; =>  This Inner Loop Header: Depth=2
	s_delay_alu instid0(VALU_DEP_1)
	v_cmp_gt_u32_e32 vcc_lo, s10, v2
	v_mov_b32_e32 v14, 0
	s_and_saveexec_b32 s88, vcc_lo
	s_cbranch_execz .LBB36_287
; %bb.286:                              ;   in Loop: Header=BB36_285 Depth=2
	ds_load_b32 v14, v1
.LBB36_287:                             ;   in Loop: Header=BB36_285 Depth=2
	s_or_b32 exec_lo, exec_lo, s88
	s_and_saveexec_b32 s88, vcc_lo
	s_cbranch_execz .LBB36_284
; %bb.288:                              ;   in Loop: Header=BB36_285 Depth=2
	s_waitcnt lgkmcnt(0)
	v_xor_b32_e32 v3, 0x80000000, v14
	s_delay_alu instid0(VALU_DEP_1) | instskip(NEXT) | instid1(VALU_DEP_1)
	v_and_b32_e32 v3, v3, v28
	v_cmp_eq_u32_e32 vcc_lo, v3, v29
	s_and_b32 exec_lo, exec_lo, vcc_lo
	s_cbranch_execz .LBB36_284
; %bb.289:                              ;   in Loop: Header=BB36_285 Depth=2
	ds_store_b64 v8, v[13:14] offset:3072
	s_branch .LBB36_284
.LBB36_290:                             ;   in Loop: Header=BB36_6 Depth=1
	s_mov_b32 s22, -1
	s_mov_b32 s29, 0
                                        ; implicit-def: $sgpr25
                                        ; implicit-def: $vgpr15
	s_mov_b32 s26, s22
	s_cbranch_execnz .LBB36_293
	s_branch .LBB36_303
.LBB36_291:                             ;   in Loop: Header=BB36_6 Depth=1
	s_set_inst_prefetch_distance 0x2
	s_or_b32 exec_lo, exec_lo, s26
	s_delay_alu instid0(SALU_CYCLE_1)
	s_and_b32 s29, s29, exec_lo
.LBB36_292:                             ;   in Loop: Header=BB36_6 Depth=1
	s_or_b32 exec_lo, exec_lo, s22
	s_mov_b32 s22, 0
	s_mov_b32 s25, -1
	s_mov_b32 s26, s22
	s_branch .LBB36_303
.LBB36_293:                             ;   in Loop: Header=BB36_6 Depth=1
	s_mov_b32 s29, 0
                                        ; implicit-def: $vgpr15
	s_and_saveexec_b32 s22, s9
	s_cbranch_execz .LBB36_302
; %bb.294:                              ;   in Loop: Header=BB36_6 Depth=1
	v_mov_b32_e32 v7, v9
	v_mov_b32_e32 v1, v0
	s_mov_b32 s25, 0
                                        ; implicit-def: $sgpr26
	s_set_inst_prefetch_distance 0x1
	s_branch .LBB36_296
	.p2align	6
.LBB36_295:                             ;   in Loop: Header=BB36_296 Depth=2
	s_or_b32 exec_lo, exec_lo, s10
	s_waitcnt vmcnt(0) lgkmcnt(0)
	s_barrier
	buffer_gl0_inv
	ds_load_b64 v[14:15], v8 offset:3072
	v_add_nc_u32_e32 v1, s47, v1
	v_add_nc_u32_e32 v7, s53, v7
	s_waitcnt lgkmcnt(0)
	s_barrier
	buffer_gl0_inv
	v_cmp_le_u32_e32 vcc_lo, s73, v1
	v_readfirstlane_b32 s10, v14
	s_delay_alu instid0(VALU_DEP_1) | instskip(SKIP_1) | instid1(SALU_CYCLE_1)
	s_cmp_lg_u32 s10, 0
	s_cselect_b32 s10, -1, 0
	s_or_b32 s29, vcc_lo, s10
	s_delay_alu instid0(SALU_CYCLE_1) | instskip(NEXT) | instid1(SALU_CYCLE_1)
	s_and_b32 s29, exec_lo, s29
	s_or_b32 s25, s29, s25
	s_and_not1_b32 s26, s26, exec_lo
	s_and_b32 s10, s10, exec_lo
	s_delay_alu instid0(SALU_CYCLE_1)
	s_or_b32 s26, s26, s10
	s_and_not1_b32 exec_lo, exec_lo, s25
	s_cbranch_execz .LBB36_301
.LBB36_296:                             ;   Parent Loop BB36_6 Depth=1
                                        ; =>  This Inner Loop Header: Depth=2
	s_delay_alu instid0(VALU_DEP_1)
	v_cmp_gt_u32_e32 vcc_lo, s36, v1
	v_mov_b32_e32 v14, 0
	s_and_saveexec_b32 s29, vcc_lo
	s_cbranch_execz .LBB36_298
; %bb.297:                              ;   in Loop: Header=BB36_296 Depth=2
	v_lshlrev_b64 v[2:3], 2, v[7:8]
	s_delay_alu instid0(VALU_DEP_1) | instskip(NEXT) | instid1(VALU_DEP_1)
	v_add_co_u32 v2, s10, s33, v2
	v_add_co_ci_u32_e64 v3, s10, s43, v3, s10
	global_load_b32 v14, v[2:3], off
.LBB36_298:                             ;   in Loop: Header=BB36_296 Depth=2
	s_or_b32 exec_lo, exec_lo, s29
	s_and_saveexec_b32 s10, vcc_lo
	s_cbranch_execz .LBB36_295
; %bb.299:                              ;   in Loop: Header=BB36_296 Depth=2
	s_waitcnt vmcnt(0)
	v_xor_b32_e32 v2, 0x80000000, v14
	s_delay_alu instid0(VALU_DEP_1) | instskip(NEXT) | instid1(VALU_DEP_1)
	v_and_b32_e32 v2, v2, v28
	v_cmp_eq_u32_e32 vcc_lo, v2, v29
	s_and_b32 exec_lo, exec_lo, vcc_lo
	s_cbranch_execz .LBB36_295
; %bb.300:                              ;   in Loop: Header=BB36_296 Depth=2
	ds_store_b64 v8, v[13:14] offset:3072
	s_branch .LBB36_295
.LBB36_301:                             ;   in Loop: Header=BB36_6 Depth=1
	s_set_inst_prefetch_distance 0x2
	s_or_b32 exec_lo, exec_lo, s25
	s_delay_alu instid0(SALU_CYCLE_1)
	s_and_b32 s29, s26, exec_lo
.LBB36_302:                             ;   in Loop: Header=BB36_6 Depth=1
	s_or_b32 exec_lo, exec_lo, s22
	s_mov_b32 s25, 0
	s_mov_b32 s22, -1
	s_mov_b32 s26, 0
.LBB36_303:                             ;   in Loop: Header=BB36_6 Depth=1
	s_or_not1_b32 s10, s29, exec_lo
.LBB36_304:                             ;   in Loop: Header=BB36_6 Depth=1
	s_or_b32 exec_lo, exec_lo, s27
	s_mov_b32 s29, 0
                                        ; implicit-def: $vgpr1
	s_and_saveexec_b32 s27, s10
	s_cbranch_execz .LBB36_397
; %bb.305:                              ;   in Loop: Header=BB36_6 Depth=1
	v_dual_mov_b32 v2, 1 :: v_dual_mov_b32 v1, 1
	s_xor_b32 s28, s28, -1
	s_mov_b32 s88, 0
	s_and_saveexec_b32 s10, s28
	s_cbranch_execz .LBB36_315
; %bb.306:                              ;   in Loop: Header=BB36_6 Depth=1
	s_mov_b32 s29, exec_lo
                                        ; implicit-def: $sgpr88
                                        ; implicit-def: $sgpr28
	v_cmpx_ge_u32_e64 s18, v31
	s_xor_b32 s29, exec_lo, s29
	s_cbranch_execz .LBB36_312
; %bb.307:                              ;   in Loop: Header=BB36_6 Depth=1
	ds_load_b32 v1, v8 offset:4096
	s_waitcnt lgkmcnt(0)
	v_cmp_ne_u32_e32 vcc_lo, 0, v1
	s_cbranch_vccnz .LBB36_311
; %bb.308:                              ;   in Loop: Header=BB36_6 Depth=1
	s_and_saveexec_b32 s28, s5
	s_cbranch_execz .LBB36_310
; %bb.309:                              ;   in Loop: Header=BB36_6 Depth=1
	v_mov_b32_e32 v1, s18
	ds_store_b32 v8, v1 offset:4100
.LBB36_310:                             ;   in Loop: Header=BB36_6 Depth=1
	s_or_b32 exec_lo, exec_lo, s28
	s_waitcnt lgkmcnt(0)
	s_barrier
	buffer_gl0_inv
.LBB36_311:                             ;   in Loop: Header=BB36_6 Depth=1
	s_lshl_b32 s28, 2, s17
	v_or_b32_e32 v28, s13, v28
	v_and_or_b32 v29, v29, s14, s28
	s_mov_b32 s28, 0
	s_mov_b32 s88, 5
.LBB36_312:                             ;   in Loop: Header=BB36_6 Depth=1
	s_or_saveexec_b32 s29, s29
	v_mov_b32_e32 v1, s88
	s_xor_b32 exec_lo, exec_lo, s29
; %bb.313:                              ;   in Loop: Header=BB36_6 Depth=1
	v_subrev_nc_u32_e32 v31, s18, v31
	v_mov_b32_e32 v1, 0
	s_or_b32 s28, s28, exec_lo
; %bb.314:                              ;   in Loop: Header=BB36_6 Depth=1
	s_or_b32 exec_lo, exec_lo, s29
	s_delay_alu instid0(VALU_DEP_2)
	v_mov_b32_e32 v2, v31
	s_and_b32 s88, s28, exec_lo
.LBB36_315:                             ;   in Loop: Header=BB36_6 Depth=1
	s_or_b32 exec_lo, exec_lo, s10
	s_mov_b32 s10, -1
                                        ; implicit-def: $sgpr28
                                        ; implicit-def: $sgpr29
                                        ; implicit-def: $sgpr89
	s_and_saveexec_b32 s18, s88
	s_cbranch_execz .LBB36_396
; %bb.316:                              ;   in Loop: Header=BB36_6 Depth=1
	v_cmp_eq_u32_e32 vcc_lo, 1, v2
	s_cmp_eq_u32 s16, 1
                                        ; implicit-def: $sgpr28
                                        ; implicit-def: $sgpr29
                                        ; implicit-def: $sgpr88
	s_cselect_b32 s10, -1, 0
	s_delay_alu instid0(SALU_CYCLE_1)
	s_and_b32 s90, s10, vcc_lo
	s_mov_b32 s10, -1
	s_and_saveexec_b32 s89, s90
	s_cbranch_execz .LBB36_342
; %bb.317:                              ;   in Loop: Header=BB36_6 Depth=1
	ds_load_b32 v1, v8 offset:4096
	s_waitcnt lgkmcnt(0)
	s_barrier
	buffer_gl0_inv
	v_readfirstlane_b32 s10, v1
	s_and_saveexec_b32 s28, s6
	s_cbranch_execz .LBB36_319
; %bb.318:                              ;   in Loop: Header=BB36_6 Depth=1
	ds_store_b32 v21, v8
.LBB36_319:                             ;   in Loop: Header=BB36_6 Depth=1
	s_or_b32 exec_lo, exec_lo, s28
	s_lshl_b32 s28, 1, s17
	v_or_b32_e32 v28, s13, v28
	v_and_or_b32 v29, v29, s14, s28
	s_cmp_eq_u32 s10, 0
	s_waitcnt lgkmcnt(0)
	s_barrier
	buffer_gl0_inv
	s_cbranch_scc1 .LBB36_328
; %bb.320:                              ;   in Loop: Header=BB36_6 Depth=1
	s_add_i32 s28, s10, s65
	s_mov_b32 s91, 0
	s_mul_hi_u32 s29, s28, s72
                                        ; implicit-def: $vgpr15
	s_delay_alu instid0(SALU_CYCLE_1) | instskip(NEXT) | instid1(SALU_CYCLE_1)
	s_mul_i32 s29, s29, s47
	s_sub_i32 s29, s28, s29
	s_delay_alu instid0(SALU_CYCLE_1) | instskip(SKIP_2) | instid1(SALU_CYCLE_1)
	s_sub_i32 s88, s29, s47
	s_cmp_ge_u32 s29, s47
	s_cselect_b32 s29, s88, s29
	s_sub_i32 s88, s29, s47
	s_cmp_ge_u32 s29, s47
	s_cselect_b32 s29, s88, s29
	s_delay_alu instid0(SALU_CYCLE_1)
	s_sub_i32 s29, s28, s29
	s_mov_b32 s28, exec_lo
	v_cmpx_gt_u32_e64 s29, v0
	s_cbranch_execz .LBB36_330
; %bb.321:                              ;   in Loop: Header=BB36_6 Depth=1
	v_mov_b32_e32 v1, v18
	v_mov_b32_e32 v3, v0
	s_mov_b32 s88, 0
                                        ; implicit-def: $sgpr91
	s_set_inst_prefetch_distance 0x1
	s_branch .LBB36_323
	.p2align	6
.LBB36_322:                             ;   in Loop: Header=BB36_323 Depth=2
	s_or_b32 exec_lo, exec_lo, s92
	s_waitcnt lgkmcnt(0)
	s_barrier
	buffer_gl0_inv
	ds_load_b64 v[14:15], v8 offset:3072
	v_add_nc_u32_e32 v3, s47, v3
	v_add_nc_u32_e32 v1, s61, v1
	s_waitcnt lgkmcnt(0)
	s_barrier
	buffer_gl0_inv
	v_cmp_le_u32_e32 vcc_lo, s29, v3
	v_readfirstlane_b32 s92, v14
	s_delay_alu instid0(VALU_DEP_1) | instskip(SKIP_1) | instid1(SALU_CYCLE_1)
	s_cmp_lg_u32 s92, 0
	s_cselect_b32 s92, -1, 0
	s_or_b32 s93, vcc_lo, s92
	s_delay_alu instid0(SALU_CYCLE_1) | instskip(NEXT) | instid1(SALU_CYCLE_1)
	s_and_b32 s93, exec_lo, s93
	s_or_b32 s88, s93, s88
	s_and_not1_b32 s91, s91, exec_lo
	s_and_b32 s92, s92, exec_lo
	s_delay_alu instid0(SALU_CYCLE_1)
	s_or_b32 s91, s91, s92
	s_and_not1_b32 exec_lo, exec_lo, s88
	s_cbranch_execz .LBB36_329
.LBB36_323:                             ;   Parent Loop BB36_6 Depth=1
                                        ; =>  This Inner Loop Header: Depth=2
	s_delay_alu instid0(VALU_DEP_1)
	v_cmp_gt_u32_e32 vcc_lo, s10, v3
	v_mov_b32_e32 v14, 0
	s_and_saveexec_b32 s92, vcc_lo
	s_cbranch_execz .LBB36_325
; %bb.324:                              ;   in Loop: Header=BB36_323 Depth=2
	ds_load_b32 v14, v1
.LBB36_325:                             ;   in Loop: Header=BB36_323 Depth=2
	s_or_b32 exec_lo, exec_lo, s92
	s_and_saveexec_b32 s92, vcc_lo
	s_cbranch_execz .LBB36_322
; %bb.326:                              ;   in Loop: Header=BB36_323 Depth=2
	s_waitcnt lgkmcnt(0)
	v_xor_b32_e32 v4, 0x80000000, v14
	s_delay_alu instid0(VALU_DEP_1) | instskip(NEXT) | instid1(VALU_DEP_1)
	v_and_b32_e32 v4, v4, v28
	v_cmp_eq_u32_e32 vcc_lo, v4, v29
	s_and_b32 exec_lo, exec_lo, vcc_lo
	s_cbranch_execz .LBB36_322
; %bb.327:                              ;   in Loop: Header=BB36_323 Depth=2
	ds_store_b64 v8, v[13:14] offset:3072
	s_branch .LBB36_322
.LBB36_328:                             ;   in Loop: Header=BB36_6 Depth=1
	s_mov_b32 s28, -1
	s_mov_b32 s91, 0
                                        ; implicit-def: $sgpr29
                                        ; implicit-def: $vgpr15
	s_mov_b32 s88, s28
	s_cbranch_execnz .LBB36_331
	s_branch .LBB36_341
.LBB36_329:                             ;   in Loop: Header=BB36_6 Depth=1
	s_set_inst_prefetch_distance 0x2
	s_or_b32 exec_lo, exec_lo, s88
	s_delay_alu instid0(SALU_CYCLE_1)
	s_and_b32 s91, s91, exec_lo
.LBB36_330:                             ;   in Loop: Header=BB36_6 Depth=1
	s_or_b32 exec_lo, exec_lo, s28
	s_mov_b32 s28, 0
	s_mov_b32 s29, -1
	s_mov_b32 s88, s28
	s_branch .LBB36_341
.LBB36_331:                             ;   in Loop: Header=BB36_6 Depth=1
	s_mov_b32 s91, 0
                                        ; implicit-def: $vgpr15
	s_and_saveexec_b32 s28, s9
	s_cbranch_execz .LBB36_340
; %bb.332:                              ;   in Loop: Header=BB36_6 Depth=1
	v_mov_b32_e32 v7, v9
	v_mov_b32_e32 v1, v0
	s_mov_b32 s29, 0
                                        ; implicit-def: $sgpr88
	s_set_inst_prefetch_distance 0x1
	s_branch .LBB36_334
	.p2align	6
.LBB36_333:                             ;   in Loop: Header=BB36_334 Depth=2
	s_or_b32 exec_lo, exec_lo, s10
	s_waitcnt vmcnt(0) lgkmcnt(0)
	s_barrier
	buffer_gl0_inv
	ds_load_b64 v[14:15], v8 offset:3072
	v_add_nc_u32_e32 v1, s47, v1
	v_add_nc_u32_e32 v7, s53, v7
	s_waitcnt lgkmcnt(0)
	s_barrier
	buffer_gl0_inv
	v_cmp_le_u32_e32 vcc_lo, s73, v1
	v_readfirstlane_b32 s10, v14
	s_delay_alu instid0(VALU_DEP_1) | instskip(SKIP_1) | instid1(SALU_CYCLE_1)
	s_cmp_lg_u32 s10, 0
	s_cselect_b32 s10, -1, 0
	s_or_b32 s91, vcc_lo, s10
	s_delay_alu instid0(SALU_CYCLE_1) | instskip(NEXT) | instid1(SALU_CYCLE_1)
	s_and_b32 s91, exec_lo, s91
	s_or_b32 s29, s91, s29
	s_and_not1_b32 s88, s88, exec_lo
	s_and_b32 s10, s10, exec_lo
	s_delay_alu instid0(SALU_CYCLE_1)
	s_or_b32 s88, s88, s10
	s_and_not1_b32 exec_lo, exec_lo, s29
	s_cbranch_execz .LBB36_339
.LBB36_334:                             ;   Parent Loop BB36_6 Depth=1
                                        ; =>  This Inner Loop Header: Depth=2
	s_delay_alu instid0(VALU_DEP_1)
	v_cmp_gt_u32_e32 vcc_lo, s36, v1
	v_mov_b32_e32 v14, 0
	s_and_saveexec_b32 s91, vcc_lo
	s_cbranch_execz .LBB36_336
; %bb.335:                              ;   in Loop: Header=BB36_334 Depth=2
	v_lshlrev_b64 v[3:4], 2, v[7:8]
	s_delay_alu instid0(VALU_DEP_1) | instskip(NEXT) | instid1(VALU_DEP_1)
	v_add_co_u32 v3, s10, s33, v3
	v_add_co_ci_u32_e64 v4, s10, s43, v4, s10
	global_load_b32 v14, v[3:4], off
.LBB36_336:                             ;   in Loop: Header=BB36_334 Depth=2
	s_or_b32 exec_lo, exec_lo, s91
	s_and_saveexec_b32 s10, vcc_lo
	s_cbranch_execz .LBB36_333
; %bb.337:                              ;   in Loop: Header=BB36_334 Depth=2
	s_waitcnt vmcnt(0)
	v_xor_b32_e32 v3, 0x80000000, v14
	s_delay_alu instid0(VALU_DEP_1) | instskip(NEXT) | instid1(VALU_DEP_1)
	v_and_b32_e32 v3, v3, v28
	v_cmp_eq_u32_e32 vcc_lo, v3, v29
	s_and_b32 exec_lo, exec_lo, vcc_lo
	s_cbranch_execz .LBB36_333
; %bb.338:                              ;   in Loop: Header=BB36_334 Depth=2
	ds_store_b64 v8, v[13:14] offset:3072
	s_branch .LBB36_333
.LBB36_339:                             ;   in Loop: Header=BB36_6 Depth=1
	s_set_inst_prefetch_distance 0x2
	s_or_b32 exec_lo, exec_lo, s29
	s_delay_alu instid0(SALU_CYCLE_1)
	s_and_b32 s91, s88, exec_lo
.LBB36_340:                             ;   in Loop: Header=BB36_6 Depth=1
	s_or_b32 exec_lo, exec_lo, s28
	s_mov_b32 s29, 0
	s_mov_b32 s28, -1
	s_mov_b32 s88, 0
.LBB36_341:                             ;   in Loop: Header=BB36_6 Depth=1
	s_or_not1_b32 s10, s91, exec_lo
.LBB36_342:                             ;   in Loop: Header=BB36_6 Depth=1
	s_or_b32 exec_lo, exec_lo, s89
	s_mov_b32 s91, 0
                                        ; implicit-def: $vgpr1
	s_and_saveexec_b32 s89, s10
	s_cbranch_execz .LBB36_395
; %bb.343:                              ;   in Loop: Header=BB36_6 Depth=1
	v_mov_b32_e32 v3, 1
	v_mov_b32_e32 v1, 1
	s_xor_b32 s91, s90, -1
	s_mov_b32 s90, 0
	s_and_saveexec_b32 s10, s91
	s_cbranch_execz .LBB36_353
; %bb.344:                              ;   in Loop: Header=BB36_6 Depth=1
	s_mov_b32 s91, exec_lo
                                        ; implicit-def: $sgpr92
                                        ; implicit-def: $sgpr90
	v_cmpx_ge_u32_e64 s16, v2
	s_xor_b32 s91, exec_lo, s91
	s_cbranch_execz .LBB36_350
; %bb.345:                              ;   in Loop: Header=BB36_6 Depth=1
	ds_load_b32 v1, v8 offset:4096
	s_waitcnt lgkmcnt(0)
	v_cmp_ne_u32_e32 vcc_lo, 0, v1
	s_cbranch_vccnz .LBB36_349
; %bb.346:                              ;   in Loop: Header=BB36_6 Depth=1
	s_and_saveexec_b32 s90, s5
	s_cbranch_execz .LBB36_348
; %bb.347:                              ;   in Loop: Header=BB36_6 Depth=1
	v_mov_b32_e32 v1, s16
	ds_store_b32 v8, v1 offset:4100
.LBB36_348:                             ;   in Loop: Header=BB36_6 Depth=1
	s_or_b32 exec_lo, exec_lo, s90
	s_waitcnt lgkmcnt(0)
	s_barrier
	buffer_gl0_inv
.LBB36_349:                             ;   in Loop: Header=BB36_6 Depth=1
	s_lshl_b32 s17, 1, s17
	v_or_b32_e32 v28, s13, v28
	v_and_or_b32 v29, v29, s14, s17
	s_mov_b32 s90, 0
	s_mov_b32 s92, 5
.LBB36_350:                             ;   in Loop: Header=BB36_6 Depth=1
	s_or_saveexec_b32 s17, s91
	v_mov_b32_e32 v1, s92
	s_xor_b32 exec_lo, exec_lo, s17
; %bb.351:                              ;   in Loop: Header=BB36_6 Depth=1
	v_subrev_nc_u32_e32 v2, s16, v2
	v_mov_b32_e32 v1, 0
	s_or_b32 s90, s90, exec_lo
; %bb.352:                              ;   in Loop: Header=BB36_6 Depth=1
	s_or_b32 exec_lo, exec_lo, s17
	s_delay_alu instid0(VALU_DEP_2)
	v_mov_b32_e32 v3, v2
	s_and_b32 s90, s90, exec_lo
.LBB36_353:                             ;   in Loop: Header=BB36_6 Depth=1
	s_or_b32 exec_lo, exec_lo, s10
	s_mov_b32 s17, -1
                                        ; implicit-def: $sgpr10
                                        ; implicit-def: $sgpr91
                                        ; implicit-def: $sgpr92
	s_and_saveexec_b32 s16, s90
	s_cbranch_execz .LBB36_394
; %bb.354:                              ;   in Loop: Header=BB36_6 Depth=1
	v_cmp_eq_u32_e32 vcc_lo, 1, v3
	s_cmp_eq_u32 s12, 1
	s_mov_b32 s93, -1
	s_cselect_b32 s10, -1, 0
                                        ; implicit-def: $sgpr91
                                        ; implicit-def: $sgpr92
	s_delay_alu instid0(SALU_CYCLE_1) | instskip(NEXT) | instid1(SALU_CYCLE_1)
	s_and_b32 s17, s10, vcc_lo
                                        ; implicit-def: $sgpr10
	s_and_saveexec_b32 s90, s17
	s_cbranch_execz .LBB36_381
; %bb.355:                              ;   in Loop: Header=BB36_6 Depth=1
	ds_load_b32 v1, v8 offset:4096
	s_waitcnt lgkmcnt(0)
	s_barrier
	buffer_gl0_inv
	v_readfirstlane_b32 s10, v1
	s_and_saveexec_b32 s91, s6
	s_cbranch_execz .LBB36_357
; %bb.356:                              ;   in Loop: Header=BB36_6 Depth=1
	ds_store_b32 v21, v8
.LBB36_357:                             ;   in Loop: Header=BB36_6 Depth=1
	s_or_b32 exec_lo, exec_lo, s91
	v_and_b32_e32 v29, s14, v29
	v_or_b32_e32 v28, s13, v28
	s_cmp_eq_u32 s10, 0
	s_waitcnt lgkmcnt(0)
	s_barrier
	buffer_gl0_inv
	s_cbranch_scc1 .LBB36_366
; %bb.358:                              ;   in Loop: Header=BB36_6 Depth=1
	s_add_i32 s91, s10, s65
                                        ; implicit-def: $vgpr15
	s_delay_alu instid0(SALU_CYCLE_1) | instskip(NEXT) | instid1(SALU_CYCLE_1)
	s_mul_hi_u32 s92, s91, s72
	s_mul_i32 s92, s92, s47
	s_delay_alu instid0(SALU_CYCLE_1) | instskip(NEXT) | instid1(SALU_CYCLE_1)
	s_sub_i32 s92, s91, s92
	s_sub_i32 s93, s92, s47
	s_cmp_ge_u32 s92, s47
	s_cselect_b32 s92, s93, s92
	s_delay_alu instid0(SALU_CYCLE_1)
	s_sub_i32 s93, s92, s47
	s_cmp_ge_u32 s92, s47
	s_cselect_b32 s92, s93, s92
	s_mov_b32 s93, 0
	s_sub_i32 s92, s91, s92
	s_mov_b32 s91, exec_lo
	v_cmpx_gt_u32_e64 s92, v0
	s_cbranch_execz .LBB36_368
; %bb.359:                              ;   in Loop: Header=BB36_6 Depth=1
	v_dual_mov_b32 v1, v18 :: v_dual_mov_b32 v2, v0
                                        ; implicit-def: $sgpr94
	s_set_inst_prefetch_distance 0x1
	s_branch .LBB36_361
	.p2align	6
.LBB36_360:                             ;   in Loop: Header=BB36_361 Depth=2
	s_or_b32 exec_lo, exec_lo, s95
	s_waitcnt lgkmcnt(0)
	s_barrier
	buffer_gl0_inv
	ds_load_b64 v[14:15], v8 offset:3072
	v_add_nc_u32_e32 v2, s47, v2
	v_add_nc_u32_e32 v1, s61, v1
	s_waitcnt lgkmcnt(0)
	s_barrier
	buffer_gl0_inv
	v_cmp_le_u32_e32 vcc_lo, s92, v2
	v_readfirstlane_b32 s95, v14
	s_delay_alu instid0(VALU_DEP_1) | instskip(SKIP_1) | instid1(SALU_CYCLE_1)
	s_cmp_lg_u32 s95, 0
	s_cselect_b32 s95, -1, 0
	s_or_b32 s96, vcc_lo, s95
	s_delay_alu instid0(SALU_CYCLE_1) | instskip(NEXT) | instid1(SALU_CYCLE_1)
	s_and_b32 s96, exec_lo, s96
	s_or_b32 s93, s96, s93
	s_and_not1_b32 s94, s94, exec_lo
	s_and_b32 s95, s95, exec_lo
	s_delay_alu instid0(SALU_CYCLE_1)
	s_or_b32 s94, s94, s95
	s_and_not1_b32 exec_lo, exec_lo, s93
	s_cbranch_execz .LBB36_367
.LBB36_361:                             ;   Parent Loop BB36_6 Depth=1
                                        ; =>  This Inner Loop Header: Depth=2
	s_delay_alu instid0(VALU_DEP_1)
	v_cmp_gt_u32_e32 vcc_lo, s10, v2
	v_mov_b32_e32 v14, 0
	s_and_saveexec_b32 s95, vcc_lo
	s_cbranch_execz .LBB36_363
; %bb.362:                              ;   in Loop: Header=BB36_361 Depth=2
	ds_load_b32 v14, v1
.LBB36_363:                             ;   in Loop: Header=BB36_361 Depth=2
	s_or_b32 exec_lo, exec_lo, s95
	s_and_saveexec_b32 s95, vcc_lo
	s_cbranch_execz .LBB36_360
; %bb.364:                              ;   in Loop: Header=BB36_361 Depth=2
	s_waitcnt lgkmcnt(0)
	v_xor_b32_e32 v4, 0x80000000, v14
	s_delay_alu instid0(VALU_DEP_1) | instskip(NEXT) | instid1(VALU_DEP_1)
	v_and_b32_e32 v4, v4, v28
	v_cmp_eq_u32_e32 vcc_lo, v4, v29
	s_and_b32 exec_lo, exec_lo, vcc_lo
	s_cbranch_execz .LBB36_360
; %bb.365:                              ;   in Loop: Header=BB36_361 Depth=2
	ds_store_b64 v8, v[13:14] offset:3072
	s_branch .LBB36_360
.LBB36_366:                             ;   in Loop: Header=BB36_6 Depth=1
	s_mov_b32 s10, -1
	s_mov_b32 s93, 0
                                        ; implicit-def: $sgpr91
                                        ; implicit-def: $vgpr15
	s_branch .LBB36_369
.LBB36_367:                             ;   in Loop: Header=BB36_6 Depth=1
	s_set_inst_prefetch_distance 0x2
	s_or_b32 exec_lo, exec_lo, s93
	s_delay_alu instid0(SALU_CYCLE_1)
	s_and_b32 s93, s94, exec_lo
.LBB36_368:                             ;   in Loop: Header=BB36_6 Depth=1
	s_or_b32 exec_lo, exec_lo, s91
	s_mov_b32 s10, 0
	s_mov_b32 s91, -1
.LBB36_369:                             ;   in Loop: Header=BB36_6 Depth=1
	s_and_b32 vcc_lo, exec_lo, s10
	s_mov_b32 s92, s10
	s_cbranch_vccz .LBB36_380
; %bb.370:                              ;   in Loop: Header=BB36_6 Depth=1
	s_mov_b32 s93, 0
                                        ; implicit-def: $vgpr15
	s_and_saveexec_b32 s91, s9
	s_cbranch_execz .LBB36_379
; %bb.371:                              ;   in Loop: Header=BB36_6 Depth=1
	v_mov_b32_e32 v7, v9
	v_mov_b32_e32 v1, v0
	s_mov_b32 s92, 0
                                        ; implicit-def: $sgpr93
	s_set_inst_prefetch_distance 0x1
	s_branch .LBB36_373
	.p2align	6
.LBB36_372:                             ;   in Loop: Header=BB36_373 Depth=2
	s_or_b32 exec_lo, exec_lo, s10
	s_waitcnt vmcnt(0) lgkmcnt(0)
	s_barrier
	buffer_gl0_inv
	ds_load_b64 v[14:15], v8 offset:3072
	v_add_nc_u32_e32 v1, s47, v1
	v_add_nc_u32_e32 v7, s53, v7
	s_waitcnt lgkmcnt(0)
	s_barrier
	buffer_gl0_inv
	v_cmp_le_u32_e32 vcc_lo, s73, v1
	v_readfirstlane_b32 s10, v14
	s_delay_alu instid0(VALU_DEP_1) | instskip(SKIP_1) | instid1(SALU_CYCLE_1)
	s_cmp_lg_u32 s10, 0
	s_cselect_b32 s10, -1, 0
	s_or_b32 s94, vcc_lo, s10
	s_delay_alu instid0(SALU_CYCLE_1) | instskip(NEXT) | instid1(SALU_CYCLE_1)
	s_and_b32 s94, exec_lo, s94
	s_or_b32 s92, s94, s92
	s_and_not1_b32 s93, s93, exec_lo
	s_and_b32 s10, s10, exec_lo
	s_delay_alu instid0(SALU_CYCLE_1)
	s_or_b32 s93, s93, s10
	s_and_not1_b32 exec_lo, exec_lo, s92
	s_cbranch_execz .LBB36_378
.LBB36_373:                             ;   Parent Loop BB36_6 Depth=1
                                        ; =>  This Inner Loop Header: Depth=2
	s_delay_alu instid0(VALU_DEP_1)
	v_cmp_gt_u32_e32 vcc_lo, s36, v1
	v_mov_b32_e32 v14, 0
	s_and_saveexec_b32 s94, vcc_lo
	s_cbranch_execz .LBB36_375
; %bb.374:                              ;   in Loop: Header=BB36_373 Depth=2
	v_lshlrev_b64 v[14:15], 2, v[7:8]
	s_delay_alu instid0(VALU_DEP_1) | instskip(NEXT) | instid1(VALU_DEP_1)
	v_add_co_u32 v14, s10, s33, v14
	v_add_co_ci_u32_e64 v15, s10, s43, v15, s10
	global_load_b32 v14, v[14:15], off
.LBB36_375:                             ;   in Loop: Header=BB36_373 Depth=2
	s_or_b32 exec_lo, exec_lo, s94
	s_and_saveexec_b32 s10, vcc_lo
	s_cbranch_execz .LBB36_372
; %bb.376:                              ;   in Loop: Header=BB36_373 Depth=2
	s_waitcnt vmcnt(0)
	v_xor_b32_e32 v2, 0x80000000, v14
	s_delay_alu instid0(VALU_DEP_1) | instskip(NEXT) | instid1(VALU_DEP_1)
	v_and_b32_e32 v2, v2, v28
	v_cmp_eq_u32_e32 vcc_lo, v2, v29
	s_and_b32 exec_lo, exec_lo, vcc_lo
	s_cbranch_execz .LBB36_372
; %bb.377:                              ;   in Loop: Header=BB36_373 Depth=2
	ds_store_b64 v8, v[13:14] offset:3072
	s_branch .LBB36_372
.LBB36_378:                             ;   in Loop: Header=BB36_6 Depth=1
	s_set_inst_prefetch_distance 0x2
	s_or_b32 exec_lo, exec_lo, s92
	s_delay_alu instid0(SALU_CYCLE_1)
	s_and_b32 s93, s93, exec_lo
.LBB36_379:                             ;   in Loop: Header=BB36_6 Depth=1
	s_or_b32 exec_lo, exec_lo, s91
	s_mov_b32 s91, 0
	s_mov_b32 s10, -1
	s_mov_b32 s92, 0
.LBB36_380:                             ;   in Loop: Header=BB36_6 Depth=1
	s_or_not1_b32 s93, s93, exec_lo
.LBB36_381:                             ;   in Loop: Header=BB36_6 Depth=1
	s_or_b32 exec_lo, exec_lo, s90
	s_mov_b32 s94, 0
                                        ; implicit-def: $vgpr1
                                        ; implicit-def: $vgpr2
	s_and_saveexec_b32 s90, s93
	s_cbranch_execz .LBB36_393
; %bb.382:                              ;   in Loop: Header=BB36_6 Depth=1
	v_dual_mov_b32 v1, 1 :: v_dual_mov_b32 v2, 1
	s_xor_b32 s93, s17, -1
	s_delay_alu instid0(SALU_CYCLE_1)
	s_and_saveexec_b32 s17, s93
	s_cbranch_execz .LBB36_392
; %bb.383:                              ;   in Loop: Header=BB36_6 Depth=1
	s_mov_b32 s93, exec_lo
                                        ; implicit-def: $sgpr94
	v_cmpx_ge_u32_e64 s12, v3
	s_xor_b32 s93, exec_lo, s93
	s_cbranch_execz .LBB36_389
; %bb.384:                              ;   in Loop: Header=BB36_6 Depth=1
	ds_load_b32 v1, v8 offset:4096
	s_waitcnt lgkmcnt(0)
	v_cmp_ne_u32_e32 vcc_lo, 0, v1
	s_cbranch_vccnz .LBB36_388
; %bb.385:                              ;   in Loop: Header=BB36_6 Depth=1
	s_and_saveexec_b32 s94, s5
	s_cbranch_execz .LBB36_387
; %bb.386:                              ;   in Loop: Header=BB36_6 Depth=1
	v_mov_b32_e32 v1, s12
	ds_store_b32 v8, v1 offset:4100
.LBB36_387:                             ;   in Loop: Header=BB36_6 Depth=1
	s_or_b32 exec_lo, exec_lo, s94
	s_waitcnt lgkmcnt(0)
	s_barrier
	buffer_gl0_inv
.LBB36_388:                             ;   in Loop: Header=BB36_6 Depth=1
	v_and_b32_e32 v29, s14, v29
	v_or_b32_e32 v28, s13, v28
	s_mov_b32 s94, 5
.LBB36_389:                             ;   in Loop: Header=BB36_6 Depth=1
	s_or_saveexec_b32 s13, s93
	v_mov_b32_e32 v1, s94
	s_xor_b32 exec_lo, exec_lo, s13
; %bb.390:                              ;   in Loop: Header=BB36_6 Depth=1
	v_subrev_nc_u32_e32 v3, s12, v3
	v_mov_b32_e32 v1, 5
; %bb.391:                              ;   in Loop: Header=BB36_6 Depth=1
	s_or_b32 exec_lo, exec_lo, s13
	s_delay_alu instid0(VALU_DEP_2)
	v_mov_b32_e32 v2, v3
.LBB36_392:                             ;   in Loop: Header=BB36_6 Depth=1
	s_or_b32 exec_lo, exec_lo, s17
	s_delay_alu instid0(SALU_CYCLE_1)
	s_mov_b32 s94, exec_lo
.LBB36_393:                             ;   in Loop: Header=BB36_6 Depth=1
	s_or_b32 exec_lo, exec_lo, s90
	s_delay_alu instid0(VALU_DEP_1)
	v_mov_b32_e32 v3, v2
	s_or_not1_b32 s17, s94, exec_lo
.LBB36_394:                             ;   in Loop: Header=BB36_6 Depth=1
	s_or_b32 exec_lo, exec_lo, s16
	s_delay_alu instid0(SALU_CYCLE_1)
	s_and_not1_b32 s12, s28, exec_lo
	s_and_b32 s10, s10, exec_lo
	s_and_not1_b32 s13, s88, exec_lo
	s_or_b32 s28, s12, s10
	s_and_not1_b32 s10, s29, exec_lo
	s_and_b32 s12, s91, exec_lo
	s_and_b32 s14, s92, exec_lo
	v_mov_b32_e32 v2, v3
	s_or_b32 s29, s10, s12
	s_or_b32 s88, s13, s14
	s_and_b32 s91, s17, exec_lo
.LBB36_395:                             ;   in Loop: Header=BB36_6 Depth=1
	s_or_b32 exec_lo, exec_lo, s89
	s_delay_alu instid0(SALU_CYCLE_1)
	s_and_b32 s89, s28, exec_lo
	s_and_b32 s29, s29, exec_lo
	;; [unrolled: 1-line block ×3, first 2 shown]
	s_or_not1_b32 s10, s91, exec_lo
.LBB36_396:                             ;   in Loop: Header=BB36_6 Depth=1
	s_or_b32 exec_lo, exec_lo, s18
	s_delay_alu instid0(SALU_CYCLE_1)
	s_and_not1_b32 s12, s22, exec_lo
	s_and_b32 s13, s89, exec_lo
	s_and_not1_b32 s14, s26, exec_lo
	s_or_b32 s22, s12, s13
	s_and_not1_b32 s12, s25, exec_lo
	s_and_b32 s13, s29, exec_lo
	s_and_b32 s16, s28, exec_lo
	v_mov_b32_e32 v31, v2
	s_or_b32 s25, s12, s13
	s_or_b32 s26, s14, s16
	s_and_b32 s29, s10, exec_lo
.LBB36_397:                             ;   in Loop: Header=BB36_6 Depth=1
	s_or_b32 exec_lo, exec_lo, s27
	s_delay_alu instid0(SALU_CYCLE_1)
	s_and_b32 s27, s22, exec_lo
	s_and_b32 s25, s25, exec_lo
	;; [unrolled: 1-line block ×3, first 2 shown]
	s_or_not1_b32 s26, s29, exec_lo
.LBB36_398:                             ;   in Loop: Header=BB36_6 Depth=1
	s_or_b32 exec_lo, exec_lo, s19
	s_mov_b32 s10, s20
	s_mov_b32 s12, s11
	s_and_saveexec_b32 s13, s26
; %bb.399:                              ;   in Loop: Header=BB36_6 Depth=1
	v_cmp_eq_u32_e32 vcc_lo, 5, v1
	v_cmp_ne_u32_e64 s10, 5, v1
	s_and_not1_b32 s12, s11, exec_lo
	s_and_not1_b32 s14, s20, exec_lo
	;; [unrolled: 1-line block ×3, first 2 shown]
	s_and_b32 s16, vcc_lo, exec_lo
	s_and_b32 s10, s10, exec_lo
	s_and_not1_b32 s25, s25, exec_lo
	s_and_not1_b32 s22, s22, exec_lo
	s_or_b32 s12, s12, s10
	s_or_b32 s10, s14, s16
; %bb.400:                              ;   in Loop: Header=BB36_6 Depth=1
	s_or_b32 exec_lo, exec_lo, s13
	s_delay_alu instid0(SALU_CYCLE_1)
	s_and_not1_b32 s13, s23, exec_lo
	s_and_b32 s14, s27, exec_lo
	v_dual_mov_b32 v3, v29 :: v_dual_mov_b32 v4, v28
	s_or_b32 s23, s13, s14
	s_and_not1_b32 s13, s24, exec_lo
	s_and_b32 s14, s25, exec_lo
	v_mov_b32_e32 v2, v15
	s_and_not1_b32 s15, s15, exec_lo
	s_and_b32 s16, s22, exec_lo
	s_or_b32 s24, s13, s14
	s_and_not1_b32 s11, s11, exec_lo
	s_and_b32 s12, s12, exec_lo
	s_and_not1_b32 s13, s20, exec_lo
	s_and_b32 s10, s10, exec_lo
	s_or_b32 s15, s15, s16
	s_or_b32 s11, s11, s12
	;; [unrolled: 1-line block ×3, first 2 shown]
.LBB36_401:                             ;   in Loop: Header=BB36_6 Depth=1
	s_or_b32 exec_lo, exec_lo, s21
	s_mov_b32 s22, s15
	s_mov_b32 s21, s15
	s_and_saveexec_b32 s10, s20
.LBB36_402:                             ;   in Loop: Header=BB36_6 Depth=1
	v_mov_b32_e32 v1, 0
	s_and_not1_b32 s15, s15, exec_lo
	s_and_not1_b32 s23, s23, exec_lo
	;; [unrolled: 1-line block ×5, first 2 shown]
	s_or_b32 s11, s11, exec_lo
.LBB36_403:                             ;   in Loop: Header=BB36_6 Depth=1
	s_or_b32 exec_lo, exec_lo, s10
	s_delay_alu instid0(SALU_CYCLE_1)
	s_and_not1_b32 s10, s87, exec_lo
	s_and_b32 s13, s15, exec_lo
	s_and_not1_b32 s14, s84, exec_lo
	s_or_b32 s87, s10, s13
	s_and_not1_b32 s10, s86, exec_lo
	s_and_b32 s13, s23, exec_lo
	s_and_b32 s15, s24, exec_lo
	s_or_b32 s86, s10, s13
	s_or_b32 s84, s14, s15
	s_and_not1_b32 s10, s85, exec_lo
	s_and_b32 s13, s22, exec_lo
	s_and_not1_b32 s14, s83, exec_lo
	s_and_b32 s15, s21, exec_lo
	s_mov_b32 s12, -1
	s_or_b32 s85, s10, s13
	s_or_b32 s83, s14, s15
                                        ; implicit-def: $vgpr28
                                        ; implicit-def: $vgpr29
                                        ; implicit-def: $vgpr30
                                        ; implicit-def: $vgpr15
	s_and_saveexec_b32 s10, s11
	s_delay_alu instid0(SALU_CYCLE_1)
	s_xor_b32 s10, exec_lo, s10
	s_cbranch_execz .LBB36_5
; %bb.404:                              ;   in Loop: Header=BB36_6 Depth=1
	s_mov_b32 s11, -1
	s_mov_b32 s13, exec_lo
	v_cmpx_eq_u32_e32 0, v1
	s_cbranch_execz .LBB36_4
; %bb.405:                              ;   in Loop: Header=BB36_6 Depth=1
	s_xor_b32 s77, s77, 1
	s_add_i32 s14, s82, -2
	s_cmp_eq_u32 s82, 0
	s_mov_b32 s82, s14
	s_cselect_b32 s11, -1, 0
	s_xor_b32 s12, exec_lo, -1
	s_or_not1_b32 s11, s11, exec_lo
	s_branch .LBB36_4
.LBB36_406:
	s_or_b32 exec_lo, exec_lo, s55
	s_xor_b32 s7, s81, -1
	s_xor_b32 s12, s79, -1
	;; [unrolled: 1-line block ×5, first 2 shown]
	s_mov_b32 s9, 0
	s_and_saveexec_b32 s10, s8
	s_delay_alu instid0(SALU_CYCLE_1)
	s_xor_b32 s8, exec_lo, s10
	s_cbranch_execz .LBB36_463
; %bb.407:
	s_mov_b32 s10, 0
	s_and_saveexec_b32 s9, s11
	s_delay_alu instid0(SALU_CYCLE_1)
	s_xor_b32 s9, exec_lo, s9
	s_cbranch_execz .LBB36_461
; %bb.408:
	;; [unrolled: 6-line block ×4, first 2 shown]
	s_and_saveexec_b32 s7, s6
	s_delay_alu instid0(SALU_CYCLE_1)
	s_xor_b32 s6, exec_lo, s7
; %bb.411:
	v_xor_b32_e32 v2, 0x80000000, v3
; %bb.412:
	s_or_b32 exec_lo, exec_lo, s6
	s_and_saveexec_b32 s6, s5
	s_cbranch_execz .LBB36_414
; %bb.413:
	v_mov_b32_e32 v1, 0
	ds_store_b32 v1, v1 offset:4108
.LBB36_414:
	s_or_b32 exec_lo, exec_lo, s6
	v_mov_b32_e32 v1, 0
	s_waitcnt lgkmcnt(0)
	s_barrier
	buffer_gl0_inv
	s_and_saveexec_b32 s5, s4
	s_cbranch_execz .LBB36_416
; %bb.415:
	global_load_b32 v1, v[5:6], off
.LBB36_416:
	s_or_b32 exec_lo, exec_lo, s5
	s_mul_i32 s7, s60, s50
	s_add_i32 s5, s36, 31
	s_mul_i32 s6, s57, s51
	s_sub_i32 s7, s57, s7
	s_and_not1_b32 s5, s5, 31
	s_sub_i32 s6, s56, s6
	s_add_i32 s12, s60, 1
	s_sub_i32 s13, s7, s50
	s_cmp_ge_u32 s7, s50
	s_mul_i32 s6, s6, s46
	s_cselect_b32 s12, s12, s60
	s_cselect_b32 s7, s13, s7
	s_add_i32 s13, s12, 1
	s_cmp_ge_u32 s7, s50
	v_add_nc_u32_e32 v4, s47, v0
	s_cselect_b32 s7, s13, s12
	s_mul_i32 s13, s58, s49
	s_mul_i32 s12, s7, s50
	;; [unrolled: 1-line block ×3, first 2 shown]
	s_sub_i32 s12, s57, s12
	v_mul_lo_u32 v3, s52, v4
	s_mul_i32 s12, s12, s45
	s_delay_alu instid0(SALU_CYCLE_1)
	s_add_i32 s6, s12, s6
	s_mul_i32 s12, s59, s48
	s_add_i32 s6, s6, s7
	s_sub_i32 s12, s58, s12
	s_sub_i32 s7, s56, s13
	s_add_i32 s13, s59, 1
	s_sub_i32 s14, s12, s48
	s_cmp_ge_u32 s12, s48
	s_mul_i32 s7, s7, s42
	s_cselect_b32 s13, s13, s59
	s_cselect_b32 s12, s14, s12
	s_add_i32 s14, s13, 1
	s_cmp_ge_u32 s12, s48
	s_cselect_b32 s13, s14, s13
	s_delay_alu instid0(SALU_CYCLE_1) | instskip(SKIP_2) | instid1(SALU_CYCLE_1)
	s_mul_i32 s12, s13, s48
	s_mul_i32 s13, s13, s40
	s_sub_i32 s12, s58, s12
	s_mul_i32 s14, s12, s41
	s_clause 0x1
	s_load_b32 s12, s[0:1], 0x1c8
	s_load_b32 s1, s[0:1], 0x2a8
	s_add_i32 s0, s14, s7
	s_mov_b32 s7, 0
	s_add_i32 s14, s0, s13
	s_lshl_b64 s[16:17], s[6:7], 2
	s_mov_b32 s15, s7
	s_add_u32 s6, s34, s16
	s_addc_u32 s13, s35, s17
	s_lshl_b64 s[14:15], s[14:15], 3
	s_mov_b32 s0, -1
	s_add_u32 s14, s30, s14
	s_addc_u32 s15, s31, s15
	s_mov_b32 s16, 0
	s_mov_b32 s17, exec_lo
	v_cmpx_gt_u32_e64 s5, v0
	s_cbranch_execz .LBB36_432
; %bb.417:
	v_mul_lo_u32 v7, s52, v4
	v_xor_b32_e32 v4, 0x80000000, v2
	v_dual_mov_b32 v8, 0 :: v_dual_mov_b32 v9, v0
                                        ; implicit-def: $sgpr18
                                        ; implicit-def: $vgpr12
	s_branch .LBB36_419
.LBB36_418:                             ;   in Loop: Header=BB36_419 Depth=1
	s_or_b32 exec_lo, exec_lo, s19
	s_xor_b32 s19, s21, -1
	s_and_b32 s0, exec_lo, s0
	v_mov_b32_e32 v1, v13
	s_or_b32 s16, s0, s16
	v_mov_b32_e32 v9, v11
	s_and_not1_b32 s0, s18, exec_lo
	s_and_b32 s18, s19, exec_lo
	s_delay_alu instid0(SALU_CYCLE_1)
	s_or_b32 s18, s0, s18
	s_and_not1_b32 exec_lo, exec_lo, s16
	s_cbranch_execz .LBB36_431
.LBB36_419:                             ; =>This Inner Loop Header: Depth=1
	s_delay_alu instid0(VALU_DEP_1) | instskip(SKIP_2) | instid1(VALU_DEP_2)
	v_add_nc_u32_e32 v11, s47, v9
	v_mov_b32_e32 v13, 0
	s_mov_b32 s0, exec_lo
	v_cmpx_gt_u32_e64 s36, v11
	s_cbranch_execz .LBB36_421
; %bb.420:                              ;   in Loop: Header=BB36_419 Depth=1
	v_lshlrev_b64 v[13:14], 2, v[7:8]
	s_delay_alu instid0(VALU_DEP_1) | instskip(NEXT) | instid1(VALU_DEP_2)
	v_add_co_u32 v13, vcc_lo, s33, v13
	v_add_co_ci_u32_e32 v14, vcc_lo, s43, v14, vcc_lo
	global_load_b32 v13, v[13:14], off
.LBB36_421:                             ;   in Loop: Header=BB36_419 Depth=1
	s_or_b32 exec_lo, exec_lo, s0
	s_waitcnt vmcnt(0)
	v_xor_b32_e32 v10, 0x80000000, v1
	s_delay_alu instid0(VALU_DEP_1) | instskip(SKIP_4) | instid1(VALU_DEP_2)
	v_cmp_gt_u32_e32 vcc_lo, v10, v4
	v_cndmask_b32_e64 v14, 0, 1, vcc_lo
	v_cmp_lt_u32_e32 vcc_lo, v10, v4
	v_cndmask_b32_e64 v10, 0, 1, vcc_lo
	v_cmp_gt_u32_e32 vcc_lo, s36, v9
	v_cndmask_b32_e64 v10, v10, v14, s3
	s_delay_alu instid0(VALU_DEP_1) | instskip(NEXT) | instid1(VALU_DEP_1)
	v_and_b32_e32 v10, 1, v10
	v_cmp_eq_u32_e64 s0, 1, v10
	s_delay_alu instid0(VALU_DEP_1) | instskip(NEXT) | instid1(SALU_CYCLE_1)
	s_and_b32 s20, vcc_lo, s0
	v_cndmask_b32_e64 v10, 0, 1, s20
	s_delay_alu instid0(VALU_DEP_1) | instskip(SKIP_2) | instid1(SALU_CYCLE_1)
	v_cmp_ne_u32_e32 vcc_lo, 0, v10
	s_cmp_lg_u32 vcc_lo, 0
	s_cselect_b32 s0, -1, 0
	s_and_b32 s0, s2, s0
	s_delay_alu instid0(SALU_CYCLE_1)
	s_and_saveexec_b32 s19, s0
	s_cbranch_execz .LBB36_425
; %bb.422:                              ;   in Loop: Header=BB36_419 Depth=1
	s_mov_b32 s23, exec_lo
	s_bcnt1_i32_b32 s21, vcc_lo
	v_mbcnt_lo_u32_b32 v10, s23, 0
	s_mov_b32 s22, exec_lo
                                        ; implicit-def: $vgpr12
	s_delay_alu instid0(VALU_DEP_1)
	v_cmpx_eq_u32_e32 0, v10
	s_cbranch_execz .LBB36_424
; %bb.423:                              ;   in Loop: Header=BB36_419 Depth=1
	s_bcnt1_i32_b32 s0, s23
	s_delay_alu instid0(SALU_CYCLE_1)
	s_mul_i32 s0, s21, s0
	s_waitcnt lgkmcnt(0)
	v_mov_b32_e32 v12, s0
	ds_add_rtn_u32 v12, v8, v12 offset:4108
.LBB36_424:                             ;   in Loop: Header=BB36_419 Depth=1
	s_or_b32 exec_lo, exec_lo, s22
	s_waitcnt lgkmcnt(0)
	v_readfirstlane_b32 s0, v12
	s_delay_alu instid0(VALU_DEP_1)
	v_mad_u32_u24 v12, s21, v10, s0
.LBB36_425:                             ;   in Loop: Header=BB36_419 Depth=1
	s_or_b32 exec_lo, exec_lo, s19
	s_waitcnt lgkmcnt(0)
	ds_bpermute_b32 v12, v8, v12
	s_mov_b32 s0, -1
	s_mov_b32 s22, -1
                                        ; implicit-def: $sgpr21
	s_and_saveexec_b32 s19, s20
	s_cbranch_execz .LBB36_429
; %bb.426:                              ;   in Loop: Header=BB36_419 Depth=1
	v_and_b32_e32 v10, vcc_lo, v16
	s_mov_b32 s20, 0
	s_mov_b32 s21, exec_lo
	s_waitcnt lgkmcnt(0)
	s_delay_alu instid0(VALU_DEP_1) | instskip(NEXT) | instid1(VALU_DEP_1)
	v_bcnt_u32_b32 v10, v10, v12
	v_cmpx_gt_u32_e64 s37, v10
	s_cbranch_execz .LBB36_428
; %bb.427:                              ;   in Loop: Header=BB36_419 Depth=1
	v_mul_lo_u32 v14, v10, s12
	v_mov_b32_e32 v15, v8
	v_mul_lo_u32 v17, v10, s1
	v_mov_b32_e32 v18, v8
	v_mov_b32_e32 v10, v8
	s_mov_b32 s20, exec_lo
	v_lshlrev_b64 v[14:15], 2, v[14:15]
	s_delay_alu instid0(VALU_DEP_3) | instskip(NEXT) | instid1(VALU_DEP_2)
	v_lshlrev_b64 v[17:18], 3, v[17:18]
	v_add_co_u32 v14, vcc_lo, s6, v14
	s_delay_alu instid0(VALU_DEP_3) | instskip(NEXT) | instid1(VALU_DEP_3)
	v_add_co_ci_u32_e32 v15, vcc_lo, s13, v15, vcc_lo
	v_add_co_u32 v17, vcc_lo, s14, v17
	s_delay_alu instid0(VALU_DEP_4)
	v_add_co_ci_u32_e32 v18, vcc_lo, s15, v18, vcc_lo
	global_store_b32 v[14:15], v1, off
	global_store_b64 v[17:18], v[9:10], off
.LBB36_428:                             ;   in Loop: Header=BB36_419 Depth=1
	s_or_b32 exec_lo, exec_lo, s21
	s_mov_b32 s21, -1
	s_or_not1_b32 s22, s20, exec_lo
.LBB36_429:                             ;   in Loop: Header=BB36_419 Depth=1
	s_or_b32 exec_lo, exec_lo, s19
	s_and_saveexec_b32 s19, s22
	s_cbranch_execz .LBB36_418
; %bb.430:                              ;   in Loop: Header=BB36_419 Depth=1
	v_cmp_le_u32_e32 vcc_lo, s5, v11
	v_add_nc_u32_e32 v7, s53, v7
	s_and_not1_b32 s21, s21, exec_lo
	s_or_not1_b32 s0, vcc_lo, exec_lo
	s_branch .LBB36_418
.LBB36_431:
	s_or_b32 exec_lo, exec_lo, s16
	s_delay_alu instid0(SALU_CYCLE_1)
	s_mov_b32 s16, exec_lo
	s_or_not1_b32 s0, s18, exec_lo
.LBB36_432:
	s_or_b32 exec_lo, exec_lo, s17
	s_and_saveexec_b32 s3, s0
	s_cbranch_execz .LBB36_455
; %bb.433:
	s_waitcnt vmcnt(0)
	v_dual_mov_b32 v4, 0 :: v_dual_mov_b32 v1, 0
	s_waitcnt lgkmcnt(0)
	s_waitcnt_vscnt null, 0x0
	s_barrier
	buffer_gl0_inv
	s_and_saveexec_b32 s0, s4
	s_cbranch_execz .LBB36_435
; %bb.434:
	global_load_b32 v1, v[5:6], off
.LBB36_435:
	s_or_b32 exec_lo, exec_lo, s0
	s_mov_b32 s7, 0
                                        ; implicit-def: $sgpr4
                                        ; implicit-def: $sgpr17
                                        ; implicit-def: $sgpr18
                                        ; implicit-def: $vgpr5
	s_branch .LBB36_438
.LBB36_436:                             ;   in Loop: Header=BB36_438 Depth=1
	s_or_b32 exec_lo, exec_lo, s21
	v_mov_b32_e32 v0, v6
	s_and_not1_b32 s0, s18, exec_lo
	s_and_b32 s18, s23, exec_lo
	s_and_not1_b32 s17, s17, exec_lo
	s_and_b32 s20, s20, exec_lo
	s_or_b32 s18, s0, s18
	s_or_b32 s17, s17, s20
.LBB36_437:                             ;   in Loop: Header=BB36_438 Depth=1
	s_or_b32 exec_lo, exec_lo, s19
	s_xor_b32 s0, s18, -1
	s_and_b32 s19, exec_lo, s17
	s_delay_alu instid0(SALU_CYCLE_1) | instskip(SKIP_2) | instid1(SALU_CYCLE_1)
	s_or_b32 s7, s19, s7
	s_and_not1_b32 s4, s4, exec_lo
	s_and_b32 s0, s0, exec_lo
	s_or_b32 s4, s4, s0
	s_and_not1_b32 exec_lo, exec_lo, s7
	s_cbranch_execz .LBB36_453
.LBB36_438:                             ; =>This Inner Loop Header: Depth=1
	s_or_b32 s18, s18, exec_lo
	s_or_b32 s17, s17, exec_lo
	s_mov_b32 s19, exec_lo
	v_cmpx_gt_u32_e64 s5, v0
	s_cbranch_execz .LBB36_437
; %bb.439:                              ;   in Loop: Header=BB36_438 Depth=1
	v_dual_mov_b32 v7, 0 :: v_dual_add_nc_u32 v6, s47, v0
	s_mov_b32 s0, exec_lo
	s_delay_alu instid0(VALU_DEP_1)
	v_cmpx_gt_u32_e64 s36, v6
	s_cbranch_execz .LBB36_441
; %bb.440:                              ;   in Loop: Header=BB36_438 Depth=1
	v_lshlrev_b64 v[7:8], 2, v[3:4]
	s_delay_alu instid0(VALU_DEP_1) | instskip(NEXT) | instid1(VALU_DEP_2)
	v_add_co_u32 v7, vcc_lo, s33, v7
	v_add_co_ci_u32_e32 v8, vcc_lo, s43, v8, vcc_lo
	global_load_b32 v7, v[7:8], off
.LBB36_441:                             ;   in Loop: Header=BB36_438 Depth=1
	s_or_b32 exec_lo, exec_lo, s0
	v_cmp_gt_u32_e32 vcc_lo, s36, v0
	s_waitcnt vmcnt(0)
	v_cmp_eq_u32_e64 s0, v1, v2
	s_delay_alu instid0(VALU_DEP_1) | instskip(NEXT) | instid1(SALU_CYCLE_1)
	s_and_b32 s21, vcc_lo, s0
	v_cndmask_b32_e64 v8, 0, 1, s21
	s_delay_alu instid0(VALU_DEP_1) | instskip(SKIP_2) | instid1(SALU_CYCLE_1)
	v_cmp_ne_u32_e32 vcc_lo, 0, v8
	s_cmp_lg_u32 vcc_lo, 0
	s_cselect_b32 s0, -1, 0
	s_and_b32 s0, s2, s0
	s_delay_alu instid0(SALU_CYCLE_1)
	s_and_saveexec_b32 s20, s0
	s_cbranch_execz .LBB36_445
; %bb.442:                              ;   in Loop: Header=BB36_438 Depth=1
	s_mov_b32 s24, exec_lo
	s_bcnt1_i32_b32 s22, vcc_lo
	v_mbcnt_lo_u32_b32 v5, s24, 0
	s_mov_b32 s23, exec_lo
                                        ; implicit-def: $vgpr8
	s_delay_alu instid0(VALU_DEP_1)
	v_cmpx_eq_u32_e32 0, v5
	s_cbranch_execz .LBB36_444
; %bb.443:                              ;   in Loop: Header=BB36_438 Depth=1
	s_bcnt1_i32_b32 s0, s24
	s_delay_alu instid0(SALU_CYCLE_1) | instskip(NEXT) | instid1(SALU_CYCLE_1)
	s_mul_i32 s0, s22, s0
	v_mov_b32_e32 v8, s0
	ds_add_rtn_u32 v8, v4, v8 offset:4108
.LBB36_444:                             ;   in Loop: Header=BB36_438 Depth=1
	s_or_b32 exec_lo, exec_lo, s23
	s_waitcnt lgkmcnt(0)
	v_readfirstlane_b32 s0, v8
	s_delay_alu instid0(VALU_DEP_1)
	v_mad_u32_u24 v5, s22, v5, s0
.LBB36_445:                             ;   in Loop: Header=BB36_438 Depth=1
	s_or_b32 exec_lo, exec_lo, s20
	ds_bpermute_b32 v5, v4, v5
	s_cmp_eq_u32 vcc_lo, 0
	s_mov_b32 s20, -1
	s_cselect_b32 s22, -1, 0
	s_mov_b32 s23, -1
	s_waitcnt lgkmcnt(0)
	v_cmp_gt_u32_e64 s0, s37, v5
	s_delay_alu instid0(VALU_DEP_1) | instskip(SKIP_3) | instid1(SALU_CYCLE_1)
	s_or_b32 s0, s22, s0
	s_mov_b32 s22, -1
	v_cndmask_b32_e64 v1, v1, v7, s0
	s_and_b32 s24, s21, s0
	s_and_saveexec_b32 s21, s24
	s_cbranch_execz .LBB36_451
; %bb.446:                              ;   in Loop: Header=BB36_438 Depth=1
	v_and_b32_e32 v1, vcc_lo, v16
	v_sub_nc_u32_e32 v8, s37, v5
	s_mov_b32 s24, -1
	s_mov_b32 s23, exec_lo
	s_delay_alu instid0(VALU_DEP_2) | instskip(NEXT) | instid1(VALU_DEP_1)
	v_bcnt_u32_b32 v1, v1, 0
	v_cmp_le_u32_e64 s22, v8, v1
	v_cmpx_gt_u32_e64 v8, v1
	s_cbranch_execz .LBB36_450
; %bb.447:                              ;   in Loop: Header=BB36_438 Depth=1
	v_add_nc_u32_e32 v1, v5, v1
	s_delay_alu instid0(VALU_DEP_3) | instskip(SKIP_1) | instid1(VALU_DEP_1)
	s_mov_b32 s25, s22
	s_mov_b32 s24, exec_lo
	v_cmpx_gt_u32_e64 s37, v1
	s_cbranch_execz .LBB36_449
; %bb.448:                              ;   in Loop: Header=BB36_438 Depth=1
	v_mul_lo_u32 v8, v1, s12
	v_mov_b32_e32 v9, v4
	v_mul_lo_u32 v10, v1, s1
	v_mov_b32_e32 v11, v4
	v_mov_b32_e32 v1, v4
	s_or_b32 s25, s22, exec_lo
	v_lshlrev_b64 v[8:9], 2, v[8:9]
	s_delay_alu instid0(VALU_DEP_3) | instskip(NEXT) | instid1(VALU_DEP_2)
	v_lshlrev_b64 v[10:11], 3, v[10:11]
	v_add_co_u32 v8, vcc_lo, s6, v8
	s_delay_alu instid0(VALU_DEP_3) | instskip(NEXT) | instid1(VALU_DEP_3)
	v_add_co_ci_u32_e32 v9, vcc_lo, s13, v9, vcc_lo
	v_add_co_u32 v10, vcc_lo, s14, v10
	s_delay_alu instid0(VALU_DEP_4)
	v_add_co_ci_u32_e32 v11, vcc_lo, s15, v11, vcc_lo
	global_store_b32 v[8:9], v2, off
	global_store_b64 v[10:11], v[0:1], off
.LBB36_449:                             ;   in Loop: Header=BB36_438 Depth=1
	s_or_b32 exec_lo, exec_lo, s24
	s_delay_alu instid0(SALU_CYCLE_1)
	s_and_not1_b32 s22, s22, exec_lo
	s_and_b32 s25, s25, exec_lo
	s_xor_b32 s24, exec_lo, -1
	s_or_b32 s22, s22, s25
.LBB36_450:                             ;   in Loop: Header=BB36_438 Depth=1
	s_or_b32 exec_lo, exec_lo, s23
	v_mov_b32_e32 v1, v7
	s_or_not1_b32 s23, s24, exec_lo
	s_or_b32 s0, s0, exec_lo
	s_or_not1_b32 s22, s22, exec_lo
.LBB36_451:                             ;   in Loop: Header=BB36_438 Depth=1
	s_or_b32 exec_lo, exec_lo, s21
	s_and_saveexec_b32 s21, s22
	s_cbranch_execz .LBB36_436
; %bb.452:                              ;   in Loop: Header=BB36_438 Depth=1
	v_add_nc_u32_e32 v3, s53, v3
	s_xor_b32 s0, s0, -1
	s_or_b32 s23, s23, exec_lo
	s_or_not1_b32 s20, s0, exec_lo
	s_branch .LBB36_436
.LBB36_453:
	s_or_b32 exec_lo, exec_lo, s7
	s_mov_b32 s0, 0
	s_and_saveexec_b32 s1, s4
	s_delay_alu instid0(SALU_CYCLE_1)
	s_xor_b32 s1, exec_lo, s1
	s_cbranch_execnz .LBB36_485
.LBB36_454:
	s_or_b32 exec_lo, exec_lo, s1
	s_delay_alu instid0(SALU_CYCLE_1)
	s_and_b32 s7, s0, exec_lo
	s_and_not1_b32 s16, s16, exec_lo
.LBB36_455:
	s_or_b32 exec_lo, exec_lo, s3
	s_and_saveexec_b32 s0, s16
	s_delay_alu instid0(SALU_CYCLE_1)
	s_xor_b32 s0, exec_lo, s0
	s_cbranch_execnz .LBB36_481
.LBB36_456:
	s_or_b32 exec_lo, exec_lo, s0
	s_waitcnt lgkmcnt(0)
	s_and_b32 s12, s7, exec_lo
.LBB36_457:
	s_and_not1_saveexec_b32 s0, s11
	s_cbranch_execnz .LBB36_477
.LBB36_458:
	s_or_b32 exec_lo, exec_lo, s0
	s_delay_alu instid0(SALU_CYCLE_1)
	s_and_b32 s11, s12, exec_lo
.LBB36_459:
	s_and_not1_saveexec_b32 s0, s10
	s_cbranch_execnz .LBB36_473
.LBB36_460:
	s_or_b32 exec_lo, exec_lo, s0
	s_delay_alu instid0(SALU_CYCLE_1)
	s_and_b32 s10, s11, exec_lo
.LBB36_461:
	s_and_not1_saveexec_b32 s0, s9
	s_cbranch_execnz .LBB36_469
.LBB36_462:
	s_or_b32 exec_lo, exec_lo, s0
	s_delay_alu instid0(SALU_CYCLE_1)
	s_and_b32 s9, s10, exec_lo
.LBB36_463:
	s_and_not1_saveexec_b32 s0, s8
	s_cbranch_execnz .LBB36_467
; %bb.464:
	s_or_b32 exec_lo, exec_lo, s0
	s_and_saveexec_b32 s0, s9
.LBB36_465:
	; divergent unreachable
.LBB36_466:
	s_nop 0
	s_sendmsg sendmsg(MSG_DEALLOC_VGPRS)
	s_endpgm
.LBB36_467:
	s_cbranch_execnz .LBB36_471
; %bb.468:
	s_or_b32 s9, s9, exec_lo
	s_or_b32 exec_lo, exec_lo, s0
	s_and_saveexec_b32 s0, s9
	s_cbranch_execnz .LBB36_465
	s_branch .LBB36_466
.LBB36_469:
	s_cbranch_execnz .LBB36_475
; %bb.470:
	s_or_b32 s10, s10, exec_lo
	s_branch .LBB36_462
.LBB36_471:
	s_trap 2
	s_sendmsg_rtn_b32 s0, sendmsg(MSG_RTN_GET_DOORBELL)
	s_mov_b32 ttmp2, m0
	s_waitcnt lgkmcnt(0)
	s_and_b32 s0, s0, 0x3ff
	s_delay_alu instid0(SALU_CYCLE_1) | instskip(NEXT) | instid1(SALU_CYCLE_1)
	s_bitset1_b32 s0, 10
	s_mov_b32 m0, s0
	s_sendmsg sendmsg(MSG_INTERRUPT)
	s_mov_b32 m0, ttmp2
.LBB36_472:                             ; =>This Inner Loop Header: Depth=1
	s_sethalt 5
	s_branch .LBB36_472
.LBB36_473:
	s_cbranch_execnz .LBB36_479
; %bb.474:
	s_or_b32 s11, s11, exec_lo
	s_branch .LBB36_460
.LBB36_475:
	s_trap 2
	s_sendmsg_rtn_b32 s0, sendmsg(MSG_RTN_GET_DOORBELL)
	s_mov_b32 ttmp2, m0
	s_waitcnt lgkmcnt(0)
	s_and_b32 s0, s0, 0x3ff
	s_delay_alu instid0(SALU_CYCLE_1) | instskip(NEXT) | instid1(SALU_CYCLE_1)
	s_bitset1_b32 s0, 10
	s_mov_b32 m0, s0
	s_sendmsg sendmsg(MSG_INTERRUPT)
	s_mov_b32 m0, ttmp2
.LBB36_476:                             ; =>This Inner Loop Header: Depth=1
	s_sethalt 5
	s_branch .LBB36_476
.LBB36_477:
	s_cbranch_execnz .LBB36_483
; %bb.478:
	s_or_b32 s12, s12, exec_lo
	s_branch .LBB36_458
.LBB36_479:
	s_trap 2
	s_sendmsg_rtn_b32 s0, sendmsg(MSG_RTN_GET_DOORBELL)
	s_mov_b32 ttmp2, m0
	s_waitcnt lgkmcnt(0)
	s_and_b32 s0, s0, 0x3ff
	s_delay_alu instid0(SALU_CYCLE_1) | instskip(NEXT) | instid1(SALU_CYCLE_1)
	s_bitset1_b32 s0, 10
	s_mov_b32 m0, s0
	s_sendmsg sendmsg(MSG_INTERRUPT)
	s_mov_b32 m0, ttmp2
.LBB36_480:                             ; =>This Inner Loop Header: Depth=1
	s_sethalt 5
	s_branch .LBB36_480
.LBB36_481:
	s_cbranch_execnz .LBB36_487
; %bb.482:
	s_or_b32 s7, s7, exec_lo
	s_branch .LBB36_456
.LBB36_483:
	s_trap 2
	s_sendmsg_rtn_b32 s0, sendmsg(MSG_RTN_GET_DOORBELL)
	s_mov_b32 ttmp2, m0
	s_waitcnt lgkmcnt(0)
	s_and_b32 s0, s0, 0x3ff
	s_delay_alu instid0(SALU_CYCLE_1) | instskip(NEXT) | instid1(SALU_CYCLE_1)
	s_bitset1_b32 s0, 10
	s_mov_b32 m0, s0
	s_sendmsg sendmsg(MSG_INTERRUPT)
	s_mov_b32 m0, ttmp2
.LBB36_484:                             ; =>This Inner Loop Header: Depth=1
	s_sethalt 5
	s_branch .LBB36_484
.LBB36_485:
	s_cbranch_execnz .LBB36_489
; %bb.486:
	s_mov_b32 s0, exec_lo
	s_branch .LBB36_454
.LBB36_487:
	s_trap 2
	s_sendmsg_rtn_b32 s0, sendmsg(MSG_RTN_GET_DOORBELL)
	s_mov_b32 ttmp2, m0
	s_waitcnt lgkmcnt(0)
	s_and_b32 s0, s0, 0x3ff
	s_delay_alu instid0(SALU_CYCLE_1) | instskip(NEXT) | instid1(SALU_CYCLE_1)
	s_bitset1_b32 s0, 10
	s_mov_b32 m0, s0
	s_sendmsg sendmsg(MSG_INTERRUPT)
	s_mov_b32 m0, ttmp2
.LBB36_488:                             ; =>This Inner Loop Header: Depth=1
	s_sethalt 5
	s_branch .LBB36_488
.LBB36_489:
	s_trap 2
	s_sendmsg_rtn_b32 s0, sendmsg(MSG_RTN_GET_DOORBELL)
	s_mov_b32 ttmp2, m0
	s_waitcnt lgkmcnt(0)
	s_and_b32 s0, s0, 0x3ff
	s_delay_alu instid0(SALU_CYCLE_1) | instskip(NEXT) | instid1(SALU_CYCLE_1)
	s_bitset1_b32 s0, 10
	s_mov_b32 m0, s0
	s_sendmsg sendmsg(MSG_INTERRUPT)
	s_mov_b32 m0, ttmp2
.LBB36_490:                             ; =>This Inner Loop Header: Depth=1
	s_sethalt 5
	s_branch .LBB36_490
	.section	.rodata,"a",@progbits
	.p2align	6, 0x0
	.amdhsa_kernel _ZN2at6native6sbtopk10gatherTopKIijLi3ELb0EEEvNS_4cuda6detail10TensorInfoIKT_T0_EES8_S8_bS8_S8_NS5_IS6_S8_EES8_NS5_IlS8_EES8_PS6_
		.amdhsa_group_segment_fixed_size 4112
		.amdhsa_private_segment_fixed_size 0
		.amdhsa_kernarg_size 952
		.amdhsa_user_sgpr_count 13
		.amdhsa_user_sgpr_dispatch_ptr 0
		.amdhsa_user_sgpr_queue_ptr 0
		.amdhsa_user_sgpr_kernarg_segment_ptr 1
		.amdhsa_user_sgpr_dispatch_id 0
		.amdhsa_user_sgpr_private_segment_size 0
		.amdhsa_wavefront_size32 1
		.amdhsa_uses_dynamic_stack 0
		.amdhsa_enable_private_segment 0
		.amdhsa_system_sgpr_workgroup_id_x 1
		.amdhsa_system_sgpr_workgroup_id_y 1
		.amdhsa_system_sgpr_workgroup_id_z 1
		.amdhsa_system_sgpr_workgroup_info 0
		.amdhsa_system_vgpr_workitem_id 0
		.amdhsa_next_free_vgpr 43
		.amdhsa_next_free_sgpr 101
		.amdhsa_reserve_vcc 1
		.amdhsa_float_round_mode_32 0
		.amdhsa_float_round_mode_16_64 0
		.amdhsa_float_denorm_mode_32 3
		.amdhsa_float_denorm_mode_16_64 3
		.amdhsa_dx10_clamp 1
		.amdhsa_ieee_mode 1
		.amdhsa_fp16_overflow 0
		.amdhsa_workgroup_processor_mode 1
		.amdhsa_memory_ordered 1
		.amdhsa_forward_progress 0
		.amdhsa_shared_vgpr_count 0
		.amdhsa_exception_fp_ieee_invalid_op 0
		.amdhsa_exception_fp_denorm_src 0
		.amdhsa_exception_fp_ieee_div_zero 0
		.amdhsa_exception_fp_ieee_overflow 0
		.amdhsa_exception_fp_ieee_underflow 0
		.amdhsa_exception_fp_ieee_inexact 0
		.amdhsa_exception_int_div_zero 0
	.end_amdhsa_kernel
	.section	.text._ZN2at6native6sbtopk10gatherTopKIijLi3ELb0EEEvNS_4cuda6detail10TensorInfoIKT_T0_EES8_S8_bS8_S8_NS5_IS6_S8_EES8_NS5_IlS8_EES8_PS6_,"axG",@progbits,_ZN2at6native6sbtopk10gatherTopKIijLi3ELb0EEEvNS_4cuda6detail10TensorInfoIKT_T0_EES8_S8_bS8_S8_NS5_IS6_S8_EES8_NS5_IlS8_EES8_PS6_,comdat
.Lfunc_end36:
	.size	_ZN2at6native6sbtopk10gatherTopKIijLi3ELb0EEEvNS_4cuda6detail10TensorInfoIKT_T0_EES8_S8_bS8_S8_NS5_IS6_S8_EES8_NS5_IlS8_EES8_PS6_, .Lfunc_end36-_ZN2at6native6sbtopk10gatherTopKIijLi3ELb0EEEvNS_4cuda6detail10TensorInfoIKT_T0_EES8_S8_bS8_S8_NS5_IS6_S8_EES8_NS5_IlS8_EES8_PS6_
                                        ; -- End function
	.section	.AMDGPU.csdata,"",@progbits
; Kernel info:
; codeLenInByte = 15944
; NumSgprs: 103
; NumVgprs: 43
; ScratchSize: 0
; MemoryBound: 0
; FloatMode: 240
; IeeeMode: 1
; LDSByteSize: 4112 bytes/workgroup (compile time only)
; SGPRBlocks: 12
; VGPRBlocks: 5
; NumSGPRsForWavesPerEU: 103
; NumVGPRsForWavesPerEU: 43
; Occupancy: 16
; WaveLimiterHint : 1
; COMPUTE_PGM_RSRC2:SCRATCH_EN: 0
; COMPUTE_PGM_RSRC2:USER_SGPR: 13
; COMPUTE_PGM_RSRC2:TRAP_HANDLER: 0
; COMPUTE_PGM_RSRC2:TGID_X_EN: 1
; COMPUTE_PGM_RSRC2:TGID_Y_EN: 1
; COMPUTE_PGM_RSRC2:TGID_Z_EN: 1
; COMPUTE_PGM_RSRC2:TIDIG_COMP_CNT: 0
	.section	.text._ZN2at6native6mbtopk23computeBlockDigitCountsIijjLin1EEEvNS_4cuda6detail10TensorInfoIKT_T0_EEjPjjS8_iijT1_PSB_Ps,"axG",@progbits,_ZN2at6native6mbtopk23computeBlockDigitCountsIijjLin1EEEvNS_4cuda6detail10TensorInfoIKT_T0_EEjPjjS8_iijT1_PSB_Ps,comdat
	.protected	_ZN2at6native6mbtopk23computeBlockDigitCountsIijjLin1EEEvNS_4cuda6detail10TensorInfoIKT_T0_EEjPjjS8_iijT1_PSB_Ps ; -- Begin function _ZN2at6native6mbtopk23computeBlockDigitCountsIijjLin1EEEvNS_4cuda6detail10TensorInfoIKT_T0_EEjPjjS8_iijT1_PSB_Ps
	.globl	_ZN2at6native6mbtopk23computeBlockDigitCountsIijjLin1EEEvNS_4cuda6detail10TensorInfoIKT_T0_EEjPjjS8_iijT1_PSB_Ps
	.p2align	8
	.type	_ZN2at6native6mbtopk23computeBlockDigitCountsIijjLin1EEEvNS_4cuda6detail10TensorInfoIKT_T0_EEjPjjS8_iijT1_PSB_Ps,@function
_ZN2at6native6mbtopk23computeBlockDigitCountsIijjLin1EEEvNS_4cuda6detail10TensorInfoIKT_T0_EEjPjjS8_iijT1_PSB_Ps: ; @_ZN2at6native6mbtopk23computeBlockDigitCountsIijjLin1EEEvNS_4cuda6detail10TensorInfoIKT_T0_EEjPjjS8_iijT1_PSB_Ps
; %bb.0:
	s_clause 0x2
	s_load_b64 s[2:3], s[0:1], 0xf8
	s_load_b128 s[8:11], s[0:1], 0xe8
	s_load_b64 s[4:5], s[0:1], 0x110
	s_waitcnt lgkmcnt(0)
	v_cvt_f32_u32_e32 v1, s2
	s_sub_i32 s7, 0, s2
	s_mul_i32 s5, s5, s15
	s_delay_alu instid0(SALU_CYCLE_1) | instskip(NEXT) | instid1(VALU_DEP_1)
	s_add_i32 s5, s5, s14
	v_rcp_iflag_f32_e32 v1, v1
	s_mul_i32 s16, s5, s4
	s_delay_alu instid0(SALU_CYCLE_1) | instskip(SKIP_3) | instid1(VALU_DEP_1)
	s_add_i32 s16, s16, s13
	s_mov_b32 s13, 0
	s_waitcnt_depctr 0xfff
	v_mul_f32_e32 v1, 0x4f7ffffe, v1
	v_cvt_u32_f32_e32 v1, v1
	s_delay_alu instid0(VALU_DEP_1) | instskip(NEXT) | instid1(VALU_DEP_1)
	v_readfirstlane_b32 s6, v1
	s_mul_i32 s7, s7, s6
	s_delay_alu instid0(SALU_CYCLE_1) | instskip(NEXT) | instid1(SALU_CYCLE_1)
	s_mul_hi_u32 s4, s6, s7
	s_add_i32 s6, s6, s4
	s_delay_alu instid0(SALU_CYCLE_1) | instskip(NEXT) | instid1(SALU_CYCLE_1)
	s_mul_hi_u32 s4, s16, s6
	s_mul_i32 s5, s4, s2
	s_add_i32 s6, s4, 1
	s_sub_i32 s5, s16, s5
	s_delay_alu instid0(SALU_CYCLE_1)
	s_sub_i32 s7, s5, s2
	s_cmp_ge_u32 s5, s2
	s_cselect_b32 s4, s6, s4
	s_cselect_b32 s5, s7, s5
	s_add_i32 s6, s4, 1
	s_cmp_ge_u32 s5, s2
	s_cselect_b32 s12, s6, s4
	s_delay_alu instid0(SALU_CYCLE_1)
	s_cmp_ge_u32 s12, s8
	s_cbranch_scc1 .LBB37_32
; %bb.1:
	s_clause 0x1
	s_load_b128 s[4:7], s[0:1], 0x100
	s_load_b32 s8, s[0:1], 0xd0
	s_lshl_b64 s[14:15], s[12:13], 2
	s_mov_b32 s17, s12
	s_waitcnt lgkmcnt(0)
	s_add_u32 s4, s4, s14
	s_addc_u32 s5, s5, s15
	s_cmp_lt_i32 s8, 2
	s_cbranch_scc1 .LBB37_4
; %bb.2:
	s_add_i32 s18, s8, -1
	s_mov_b32 s19, 0
	s_add_i32 s8, s8, 1
	s_lshl_b64 s[14:15], s[18:19], 2
	s_mov_b32 s17, s12
	s_add_u32 s13, s14, s0
	s_addc_u32 s15, s15, s1
	s_add_u32 s14, s13, 8
	s_addc_u32 s15, s15, 0
	s_mov_b32 s13, s19
	s_set_inst_prefetch_distance 0x1
	.p2align	6
.LBB37_3:                               ; =>This Inner Loop Header: Depth=1
	s_clause 0x1
	s_load_b32 s18, s[14:15], 0x0
	s_load_b32 s19, s[14:15], 0x64
	s_mov_b32 s22, s17
	s_waitcnt lgkmcnt(0)
	v_cvt_f32_u32_e32 v1, s18
	s_sub_i32 s21, 0, s18
	s_waitcnt_depctr 0xfff
	v_rcp_iflag_f32_e32 v1, v1
	s_waitcnt_depctr 0xfff
	v_mul_f32_e32 v1, 0x4f7ffffe, v1
	s_delay_alu instid0(VALU_DEP_1) | instskip(NEXT) | instid1(VALU_DEP_1)
	v_cvt_u32_f32_e32 v1, v1
	v_readfirstlane_b32 s20, v1
	s_delay_alu instid0(VALU_DEP_1) | instskip(NEXT) | instid1(SALU_CYCLE_1)
	s_mul_i32 s21, s21, s20
	s_mul_hi_u32 s21, s20, s21
	s_delay_alu instid0(SALU_CYCLE_1) | instskip(NEXT) | instid1(SALU_CYCLE_1)
	s_add_i32 s20, s20, s21
	s_mul_hi_u32 s17, s17, s20
	s_delay_alu instid0(SALU_CYCLE_1) | instskip(SKIP_2) | instid1(SALU_CYCLE_1)
	s_mul_i32 s20, s17, s18
	s_add_i32 s21, s17, 1
	s_sub_i32 s20, s22, s20
	s_sub_i32 s23, s20, s18
	s_cmp_ge_u32 s20, s18
	s_cselect_b32 s17, s21, s17
	s_cselect_b32 s20, s23, s20
	s_add_i32 s21, s17, 1
	s_cmp_ge_u32 s20, s18
	s_cselect_b32 s17, s21, s17
	s_add_i32 s8, s8, -1
	s_mul_i32 s18, s17, s18
	s_delay_alu instid0(SALU_CYCLE_1) | instskip(NEXT) | instid1(SALU_CYCLE_1)
	s_sub_i32 s18, s22, s18
	s_mul_i32 s18, s19, s18
	s_delay_alu instid0(SALU_CYCLE_1)
	s_add_i32 s13, s18, s13
	s_add_u32 s14, s14, -4
	s_addc_u32 s15, s15, -1
	s_cmp_gt_u32 s8, 2
	s_cbranch_scc1 .LBB37_3
.LBB37_4:
	s_set_inst_prefetch_distance 0x2
	s_load_b32 s8, s[4:5], 0x0
	v_cmp_gt_u32_e32 vcc_lo, 0x100, v0
	v_lshlrev_b32_e32 v3, 2, v0
	s_and_saveexec_b32 s4, vcc_lo
	s_cbranch_execz .LBB37_6
; %bb.5:
	v_mov_b32_e32 v1, 0
	ds_store_b32 v3, v1
.LBB37_6:
	s_or_b32 exec_lo, exec_lo, s4
	s_load_b32 s14, s[0:1], 0xd8
	s_mul_i32 s4, s12, s2
	s_waitcnt lgkmcnt(0)
	s_sub_i32 s4, s16, s4
	s_barrier
	s_mul_i32 s5, s11, s4
	s_add_i32 s4, s4, 1
	s_lshl_b32 s12, s5, 8
	buffer_gl0_inv
	s_sub_i32 s5, s14, s12
	s_delay_alu instid0(SALU_CYCLE_1) | instskip(SKIP_3) | instid1(VALU_DEP_1)
	s_add_u32 s5, s5, 0xff
	s_addc_u32 s15, 0, 0
	s_cmp_lt_u32 s4, s2
	v_alignbit_b32 v1, s15, s5, 8
	v_readfirstlane_b32 s5, v1
	s_delay_alu instid0(VALU_DEP_1)
	s_cselect_b32 s11, s11, s5
	s_mov_b32 s5, 0
	s_cmp_lt_i32 s11, 1
	s_cbranch_scc1 .LBB37_28
; %bb.7:
	s_clause 0x1
	s_load_b32 s2, s[0:1], 0x6c
	s_load_b64 s[18:19], s[0:1], 0x0
	s_waitcnt lgkmcnt(0)
	s_mul_i32 s0, s2, s17
	s_delay_alu instid0(SALU_CYCLE_1) | instskip(NEXT) | instid1(SALU_CYCLE_1)
	s_add_i32 s4, s0, s13
	s_lshl_b64 s[20:21], s[4:5], 2
	s_delay_alu instid0(SALU_CYCLE_1)
	s_add_u32 s1, s18, s20
	s_addc_u32 s2, s19, s21
	s_and_b32 s4, s10, 0xff
	s_cmp_lt_u32 s11, 4
	s_cbranch_scc1 .LBB37_22
; %bb.8:
	v_add_nc_u32_e32 v1, s12, v0
	s_and_b32 s5, s11, 0x7ffffffc
	s_lshl_b32 s10, s9, 10
	s_mov_b32 s13, 0
	s_mov_b32 s15, 0
	v_dual_mov_b32 v9, 1 :: v_dual_add_nc_u32 v2, 0x200, v1
	s_delay_alu instid0(VALU_DEP_1) | instskip(SKIP_4) | instid1(VALU_DEP_3)
	v_mul_lo_u32 v6, s9, v2
	v_mov_b32_e32 v2, 0
	v_add_nc_u32_e32 v4, 0x300, v1
	v_add_nc_u32_e32 v7, 0x100, v1
	v_mul_lo_u32 v8, s9, v1
	v_mul_lo_u32 v5, s9, v4
	s_delay_alu instid0(VALU_DEP_3)
	v_mul_lo_u32 v7, s9, v7
	s_branch .LBB37_10
.LBB37_9:                               ;   in Loop: Header=BB37_10 Depth=1
	s_or_b32 exec_lo, exec_lo, s17
	v_add_nc_u32_e32 v4, 0x400, v4
	s_add_i32 s15, s15, 4
	s_add_i32 s13, s13, s10
	s_cmp_eq_u32 s5, s15
	s_cbranch_scc1 .LBB37_22
.LBB37_10:                              ; =>This Inner Loop Header: Depth=1
	v_add_nc_u32_e32 v1, 0xfffffd00, v4
	s_mov_b32 s17, exec_lo
	s_delay_alu instid0(VALU_DEP_1)
	v_cmpx_gt_u32_e64 s14, v1
	s_cbranch_execz .LBB37_13
; %bb.11:                               ;   in Loop: Header=BB37_10 Depth=1
	v_add_nc_u32_e32 v1, s13, v8
	s_delay_alu instid0(VALU_DEP_1) | instskip(NEXT) | instid1(VALU_DEP_1)
	v_lshlrev_b64 v[10:11], 2, v[1:2]
	v_add_co_u32 v10, s0, s1, v10
	s_delay_alu instid0(VALU_DEP_1) | instskip(SKIP_3) | instid1(VALU_DEP_1)
	v_add_co_ci_u32_e64 v11, s0, s2, v11, s0
	global_load_b32 v1, v[10:11], off
	s_waitcnt vmcnt(0)
	v_xor_b32_e32 v1, 0x80000000, v1
	v_xor_b32_e32 v10, s8, v1
	s_delay_alu instid0(VALU_DEP_1) | instskip(NEXT) | instid1(VALU_DEP_1)
	v_and_b32_e32 v10, s3, v10
	v_cmp_eq_u32_e64 s0, 0, v10
	s_delay_alu instid0(VALU_DEP_1)
	s_and_b32 exec_lo, exec_lo, s0
	s_cbranch_execz .LBB37_13
; %bb.12:                               ;   in Loop: Header=BB37_10 Depth=1
	v_bfe_u32 v1, v1, s4, 8
	s_delay_alu instid0(VALU_DEP_1)
	v_lshlrev_b32_e32 v1, 2, v1
	ds_add_u32 v1, v9
.LBB37_13:                              ;   in Loop: Header=BB37_10 Depth=1
	s_or_b32 exec_lo, exec_lo, s17
	v_add_nc_u32_e32 v1, 0xfffffe00, v4
	s_mov_b32 s17, exec_lo
	s_delay_alu instid0(VALU_DEP_1)
	v_cmpx_gt_u32_e64 s14, v1
	s_cbranch_execz .LBB37_16
; %bb.14:                               ;   in Loop: Header=BB37_10 Depth=1
	v_add_nc_u32_e32 v1, s13, v7
	s_delay_alu instid0(VALU_DEP_1) | instskip(NEXT) | instid1(VALU_DEP_1)
	v_lshlrev_b64 v[10:11], 2, v[1:2]
	v_add_co_u32 v10, s0, s1, v10
	s_delay_alu instid0(VALU_DEP_1) | instskip(SKIP_3) | instid1(VALU_DEP_1)
	v_add_co_ci_u32_e64 v11, s0, s2, v11, s0
	global_load_b32 v1, v[10:11], off
	s_waitcnt vmcnt(0)
	v_xor_b32_e32 v1, 0x80000000, v1
	v_xor_b32_e32 v10, s8, v1
	s_delay_alu instid0(VALU_DEP_1) | instskip(NEXT) | instid1(VALU_DEP_1)
	v_and_b32_e32 v10, s3, v10
	v_cmp_eq_u32_e64 s0, 0, v10
	s_delay_alu instid0(VALU_DEP_1)
	s_and_b32 exec_lo, exec_lo, s0
	s_cbranch_execz .LBB37_16
; %bb.15:                               ;   in Loop: Header=BB37_10 Depth=1
	v_bfe_u32 v1, v1, s4, 8
	s_delay_alu instid0(VALU_DEP_1)
	v_lshlrev_b32_e32 v1, 2, v1
	ds_add_u32 v1, v9
.LBB37_16:                              ;   in Loop: Header=BB37_10 Depth=1
	s_or_b32 exec_lo, exec_lo, s17
	;; [unrolled: 29-line block ×3, first 2 shown]
	s_delay_alu instid0(SALU_CYCLE_1)
	s_mov_b32 s17, exec_lo
	v_cmpx_gt_u32_e64 s14, v4
	s_cbranch_execz .LBB37_9
; %bb.20:                               ;   in Loop: Header=BB37_10 Depth=1
	v_add_nc_u32_e32 v1, s13, v5
	s_delay_alu instid0(VALU_DEP_1) | instskip(NEXT) | instid1(VALU_DEP_1)
	v_lshlrev_b64 v[10:11], 2, v[1:2]
	v_add_co_u32 v10, s0, s1, v10
	s_delay_alu instid0(VALU_DEP_1) | instskip(SKIP_3) | instid1(VALU_DEP_1)
	v_add_co_ci_u32_e64 v11, s0, s2, v11, s0
	global_load_b32 v1, v[10:11], off
	s_waitcnt vmcnt(0)
	v_xor_b32_e32 v1, 0x80000000, v1
	v_xor_b32_e32 v10, s8, v1
	s_delay_alu instid0(VALU_DEP_1) | instskip(NEXT) | instid1(VALU_DEP_1)
	v_and_b32_e32 v10, s3, v10
	v_cmp_eq_u32_e64 s0, 0, v10
	s_delay_alu instid0(VALU_DEP_1)
	s_and_b32 exec_lo, exec_lo, s0
	s_cbranch_execz .LBB37_9
; %bb.21:                               ;   in Loop: Header=BB37_10 Depth=1
	v_bfe_u32 v1, v1, s4, 8
	s_delay_alu instid0(VALU_DEP_1)
	v_lshlrev_b32_e32 v1, 2, v1
	ds_add_u32 v1, v9
	s_branch .LBB37_9
.LBB37_22:
	s_and_b32 s10, s11, 3
	s_delay_alu instid0(SALU_CYCLE_1)
	s_cmp_eq_u32 s10, 0
	s_cbranch_scc1 .LBB37_28
; %bb.23:
	s_lshl_b32 s0, s5, 8
	v_dual_mov_b32 v2, 0 :: v_dual_mov_b32 v5, 1
	v_add3_u32 v4, s0, s12, v0
	s_lshl_b32 s5, s9, 8
	s_delay_alu instid0(VALU_DEP_1)
	v_mul_lo_u32 v1, s9, v4
	s_set_inst_prefetch_distance 0x1
	s_branch .LBB37_25
	.p2align	6
.LBB37_24:                              ;   in Loop: Header=BB37_25 Depth=1
	s_or_b32 exec_lo, exec_lo, s9
	s_delay_alu instid0(VALU_DEP_2) | instskip(SKIP_2) | instid1(SALU_CYCLE_1)
	v_add_nc_u32_e32 v1, s5, v1
	v_add_nc_u32_e32 v4, 0x100, v4
	s_add_i32 s10, s10, -1
	s_cmp_lg_u32 s10, 0
	s_cbranch_scc0 .LBB37_28
.LBB37_25:                              ; =>This Inner Loop Header: Depth=1
	s_mov_b32 s9, exec_lo
	v_cmpx_gt_u32_e64 s14, v4
	s_cbranch_execz .LBB37_24
; %bb.26:                               ;   in Loop: Header=BB37_25 Depth=1
	s_delay_alu instid0(VALU_DEP_2) | instskip(NEXT) | instid1(VALU_DEP_1)
	v_lshlrev_b64 v[6:7], 2, v[1:2]
	v_add_co_u32 v6, s0, s1, v6
	s_delay_alu instid0(VALU_DEP_1) | instskip(SKIP_3) | instid1(VALU_DEP_1)
	v_add_co_ci_u32_e64 v7, s0, s2, v7, s0
	global_load_b32 v6, v[6:7], off
	s_waitcnt vmcnt(0)
	v_xor_b32_e32 v6, 0x80000000, v6
	v_xor_b32_e32 v7, s8, v6
	s_delay_alu instid0(VALU_DEP_1) | instskip(NEXT) | instid1(VALU_DEP_1)
	v_and_b32_e32 v7, s3, v7
	v_cmp_eq_u32_e64 s0, 0, v7
	s_delay_alu instid0(VALU_DEP_1)
	s_and_b32 exec_lo, exec_lo, s0
	s_cbranch_execz .LBB37_24
; %bb.27:                               ;   in Loop: Header=BB37_25 Depth=1
	v_bfe_u32 v6, v6, s4, 8
	s_delay_alu instid0(VALU_DEP_1)
	v_lshlrev_b32_e32 v6, 2, v6
	ds_add_u32 v6, v5
	s_branch .LBB37_24
.LBB37_28:
	s_set_inst_prefetch_distance 0x2
	v_mov_b32_e32 v1, 0
	s_waitcnt lgkmcnt(0)
	s_barrier
	buffer_gl0_inv
	s_and_saveexec_b32 s0, vcc_lo
	s_cbranch_execz .LBB37_30
; %bb.29:
	ds_load_b32 v1, v3
.LBB37_30:
	s_or_b32 exec_lo, exec_lo, s0
	s_and_saveexec_b32 s0, vcc_lo
	s_cbranch_execz .LBB37_32
; %bb.31:
	v_lshl_or_b32 v2, s16, 8, v0
	v_mov_b32_e32 v3, 0
	s_delay_alu instid0(VALU_DEP_1) | instskip(NEXT) | instid1(VALU_DEP_1)
	v_lshlrev_b64 v[2:3], 1, v[2:3]
	v_add_co_u32 v2, vcc_lo, s6, v2
	s_delay_alu instid0(VALU_DEP_2)
	v_add_co_ci_u32_e32 v3, vcc_lo, s7, v3, vcc_lo
	s_waitcnt lgkmcnt(0)
	global_store_b16 v[2:3], v1, off
.LBB37_32:
	s_nop 0
	s_sendmsg sendmsg(MSG_DEALLOC_VGPRS)
	s_endpgm
	.section	.rodata,"a",@progbits
	.p2align	6, 0x0
	.amdhsa_kernel _ZN2at6native6mbtopk23computeBlockDigitCountsIijjLin1EEEvNS_4cuda6detail10TensorInfoIKT_T0_EEjPjjS8_iijT1_PSB_Ps
		.amdhsa_group_segment_fixed_size 1024
		.amdhsa_private_segment_fixed_size 0
		.amdhsa_kernarg_size 528
		.amdhsa_user_sgpr_count 13
		.amdhsa_user_sgpr_dispatch_ptr 0
		.amdhsa_user_sgpr_queue_ptr 0
		.amdhsa_user_sgpr_kernarg_segment_ptr 1
		.amdhsa_user_sgpr_dispatch_id 0
		.amdhsa_user_sgpr_private_segment_size 0
		.amdhsa_wavefront_size32 1
		.amdhsa_uses_dynamic_stack 0
		.amdhsa_enable_private_segment 0
		.amdhsa_system_sgpr_workgroup_id_x 1
		.amdhsa_system_sgpr_workgroup_id_y 1
		.amdhsa_system_sgpr_workgroup_id_z 1
		.amdhsa_system_sgpr_workgroup_info 0
		.amdhsa_system_vgpr_workitem_id 0
		.amdhsa_next_free_vgpr 12
		.amdhsa_next_free_sgpr 24
		.amdhsa_reserve_vcc 1
		.amdhsa_float_round_mode_32 0
		.amdhsa_float_round_mode_16_64 0
		.amdhsa_float_denorm_mode_32 3
		.amdhsa_float_denorm_mode_16_64 3
		.amdhsa_dx10_clamp 1
		.amdhsa_ieee_mode 1
		.amdhsa_fp16_overflow 0
		.amdhsa_workgroup_processor_mode 1
		.amdhsa_memory_ordered 1
		.amdhsa_forward_progress 0
		.amdhsa_shared_vgpr_count 0
		.amdhsa_exception_fp_ieee_invalid_op 0
		.amdhsa_exception_fp_denorm_src 0
		.amdhsa_exception_fp_ieee_div_zero 0
		.amdhsa_exception_fp_ieee_overflow 0
		.amdhsa_exception_fp_ieee_underflow 0
		.amdhsa_exception_fp_ieee_inexact 0
		.amdhsa_exception_int_div_zero 0
	.end_amdhsa_kernel
	.section	.text._ZN2at6native6mbtopk23computeBlockDigitCountsIijjLin1EEEvNS_4cuda6detail10TensorInfoIKT_T0_EEjPjjS8_iijT1_PSB_Ps,"axG",@progbits,_ZN2at6native6mbtopk23computeBlockDigitCountsIijjLin1EEEvNS_4cuda6detail10TensorInfoIKT_T0_EEjPjjS8_iijT1_PSB_Ps,comdat
.Lfunc_end37:
	.size	_ZN2at6native6mbtopk23computeBlockDigitCountsIijjLin1EEEvNS_4cuda6detail10TensorInfoIKT_T0_EEjPjjS8_iijT1_PSB_Ps, .Lfunc_end37-_ZN2at6native6mbtopk23computeBlockDigitCountsIijjLin1EEEvNS_4cuda6detail10TensorInfoIKT_T0_EEjPjjS8_iijT1_PSB_Ps
                                        ; -- End function
	.section	.AMDGPU.csdata,"",@progbits
; Kernel info:
; codeLenInByte = 1696
; NumSgprs: 26
; NumVgprs: 12
; ScratchSize: 0
; MemoryBound: 0
; FloatMode: 240
; IeeeMode: 1
; LDSByteSize: 1024 bytes/workgroup (compile time only)
; SGPRBlocks: 3
; VGPRBlocks: 1
; NumSGPRsForWavesPerEU: 26
; NumVGPRsForWavesPerEU: 12
; Occupancy: 16
; WaveLimiterHint : 1
; COMPUTE_PGM_RSRC2:SCRATCH_EN: 0
; COMPUTE_PGM_RSRC2:USER_SGPR: 13
; COMPUTE_PGM_RSRC2:TRAP_HANDLER: 0
; COMPUTE_PGM_RSRC2:TGID_X_EN: 1
; COMPUTE_PGM_RSRC2:TGID_Y_EN: 1
; COMPUTE_PGM_RSRC2:TGID_Z_EN: 1
; COMPUTE_PGM_RSRC2:TIDIG_COMP_CNT: 0
	.section	.text._ZN2at6native6mbtopk10gatherTopKIijLin1EEEvNS_4cuda6detail10TensorInfoIKT_T0_EES8_S8_bjS8_NS5_IS6_S8_EES8_NS5_IlS8_EES8_jjPS6_PjSD_j,"axG",@progbits,_ZN2at6native6mbtopk10gatherTopKIijLin1EEEvNS_4cuda6detail10TensorInfoIKT_T0_EES8_S8_bjS8_NS5_IS6_S8_EES8_NS5_IlS8_EES8_jjPS6_PjSD_j,comdat
	.protected	_ZN2at6native6mbtopk10gatherTopKIijLin1EEEvNS_4cuda6detail10TensorInfoIKT_T0_EES8_S8_bjS8_NS5_IS6_S8_EES8_NS5_IlS8_EES8_jjPS6_PjSD_j ; -- Begin function _ZN2at6native6mbtopk10gatherTopKIijLin1EEEvNS_4cuda6detail10TensorInfoIKT_T0_EES8_S8_bjS8_NS5_IS6_S8_EES8_NS5_IlS8_EES8_jjPS6_PjSD_j
	.globl	_ZN2at6native6mbtopk10gatherTopKIijLin1EEEvNS_4cuda6detail10TensorInfoIKT_T0_EES8_S8_bjS8_NS5_IS6_S8_EES8_NS5_IlS8_EES8_jjPS6_PjSD_j
	.p2align	8
	.type	_ZN2at6native6mbtopk10gatherTopKIijLin1EEEvNS_4cuda6detail10TensorInfoIKT_T0_EES8_S8_bjS8_NS5_IS6_S8_EES8_NS5_IlS8_EES8_jjPS6_PjSD_j,@function
_ZN2at6native6mbtopk10gatherTopKIijLin1EEEvNS_4cuda6detail10TensorInfoIKT_T0_EES8_S8_bjS8_NS5_IS6_S8_EES8_NS5_IlS8_EES8_jjPS6_PjSD_j: ; @_ZN2at6native6mbtopk10gatherTopKIijLin1EEEvNS_4cuda6detail10TensorInfoIKT_T0_EES8_S8_bjS8_NS5_IS6_S8_EES8_NS5_IlS8_EES8_jjPS6_PjSD_j
; %bb.0:
	s_clause 0x1
	s_load_b64 s[2:3], s[0:1], 0x2d8
	s_load_b32 s4, s[0:1], 0x2d0
	s_waitcnt lgkmcnt(0)
	s_mul_i32 s3, s3, s15
	s_delay_alu instid0(SALU_CYCLE_1) | instskip(NEXT) | instid1(SALU_CYCLE_1)
	s_add_i32 s3, s3, s14
	s_mul_i32 s2, s3, s2
	s_delay_alu instid0(SALU_CYCLE_1) | instskip(NEXT) | instid1(SALU_CYCLE_1)
	s_add_i32 s13, s2, s13
	s_cmp_ge_u32 s13, s4
	s_cbranch_scc1 .LBB38_49
; %bb.1:
	s_clause 0x1
	s_load_b128 s[4:7], s[0:1], 0x2a8
	s_load_b32 s2, s[0:1], 0xd0
	s_mov_b32 s17, 0
	s_waitcnt lgkmcnt(0)
	v_cvt_f32_u32_e32 v1, s6
	s_sub_i32 s7, 0, s6
	s_delay_alu instid0(VALU_DEP_1) | instskip(SKIP_2) | instid1(VALU_DEP_1)
	v_rcp_iflag_f32_e32 v1, v1
	s_waitcnt_depctr 0xfff
	v_mul_f32_e32 v1, 0x4f7ffffe, v1
	v_cvt_u32_f32_e32 v1, v1
	s_delay_alu instid0(VALU_DEP_1) | instskip(NEXT) | instid1(VALU_DEP_1)
	v_readfirstlane_b32 s3, v1
	s_mul_i32 s7, s7, s3
	s_delay_alu instid0(SALU_CYCLE_1) | instskip(NEXT) | instid1(SALU_CYCLE_1)
	s_mul_hi_u32 s7, s3, s7
	s_add_i32 s3, s3, s7
	s_delay_alu instid0(SALU_CYCLE_1) | instskip(NEXT) | instid1(SALU_CYCLE_1)
	s_mul_hi_u32 s3, s13, s3
	s_mul_i32 s7, s3, s6
	s_add_i32 s8, s3, 1
	s_sub_i32 s7, s13, s7
	s_delay_alu instid0(SALU_CYCLE_1)
	s_sub_i32 s9, s7, s6
	s_cmp_ge_u32 s7, s6
	s_cselect_b32 s3, s8, s3
	s_cselect_b32 s7, s9, s7
	s_add_i32 s8, s3, 1
	s_cmp_ge_u32 s7, s6
	s_cselect_b32 s18, s8, s3
	s_cmp_lt_i32 s2, 2
	s_mov_b32 s33, s18
	s_cbranch_scc1 .LBB38_4
; %bb.2:
	s_add_i32 s16, s2, -1
	s_add_i32 s7, s2, 1
	s_lshl_b64 s[8:9], s[16:17], 2
	s_mov_b32 s33, s18
	s_add_u32 s2, s8, s0
	s_addc_u32 s3, s9, s1
	s_add_u32 s2, s2, 8
	s_addc_u32 s3, s3, 0
	s_set_inst_prefetch_distance 0x1
	.p2align	6
.LBB38_3:                               ; =>This Inner Loop Header: Depth=1
	s_clause 0x1
	s_load_b32 s8, s[2:3], 0x0
	s_load_b32 s9, s[2:3], 0x64
	s_mov_b32 s12, s33
	s_waitcnt lgkmcnt(0)
	v_cvt_f32_u32_e32 v1, s8
	s_sub_i32 s11, 0, s8
	s_waitcnt_depctr 0xfff
	v_rcp_iflag_f32_e32 v1, v1
	s_waitcnt_depctr 0xfff
	v_mul_f32_e32 v1, 0x4f7ffffe, v1
	s_delay_alu instid0(VALU_DEP_1) | instskip(NEXT) | instid1(VALU_DEP_1)
	v_cvt_u32_f32_e32 v1, v1
	v_readfirstlane_b32 s10, v1
	s_delay_alu instid0(VALU_DEP_1) | instskip(NEXT) | instid1(SALU_CYCLE_1)
	s_mul_i32 s11, s11, s10
	s_mul_hi_u32 s11, s10, s11
	s_delay_alu instid0(SALU_CYCLE_1) | instskip(NEXT) | instid1(SALU_CYCLE_1)
	s_add_i32 s10, s10, s11
	s_mul_hi_u32 s10, s33, s10
	s_delay_alu instid0(SALU_CYCLE_1) | instskip(SKIP_2) | instid1(SALU_CYCLE_1)
	s_mul_i32 s11, s10, s8
	s_add_i32 s14, s10, 1
	s_sub_i32 s11, s33, s11
	s_sub_i32 s15, s11, s8
	s_cmp_ge_u32 s11, s8
	s_cselect_b32 s10, s14, s10
	s_cselect_b32 s11, s15, s11
	s_add_i32 s14, s10, 1
	s_cmp_ge_u32 s11, s8
	s_cselect_b32 s33, s14, s10
	s_add_i32 s7, s7, -1
	s_mul_i32 s8, s33, s8
	s_delay_alu instid0(SALU_CYCLE_1) | instskip(NEXT) | instid1(SALU_CYCLE_1)
	s_sub_i32 s8, s12, s8
	s_mul_i32 s8, s9, s8
	s_delay_alu instid0(SALU_CYCLE_1)
	s_add_i32 s17, s8, s17
	s_add_u32 s2, s2, -4
	s_addc_u32 s3, s3, -1
	s_cmp_gt_u32 s7, 2
	s_cbranch_scc1 .LBB38_3
.LBB38_4:
	s_set_inst_prefetch_distance 0x2
	s_load_b32 s7, s[0:1], 0x1c0
	s_add_u32 s2, s0, 0xf0
	s_addc_u32 s3, s1, 0
	s_mov_b32 s21, 0
	s_mov_b32 s20, s18
	s_waitcnt lgkmcnt(0)
	s_cmp_lt_i32 s7, 2
	s_cbranch_scc1 .LBB38_7
; %bb.5:
	s_add_i32 s20, s7, -1
	s_add_i32 s7, s7, 1
	s_lshl_b64 s[8:9], s[20:21], 2
	s_mov_b32 s20, s18
	s_add_u32 s8, s8, s2
	s_addc_u32 s9, s9, s3
	s_add_u32 s8, s8, 8
	s_addc_u32 s9, s9, 0
	s_set_inst_prefetch_distance 0x1
	.p2align	6
.LBB38_6:                               ; =>This Inner Loop Header: Depth=1
	s_clause 0x1
	s_load_b32 s10, s[8:9], 0x0
	s_load_b32 s11, s[8:9], 0x64
	s_mov_b32 s15, s20
	s_waitcnt lgkmcnt(0)
	v_cvt_f32_u32_e32 v1, s10
	s_sub_i32 s14, 0, s10
	s_waitcnt_depctr 0xfff
	v_rcp_iflag_f32_e32 v1, v1
	s_waitcnt_depctr 0xfff
	v_mul_f32_e32 v1, 0x4f7ffffe, v1
	s_delay_alu instid0(VALU_DEP_1) | instskip(NEXT) | instid1(VALU_DEP_1)
	v_cvt_u32_f32_e32 v1, v1
	v_readfirstlane_b32 s12, v1
	s_delay_alu instid0(VALU_DEP_1) | instskip(NEXT) | instid1(SALU_CYCLE_1)
	s_mul_i32 s14, s14, s12
	s_mul_hi_u32 s14, s12, s14
	s_delay_alu instid0(SALU_CYCLE_1) | instskip(NEXT) | instid1(SALU_CYCLE_1)
	s_add_i32 s12, s12, s14
	s_mul_hi_u32 s12, s20, s12
	s_delay_alu instid0(SALU_CYCLE_1) | instskip(SKIP_2) | instid1(SALU_CYCLE_1)
	s_mul_i32 s14, s12, s10
	s_add_i32 s16, s12, 1
	s_sub_i32 s14, s20, s14
	s_sub_i32 s19, s14, s10
	s_cmp_ge_u32 s14, s10
	s_cselect_b32 s12, s16, s12
	s_cselect_b32 s14, s19, s14
	s_add_i32 s16, s12, 1
	s_cmp_ge_u32 s14, s10
	s_cselect_b32 s20, s16, s12
	s_add_i32 s7, s7, -1
	s_mul_i32 s10, s20, s10
	s_delay_alu instid0(SALU_CYCLE_1) | instskip(NEXT) | instid1(SALU_CYCLE_1)
	s_sub_i32 s10, s15, s10
	s_mul_i32 s10, s11, s10
	s_delay_alu instid0(SALU_CYCLE_1)
	s_add_i32 s21, s10, s21
	s_add_u32 s8, s8, -4
	s_addc_u32 s9, s9, -1
	s_cmp_gt_u32 s7, 2
	s_cbranch_scc1 .LBB38_6
.LBB38_7:
	s_set_inst_prefetch_distance 0x2
	s_clause 0x1
	s_load_b32 s36, s[0:1], 0x6c
	s_load_b32 s7, s[0:1], 0x2a0
	s_add_u32 s8, s0, 0x1d0
	s_addc_u32 s9, s1, 0
	s_mov_b32 s23, 0
	s_mov_b32 s22, s18
	s_waitcnt lgkmcnt(0)
	s_cmp_lt_i32 s7, 2
	s_cbranch_scc1 .LBB38_10
; %bb.8:
	s_add_i32 s22, s7, -1
	s_add_i32 s7, s7, 1
	s_lshl_b64 s[10:11], s[22:23], 2
	s_mov_b32 s22, s18
	s_add_u32 s8, s10, s8
	s_addc_u32 s9, s11, s9
	s_add_u32 s8, s8, 8
	s_addc_u32 s9, s9, 0
	s_set_inst_prefetch_distance 0x1
	.p2align	6
.LBB38_9:                               ; =>This Inner Loop Header: Depth=1
	s_clause 0x1
	s_load_b32 s10, s[8:9], 0x0
	s_load_b32 s11, s[8:9], 0x64
	s_mov_b32 s15, s22
	s_waitcnt lgkmcnt(0)
	v_cvt_f32_u32_e32 v1, s10
	s_sub_i32 s14, 0, s10
	s_waitcnt_depctr 0xfff
	v_rcp_iflag_f32_e32 v1, v1
	s_waitcnt_depctr 0xfff
	v_mul_f32_e32 v1, 0x4f7ffffe, v1
	s_delay_alu instid0(VALU_DEP_1) | instskip(NEXT) | instid1(VALU_DEP_1)
	v_cvt_u32_f32_e32 v1, v1
	v_readfirstlane_b32 s12, v1
	s_delay_alu instid0(VALU_DEP_1) | instskip(NEXT) | instid1(SALU_CYCLE_1)
	s_mul_i32 s14, s14, s12
	s_mul_hi_u32 s14, s12, s14
	s_delay_alu instid0(SALU_CYCLE_1) | instskip(NEXT) | instid1(SALU_CYCLE_1)
	s_add_i32 s12, s12, s14
	s_mul_hi_u32 s12, s22, s12
	s_delay_alu instid0(SALU_CYCLE_1) | instskip(SKIP_2) | instid1(SALU_CYCLE_1)
	s_mul_i32 s14, s12, s10
	s_add_i32 s16, s12, 1
	s_sub_i32 s14, s22, s14
	s_sub_i32 s19, s14, s10
	s_cmp_ge_u32 s14, s10
	s_cselect_b32 s12, s16, s12
	s_cselect_b32 s14, s19, s14
	s_add_i32 s16, s12, 1
	s_cmp_ge_u32 s14, s10
	s_cselect_b32 s22, s16, s12
	s_add_i32 s7, s7, -1
	s_mul_i32 s10, s22, s10
	s_delay_alu instid0(SALU_CYCLE_1) | instskip(NEXT) | instid1(SALU_CYCLE_1)
	s_sub_i32 s10, s15, s10
	s_mul_i32 s10, s11, s10
	s_delay_alu instid0(SALU_CYCLE_1)
	s_add_i32 s23, s10, s23
	s_add_u32 s8, s8, -4
	s_addc_u32 s9, s9, -1
	s_cmp_gt_u32 s7, 2
	s_cbranch_scc1 .LBB38_9
.LBB38_10:
	s_set_inst_prefetch_distance 0x2
	s_clause 0x1
	s_load_b32 s37, s[2:3], 0x6c
	s_load_b128 s[8:11], s[0:1], 0x2b8
	s_mov_b32 s19, 0
	s_mul_i32 s12, s18, s6
	s_lshl_b64 s[2:3], s[18:19], 2
	s_sub_i32 s7, s13, s12
	s_waitcnt lgkmcnt(0)
	s_add_u32 s2, s8, s2
	s_addc_u32 s3, s9, s3
	s_clause 0x2
	s_load_b64 s[28:29], s[0:1], 0x0
	s_load_b64 s[26:27], s[0:1], 0xf0
	;; [unrolled: 1-line block ×3, first 2 shown]
	s_load_b32 s16, s[2:3], 0x0
	v_cmp_ne_u32_e64 s2, 0, v0
	v_cmp_eq_u32_e64 s3, 0, v0
	s_delay_alu instid0(VALU_DEP_1)
	s_and_saveexec_b32 s18, s3
	s_cbranch_execz .LBB38_26
; %bb.11:
	s_load_b64 s[8:9], s[0:1], 0x2c8
	s_mov_b32 s13, s19
	s_mov_b32 s38, 0
	s_lshl_b64 s[30:31], s[12:13], 2
	s_mov_b32 s39, 0
	s_add_u32 s12, s10, s30
	s_addc_u32 s13, s11, s31
	s_waitcnt lgkmcnt(0)
	s_add_u32 s14, s8, s30
	s_addc_u32 s15, s9, s31
	s_cmp_lt_u32 s6, 4
	s_cbranch_scc1 .LBB38_23
; %bb.12:
	s_mov_b32 s40, 0
.LBB38_13:                              ; =>This Inner Loop Header: Depth=1
	s_add_u32 s12, s10, s30
	s_addc_u32 s13, s11, s31
	s_add_u32 s34, s8, s30
	s_load_b128 s[12:15], s[12:13], 0x0
	s_addc_u32 s35, s9, s31
	s_cmp_ge_u32 s40, s7
	s_cbranch_scc0 .LBB38_20
; %bb.14:                               ;   in Loop: Header=BB38_13 Depth=1
	s_add_i32 s41, s40, 1
	s_delay_alu instid0(SALU_CYCLE_1)
	s_cmp_ge_u32 s41, s7
	s_cbranch_scc0 .LBB38_21
.LBB38_15:                              ;   in Loop: Header=BB38_13 Depth=1
	s_add_i32 s41, s41, 1
	s_delay_alu instid0(SALU_CYCLE_1)
	s_cmp_ge_u32 s41, s7
	s_cbranch_scc0 .LBB38_22
.LBB38_16:                              ;   in Loop: Header=BB38_13 Depth=1
	s_add_i32 s41, s41, 1
	s_delay_alu instid0(SALU_CYCLE_1)
	s_cmp_ge_u32 s41, s7
	s_cbranch_scc1 .LBB38_18
.LBB38_17:                              ;   in Loop: Header=BB38_13 Depth=1
	s_load_b32 s34, s[34:35], 0xc
	s_waitcnt lgkmcnt(0)
	s_add_i32 s19, s19, s15
	s_add_i32 s38, s34, s38
.LBB38_18:                              ;   in Loop: Header=BB38_13 Depth=1
	s_waitcnt lgkmcnt(0)
	s_add_i32 s12, s12, s39
	s_delay_alu instid0(SALU_CYCLE_1) | instskip(NEXT) | instid1(SALU_CYCLE_1)
	s_add_i32 s12, s12, s13
	s_add_i32 s12, s12, s14
	s_delay_alu instid0(SALU_CYCLE_1)
	s_add_i32 s39, s12, s15
	s_add_u32 s10, s10, 16
	s_addc_u32 s11, s11, 0
	s_add_u32 s8, s8, 16
	s_addc_u32 s9, s9, 0
	s_add_i32 s35, s41, 4
	s_add_u32 s14, s8, s30
	s_addc_u32 s15, s9, s31
	s_add_u32 s12, s10, s30
	s_addc_u32 s13, s11, s31
	s_add_i32 s34, s41, 1
	s_cmp_ge_u32 s35, s6
	s_cbranch_scc1 .LBB38_24
; %bb.19:                               ;   in Loop: Header=BB38_13 Depth=1
	s_mov_b32 s40, s34
	s_branch .LBB38_13
.LBB38_20:                              ;   in Loop: Header=BB38_13 Depth=1
	s_load_b32 s41, s[34:35], 0x0
	s_waitcnt lgkmcnt(0)
	s_add_i32 s19, s12, s19
	s_add_i32 s38, s41, s38
	;; [unrolled: 1-line block ×3, first 2 shown]
	s_delay_alu instid0(SALU_CYCLE_1)
	s_cmp_ge_u32 s41, s7
	s_cbranch_scc1 .LBB38_15
.LBB38_21:                              ;   in Loop: Header=BB38_13 Depth=1
	s_load_b32 s42, s[34:35], 0x4
	s_waitcnt lgkmcnt(0)
	s_add_i32 s19, s19, s13
	s_add_i32 s38, s42, s38
	;; [unrolled: 1-line block ×3, first 2 shown]
	s_delay_alu instid0(SALU_CYCLE_1)
	s_cmp_ge_u32 s41, s7
	s_cbranch_scc1 .LBB38_16
.LBB38_22:                              ;   in Loop: Header=BB38_13 Depth=1
	s_load_b32 s42, s[34:35], 0x8
	s_waitcnt lgkmcnt(0)
	s_add_i32 s19, s19, s14
	s_add_i32 s38, s42, s38
	;; [unrolled: 1-line block ×3, first 2 shown]
	s_delay_alu instid0(SALU_CYCLE_1)
	s_cmp_ge_u32 s41, s7
	s_cbranch_scc0 .LBB38_17
	s_branch .LBB38_18
.LBB38_23:
	s_mov_b32 s8, 0
	s_delay_alu instid0(SALU_CYCLE_1)
	s_cmp_ge_u32 s8, s6
	s_cbranch_scc0 .LBB38_47
	s_branch .LBB38_25
.LBB38_24:
	s_add_i32 s8, s40, 4
	s_delay_alu instid0(SALU_CYCLE_1)
	s_cmp_ge_u32 s8, s6
	s_cbranch_scc0 .LBB38_47
.LBB38_25:
	v_dual_mov_b32 v1, s38 :: v_dual_mov_b32 v2, s39
	v_dual_mov_b32 v3, s19 :: v_dual_mov_b32 v4, 0
	ds_store_b96 v4, v[1:3] offset:1056
.LBB38_26:
	s_or_b32 exec_lo, exec_lo, s18
	s_clause 0x1
	s_load_b32 s12, s[0:1], 0x23c
	s_load_b128 s[8:11], s[0:1], 0xd8
	s_waitcnt lgkmcnt(0)
	s_mul_i32 s11, s5, s7
	s_add_i32 s7, s7, 1
	s_lshl_b32 s18, s11, 8
	s_barrier
	buffer_gl0_inv
	s_sub_i32 s11, s8, s18
	s_delay_alu instid0(SALU_CYCLE_1) | instskip(SKIP_4) | instid1(VALU_DEP_1)
	s_add_u32 s11, s11, 0xff
	s_addc_u32 s13, 0, 0
	s_cmp_lt_u32 s7, s6
	v_alignbit_b32 v1, s13, s11, 8
	s_mov_b32 s7, 0
	v_readfirstlane_b32 s11, v1
	s_delay_alu instid0(VALU_DEP_1) | instskip(NEXT) | instid1(SALU_CYCLE_1)
	s_cselect_b32 s5, s5, s11
	s_cmp_eq_u32 s5, 0
	s_cbranch_scc1 .LBB38_49
; %bb.27:
	v_mov_b32_e32 v5, 0
	s_mul_i32 s14, s37, s20
	s_mul_i32 s6, s36, s33
	v_lshrrev_b32_e32 v4, 5, v0
	s_add_i32 s6, s6, s17
	ds_load_b96 v[1:3], v5 offset:1056
	s_clause 0x1
	s_load_b32 s20, s[0:1], 0xe8
	s_load_b32 s11, s[0:1], 0x1c8
	s_mul_i32 s19, s12, s22
	s_lshl_b64 s[0:1], s[6:7], 2
	s_mov_b32 s13, s7
	s_add_i32 s12, s14, s21
	s_add_i32 s14, s19, s23
	v_add_nc_u32_e32 v9, -1, v0
	s_add_u32 s6, s28, s0
	s_mov_b32 s15, s7
	s_addc_u32 s7, s29, s1
	s_lshl_b64 s[0:1], s[12:13], 2
	v_add_lshl_u32 v7, v4, v0, 2
	v_lshrrev_b32_e32 v4, 2, v0
	s_add_u32 s12, s26, s0
	s_addc_u32 s13, s27, s1
	s_lshl_b64 s[0:1], s[14:15], 3
	v_lshrrev_b32_e32 v10, 5, v9
	v_mbcnt_lo_u32_b32 v8, -1, 0
	s_add_u32 s14, s24, s0
	s_waitcnt lgkmcnt(0)
	v_add_nc_u32_e32 v6, v1, v2
	v_lshlrev_b32_e32 v2, 3, v0
	v_add_nc_u32_e32 v1, s18, v0
	v_cmp_gt_u32_e64 s0, 32, v0
	s_addc_u32 s15, s25, s1
	s_xor_b32 s17, s16, 0x80000000
	v_add_lshl_u32 v0, v4, v2, 2
	v_mul_lo_u32 v4, s20, v1
	v_add_lshl_u32 v9, v10, v9, 2
	v_and_b32_e32 v10, 15, v8
	v_bfe_i32 v11, v8, 4, 1
	v_add_nc_u32_e32 v12, -1, v8
	s_bitcmp1_b32 s10, 0
                                        ; implicit-def: $vgpr13
	s_cselect_b32 s1, -1, 0
	s_lshl_b32 s10, s20, 8
	s_branch .LBB38_30
.LBB38_28:                              ;   in Loop: Header=BB38_30 Depth=1
	s_or_b32 exec_lo, exec_lo, s18
	v_add_nc_u32_e32 v6, v16, v6
.LBB38_29:                              ;   in Loop: Header=BB38_30 Depth=1
	v_add_nc_u32_e32 v3, v15, v3
	v_add_nc_u32_e32 v4, s10, v4
	;; [unrolled: 1-line block ×3, first 2 shown]
	s_add_i32 s5, s5, -1
	s_delay_alu instid0(SALU_CYCLE_1)
	s_cmp_lg_u32 s5, 0
	s_cbranch_scc0 .LBB38_49
.LBB38_30:                              ; =>This Inner Loop Header: Depth=1
	v_mov_b32_e32 v2, 0
	v_mov_b32_e32 v14, 0
	s_mov_b32 s18, exec_lo
	v_cmpx_gt_u32_e64 s8, v1
	s_cbranch_execz .LBB38_32
; %bb.31:                               ;   in Loop: Header=BB38_30 Depth=1
	v_lshlrev_b64 v[13:14], 2, v[4:5]
	s_delay_alu instid0(VALU_DEP_1) | instskip(NEXT) | instid1(VALU_DEP_2)
	v_add_co_u32 v13, vcc_lo, s6, v13
	v_add_co_ci_u32_e32 v14, vcc_lo, s7, v14, vcc_lo
	global_load_b32 v13, v[13:14], off
	s_waitcnt vmcnt(0)
	v_xor_b32_e32 v2, 0x80000000, v13
	s_delay_alu instid0(VALU_DEP_1) | instskip(SKIP_4) | instid1(VALU_DEP_2)
	v_cmp_lt_u32_e32 vcc_lo, s17, v2
	v_cndmask_b32_e64 v14, 0, 1, vcc_lo
	v_cmp_gt_u32_e32 vcc_lo, s17, v2
	v_cndmask_b32_e64 v2, 0, 1, vcc_lo
	v_cmp_eq_u32_e32 vcc_lo, s16, v13
	v_cndmask_b32_e64 v2, v2, v14, s1
	v_cndmask_b32_e64 v14, 0, 1, vcc_lo
	s_delay_alu instid0(VALU_DEP_2)
	v_and_b32_e32 v2, 1, v2
.LBB38_32:                              ;   in Loop: Header=BB38_30 Depth=1
	s_or_b32 exec_lo, exec_lo, s18
	ds_store_b32 v7, v2
	s_waitcnt lgkmcnt(0)
	s_waitcnt_vscnt null, 0x0
	s_barrier
	buffer_gl0_inv
	s_and_saveexec_b32 s18, s0
	s_cbranch_execz .LBB38_34
; %bb.33:                               ;   in Loop: Header=BB38_30 Depth=1
	ds_load_2addr_b32 v[15:16], v0 offset1:1
	ds_load_2addr_b32 v[17:18], v0 offset0:2 offset1:3
	ds_load_2addr_b32 v[19:20], v0 offset0:4 offset1:5
	;; [unrolled: 1-line block ×3, first 2 shown]
	v_cmp_ne_u32_e32 vcc_lo, 0, v10
	; wave barrier
	s_waitcnt lgkmcnt(3)
	v_add_nc_u32_e32 v16, v16, v15
	s_waitcnt lgkmcnt(2)
	s_delay_alu instid0(VALU_DEP_1) | instskip(SKIP_1) | instid1(VALU_DEP_1)
	v_add3_u32 v16, v16, v17, v18
	s_waitcnt lgkmcnt(1)
	v_add3_u32 v16, v16, v19, v20
	s_waitcnt lgkmcnt(0)
	s_delay_alu instid0(VALU_DEP_1) | instskip(NEXT) | instid1(VALU_DEP_1)
	v_add3_u32 v16, v16, v21, v22
	v_mov_b32_dpp v17, v16 row_shr:1 row_mask:0xf bank_mask:0xf
	s_delay_alu instid0(VALU_DEP_1) | instskip(SKIP_1) | instid1(VALU_DEP_2)
	v_cndmask_b32_e32 v17, 0, v17, vcc_lo
	v_cmp_lt_u32_e32 vcc_lo, 1, v10
	v_add_nc_u32_e32 v16, v17, v16
	s_delay_alu instid0(VALU_DEP_1) | instskip(NEXT) | instid1(VALU_DEP_1)
	v_mov_b32_dpp v17, v16 row_shr:2 row_mask:0xf bank_mask:0xf
	v_cndmask_b32_e32 v17, 0, v17, vcc_lo
	v_cmp_lt_u32_e32 vcc_lo, 3, v10
	s_delay_alu instid0(VALU_DEP_2) | instskip(NEXT) | instid1(VALU_DEP_1)
	v_add_nc_u32_e32 v16, v16, v17
	v_mov_b32_dpp v17, v16 row_shr:4 row_mask:0xf bank_mask:0xf
	s_delay_alu instid0(VALU_DEP_1) | instskip(SKIP_1) | instid1(VALU_DEP_2)
	v_cndmask_b32_e32 v17, 0, v17, vcc_lo
	v_cmp_lt_u32_e32 vcc_lo, 7, v10
	v_add_nc_u32_e32 v16, v16, v17
	s_delay_alu instid0(VALU_DEP_1) | instskip(NEXT) | instid1(VALU_DEP_1)
	v_mov_b32_dpp v17, v16 row_shr:8 row_mask:0xf bank_mask:0xf
	v_cndmask_b32_e32 v17, 0, v17, vcc_lo
	v_cmp_gt_i32_e32 vcc_lo, 0, v12
	v_cndmask_b32_e32 v18, v12, v8, vcc_lo
	s_delay_alu instid0(VALU_DEP_1) | instskip(NEXT) | instid1(VALU_DEP_4)
	v_lshlrev_b32_e32 v18, 2, v18
	v_add_nc_u32_e32 v16, v16, v17
	ds_swizzle_b32 v17, v16 offset:swizzle(BROADCAST,32,15)
	s_waitcnt lgkmcnt(0)
	v_and_b32_e32 v17, v11, v17
	s_delay_alu instid0(VALU_DEP_1) | instskip(SKIP_3) | instid1(VALU_DEP_1)
	v_add_nc_u32_e32 v16, v16, v17
	ds_bpermute_b32 v16, v18, v16
	s_waitcnt lgkmcnt(0)
	v_add_nc_u32_e32 v15, v16, v15
	v_cndmask_b32_e64 v21, v15, v2, s3
	ds_store_b32 v0, v21
	; wave barrier
	ds_load_2addr_b32 v[15:16], v0 offset0:1 offset1:2
	ds_load_2addr_b32 v[17:18], v0 offset0:3 offset1:4
	;; [unrolled: 1-line block ×3, first 2 shown]
	ds_load_b32 v22, v0 offset:28
	s_waitcnt lgkmcnt(3)
	v_add_nc_u32_e32 v15, v15, v21
	s_delay_alu instid0(VALU_DEP_1) | instskip(SKIP_1) | instid1(VALU_DEP_1)
	v_add_nc_u32_e32 v16, v16, v15
	s_waitcnt lgkmcnt(2)
	v_add_nc_u32_e32 v17, v17, v16
	s_delay_alu instid0(VALU_DEP_1) | instskip(SKIP_1) | instid1(VALU_DEP_1)
	v_add_nc_u32_e32 v18, v18, v17
	;; [unrolled: 4-line block ×3, first 2 shown]
	s_waitcnt lgkmcnt(0)
	v_add_nc_u32_e32 v21, v22, v20
	ds_store_2addr_b32 v0, v15, v16 offset0:1 offset1:2
	ds_store_2addr_b32 v0, v17, v18 offset0:3 offset1:4
	;; [unrolled: 1-line block ×3, first 2 shown]
	ds_store_b32 v0, v21 offset:28
.LBB38_34:                              ;   in Loop: Header=BB38_30 Depth=1
	s_or_b32 exec_lo, exec_lo, s18
	v_mov_b32_e32 v16, 0
	s_waitcnt lgkmcnt(0)
	s_barrier
	buffer_gl0_inv
	s_and_saveexec_b32 s18, s2
	s_cbranch_execz .LBB38_36
; %bb.35:                               ;   in Loop: Header=BB38_30 Depth=1
	ds_load_b32 v16, v9
.LBB38_36:                              ;   in Loop: Header=BB38_30 Depth=1
	s_or_b32 exec_lo, exec_lo, s18
	ds_load_b32 v15, v5 offset:1048
	s_mov_b32 s18, exec_lo
	s_waitcnt lgkmcnt(0)
	s_barrier
	buffer_gl0_inv
	v_cmpx_ne_u32_e32 0, v2
	s_cbranch_execz .LBB38_38
; %bb.37:                               ;   in Loop: Header=BB38_30 Depth=1
	v_dual_mov_b32 v17, v5 :: v_dual_add_nc_u32 v2, v16, v3
	v_mov_b32_e32 v19, v5
	s_delay_alu instid0(VALU_DEP_2) | instskip(SKIP_2) | instid1(VALU_DEP_3)
	v_mul_lo_u32 v16, v2, s11
	v_mul_lo_u32 v18, v2, s4
	v_mov_b32_e32 v2, v5
	v_lshlrev_b64 v[16:17], 2, v[16:17]
	s_delay_alu instid0(VALU_DEP_3) | instskip(NEXT) | instid1(VALU_DEP_2)
	v_lshlrev_b64 v[18:19], 3, v[18:19]
	v_add_co_u32 v16, vcc_lo, s12, v16
	s_delay_alu instid0(VALU_DEP_3) | instskip(NEXT) | instid1(VALU_DEP_3)
	v_add_co_ci_u32_e32 v17, vcc_lo, s13, v17, vcc_lo
	v_add_co_u32 v18, vcc_lo, s14, v18
	s_delay_alu instid0(VALU_DEP_4)
	v_add_co_ci_u32_e32 v19, vcc_lo, s15, v19, vcc_lo
	global_store_b32 v[16:17], v13, off
	global_store_b64 v[18:19], v[1:2], off
.LBB38_38:                              ;   in Loop: Header=BB38_30 Depth=1
	s_or_b32 exec_lo, exec_lo, s18
	v_cmp_le_u32_e32 vcc_lo, s9, v6
	s_cbranch_vccnz .LBB38_29
; %bb.39:                               ;   in Loop: Header=BB38_30 Depth=1
	ds_store_b32 v7, v14
	s_waitcnt lgkmcnt(0)
	s_waitcnt_vscnt null, 0x0
	s_barrier
	buffer_gl0_inv
	s_and_saveexec_b32 s18, s0
	s_cbranch_execz .LBB38_41
; %bb.40:                               ;   in Loop: Header=BB38_30 Depth=1
	ds_load_2addr_b32 v[16:17], v0 offset1:1
	ds_load_2addr_b32 v[18:19], v0 offset0:2 offset1:3
	ds_load_2addr_b32 v[20:21], v0 offset0:4 offset1:5
	;; [unrolled: 1-line block ×3, first 2 shown]
	v_cmp_ne_u32_e32 vcc_lo, 0, v10
	; wave barrier
	s_waitcnt lgkmcnt(3)
	v_add_nc_u32_e32 v2, v17, v16
	s_waitcnt lgkmcnt(2)
	s_delay_alu instid0(VALU_DEP_1) | instskip(SKIP_1) | instid1(VALU_DEP_1)
	v_add3_u32 v2, v2, v18, v19
	s_waitcnt lgkmcnt(1)
	v_add3_u32 v2, v2, v20, v21
	s_waitcnt lgkmcnt(0)
	s_delay_alu instid0(VALU_DEP_1) | instskip(NEXT) | instid1(VALU_DEP_1)
	v_add3_u32 v2, v2, v22, v23
	v_mov_b32_dpp v17, v2 row_shr:1 row_mask:0xf bank_mask:0xf
	s_delay_alu instid0(VALU_DEP_1) | instskip(SKIP_1) | instid1(VALU_DEP_2)
	v_cndmask_b32_e32 v17, 0, v17, vcc_lo
	v_cmp_lt_u32_e32 vcc_lo, 1, v10
	v_add_nc_u32_e32 v2, v17, v2
	s_delay_alu instid0(VALU_DEP_1) | instskip(NEXT) | instid1(VALU_DEP_1)
	v_mov_b32_dpp v17, v2 row_shr:2 row_mask:0xf bank_mask:0xf
	v_cndmask_b32_e32 v17, 0, v17, vcc_lo
	v_cmp_lt_u32_e32 vcc_lo, 3, v10
	s_delay_alu instid0(VALU_DEP_2) | instskip(NEXT) | instid1(VALU_DEP_1)
	v_add_nc_u32_e32 v2, v2, v17
	v_mov_b32_dpp v17, v2 row_shr:4 row_mask:0xf bank_mask:0xf
	s_delay_alu instid0(VALU_DEP_1) | instskip(SKIP_1) | instid1(VALU_DEP_2)
	v_cndmask_b32_e32 v17, 0, v17, vcc_lo
	v_cmp_lt_u32_e32 vcc_lo, 7, v10
	v_add_nc_u32_e32 v2, v2, v17
	s_delay_alu instid0(VALU_DEP_1) | instskip(NEXT) | instid1(VALU_DEP_1)
	v_mov_b32_dpp v17, v2 row_shr:8 row_mask:0xf bank_mask:0xf
	v_cndmask_b32_e32 v17, 0, v17, vcc_lo
	v_cmp_gt_i32_e32 vcc_lo, 0, v12
	v_cndmask_b32_e32 v18, v12, v8, vcc_lo
	s_delay_alu instid0(VALU_DEP_1) | instskip(NEXT) | instid1(VALU_DEP_4)
	v_lshlrev_b32_e32 v18, 2, v18
	v_add_nc_u32_e32 v2, v2, v17
	ds_swizzle_b32 v17, v2 offset:swizzle(BROADCAST,32,15)
	s_waitcnt lgkmcnt(0)
	v_and_b32_e32 v17, v11, v17
	s_delay_alu instid0(VALU_DEP_1) | instskip(SKIP_3) | instid1(VALU_DEP_1)
	v_add_nc_u32_e32 v2, v2, v17
	ds_bpermute_b32 v2, v18, v2
	s_waitcnt lgkmcnt(0)
	v_add_nc_u32_e32 v2, v2, v16
	v_cndmask_b32_e64 v2, v2, v14, s3
	ds_store_b32 v0, v2
	; wave barrier
	ds_load_2addr_b32 v[16:17], v0 offset0:1 offset1:2
	ds_load_2addr_b32 v[18:19], v0 offset0:3 offset1:4
	;; [unrolled: 1-line block ×3, first 2 shown]
	ds_load_b32 v22, v0 offset:28
	s_waitcnt lgkmcnt(3)
	v_add_nc_u32_e32 v2, v16, v2
	s_delay_alu instid0(VALU_DEP_1) | instskip(SKIP_1) | instid1(VALU_DEP_1)
	v_add_nc_u32_e32 v16, v17, v2
	s_waitcnt lgkmcnt(2)
	v_add_nc_u32_e32 v17, v18, v16
	s_delay_alu instid0(VALU_DEP_1) | instskip(SKIP_1) | instid1(VALU_DEP_1)
	v_add_nc_u32_e32 v18, v19, v17
	;; [unrolled: 4-line block ×3, first 2 shown]
	s_waitcnt lgkmcnt(0)
	v_add_nc_u32_e32 v21, v22, v20
	ds_store_2addr_b32 v0, v2, v16 offset0:1 offset1:2
	ds_store_2addr_b32 v0, v17, v18 offset0:3 offset1:4
	;; [unrolled: 1-line block ×3, first 2 shown]
	ds_store_b32 v0, v21 offset:28
.LBB38_41:                              ;   in Loop: Header=BB38_30 Depth=1
	s_or_b32 exec_lo, exec_lo, s18
	v_mov_b32_e32 v2, 0
	s_waitcnt lgkmcnt(0)
	s_barrier
	buffer_gl0_inv
	s_and_saveexec_b32 s18, s2
	s_cbranch_execz .LBB38_43
; %bb.42:                               ;   in Loop: Header=BB38_30 Depth=1
	ds_load_b32 v2, v9
.LBB38_43:                              ;   in Loop: Header=BB38_30 Depth=1
	s_or_b32 exec_lo, exec_lo, s18
	ds_load_b32 v16, v5 offset:1048
	s_mov_b32 s18, exec_lo
	s_waitcnt lgkmcnt(0)
	s_barrier
	buffer_gl0_inv
	v_cmpx_ne_u32_e32 0, v14
	s_cbranch_execz .LBB38_28
; %bb.44:                               ;   in Loop: Header=BB38_30 Depth=1
	v_add_nc_u32_e32 v2, v2, v6
	s_delay_alu instid0(VALU_DEP_1)
	v_cmp_gt_u32_e32 vcc_lo, s9, v2
	s_and_b32 exec_lo, exec_lo, vcc_lo
	s_cbranch_execz .LBB38_28
; %bb.45:                               ;   in Loop: Header=BB38_30 Depth=1
	v_mul_lo_u32 v17, v2, s11
	v_mov_b32_e32 v18, v5
	v_mul_lo_u32 v19, v2, s4
	v_mov_b32_e32 v20, v5
	v_mov_b32_e32 v2, v5
	s_delay_alu instid0(VALU_DEP_4) | instskip(NEXT) | instid1(VALU_DEP_3)
	v_lshlrev_b64 v[17:18], 2, v[17:18]
	v_lshlrev_b64 v[19:20], 3, v[19:20]
	s_delay_alu instid0(VALU_DEP_2) | instskip(NEXT) | instid1(VALU_DEP_3)
	v_add_co_u32 v17, vcc_lo, s12, v17
	v_add_co_ci_u32_e32 v18, vcc_lo, s13, v18, vcc_lo
	s_delay_alu instid0(VALU_DEP_3) | instskip(NEXT) | instid1(VALU_DEP_4)
	v_add_co_u32 v19, vcc_lo, s14, v19
	v_add_co_ci_u32_e32 v20, vcc_lo, s15, v20, vcc_lo
	global_store_b32 v[17:18], v13, off
	global_store_b64 v[19:20], v[1:2], off
	s_branch .LBB38_28
	.p2align	6
.LBB38_46:                              ;   in Loop: Header=BB38_47 Depth=1
	s_add_u32 s12, s12, 4
	s_addc_u32 s13, s13, 0
	s_waitcnt lgkmcnt(0)
	s_add_i32 s39, s9, s39
	s_add_u32 s14, s14, 4
	s_addc_u32 s15, s15, 0
	s_add_i32 s8, s8, 1
	s_delay_alu instid0(SALU_CYCLE_1)
	s_cmp_lt_u32 s8, s6
	s_cbranch_scc0 .LBB38_25
.LBB38_47:                              ; =>This Inner Loop Header: Depth=1
	s_load_b32 s9, s[12:13], 0x0
	s_cmp_ge_u32 s8, s7
	s_cbranch_scc1 .LBB38_46
; %bb.48:                               ;   in Loop: Header=BB38_47 Depth=1
	s_load_b32 s10, s[14:15], 0x0
	s_waitcnt lgkmcnt(0)
	s_add_i32 s19, s9, s19
	s_add_i32 s38, s10, s38
	s_branch .LBB38_46
.LBB38_49:
	s_nop 0
	s_sendmsg sendmsg(MSG_DEALLOC_VGPRS)
	s_endpgm
	.section	.rodata,"a",@progbits
	.p2align	6, 0x0
	.amdhsa_kernel _ZN2at6native6mbtopk10gatherTopKIijLin1EEEvNS_4cuda6detail10TensorInfoIKT_T0_EES8_S8_bjS8_NS5_IS6_S8_EES8_NS5_IlS8_EES8_jjPS6_PjSD_j
		.amdhsa_group_segment_fixed_size 1068
		.amdhsa_private_segment_fixed_size 0
		.amdhsa_kernarg_size 984
		.amdhsa_user_sgpr_count 13
		.amdhsa_user_sgpr_dispatch_ptr 0
		.amdhsa_user_sgpr_queue_ptr 0
		.amdhsa_user_sgpr_kernarg_segment_ptr 1
		.amdhsa_user_sgpr_dispatch_id 0
		.amdhsa_user_sgpr_private_segment_size 0
		.amdhsa_wavefront_size32 1
		.amdhsa_uses_dynamic_stack 0
		.amdhsa_enable_private_segment 0
		.amdhsa_system_sgpr_workgroup_id_x 1
		.amdhsa_system_sgpr_workgroup_id_y 1
		.amdhsa_system_sgpr_workgroup_id_z 1
		.amdhsa_system_sgpr_workgroup_info 0
		.amdhsa_system_vgpr_workitem_id 0
		.amdhsa_next_free_vgpr 24
		.amdhsa_next_free_sgpr 43
		.amdhsa_reserve_vcc 1
		.amdhsa_float_round_mode_32 0
		.amdhsa_float_round_mode_16_64 0
		.amdhsa_float_denorm_mode_32 3
		.amdhsa_float_denorm_mode_16_64 3
		.amdhsa_dx10_clamp 1
		.amdhsa_ieee_mode 1
		.amdhsa_fp16_overflow 0
		.amdhsa_workgroup_processor_mode 1
		.amdhsa_memory_ordered 1
		.amdhsa_forward_progress 0
		.amdhsa_shared_vgpr_count 0
		.amdhsa_exception_fp_ieee_invalid_op 0
		.amdhsa_exception_fp_denorm_src 0
		.amdhsa_exception_fp_ieee_div_zero 0
		.amdhsa_exception_fp_ieee_overflow 0
		.amdhsa_exception_fp_ieee_underflow 0
		.amdhsa_exception_fp_ieee_inexact 0
		.amdhsa_exception_int_div_zero 0
	.end_amdhsa_kernel
	.section	.text._ZN2at6native6mbtopk10gatherTopKIijLin1EEEvNS_4cuda6detail10TensorInfoIKT_T0_EES8_S8_bjS8_NS5_IS6_S8_EES8_NS5_IlS8_EES8_jjPS6_PjSD_j,"axG",@progbits,_ZN2at6native6mbtopk10gatherTopKIijLin1EEEvNS_4cuda6detail10TensorInfoIKT_T0_EES8_S8_bjS8_NS5_IS6_S8_EES8_NS5_IlS8_EES8_jjPS6_PjSD_j,comdat
.Lfunc_end38:
	.size	_ZN2at6native6mbtopk10gatherTopKIijLin1EEEvNS_4cuda6detail10TensorInfoIKT_T0_EES8_S8_bjS8_NS5_IS6_S8_EES8_NS5_IlS8_EES8_jjPS6_PjSD_j, .Lfunc_end38-_ZN2at6native6mbtopk10gatherTopKIijLin1EEEvNS_4cuda6detail10TensorInfoIKT_T0_EES8_S8_bjS8_NS5_IS6_S8_EES8_NS5_IlS8_EES8_jjPS6_PjSD_j
                                        ; -- End function
	.section	.AMDGPU.csdata,"",@progbits
; Kernel info:
; codeLenInByte = 3288
; NumSgprs: 45
; NumVgprs: 24
; ScratchSize: 0
; MemoryBound: 0
; FloatMode: 240
; IeeeMode: 1
; LDSByteSize: 1068 bytes/workgroup (compile time only)
; SGPRBlocks: 5
; VGPRBlocks: 2
; NumSGPRsForWavesPerEU: 45
; NumVGPRsForWavesPerEU: 24
; Occupancy: 16
; WaveLimiterHint : 1
; COMPUTE_PGM_RSRC2:SCRATCH_EN: 0
; COMPUTE_PGM_RSRC2:USER_SGPR: 13
; COMPUTE_PGM_RSRC2:TRAP_HANDLER: 0
; COMPUTE_PGM_RSRC2:TGID_X_EN: 1
; COMPUTE_PGM_RSRC2:TGID_Y_EN: 1
; COMPUTE_PGM_RSRC2:TGID_Z_EN: 1
; COMPUTE_PGM_RSRC2:TIDIG_COMP_CNT: 0
	.section	.text._ZN2at6native6sbtopk10gatherTopKIijLin1ELb0EEEvNS_4cuda6detail10TensorInfoIKT_T0_EES8_S8_bS8_S8_NS5_IS6_S8_EES8_NS5_IlS8_EES8_PS6_,"axG",@progbits,_ZN2at6native6sbtopk10gatherTopKIijLin1ELb0EEEvNS_4cuda6detail10TensorInfoIKT_T0_EES8_S8_bS8_S8_NS5_IS6_S8_EES8_NS5_IlS8_EES8_PS6_,comdat
	.protected	_ZN2at6native6sbtopk10gatherTopKIijLin1ELb0EEEvNS_4cuda6detail10TensorInfoIKT_T0_EES8_S8_bS8_S8_NS5_IS6_S8_EES8_NS5_IlS8_EES8_PS6_ ; -- Begin function _ZN2at6native6sbtopk10gatherTopKIijLin1ELb0EEEvNS_4cuda6detail10TensorInfoIKT_T0_EES8_S8_bS8_S8_NS5_IS6_S8_EES8_NS5_IlS8_EES8_PS6_
	.globl	_ZN2at6native6sbtopk10gatherTopKIijLin1ELb0EEEvNS_4cuda6detail10TensorInfoIKT_T0_EES8_S8_bS8_S8_NS5_IS6_S8_EES8_NS5_IlS8_EES8_PS6_
	.p2align	8
	.type	_ZN2at6native6sbtopk10gatherTopKIijLin1ELb0EEEvNS_4cuda6detail10TensorInfoIKT_T0_EES8_S8_bS8_S8_NS5_IS6_S8_EES8_NS5_IlS8_EES8_PS6_,@function
_ZN2at6native6sbtopk10gatherTopKIijLin1ELb0EEEvNS_4cuda6detail10TensorInfoIKT_T0_EES8_S8_bS8_S8_NS5_IS6_S8_EES8_NS5_IlS8_EES8_PS6_: ; @_ZN2at6native6sbtopk10gatherTopKIijLin1ELb0EEEvNS_4cuda6detail10TensorInfoIKT_T0_EES8_S8_bS8_S8_NS5_IS6_S8_EES8_NS5_IlS8_EES8_PS6_
; %bb.0:
	s_clause 0x1
	s_load_b64 s[4:5], s[0:1], 0x2b8
	s_load_b128 s[36:39], s[0:1], 0xd8
	s_add_u32 s6, s0, 0x2b8
	s_addc_u32 s7, s1, 0
	s_waitcnt lgkmcnt(0)
	s_mul_i32 s2, s5, s15
	s_delay_alu instid0(SALU_CYCLE_1) | instskip(NEXT) | instid1(SALU_CYCLE_1)
	s_add_i32 s2, s2, s14
	s_mul_i32 s2, s2, s4
	s_delay_alu instid0(SALU_CYCLE_1) | instskip(NEXT) | instid1(SALU_CYCLE_1)
	s_add_i32 s48, s2, s13
	s_cmp_ge_u32 s48, s39
	s_cbranch_scc1 .LBB39_475
; %bb.1:
	s_clause 0x1
	s_load_b32 s5, s[0:1], 0xd0
	s_load_b32 s30, s[0:1], 0xe8
	s_mov_b32 s3, 0
	s_mov_b32 s2, s48
	s_waitcnt lgkmcnt(0)
	s_cmp_lt_i32 s5, 2
	s_cbranch_scc1 .LBB39_4
; %bb.2:
	s_add_i32 s2, s5, -1
	s_add_i32 s5, s5, 1
	s_lshl_b64 s[8:9], s[2:3], 2
	s_delay_alu instid0(SALU_CYCLE_1)
	s_add_u32 s2, s8, s0
	s_addc_u32 s9, s9, s1
	s_add_u32 s8, s2, 8
	s_addc_u32 s9, s9, 0
	s_mov_b32 s2, s48
	s_set_inst_prefetch_distance 0x1
	.p2align	6
.LBB39_3:                               ; =>This Inner Loop Header: Depth=1
	s_clause 0x1
	s_load_b32 s10, s[8:9], 0x0
	s_load_b32 s11, s[8:9], 0x64
	s_mov_b32 s15, s2
	s_waitcnt lgkmcnt(0)
	v_cvt_f32_u32_e32 v1, s10
	s_sub_i32 s14, 0, s10
	s_waitcnt_depctr 0xfff
	v_rcp_iflag_f32_e32 v1, v1
	s_waitcnt_depctr 0xfff
	v_mul_f32_e32 v1, 0x4f7ffffe, v1
	s_delay_alu instid0(VALU_DEP_1) | instskip(NEXT) | instid1(VALU_DEP_1)
	v_cvt_u32_f32_e32 v1, v1
	v_readfirstlane_b32 s12, v1
	s_delay_alu instid0(VALU_DEP_1) | instskip(NEXT) | instid1(SALU_CYCLE_1)
	s_mul_i32 s14, s14, s12
	s_mul_hi_u32 s14, s12, s14
	s_delay_alu instid0(SALU_CYCLE_1) | instskip(NEXT) | instid1(SALU_CYCLE_1)
	s_add_i32 s12, s12, s14
	s_mul_hi_u32 s2, s2, s12
	s_delay_alu instid0(SALU_CYCLE_1) | instskip(SKIP_2) | instid1(SALU_CYCLE_1)
	s_mul_i32 s12, s2, s10
	s_add_i32 s14, s2, 1
	s_sub_i32 s12, s15, s12
	s_sub_i32 s16, s12, s10
	s_cmp_ge_u32 s12, s10
	s_cselect_b32 s2, s14, s2
	s_cselect_b32 s12, s16, s12
	s_add_i32 s14, s2, 1
	s_cmp_ge_u32 s12, s10
	s_cselect_b32 s2, s14, s2
	s_add_i32 s5, s5, -1
	s_mul_i32 s10, s2, s10
	s_delay_alu instid0(SALU_CYCLE_1) | instskip(NEXT) | instid1(SALU_CYCLE_1)
	s_sub_i32 s10, s15, s10
	s_mul_i32 s10, s11, s10
	s_delay_alu instid0(SALU_CYCLE_1)
	s_add_i32 s3, s10, s3
	s_add_u32 s8, s8, -4
	s_addc_u32 s9, s9, -1
	s_cmp_gt_u32 s5, 2
	s_cbranch_scc1 .LBB39_3
.LBB39_4:
	s_set_inst_prefetch_distance 0x2
	s_load_b32 s5, s[0:1], 0x1c0
	s_add_u32 s8, s0, 0xf0
	s_addc_u32 s9, s1, 0
	s_mov_b32 s35, 0
	s_mov_b32 s49, s48
	s_waitcnt lgkmcnt(0)
	s_cmp_lt_i32 s5, 2
	s_cbranch_scc1 .LBB39_7
; %bb.5:
	s_add_i32 s34, s5, -1
	s_add_i32 s5, s5, 1
	s_lshl_b64 s[10:11], s[34:35], 2
	s_mov_b32 s49, s48
	s_add_u32 s10, s10, s8
	s_addc_u32 s11, s11, s9
	s_add_u32 s10, s10, 8
	s_addc_u32 s11, s11, 0
	s_set_inst_prefetch_distance 0x1
	.p2align	6
.LBB39_6:                               ; =>This Inner Loop Header: Depth=1
	s_clause 0x1
	s_load_b32 s12, s[10:11], 0x0
	s_load_b32 s14, s[10:11], 0x64
	s_mov_b32 s17, s49
	s_waitcnt lgkmcnt(0)
	v_cvt_f32_u32_e32 v1, s12
	s_sub_i32 s16, 0, s12
	s_waitcnt_depctr 0xfff
	v_rcp_iflag_f32_e32 v1, v1
	s_waitcnt_depctr 0xfff
	v_mul_f32_e32 v1, 0x4f7ffffe, v1
	s_delay_alu instid0(VALU_DEP_1) | instskip(NEXT) | instid1(VALU_DEP_1)
	v_cvt_u32_f32_e32 v1, v1
	v_readfirstlane_b32 s15, v1
	s_delay_alu instid0(VALU_DEP_1) | instskip(NEXT) | instid1(SALU_CYCLE_1)
	s_mul_i32 s16, s16, s15
	s_mul_hi_u32 s16, s15, s16
	s_delay_alu instid0(SALU_CYCLE_1) | instskip(NEXT) | instid1(SALU_CYCLE_1)
	s_add_i32 s15, s15, s16
	s_mul_hi_u32 s15, s49, s15
	s_delay_alu instid0(SALU_CYCLE_1) | instskip(SKIP_2) | instid1(SALU_CYCLE_1)
	s_mul_i32 s16, s15, s12
	s_add_i32 s18, s15, 1
	s_sub_i32 s16, s49, s16
	s_sub_i32 s19, s16, s12
	s_cmp_ge_u32 s16, s12
	s_cselect_b32 s15, s18, s15
	s_cselect_b32 s16, s19, s16
	s_add_i32 s18, s15, 1
	s_cmp_ge_u32 s16, s12
	s_cselect_b32 s49, s18, s15
	s_add_i32 s5, s5, -1
	s_mul_i32 s12, s49, s12
	s_delay_alu instid0(SALU_CYCLE_1) | instskip(NEXT) | instid1(SALU_CYCLE_1)
	s_sub_i32 s12, s17, s12
	s_mul_i32 s12, s14, s12
	s_delay_alu instid0(SALU_CYCLE_1)
	s_add_i32 s35, s12, s35
	s_add_u32 s10, s10, -4
	s_addc_u32 s11, s11, -1
	s_cmp_gt_u32 s5, 2
	s_cbranch_scc1 .LBB39_6
.LBB39_7:
	s_set_inst_prefetch_distance 0x2
	s_clause 0x1
	s_load_b32 s12, s[0:1], 0x6c
	s_load_b32 s5, s[0:1], 0x2a0
	s_add_u32 s10, s0, 0x1d0
	s_addc_u32 s11, s1, 0
	s_mov_b32 s41, 0
	s_waitcnt lgkmcnt(0)
	s_cmp_lt_i32 s5, 2
	s_cbranch_scc1 .LBB39_10
; %bb.8:
	s_add_i32 s40, s5, -1
	s_add_i32 s5, s5, 1
	s_lshl_b64 s[14:15], s[40:41], 2
	s_delay_alu instid0(SALU_CYCLE_1)
	s_add_u32 s10, s14, s10
	s_addc_u32 s11, s15, s11
	s_add_u32 s10, s10, 8
	s_addc_u32 s11, s11, 0
	s_set_inst_prefetch_distance 0x1
	.p2align	6
.LBB39_9:                               ; =>This Inner Loop Header: Depth=1
	s_clause 0x1
	s_load_b32 s14, s[10:11], 0x0
	s_load_b32 s15, s[10:11], 0x64
	s_mov_b32 s18, s48
	s_waitcnt lgkmcnt(0)
	v_cvt_f32_u32_e32 v1, s14
	s_sub_i32 s17, 0, s14
	s_waitcnt_depctr 0xfff
	v_rcp_iflag_f32_e32 v1, v1
	s_waitcnt_depctr 0xfff
	v_mul_f32_e32 v1, 0x4f7ffffe, v1
	s_delay_alu instid0(VALU_DEP_1) | instskip(NEXT) | instid1(VALU_DEP_1)
	v_cvt_u32_f32_e32 v1, v1
	v_readfirstlane_b32 s16, v1
	s_delay_alu instid0(VALU_DEP_1) | instskip(NEXT) | instid1(SALU_CYCLE_1)
	s_mul_i32 s17, s17, s16
	s_mul_hi_u32 s17, s16, s17
	s_delay_alu instid0(SALU_CYCLE_1) | instskip(NEXT) | instid1(SALU_CYCLE_1)
	s_add_i32 s16, s16, s17
	s_mul_hi_u32 s16, s48, s16
	s_delay_alu instid0(SALU_CYCLE_1) | instskip(SKIP_2) | instid1(SALU_CYCLE_1)
	s_mul_i32 s17, s16, s14
	s_add_i32 s19, s16, 1
	s_sub_i32 s17, s48, s17
	s_sub_i32 s20, s17, s14
	s_cmp_ge_u32 s17, s14
	s_cselect_b32 s16, s19, s16
	s_cselect_b32 s17, s20, s17
	s_add_i32 s19, s16, 1
	s_cmp_ge_u32 s17, s14
	s_cselect_b32 s48, s19, s16
	s_add_i32 s5, s5, -1
	s_mul_i32 s14, s48, s14
	s_delay_alu instid0(SALU_CYCLE_1) | instskip(NEXT) | instid1(SALU_CYCLE_1)
	s_sub_i32 s14, s18, s14
	s_mul_i32 s14, s15, s14
	s_delay_alu instid0(SALU_CYCLE_1)
	s_add_i32 s41, s14, s41
	s_add_u32 s10, s10, -4
	s_addc_u32 s11, s11, -1
	s_cmp_gt_u32 s5, 2
	s_cbranch_scc1 .LBB39_9
.LBB39_10:
	s_set_inst_prefetch_distance 0x2
	s_clause 0x3
	s_load_b32 s50, s[8:9], 0x6c
	s_load_b64 s[8:9], s[0:1], 0x0
	s_load_b64 s[44:45], s[0:1], 0xf0
	;; [unrolled: 1-line block ×3, first 2 shown]
	v_cmp_eq_u32_e64 s5, 0, v0
	s_mov_b32 s47, 0
	s_delay_alu instid0(VALU_DEP_1)
	s_and_saveexec_b32 s10, s5
	s_cbranch_execz .LBB39_12
; %bb.11:
	v_dual_mov_b32 v1, 0 :: v_dual_mov_b32 v2, s36
	s_delay_alu instid0(VALU_DEP_1)
	v_mov_b32_e32 v3, v1
	ds_store_b96 v1, v[1:3] offset:4096
.LBB39_12:
	s_or_b32 exec_lo, exec_lo, s10
	s_waitcnt lgkmcnt(0)
	s_barrier
	buffer_gl0_inv
	s_load_b32 s14, s[6:7], 0xc
	s_mul_i32 s2, s12, s2
	v_mbcnt_lo_u32_b32 v17, -1, 0
	s_add_i32 s46, s2, s3
	v_cmp_gt_u32_e32 vcc_lo, 32, v0
	s_lshl_b64 s[10:11], s[46:47], 2
	v_mul_lo_u32 v7, v0, s30
	s_add_u32 s31, s8, s10
	s_addc_u32 s33, s9, s11
	s_bitcmp1_b32 s38, 0
	v_cmp_gt_i32_e64 s2, 4, v17
	s_cselect_b32 s3, -1, 0
	s_load_b32 s46, s[0:1], 0x23c
	s_xor_b32 s52, s3, -1
	v_dual_mov_b32 v15, 0 :: v_dual_lshlrev_b32 v24, 2, v7
	s_and_b32 s51, vcc_lo, s2
	v_dual_mov_b32 v29, 0 :: v_dual_lshlrev_b32 v26, 4, v0
	v_lshl_or_b32 v27, v17, 2, 0xc00
	s_waitcnt lgkmcnt(0)
	s_and_b32 s34, s14, 0xffff
	s_bfe_u32 s2, s14, 0xb0005
	s_lshl_b32 s53, s34, 2
	s_cmpk_gt_u32 s36, 0x300
	v_cvt_f32_u32_e32 v1, s53
	s_cselect_b32 s54, -1, 0
	s_cmp_gt_u32 s34, 31
	v_cvt_f32_u32_e32 v2, s34
	s_cselect_b32 s55, -1, 0
	v_rcp_iflag_f32_e32 v1, v1
	s_add_i32 s56, s34, -1
	v_lshlrev_b32_e32 v18, 2, v0
	s_add_i32 s9, s56, s36
	s_cmp_lt_u32 s13, s4
	v_rcp_iflag_f32_e32 v2, v2
	s_cselect_b32 s4, 12, 18
	v_mov_b32_e32 v9, 0
	s_add_u32 s38, s6, s4
	s_addc_u32 s39, s7, 0
	s_waitcnt_depctr 0xfff
	v_mul_f32_e32 v1, 0x4f7ffffe, v1
	s_add_i32 s4, s2, -1
	s_bfe_u32 s57, s34, 0x30005
	s_cmp_gt_u32 s4, 6
	v_mad_u64_u32 v[12:13], null, s30, v18, s[30:31]
	v_mul_f32_e32 v2, 0x4f7ffffe, v2
	v_cvt_u32_f32_e32 v1, v1
	s_cselect_b32 s58, -1, 0
	s_and_b32 s59, s2, 0x7f8
	s_cmp_lg_u32 s57, 0
	v_cvt_u32_f32_e32 v2, v2
	v_readfirstlane_b32 s2, v1
	s_cselect_b32 s60, -1, 0
	s_sub_i32 s6, 0, s53
	v_lshrrev_b32_e32 v1, 3, v0
	v_mov_b32_e32 v8, v9
	s_mul_i32 s6, s6, s2
	v_cmp_gt_u32_e64 s4, s36, v0
	s_mul_hi_u32 s6, s2, s6
	v_and_b32_e32 v19, 0x7c, v1
	s_add_i32 s61, s2, s6
	v_cmp_gt_u32_e64 s6, 2, v0
	s_mul_hi_u32 s2, s36, s61
	v_dual_mov_b32 v13, 1 :: v_dual_add_nc_u32 v20, 0xc00, v18
	s_mul_i32 s7, s2, s53
	v_cmp_eq_u32_e64 s2, 0, v17
	s_sub_i32 s7, s36, s7
	v_mov_b32_e32 v28, 0
	s_sub_i32 s8, s7, s53
	s_cmp_ge_u32 s7, s53
	s_mul_i32 s40, s30, s34
	s_cselect_b32 s7, s8, s7
	v_readfirstlane_b32 s8, v2
	s_sub_i32 s10, s7, s53
	s_cmp_ge_u32 s7, s53
	v_lshlrev_b64 v[1:2], v17, -1
	s_cselect_b32 s10, s10, s7
	v_lshlrev_b64 v[2:3], 2, v[7:8]
	s_sub_i32 s62, s36, s10
	s_delay_alu instid0(SALU_CYCLE_1)
	v_dual_mov_b32 v30, s37 :: v_dual_add_nc_u32 v21, s62, v0
	s_sub_i32 s7, 0, s34
	v_not_b32_e32 v16, v1
	s_mul_i32 s7, s7, s8
	v_add_co_u32 v5, vcc_lo, s31, v2
	v_mul_lo_u32 v8, v21, s30
	s_mul_hi_u32 s7, s8, s7
	v_add_co_ci_u32_e32 v6, vcc_lo, s33, v3, vcc_lo
	s_add_i32 s63, s8, s7
	v_or_b32_e32 v3, 3, v18
	s_mul_hi_u32 s7, s9, s63
	s_mov_b32 s73, 30
	s_delay_alu instid0(VALU_DEP_3)
	v_lshlrev_b64 v[1:2], 2, v[8:9]
	s_mul_i32 s7, s7, s34
	v_mul_lo_u32 v23, s30, v3
	s_sub_i32 s7, s9, s7
	s_mov_b32 s68, 0
	s_sub_i32 s8, s7, s34
	v_add_co_u32 v10, vcc_lo, s31, v1
	v_add3_u32 v1, s34, s36, v0
	s_cmp_ge_u32 s7, s34
	v_add_co_ci_u32_e32 v11, vcc_lo, s33, v2, vcc_lo
	s_cselect_b32 s8, s8, s7
	v_or_b32_e32 v2, 2, v18
	v_subrev_nc_u32_e32 v1, s10, v1
	s_sub_i32 s11, s8, s34
	s_cmp_ge_u32 s8, s34
	v_cmp_gt_u32_e64 s7, s62, v18
	s_cselect_b32 s11, s11, s8
	v_mul_lo_u32 v22, s30, v2
	v_mul_lo_u32 v25, s30, v1
	s_sub_i32 s64, s9, s11
	v_cmp_gt_u32_e64 s8, s36, v21
	v_cmp_gt_u32_e64 s9, s64, v0
	s_lshl_b32 s65, s40, 2
	s_lshl_b32 s66, s34, 4
                                        ; implicit-def: $sgpr67
                                        ; implicit-def: $sgpr71
                                        ; implicit-def: $sgpr70
                                        ; implicit-def: $sgpr72
                                        ; implicit-def: $sgpr69
                                        ; implicit-def: $sgpr74
                                        ; implicit-def: $sgpr76
                                        ; implicit-def: $sgpr75
                                        ; implicit-def: $sgpr77
                                        ; implicit-def: $sgpr78
	s_branch .LBB39_15
.LBB39_13:                              ;   in Loop: Header=BB39_15 Depth=1
	s_or_b32 exec_lo, exec_lo, s13
	v_dual_mov_b32 v28, v4 :: v_dual_mov_b32 v29, v3
	v_dual_mov_b32 v30, v31 :: v_dual_mov_b32 v15, v2
	s_and_not1_b32 s13, s78, exec_lo
	s_and_b32 s12, s12, exec_lo
	s_and_not1_b32 s77, s77, exec_lo
	s_or_b32 s78, s13, s12
	s_and_not1_b32 s75, s75, exec_lo
	s_and_not1_b32 s76, s76, exec_lo
	;; [unrolled: 1-line block ×3, first 2 shown]
	s_or_not1_b32 s12, s11, exec_lo
.LBB39_14:                              ;   in Loop: Header=BB39_15 Depth=1
	s_or_b32 exec_lo, exec_lo, s10
	s_delay_alu instid0(SALU_CYCLE_1) | instskip(NEXT) | instid1(SALU_CYCLE_1)
	s_and_b32 s10, exec_lo, s12
	s_or_b32 s47, s10, s47
	s_and_not1_b32 s10, s69, exec_lo
	s_and_b32 s11, s78, exec_lo
	s_and_not1_b32 s12, s72, exec_lo
	s_or_b32 s69, s10, s11
	s_and_b32 s10, s77, exec_lo
	s_and_not1_b32 s11, s70, exec_lo
	s_and_b32 s13, s75, exec_lo
	s_or_b32 s72, s12, s10
	s_or_b32 s70, s11, s13
	s_and_not1_b32 s10, s71, exec_lo
	s_and_b32 s11, s76, exec_lo
	s_and_not1_b32 s12, s67, exec_lo
	s_and_b32 s13, s74, exec_lo
	s_or_b32 s71, s10, s11
	s_or_b32 s67, s12, s13
	s_and_not1_b32 exec_lo, exec_lo, s47
	s_cbranch_execz .LBB39_415
.LBB39_15:                              ; =>This Loop Header: Depth=1
                                        ;     Child Loop BB39_23 Depth 2
                                        ;     Child Loop BB39_38 Depth 2
	;; [unrolled: 1-line block ×24, first 2 shown]
	ds_load_b64 v[1:2], v9 offset:4096
	s_waitcnt lgkmcnt(0)
	v_readfirstlane_b32 s79, v1
	s_delay_alu instid0(VALU_DEP_1)
	s_cmp_lg_u32 s79, 0
	s_cbranch_scc1 .LBB39_45
; %bb.16:                               ;   in Loop: Header=BB39_15 Depth=1
	s_and_b32 vcc_lo, exec_lo, s54
	s_cbranch_vccz .LBB39_31
; %bb.17:                               ;   in Loop: Header=BB39_15 Depth=1
	v_cmp_gt_u32_e32 vcc_lo, 0x301, v2
	s_mov_b32 s79, 0
	s_mov_b32 s10, 0
	s_cbranch_vccz .LBB39_32
; %bb.18:                               ;   in Loop: Header=BB39_15 Depth=1
	v_mov_b32_e32 v1, 0
	s_and_saveexec_b32 s10, s4
	s_cbranch_execz .LBB39_20
; %bb.19:                               ;   in Loop: Header=BB39_15 Depth=1
	global_load_b32 v1, v[5:6], off
.LBB39_20:                              ;   in Loop: Header=BB39_15 Depth=1
	s_or_b32 exec_lo, exec_lo, s10
	s_and_saveexec_b32 s12, s4
	s_cbranch_execz .LBB39_96
; %bb.21:                               ;   in Loop: Header=BB39_15 Depth=1
	global_load_u16 v2, v9, s[38:39]
	v_mov_b32_e32 v4, v0
	s_mov_b32 s13, 0
	s_waitcnt vmcnt(0)
	v_add_nc_u32_e32 v3, v0, v2
	s_delay_alu instid0(VALU_DEP_1)
	v_mul_lo_u32 v8, s30, v3
	v_mul_lo_u32 v3, s30, v2
	s_branch .LBB39_23
.LBB39_22:                              ;   in Loop: Header=BB39_23 Depth=2
	s_or_b32 exec_lo, exec_lo, s11
	s_waitcnt vmcnt(0)
	v_dual_mov_b32 v1, v14 :: v_dual_add_nc_u32 v8, v8, v3
	s_and_not1_b32 exec_lo, exec_lo, s13
	s_cbranch_execz .LBB39_96
.LBB39_23:                              ;   Parent Loop BB39_15 Depth=1
                                        ; =>  This Inner Loop Header: Depth=2
	s_waitcnt lgkmcnt(0)
	v_dual_mov_b32 v31, 0 :: v_dual_add_nc_u32 v4, v4, v2
	v_mov_b32_e32 v14, 0
	s_mov_b32 s11, exec_lo
	s_delay_alu instid0(VALU_DEP_2)
	v_cmp_le_u32_e32 vcc_lo, s36, v4
	v_cmpx_gt_u32_e64 s36, v4
	s_cbranch_execz .LBB39_25
; %bb.24:                               ;   in Loop: Header=BB39_23 Depth=2
	v_lshlrev_b64 v[32:33], 2, v[8:9]
	s_delay_alu instid0(VALU_DEP_1) | instskip(NEXT) | instid1(VALU_DEP_1)
	v_add_co_u32 v32, s10, s31, v32
	v_add_co_ci_u32_e64 v33, s10, s33, v33, s10
	global_load_b32 v14, v[32:33], off
.LBB39_25:                              ;   in Loop: Header=BB39_23 Depth=2
	s_or_b32 exec_lo, exec_lo, s11
	v_xor_b32_e32 v32, 0x80000000, v1
	s_delay_alu instid0(VALU_DEP_1) | instskip(NEXT) | instid1(VALU_DEP_1)
	v_and_b32_e32 v32, v32, v28
	v_cmp_eq_u32_e64 s10, v32, v29
	s_delay_alu instid0(VALU_DEP_1) | instskip(SKIP_1) | instid1(SALU_CYCLE_1)
	s_cmp_lg_u32 s10, 0
	s_cselect_b32 s11, -1, 0
	s_and_b32 s11, s2, s11
	s_delay_alu instid0(SALU_CYCLE_1)
	s_and_saveexec_b32 s14, s11
	s_cbranch_execz .LBB39_29
; %bb.26:                               ;   in Loop: Header=BB39_23 Depth=2
	s_mov_b32 s17, exec_lo
	s_bcnt1_i32_b32 s15, s10
	v_mbcnt_lo_u32_b32 v31, s17, 0
	s_mov_b32 s16, exec_lo
                                        ; implicit-def: $vgpr32
	s_delay_alu instid0(VALU_DEP_1)
	v_cmpx_eq_u32_e32 0, v31
	s_cbranch_execz .LBB39_28
; %bb.27:                               ;   in Loop: Header=BB39_23 Depth=2
	s_bcnt1_i32_b32 s11, s17
	s_delay_alu instid0(SALU_CYCLE_1) | instskip(NEXT) | instid1(SALU_CYCLE_1)
	s_mul_i32 s11, s15, s11
	v_mov_b32_e32 v32, s11
	ds_add_rtn_u32 v32, v9, v32 offset:4104
.LBB39_28:                              ;   in Loop: Header=BB39_23 Depth=2
	s_or_b32 exec_lo, exec_lo, s16
	s_waitcnt lgkmcnt(0)
	v_readfirstlane_b32 s11, v32
	s_delay_alu instid0(VALU_DEP_1)
	v_mad_u32_u24 v31, s15, v31, s11
.LBB39_29:                              ;   in Loop: Header=BB39_23 Depth=2
	s_or_b32 exec_lo, exec_lo, s14
	ds_bpermute_b32 v31, v9, v31
	s_and_b32 s11, exec_lo, vcc_lo
	s_delay_alu instid0(SALU_CYCLE_1)
	s_or_b32 s13, s11, s13
	s_and_saveexec_b32 s11, s10
	s_cbranch_execz .LBB39_22
; %bb.30:                               ;   in Loop: Header=BB39_23 Depth=2
	v_and_b32_e32 v32, s10, v16
	s_delay_alu instid0(VALU_DEP_1) | instskip(NEXT) | instid1(VALU_DEP_1)
	v_bcnt_u32_b32 v32, v32, 0
	v_lshlrev_b32_e32 v32, 2, v32
	s_waitcnt lgkmcnt(0)
	s_delay_alu instid0(VALU_DEP_1)
	v_lshl_add_u32 v31, v31, 2, v32
	ds_store_b32 v31, v1
	s_branch .LBB39_22
.LBB39_31:                              ;   in Loop: Header=BB39_15 Depth=1
	s_mov_b32 s79, -1
	s_mov_b32 s10, 0
.LBB39_32:                              ;   in Loop: Header=BB39_15 Depth=1
	s_and_b32 vcc_lo, exec_lo, s79
	s_cbranch_vccz .LBB39_43
.LBB39_33:                              ;   in Loop: Header=BB39_15 Depth=1
	v_mov_b32_e32 v1, 0
	s_and_saveexec_b32 s10, s4
	s_cbranch_execz .LBB39_35
; %bb.34:                               ;   in Loop: Header=BB39_15 Depth=1
	global_load_b32 v1, v[5:6], off
.LBB39_35:                              ;   in Loop: Header=BB39_15 Depth=1
	s_or_b32 exec_lo, exec_lo, s10
	s_and_saveexec_b32 s11, s4
	s_cbranch_execz .LBB39_40
; %bb.36:                               ;   in Loop: Header=BB39_15 Depth=1
	global_load_u16 v2, v9, s[38:39]
	s_mov_b32 s12, 0
	v_dual_mov_b32 v14, v18 :: v_dual_mov_b32 v31, v0
	s_waitcnt vmcnt(0)
	v_add_nc_u32_e32 v3, v0, v2
	v_lshlrev_b32_e32 v4, 2, v2
	s_delay_alu instid0(VALU_DEP_2)
	v_mul_lo_u32 v8, s30, v3
	v_mul_lo_u32 v3, s30, v2
	s_set_inst_prefetch_distance 0x1
	s_branch .LBB39_38
	.p2align	6
.LBB39_37:                              ;   in Loop: Header=BB39_38 Depth=2
	s_or_b32 exec_lo, exec_lo, s13
	ds_store_b32 v14, v1
	s_waitcnt vmcnt(0)
	v_dual_mov_b32 v1, v32 :: v_dual_add_nc_u32 v14, v14, v4
	v_add_nc_u32_e32 v8, v8, v3
	s_and_b32 s10, exec_lo, vcc_lo
	s_delay_alu instid0(SALU_CYCLE_1) | instskip(NEXT) | instid1(SALU_CYCLE_1)
	s_or_b32 s12, s10, s12
	s_and_not1_b32 exec_lo, exec_lo, s12
	s_cbranch_execz .LBB39_40
.LBB39_38:                              ;   Parent Loop BB39_15 Depth=1
                                        ; =>  This Inner Loop Header: Depth=2
	v_dual_mov_b32 v32, 0 :: v_dual_add_nc_u32 v31, v31, v2
	s_mov_b32 s13, exec_lo
	s_delay_alu instid0(VALU_DEP_1)
	v_cmp_le_u32_e32 vcc_lo, s36, v31
	v_cmpx_gt_u32_e64 s36, v31
	s_cbranch_execz .LBB39_37
; %bb.39:                               ;   in Loop: Header=BB39_38 Depth=2
	v_lshlrev_b64 v[32:33], 2, v[8:9]
	s_delay_alu instid0(VALU_DEP_1) | instskip(NEXT) | instid1(VALU_DEP_1)
	v_add_co_u32 v32, s10, s31, v32
	v_add_co_ci_u32_e64 v33, s10, s33, v33, s10
	global_load_b32 v32, v[32:33], off
	s_branch .LBB39_37
.LBB39_40:                              ;   in Loop: Header=BB39_15 Depth=1
	s_set_inst_prefetch_distance 0x2
	s_or_b32 exec_lo, exec_lo, s11
	s_waitcnt vmcnt(0) lgkmcnt(0)
	s_barrier
	buffer_gl0_inv
	s_and_saveexec_b32 s10, s5
	s_cbranch_execz .LBB39_42
; %bb.41:                               ;   in Loop: Header=BB39_15 Depth=1
	v_mov_b32_e32 v1, s36
	ds_store_b32 v9, v1 offset:4096
.LBB39_42:                              ;   in Loop: Header=BB39_15 Depth=1
	s_or_b32 exec_lo, exec_lo, s10
	s_mov_b32 s10, -1
	s_waitcnt lgkmcnt(0)
	s_barrier
                                        ; implicit-def: $sgpr79
.LBB39_43:                              ;   in Loop: Header=BB39_15 Depth=1
	s_and_b32 vcc_lo, exec_lo, s10
	s_cbranch_vccz .LBB39_45
; %bb.44:                               ;   in Loop: Header=BB39_15 Depth=1
	buffer_gl0_inv
	ds_load_b32 v1, v9 offset:4096
	s_waitcnt lgkmcnt(0)
	v_readfirstlane_b32 s79, v1
.LBB39_45:                              ;   in Loop: Header=BB39_15 Depth=1
	s_delay_alu instid0(VALU_DEP_1)
	s_cmp_lt_i32 s79, 1
	s_cbranch_scc0 .LBB39_49
; %bb.46:                               ;   in Loop: Header=BB39_15 Depth=1
	v_dual_mov_b32 v1, 0 :: v_dual_mov_b32 v2, 0
	v_dual_mov_b32 v3, 0 :: v_dual_mov_b32 v4, 0
	s_mov_b32 s22, 0
	s_and_saveexec_b32 s21, s7
	s_cbranch_execnz .LBB39_50
; %bb.47:                               ;   in Loop: Header=BB39_15 Depth=1
	s_or_b32 exec_lo, exec_lo, s21
	v_mov_b32_e32 v31, 0
	s_and_saveexec_b32 s10, s8
	s_cbranch_execnz .LBB39_53
.LBB39_48:                              ;   in Loop: Header=BB39_15 Depth=1
	s_or_b32 exec_lo, exec_lo, s10
	s_and_saveexec_b32 s14, s8
	s_cbranch_execnz .LBB39_54
	s_branch .LBB39_59
.LBB39_49:                              ;   in Loop: Header=BB39_15 Depth=1
                                        ; implicit-def: $vgpr4
	s_cbranch_execnz .LBB39_60
	s_branch .LBB39_69
.LBB39_50:                              ;   in Loop: Header=BB39_15 Depth=1
	v_mov_b32_e32 v14, v18
	s_and_b32 s23, s73, 0xfe
	s_mov_b32 s24, 0
	s_mov_b32 s25, 0
	;; [unrolled: 1-line block ×5, first 2 shown]
.LBB39_51:                              ;   Parent Loop BB39_15 Depth=1
                                        ; =>  This Inner Loop Header: Depth=2
	v_add_nc_u32_e32 v8, s24, v24
	v_add_nc_u32_e32 v14, s53, v14
	s_delay_alu instid0(VALU_DEP_2) | instskip(SKIP_1) | instid1(VALU_DEP_1)
	v_lshlrev_b64 v[1:2], 2, v[8:9]
	v_add_nc_u32_e32 v8, s24, v12
	v_lshlrev_b64 v[3:4], 2, v[8:9]
	v_add_nc_u32_e32 v8, s24, v22
	s_delay_alu instid0(VALU_DEP_4) | instskip(SKIP_1) | instid1(VALU_DEP_3)
	v_add_co_u32 v1, vcc_lo, s31, v1
	v_add_co_ci_u32_e32 v2, vcc_lo, s33, v2, vcc_lo
	v_lshlrev_b64 v[31:32], 2, v[8:9]
	v_add_nc_u32_e32 v8, s24, v23
	s_add_i32 s24, s24, s65
	global_load_b32 v33, v[1:2], off
	v_add_co_u32 v1, vcc_lo, s31, v3
	v_add_co_ci_u32_e32 v2, vcc_lo, s33, v4, vcc_lo
	v_add_co_u32 v31, vcc_lo, s31, v31
	v_add_co_ci_u32_e32 v32, vcc_lo, s33, v32, vcc_lo
	v_lshlrev_b64 v[3:4], 2, v[8:9]
	s_clause 0x1
	global_load_b32 v8, v[1:2], off
	global_load_b32 v31, v[31:32], off
	v_add_co_u32 v1, vcc_lo, s31, v3
	v_add_co_ci_u32_e32 v2, vcc_lo, s33, v4, vcc_lo
	v_cmp_le_u32_e32 vcc_lo, s62, v14
	global_load_b32 v1, v[1:2], off
	s_waitcnt vmcnt(3)
	v_xor_b32_e32 v2, 0x80000000, v33
	s_delay_alu instid0(VALU_DEP_1) | instskip(SKIP_3) | instid1(VALU_DEP_3)
	v_and_b32_e32 v3, v2, v28
	v_bfe_u32 v2, v2, s23, 2
	s_waitcnt vmcnt(2)
	v_xor_b32_e32 v4, 0x80000000, v8
	v_cmp_eq_u32_e64 s10, v3, v29
	s_delay_alu instid0(VALU_DEP_3)
	v_cmp_eq_u32_e64 s11, 0, v2
	s_waitcnt vmcnt(1)
	v_xor_b32_e32 v8, 0x80000000, v31
	v_cmp_eq_u32_e64 s12, 1, v2
	v_and_b32_e32 v3, v4, v28
	v_bfe_u32 v4, v4, s23, 2
	v_cmp_eq_u32_e64 s13, 2, v2
	s_and_b32 s11, s10, s11
	v_cmp_eq_u32_e64 s14, 3, v2
	v_cmp_eq_u32_e64 s15, v3, v29
	v_and_b32_e32 v2, v8, v28
	v_bfe_u32 v3, v8, s23, 2
	v_cmp_eq_u32_e64 s16, 0, v4
	v_cndmask_b32_e64 v8, 0, 1, s11
	v_cmp_eq_u32_e64 s11, 1, v4
	s_and_b32 s12, s10, s12
	s_and_b32 s13, s10, s13
	v_cndmask_b32_e64 v31, 0, 1, s12
	v_cmp_eq_u32_e64 s12, 2, v4
	s_waitcnt vmcnt(0)
	v_xor_b32_e32 v1, 0x80000000, v1
	v_cndmask_b32_e64 v32, 0, 1, s13
	s_and_b32 s10, s10, s14
	s_and_b32 s16, s15, s16
	;; [unrolled: 1-line block ×3, first 2 shown]
	v_cmp_eq_u32_e64 s13, 3, v4
	v_cndmask_b32_e64 v4, 0, 1, s10
	v_cmp_eq_u32_e64 s10, v2, v29
	v_cmp_eq_u32_e64 s14, 0, v3
	v_cmp_ne_u32_e64 s17, 0, v8
	v_cndmask_b32_e64 v8, 0, 1, s16
	v_cmp_eq_u32_e64 s16, 1, v3
	v_cmp_ne_u32_e64 s18, 0, v31
	v_cndmask_b32_e64 v31, 0, 1, s11
	v_cmp_eq_u32_e64 s11, 2, v3
	s_and_b32 s12, s15, s12
	v_and_b32_e32 v2, v1, v28
	v_bfe_u32 v1, v1, s23, 2
	v_cmp_ne_u32_e64 s19, 0, v32
	v_cndmask_b32_e64 v32, 0, 1, s12
	v_cmp_eq_u32_e64 s12, 3, v3
	s_and_b32 s13, s15, s13
	s_and_b32 s14, s10, s14
	;; [unrolled: 1-line block ×4, first 2 shown]
	v_cmp_ne_u32_e64 s20, 0, v4
	v_cndmask_b32_e64 v3, 0, 1, s13
	v_cmp_eq_u32_e64 s13, v2, v29
	v_cmp_eq_u32_e64 s15, 0, v1
	s_bcnt1_i32_b32 s29, s17
	v_cmp_ne_u32_e64 s17, 0, v8
	v_cndmask_b32_e64 v2, 0, 1, s14
	v_cmp_eq_u32_e64 s14, 1, v1
	v_cndmask_b32_e64 v4, 0, 1, s16
	v_cmp_eq_u32_e64 s16, 2, v1
	;; [unrolled: 2-line block ×3, first 2 shown]
	s_and_b32 s10, s10, s12
	s_bcnt1_i32_b32 s82, s20
	v_cndmask_b32_e64 v1, 0, 1, s10
	v_cmp_ne_u32_e64 s20, 0, v3
	s_and_b32 s12, s13, s15
	s_and_b32 s14, s13, s14
	;; [unrolled: 1-line block ×4, first 2 shown]
	v_cmp_ne_u32_e64 s10, 0, v2
	v_cndmask_b32_e64 v2, 0, 1, s12
	v_cmp_ne_u32_e64 s12, 0, v4
	v_cndmask_b32_e64 v3, 0, 1, s14
	v_cndmask_b32_e64 v4, 0, 1, s15
	v_cmp_ne_u32_e64 s15, 0, v1
	v_cndmask_b32_e64 v1, 0, 1, s11
	s_bcnt1_i32_b32 s80, s18
	v_cmp_ne_u32_e64 s18, 0, v31
	s_bcnt1_i32_b32 s81, s19
	v_cmp_ne_u32_e64 s19, 0, v32
	s_add_i32 s25, s82, s25
	v_cmp_ne_u32_e64 s14, 0, v8
	s_bcnt1_i32_b32 s16, s20
	s_bcnt1_i32_b32 s20, s10
	s_add_i32 s16, s25, s16
	v_cmp_ne_u32_e64 s10, 0, v2
	s_bcnt1_i32_b32 s25, s12
	v_cmp_ne_u32_e64 s11, 0, v3
	v_cmp_ne_u32_e64 s12, 0, v4
	v_cmp_ne_u32_e64 s13, 0, v1
	s_add_i32 s28, s29, s28
	s_add_i32 s27, s80, s27
	;; [unrolled: 1-line block ×3, first 2 shown]
	s_bcnt1_i32_b32 s17, s17
	s_bcnt1_i32_b32 s18, s18
	;; [unrolled: 1-line block ×3, first 2 shown]
	s_add_i32 s17, s28, s17
	s_add_i32 s18, s27, s18
	;; [unrolled: 1-line block ×3, first 2 shown]
	s_bcnt1_i32_b32 s14, s14
	s_bcnt1_i32_b32 s15, s15
	s_add_i32 s17, s17, s20
	s_add_i32 s18, s18, s25
	;; [unrolled: 1-line block ×4, first 2 shown]
	s_bcnt1_i32_b32 s10, s10
	s_bcnt1_i32_b32 s11, s11
	;; [unrolled: 1-line block ×4, first 2 shown]
	s_add_i32 s28, s17, s10
	s_add_i32 s27, s18, s11
	;; [unrolled: 1-line block ×4, first 2 shown]
	s_delay_alu instid0(SALU_CYCLE_1) | instskip(SKIP_2) | instid1(SALU_CYCLE_1)
	v_dual_mov_b32 v1, s28 :: v_dual_mov_b32 v4, s25
	v_dual_mov_b32 v2, s27 :: v_dual_mov_b32 v3, s26
	s_or_b32 s22, vcc_lo, s22
	s_and_not1_b32 exec_lo, exec_lo, s22
	s_cbranch_execnz .LBB39_51
; %bb.52:                               ;   in Loop: Header=BB39_15 Depth=1
	s_or_b32 exec_lo, exec_lo, s22
	s_delay_alu instid0(SALU_CYCLE_1)
	s_or_b32 exec_lo, exec_lo, s21
	v_mov_b32_e32 v31, 0
	s_and_saveexec_b32 s10, s8
	s_cbranch_execz .LBB39_48
.LBB39_53:                              ;   in Loop: Header=BB39_15 Depth=1
	global_load_b32 v31, v[10:11], off
	s_or_b32 exec_lo, exec_lo, s10
	s_and_saveexec_b32 s14, s8
	s_cbranch_execz .LBB39_59
.LBB39_54:                              ;   in Loop: Header=BB39_15 Depth=1
	v_mov_b32_e32 v8, v25
	v_mov_b32_e32 v14, v21
	s_and_b32 s16, s73, 0xfe
	s_mov_b32 s15, 0
	s_branch .LBB39_56
.LBB39_55:                              ;   in Loop: Header=BB39_56 Depth=2
	s_or_b32 exec_lo, exec_lo, s11
	s_waitcnt vmcnt(0)
	v_xor_b32_e32 v31, 0x80000000, v31
	s_and_b32 s11, exec_lo, vcc_lo
	v_add_nc_u32_e32 v8, s40, v8
	s_or_b32 s15, s11, s15
	s_delay_alu instid0(VALU_DEP_2) | instskip(SKIP_1) | instid1(VALU_DEP_2)
	v_and_b32_e32 v33, v31, v28
	v_bfe_u32 v31, v31, s16, 2
	v_cmp_eq_u32_e32 vcc_lo, v33, v29
	s_delay_alu instid0(VALU_DEP_2) | instskip(SKIP_3) | instid1(VALU_DEP_4)
	v_cmp_eq_u32_e64 s10, 0, v31
	v_cmp_eq_u32_e64 s11, 1, v31
	;; [unrolled: 1-line block ×4, first 2 shown]
	s_and_b32 s10, vcc_lo, s10
	s_delay_alu instid0(SALU_CYCLE_1) | instskip(SKIP_1) | instid1(SALU_CYCLE_1)
	v_cndmask_b32_e64 v31, 0, 1, s10
	s_and_b32 s10, vcc_lo, s11
	v_cndmask_b32_e64 v33, 0, 1, s10
	s_and_b32 s10, vcc_lo, s12
	s_delay_alu instid0(SALU_CYCLE_1)
	v_cndmask_b32_e64 v34, 0, 1, s10
	s_and_b32 s10, vcc_lo, s13
	v_cmp_ne_u32_e32 vcc_lo, 0, v31
	v_cndmask_b32_e64 v35, 0, 1, s10
	v_cmp_ne_u32_e64 s10, 0, v33
	v_cmp_ne_u32_e64 s11, 0, v34
	v_mov_b32_e32 v31, v32
	s_bcnt1_i32_b32 s13, vcc_lo
	v_cmp_ne_u32_e64 s12, 0, v35
	s_bcnt1_i32_b32 s10, s10
	s_bcnt1_i32_b32 s11, s11
	v_add_nc_u32_e32 v1, s13, v1
	v_add_nc_u32_e32 v2, s10, v2
	s_bcnt1_i32_b32 s12, s12
	v_add_nc_u32_e32 v3, s11, v3
	v_add_nc_u32_e32 v4, s12, v4
	s_and_not1_b32 exec_lo, exec_lo, s15
	s_cbranch_execz .LBB39_58
.LBB39_56:                              ;   Parent Loop BB39_15 Depth=1
                                        ; =>  This Inner Loop Header: Depth=2
	s_delay_alu instid0(VALU_DEP_1) | instskip(SKIP_2) | instid1(VALU_DEP_2)
	v_add_nc_u32_e32 v14, s34, v14
	v_mov_b32_e32 v32, 0
	s_mov_b32 s11, exec_lo
	v_cmp_le_u32_e32 vcc_lo, s36, v14
	v_cmpx_gt_u32_e64 s36, v14
	s_cbranch_execz .LBB39_55
; %bb.57:                               ;   in Loop: Header=BB39_56 Depth=2
	v_lshlrev_b64 v[32:33], 2, v[8:9]
	s_delay_alu instid0(VALU_DEP_1) | instskip(NEXT) | instid1(VALU_DEP_1)
	v_add_co_u32 v32, s10, s31, v32
	v_add_co_ci_u32_e64 v33, s10, s33, v33, s10
	global_load_b32 v32, v[32:33], off
	s_branch .LBB39_55
.LBB39_58:                              ;   in Loop: Header=BB39_15 Depth=1
	s_or_b32 exec_lo, exec_lo, s15
.LBB39_59:                              ;   in Loop: Header=BB39_15 Depth=1
	s_delay_alu instid0(SALU_CYCLE_1)
	s_or_b32 exec_lo, exec_lo, s14
	s_branch .LBB39_69
.LBB39_60:                              ;   in Loop: Header=BB39_15 Depth=1
	s_mul_hi_u32 s10, s79, s61
	v_dual_mov_b32 v1, 0 :: v_dual_mov_b32 v2, 0
	s_mul_i32 s10, s10, s53
	v_dual_mov_b32 v3, 0 :: v_dual_mov_b32 v4, 0
	s_sub_i32 s10, s79, s10
	s_mov_b32 s82, 0
	s_sub_i32 s11, s10, s53
	s_cmp_ge_u32 s10, s53
	s_mov_b32 s81, exec_lo
	s_cselect_b32 s10, s11, s10
	s_delay_alu instid0(SALU_CYCLE_1) | instskip(SKIP_2) | instid1(SALU_CYCLE_1)
	s_sub_i32 s11, s10, s53
	s_cmp_ge_u32 s10, s53
	s_cselect_b32 s10, s11, s10
	s_sub_i32 s80, s79, s10
	s_delay_alu instid0(SALU_CYCLE_1)
	v_cmpx_gt_u32_e64 s80, v18
	s_cbranch_execz .LBB39_64
; %bb.61:                               ;   in Loop: Header=BB39_15 Depth=1
	v_mov_b32_e32 v8, v26
	v_mov_b32_e32 v14, v18
	s_and_b32 s83, s73, 0xfe
	s_mov_b32 s84, 0
	s_mov_b32 s85, 0
	;; [unrolled: 1-line block ×4, first 2 shown]
.LBB39_62:                              ;   Parent Loop BB39_15 Depth=1
                                        ; =>  This Inner Loop Header: Depth=2
	ds_load_b128 v[1:4], v8
	s_waitcnt lgkmcnt(0)
	v_xor_b32_e32 v1, 0x80000000, v1
	v_xor_b32_e32 v2, 0x80000000, v2
	v_xor_b32_e32 v3, 0x80000000, v3
	v_xor_b32_e32 v4, 0x80000000, v4
	s_waitcnt vmcnt(0)
	v_and_b32_e32 v31, v1, v28
	v_bfe_u32 v1, v1, s83, 2
	v_and_b32_e32 v32, v2, v28
	v_bfe_u32 v2, v2, s83, 2
	;; [unrolled: 2-line block ×3, first 2 shown]
	v_cmp_eq_u32_e64 s10, v31, v29
	v_cmp_eq_u32_e64 s14, 0, v1
	v_and_b32_e32 v34, v4, v28
	v_bfe_u32 v4, v4, s83, 2
	v_cmp_eq_u32_e64 s11, v32, v29
	v_cmp_eq_u32_e64 s15, 0, v2
	;; [unrolled: 1-line block ×4, first 2 shown]
	s_and_b32 s14, s10, s14
	v_cmp_eq_u32_e64 s13, v34, v29
	v_cmp_eq_u32_e64 s17, 0, v4
	;; [unrolled: 1-line block ×5, first 2 shown]
	v_cndmask_b32_e64 v1, 0, 1, s14
	s_and_b32 s14, s11, s15
	v_cmp_eq_u32_e64 s19, 1, v2
	v_cmp_eq_u32_e64 s23, 2, v2
	v_cmp_eq_u32_e64 s27, 3, v2
	v_cndmask_b32_e64 v2, 0, 1, s14
	s_and_b32 s14, s12, s16
	v_cmp_eq_u32_e64 s20, 1, v3
	v_cmp_eq_u32_e64 s24, 2, v3
	v_cmp_eq_u32_e64 s28, 3, v3
	;; [unrolled: 5-line block ×3, first 2 shown]
	v_cndmask_b32_e64 v4, 0, 1, s14
	s_and_b32 s14, s10, s18
	s_delay_alu instid0(SALU_CYCLE_1) | instskip(SKIP_1) | instid1(SALU_CYCLE_1)
	v_cndmask_b32_e64 v31, 0, 1, s14
	s_and_b32 s14, s11, s19
	v_cndmask_b32_e64 v32, 0, 1, s14
	s_and_b32 s14, s12, s20
	s_delay_alu instid0(SALU_CYCLE_1) | instskip(SKIP_1) | instid1(VALU_DEP_2)
	v_cndmask_b32_e64 v33, 0, 1, s14
	s_and_b32 s14, s13, s21
	v_cmp_ne_u32_e64 s15, 0, v32
	v_cndmask_b32_e64 v34, 0, 1, s14
	s_and_b32 s14, s10, s22
	s_and_b32 s10, s10, s26
	v_cndmask_b32_e64 v35, 0, 1, s14
	v_cndmask_b32_e64 v39, 0, 1, s10
	s_and_b32 s10, s11, s27
	s_and_b32 s14, s11, s23
	v_cndmask_b32_e64 v40, 0, 1, s10
	s_and_b32 s10, s12, s28
	v_cndmask_b32_e64 v36, 0, 1, s14
	v_cndmask_b32_e64 v41, 0, 1, s10
	s_and_b32 s10, s13, s29
	s_and_b32 s14, s12, s24
	v_cndmask_b32_e64 v42, 0, 1, s10
	v_cmp_ne_u32_e64 s10, 0, v1
	v_cmp_ne_u32_e64 s11, 0, v2
	v_cndmask_b32_e64 v37, 0, 1, s14
	s_and_b32 s14, s13, s25
	v_cmp_ne_u32_e64 s12, 0, v3
	v_cndmask_b32_e64 v38, 0, 1, s14
	v_cmp_ne_u32_e64 s14, 0, v31
	v_cmp_ne_u32_e64 s18, 0, v35
	v_cmp_ne_u32_e64 s22, 0, v39
	s_bcnt1_i32_b32 s10, s10
	v_cmp_ne_u32_e64 s13, 0, v4
	v_cmp_ne_u32_e64 s19, 0, v36
	;; [unrolled: 1-line block ×3, first 2 shown]
	s_bcnt1_i32_b32 s11, s11
	s_add_i32 s10, s10, s87
	v_cmp_ne_u32_e64 s16, 0, v33
	v_cmp_ne_u32_e64 s20, 0, v37
	;; [unrolled: 1-line block ×3, first 2 shown]
	s_bcnt1_i32_b32 s12, s12
	s_add_i32 s10, s10, s11
	s_bcnt1_i32_b32 s14, s14
	s_bcnt1_i32_b32 s18, s18
	;; [unrolled: 1-line block ×3, first 2 shown]
	v_cmp_ne_u32_e64 s17, 0, v34
	v_cmp_ne_u32_e64 s21, 0, v38
	;; [unrolled: 1-line block ×3, first 2 shown]
	s_bcnt1_i32_b32 s13, s13
	s_add_i32 s10, s10, s12
	s_bcnt1_i32_b32 s15, s15
	s_bcnt1_i32_b32 s19, s19
	;; [unrolled: 1-line block ×3, first 2 shown]
	s_add_i32 s14, s14, s86
	s_add_i32 s18, s18, s85
	;; [unrolled: 1-line block ×4, first 2 shown]
	s_delay_alu instid0(SALU_CYCLE_1)
	v_dual_mov_b32 v1, s87 :: v_dual_add_nc_u32 v14, s53, v14
	s_bcnt1_i32_b32 s16, s16
	s_bcnt1_i32_b32 s20, s20
	;; [unrolled: 1-line block ×3, first 2 shown]
	s_add_i32 s11, s14, s15
	s_add_i32 s14, s18, s19
	;; [unrolled: 1-line block ×3, first 2 shown]
	s_bcnt1_i32_b32 s17, s17
	s_bcnt1_i32_b32 s21, s21
	;; [unrolled: 1-line block ×3, first 2 shown]
	s_add_i32 s11, s11, s16
	s_add_i32 s12, s14, s20
	;; [unrolled: 1-line block ×3, first 2 shown]
	v_cmp_le_u32_e32 vcc_lo, s80, v14
	s_add_i32 s86, s11, s17
	s_add_i32 s85, s12, s21
	;; [unrolled: 1-line block ×3, first 2 shown]
	v_dual_mov_b32 v3, s85 :: v_dual_add_nc_u32 v8, s66, v8
	v_mov_b32_e32 v2, s86
	v_mov_b32_e32 v4, s84
	s_or_b32 s82, vcc_lo, s82
	s_delay_alu instid0(SALU_CYCLE_1)
	s_and_not1_b32 exec_lo, exec_lo, s82
	s_cbranch_execnz .LBB39_62
; %bb.63:                               ;   in Loop: Header=BB39_15 Depth=1
	s_or_b32 exec_lo, exec_lo, s82
.LBB39_64:                              ;   in Loop: Header=BB39_15 Depth=1
	s_delay_alu instid0(SALU_CYCLE_1) | instskip(SKIP_2) | instid1(VALU_DEP_1)
	s_or_b32 exec_lo, exec_lo, s81
	v_add_nc_u32_e32 v8, s80, v0
	s_mov_b32 s15, exec_lo
	v_cmpx_gt_u32_e64 s79, v8
	s_cbranch_execz .LBB39_68
; %bb.65:                               ;   in Loop: Header=BB39_15 Depth=1
	v_lshlrev_b32_e32 v14, 2, v8
	s_and_b32 s17, s73, 0xfe
	s_mov_b32 s16, 0
.LBB39_66:                              ;   Parent Loop BB39_15 Depth=1
                                        ; =>  This Inner Loop Header: Depth=2
	s_waitcnt vmcnt(0)
	ds_load_b32 v31, v14
	v_add_nc_u32_e32 v8, s34, v8
	v_add_nc_u32_e32 v14, s53, v14
	s_delay_alu instid0(VALU_DEP_2) | instskip(SKIP_2) | instid1(VALU_DEP_1)
	v_cmp_le_u32_e32 vcc_lo, s79, v8
	s_waitcnt lgkmcnt(0)
	v_xor_b32_e32 v31, 0x80000000, v31
	v_and_b32_e32 v32, v31, v28
	v_bfe_u32 v31, v31, s17, 2
	s_delay_alu instid0(VALU_DEP_2) | instskip(NEXT) | instid1(VALU_DEP_2)
	v_cmp_eq_u32_e64 s10, v32, v29
	v_cmp_eq_u32_e64 s11, 0, v31
	;; [unrolled: 1-line block ×5, first 2 shown]
	s_delay_alu instid0(VALU_DEP_4) | instskip(NEXT) | instid1(SALU_CYCLE_1)
	s_and_b32 s11, s10, s11
	v_cndmask_b32_e64 v31, 0, 1, s11
	s_and_b32 s11, s10, s12
	s_delay_alu instid0(SALU_CYCLE_1)
	v_cndmask_b32_e64 v32, 0, 1, s11
	s_and_b32 s11, s10, s13
	s_and_b32 s10, s10, s14
	v_cndmask_b32_e64 v33, 0, 1, s11
	v_cndmask_b32_e64 v34, 0, 1, s10
	v_cmp_ne_u32_e64 s10, 0, v31
	v_cmp_ne_u32_e64 s11, 0, v32
	s_delay_alu instid0(VALU_DEP_4) | instskip(NEXT) | instid1(VALU_DEP_4)
	v_cmp_ne_u32_e64 s12, 0, v33
	v_cmp_ne_u32_e64 s13, 0, v34
	s_delay_alu instid0(VALU_DEP_4) | instskip(NEXT) | instid1(VALU_DEP_3)
	s_bcnt1_i32_b32 s10, s10
	s_bcnt1_i32_b32 s11, s11
	v_add_nc_u32_e32 v1, s10, v1
	s_bcnt1_i32_b32 s12, s12
	s_bcnt1_i32_b32 s13, s13
	v_add_nc_u32_e32 v2, s11, v2
	v_add_nc_u32_e32 v3, s12, v3
	;; [unrolled: 1-line block ×3, first 2 shown]
	s_or_b32 s16, vcc_lo, s16
	s_delay_alu instid0(SALU_CYCLE_1)
	s_and_not1_b32 exec_lo, exec_lo, s16
	s_cbranch_execnz .LBB39_66
; %bb.67:                               ;   in Loop: Header=BB39_15 Depth=1
	s_or_b32 exec_lo, exec_lo, s16
.LBB39_68:                              ;   in Loop: Header=BB39_15 Depth=1
	s_delay_alu instid0(SALU_CYCLE_1)
	s_or_b32 exec_lo, exec_lo, s15
.LBB39_69:                              ;   in Loop: Header=BB39_15 Depth=1
	s_lshl_b32 s10, s68, 7
	s_and_saveexec_b32 s11, s2
	s_cbranch_execz .LBB39_71
; %bb.70:                               ;   in Loop: Header=BB39_15 Depth=1
	v_or_b32_e32 v8, s10, v19
	s_delay_alu instid0(VALU_DEP_1)
	v_lshlrev_b32_e32 v8, 2, v8
	ds_store_b128 v8, v[1:4] offset:3072
.LBB39_71:                              ;   in Loop: Header=BB39_15 Depth=1
	s_or_b32 exec_lo, exec_lo, s11
	s_waitcnt vmcnt(0) lgkmcnt(0)
	s_barrier
	buffer_gl0_inv
	s_and_saveexec_b32 s11, s51
	s_cbranch_execz .LBB39_81
; %bb.72:                               ;   in Loop: Header=BB39_15 Depth=1
	v_mov_b32_e32 v1, 0
	s_and_not1_b32 vcc_lo, exec_lo, s55
	s_cbranch_vccnz .LBB39_80
; %bb.73:                               ;   in Loop: Header=BB39_15 Depth=1
	v_mov_b32_e32 v1, 0
	s_and_not1_b32 vcc_lo, exec_lo, s58
	s_mov_b32 s12, 0
	s_cbranch_vccnz .LBB39_77
; %bb.74:                               ;   in Loop: Header=BB39_15 Depth=1
	v_lshl_add_u32 v2, s68, 9, v27
	v_mov_b32_e32 v1, 0
	.p2align	6
.LBB39_75:                              ;   Parent Loop BB39_15 Depth=1
                                        ; =>  This Inner Loop Header: Depth=2
	ds_load_2addr_b32 v[3:4], v2 offset1:4
	ds_load_2addr_b32 v[31:32], v2 offset0:8 offset1:12
	ds_load_2addr_b32 v[33:34], v2 offset0:16 offset1:20
	;; [unrolled: 1-line block ×3, first 2 shown]
	v_add_nc_u32_e32 v2, 0x80, v2
	s_add_i32 s12, s12, 8
	s_delay_alu instid0(SALU_CYCLE_1) | instskip(SKIP_3) | instid1(VALU_DEP_1)
	s_cmp_eq_u32 s59, s12
	s_waitcnt lgkmcnt(3)
	v_add3_u32 v1, v3, v1, v4
	s_waitcnt lgkmcnt(2)
	v_add3_u32 v1, v31, v1, v32
	s_waitcnt lgkmcnt(1)
	s_delay_alu instid0(VALU_DEP_1) | instskip(SKIP_1) | instid1(VALU_DEP_1)
	v_add3_u32 v1, v33, v1, v34
	s_waitcnt lgkmcnt(0)
	v_add3_u32 v1, v35, v1, v36
	s_cbranch_scc0 .LBB39_75
; %bb.76:                               ;   in Loop: Header=BB39_15 Depth=1
	s_mov_b32 s12, s59
.LBB39_77:                              ;   in Loop: Header=BB39_15 Depth=1
	s_and_not1_b32 vcc_lo, exec_lo, s60
	s_cbranch_vccnz .LBB39_80
; %bb.78:                               ;   in Loop: Header=BB39_15 Depth=1
	s_lshl_b32 s13, s68, 9
	s_lshl_b32 s12, s12, 4
	s_delay_alu instid0(SALU_CYCLE_1)
	v_add3_u32 v2, s13, s12, v27
	s_mov_b32 s12, s57
.LBB39_79:                              ;   Parent Loop BB39_15 Depth=1
                                        ; =>  This Inner Loop Header: Depth=2
	ds_load_b32 v3, v2
	v_add_nc_u32_e32 v2, 16, v2
	s_add_i32 s12, s12, -1
	s_delay_alu instid0(SALU_CYCLE_1)
	s_cmp_lg_u32 s12, 0
	s_waitcnt lgkmcnt(0)
	v_add_nc_u32_e32 v1, v3, v1
	s_cbranch_scc1 .LBB39_79
.LBB39_80:                              ;   in Loop: Header=BB39_15 Depth=1
	v_add_lshl_u32 v2, s10, v17, 2
	ds_store_b32 v2, v1 offset:3072
.LBB39_81:                              ;   in Loop: Header=BB39_15 Depth=1
	s_or_b32 exec_lo, exec_lo, s11
	s_lshl_b32 s10, s10, 2
	s_waitcnt lgkmcnt(0)
	v_mov_b32_e32 v1, s10
	s_barrier
	buffer_gl0_inv
	s_and_b32 s17, s73, 0xfe
	v_cmp_eq_u32_e64 s10, 1, v30
	ds_load_b128 v[1:4], v1 offset:3072
	s_lshl_b32 s13, 3, s17
	s_and_not1_b32 vcc_lo, exec_lo, s52
	s_not_b32 s14, s13
	s_waitcnt lgkmcnt(0)
	v_readfirstlane_b32 s12, v1
	v_readfirstlane_b32 s16, v2
	;; [unrolled: 1-line block ×4, first 2 shown]
	s_cbranch_vccnz .LBB39_94
; %bb.82:                               ;   in Loop: Header=BB39_15 Depth=1
	s_cmp_eq_u32 s12, 1
	v_dual_mov_b32 v3, v29 :: v_dual_mov_b32 v4, v28
	v_mov_b32_e32 v2, v15
	s_cselect_b32 s11, -1, 0
	s_mov_b32 s26, -1
	s_and_b32 s25, s11, s10
                                        ; implicit-def: $sgpr15
                                        ; implicit-def: $sgpr22
                                        ; implicit-def: $sgpr21
	s_delay_alu instid0(SALU_CYCLE_1)
	s_and_saveexec_b32 s20, s25
	s_cbranch_execz .LBB39_113
; %bb.83:                               ;   in Loop: Header=BB39_15 Depth=1
	ds_load_b32 v1, v9 offset:4096
	s_waitcnt lgkmcnt(0)
	s_barrier
	buffer_gl0_inv
	v_readfirstlane_b32 s11, v1
	s_and_saveexec_b32 s15, s6
	s_cbranch_execz .LBB39_85
; %bb.84:                               ;   in Loop: Header=BB39_15 Depth=1
	ds_store_b32 v20, v9
.LBB39_85:                              ;   in Loop: Header=BB39_15 Depth=1
	s_or_b32 exec_lo, exec_lo, s15
	v_and_b32_e32 v3, s14, v29
	v_or_b32_e32 v4, s13, v28
	s_cmp_eq_u32 s11, 0
	s_waitcnt lgkmcnt(0)
	s_barrier
	buffer_gl0_inv
	s_cbranch_scc1 .LBB39_99
; %bb.86:                               ;   in Loop: Header=BB39_15 Depth=1
	s_add_i32 s15, s11, s56
	s_mov_b32 s23, 0
	s_mul_hi_u32 s21, s15, s63
                                        ; implicit-def: $vgpr2
	s_delay_alu instid0(SALU_CYCLE_1) | instskip(NEXT) | instid1(SALU_CYCLE_1)
	s_mul_i32 s21, s21, s34
	s_sub_i32 s21, s15, s21
	s_delay_alu instid0(SALU_CYCLE_1) | instskip(SKIP_2) | instid1(SALU_CYCLE_1)
	s_sub_i32 s22, s21, s34
	s_cmp_ge_u32 s21, s34
	s_cselect_b32 s21, s22, s21
	s_sub_i32 s22, s21, s34
	s_cmp_ge_u32 s21, s34
	s_cselect_b32 s21, s22, s21
	s_delay_alu instid0(SALU_CYCLE_1)
	s_sub_i32 s21, s15, s21
	s_mov_b32 s15, exec_lo
	v_cmpx_gt_u32_e64 s21, v0
	s_cbranch_execz .LBB39_101
; %bb.87:                               ;   in Loop: Header=BB39_15 Depth=1
	v_dual_mov_b32 v8, v18 :: v_dual_mov_b32 v31, v0
	s_mov_b32 s22, 0
                                        ; implicit-def: $sgpr23
	s_set_inst_prefetch_distance 0x1
	s_branch .LBB39_89
	.p2align	6
.LBB39_88:                              ;   in Loop: Header=BB39_89 Depth=2
	s_or_b32 exec_lo, exec_lo, s24
	s_waitcnt lgkmcnt(0)
	s_barrier
	buffer_gl0_inv
	ds_load_b64 v[1:2], v9 offset:3072
	v_add_nc_u32_e32 v31, s34, v31
	v_add_nc_u32_e32 v8, s53, v8
	s_waitcnt lgkmcnt(0)
	s_barrier
	buffer_gl0_inv
	v_cmp_le_u32_e32 vcc_lo, s21, v31
	v_readfirstlane_b32 s24, v1
	s_delay_alu instid0(VALU_DEP_1) | instskip(SKIP_1) | instid1(SALU_CYCLE_1)
	s_cmp_lg_u32 s24, 0
	s_cselect_b32 s24, -1, 0
	s_or_b32 s26, vcc_lo, s24
	s_delay_alu instid0(SALU_CYCLE_1) | instskip(NEXT) | instid1(SALU_CYCLE_1)
	s_and_b32 s26, exec_lo, s26
	s_or_b32 s22, s26, s22
	s_and_not1_b32 s23, s23, exec_lo
	s_and_b32 s24, s24, exec_lo
	s_delay_alu instid0(SALU_CYCLE_1)
	s_or_b32 s23, s23, s24
	s_and_not1_b32 exec_lo, exec_lo, s22
	s_cbranch_execz .LBB39_100
.LBB39_89:                              ;   Parent Loop BB39_15 Depth=1
                                        ; =>  This Inner Loop Header: Depth=2
	s_delay_alu instid0(VALU_DEP_1)
	v_cmp_gt_u32_e32 vcc_lo, s11, v31
	v_mov_b32_e32 v14, 0
	s_and_saveexec_b32 s24, vcc_lo
	s_cbranch_execz .LBB39_91
; %bb.90:                               ;   in Loop: Header=BB39_89 Depth=2
	ds_load_b32 v14, v8
.LBB39_91:                              ;   in Loop: Header=BB39_89 Depth=2
	s_or_b32 exec_lo, exec_lo, s24
	s_and_saveexec_b32 s24, vcc_lo
	s_cbranch_execz .LBB39_88
; %bb.92:                               ;   in Loop: Header=BB39_89 Depth=2
	s_waitcnt lgkmcnt(0)
	v_xor_b32_e32 v1, 0x80000000, v14
	s_delay_alu instid0(VALU_DEP_1) | instskip(NEXT) | instid1(VALU_DEP_1)
	v_and_b32_e32 v1, v1, v4
	v_cmp_eq_u32_e32 vcc_lo, v1, v3
	s_and_b32 exec_lo, exec_lo, vcc_lo
	s_cbranch_execz .LBB39_88
; %bb.93:                               ;   in Loop: Header=BB39_89 Depth=2
	ds_store_b64 v9, v[13:14] offset:3072
	s_branch .LBB39_88
.LBB39_94:                              ;   in Loop: Header=BB39_15 Depth=1
	s_mov_b32 s20, 0
	s_mov_b32 s11, 0
                                        ; implicit-def: $sgpr21
                                        ; implicit-def: $sgpr22
                                        ; implicit-def: $sgpr15
                                        ; implicit-def: $vgpr1
                                        ; implicit-def: $vgpr31
                                        ; implicit-def: $vgpr3
                                        ; implicit-def: $vgpr4
                                        ; implicit-def: $vgpr2
	s_cbranch_execnz .LBB39_249
.LBB39_95:                              ;   in Loop: Header=BB39_15 Depth=1
	s_mov_b32 s23, s15
	s_mov_b32 s24, s15
	s_and_saveexec_b32 s10, s20
	s_cbranch_execnz .LBB39_411
	s_branch .LBB39_412
.LBB39_96:                              ;   in Loop: Header=BB39_15 Depth=1
	s_or_b32 exec_lo, exec_lo, s12
	s_waitcnt vmcnt(0) lgkmcnt(0)
	s_barrier
	buffer_gl0_inv
	s_and_saveexec_b32 s10, s5
	s_cbranch_execz .LBB39_98
; %bb.97:                               ;   in Loop: Header=BB39_15 Depth=1
	ds_load_b32 v1, v9 offset:4104
	s_waitcnt lgkmcnt(0)
	ds_store_b32 v9, v1 offset:4096
.LBB39_98:                              ;   in Loop: Header=BB39_15 Depth=1
	s_or_b32 exec_lo, exec_lo, s10
	s_waitcnt lgkmcnt(0)
	s_mov_b32 s10, -1
	s_barrier
	s_and_b32 vcc_lo, exec_lo, s79
	s_cbranch_vccnz .LBB39_33
	s_branch .LBB39_43
.LBB39_99:                              ;   in Loop: Header=BB39_15 Depth=1
	s_mov_b32 s15, -1
	s_mov_b32 s23, 0
                                        ; implicit-def: $sgpr21
                                        ; implicit-def: $vgpr2
	s_mov_b32 s22, s15
	s_cbranch_execnz .LBB39_102
	s_branch .LBB39_112
.LBB39_100:                             ;   in Loop: Header=BB39_15 Depth=1
	s_set_inst_prefetch_distance 0x2
	s_or_b32 exec_lo, exec_lo, s22
	s_delay_alu instid0(SALU_CYCLE_1)
	s_and_b32 s23, s23, exec_lo
.LBB39_101:                             ;   in Loop: Header=BB39_15 Depth=1
	s_or_b32 exec_lo, exec_lo, s15
	s_mov_b32 s21, -1
	s_mov_b32 s15, 0
	s_delay_alu instid0(SALU_CYCLE_1)
	s_mov_b32 s22, s15
	s_branch .LBB39_112
.LBB39_102:                             ;   in Loop: Header=BB39_15 Depth=1
	s_mov_b32 s23, 0
                                        ; implicit-def: $vgpr2
	s_and_saveexec_b32 s15, s9
	s_cbranch_execz .LBB39_111
; %bb.103:                              ;   in Loop: Header=BB39_15 Depth=1
	v_dual_mov_b32 v8, v7 :: v_dual_mov_b32 v31, v0
	s_mov_b32 s21, 0
                                        ; implicit-def: $sgpr22
	s_set_inst_prefetch_distance 0x1
	s_branch .LBB39_105
	.p2align	6
.LBB39_104:                             ;   in Loop: Header=BB39_105 Depth=2
	s_or_b32 exec_lo, exec_lo, s11
	s_waitcnt vmcnt(0) lgkmcnt(0)
	s_barrier
	buffer_gl0_inv
	ds_load_b64 v[1:2], v9 offset:3072
	v_add_nc_u32_e32 v31, s34, v31
	v_add_nc_u32_e32 v8, s40, v8
	s_waitcnt lgkmcnt(0)
	s_barrier
	buffer_gl0_inv
	v_cmp_le_u32_e32 vcc_lo, s64, v31
	v_readfirstlane_b32 s11, v1
	s_delay_alu instid0(VALU_DEP_1) | instskip(SKIP_1) | instid1(SALU_CYCLE_1)
	s_cmp_lg_u32 s11, 0
	s_cselect_b32 s11, -1, 0
	s_or_b32 s23, vcc_lo, s11
	s_delay_alu instid0(SALU_CYCLE_1) | instskip(NEXT) | instid1(SALU_CYCLE_1)
	s_and_b32 s23, exec_lo, s23
	s_or_b32 s21, s23, s21
	s_and_not1_b32 s22, s22, exec_lo
	s_and_b32 s11, s11, exec_lo
	s_delay_alu instid0(SALU_CYCLE_1)
	s_or_b32 s22, s22, s11
	s_and_not1_b32 exec_lo, exec_lo, s21
	s_cbranch_execz .LBB39_110
.LBB39_105:                             ;   Parent Loop BB39_15 Depth=1
                                        ; =>  This Inner Loop Header: Depth=2
	s_delay_alu instid0(VALU_DEP_1)
	v_cmp_gt_u32_e32 vcc_lo, s36, v31
	v_mov_b32_e32 v14, 0
	s_and_saveexec_b32 s23, vcc_lo
	s_cbranch_execz .LBB39_107
; %bb.106:                              ;   in Loop: Header=BB39_105 Depth=2
	v_lshlrev_b64 v[1:2], 2, v[8:9]
	s_delay_alu instid0(VALU_DEP_1) | instskip(NEXT) | instid1(VALU_DEP_1)
	v_add_co_u32 v1, s11, s31, v1
	v_add_co_ci_u32_e64 v2, s11, s33, v2, s11
	global_load_b32 v14, v[1:2], off
.LBB39_107:                             ;   in Loop: Header=BB39_105 Depth=2
	s_or_b32 exec_lo, exec_lo, s23
	s_and_saveexec_b32 s11, vcc_lo
	s_cbranch_execz .LBB39_104
; %bb.108:                              ;   in Loop: Header=BB39_105 Depth=2
	s_waitcnt vmcnt(0)
	v_xor_b32_e32 v1, 0x80000000, v14
	s_delay_alu instid0(VALU_DEP_1) | instskip(NEXT) | instid1(VALU_DEP_1)
	v_and_b32_e32 v1, v1, v4
	v_cmp_eq_u32_e32 vcc_lo, v1, v3
	s_and_b32 exec_lo, exec_lo, vcc_lo
	s_cbranch_execz .LBB39_104
; %bb.109:                              ;   in Loop: Header=BB39_105 Depth=2
	ds_store_b64 v9, v[13:14] offset:3072
	s_branch .LBB39_104
.LBB39_110:                             ;   in Loop: Header=BB39_15 Depth=1
	s_set_inst_prefetch_distance 0x2
	s_or_b32 exec_lo, exec_lo, s21
	s_delay_alu instid0(SALU_CYCLE_1)
	s_and_b32 s23, s22, exec_lo
.LBB39_111:                             ;   in Loop: Header=BB39_15 Depth=1
	s_or_b32 exec_lo, exec_lo, s15
	s_mov_b32 s22, -1
	s_mov_b32 s15, 0
	s_mov_b32 s21, 0
.LBB39_112:                             ;   in Loop: Header=BB39_15 Depth=1
	s_or_not1_b32 s26, s23, exec_lo
.LBB39_113:                             ;   in Loop: Header=BB39_15 Depth=1
	s_or_b32 exec_lo, exec_lo, s20
	s_mov_b32 s23, 0
	s_mov_b32 s20, 0
	s_mov_b32 s11, 0
                                        ; implicit-def: $vgpr1
                                        ; implicit-def: $vgpr31
	s_and_saveexec_b32 s24, s26
	s_cbranch_execz .LBB39_248
; %bb.114:                              ;   in Loop: Header=BB39_15 Depth=1
	v_mov_b32_e32 v31, 1
	v_mov_b32_e32 v1, 1
	s_xor_b32 s25, s25, -1
	s_delay_alu instid0(SALU_CYCLE_1)
	s_and_saveexec_b32 s11, s25
	s_cbranch_execz .LBB39_124
; %bb.115:                              ;   in Loop: Header=BB39_15 Depth=1
	s_mov_b32 s25, exec_lo
                                        ; implicit-def: $sgpr26
                                        ; implicit-def: $sgpr20
	v_cmpx_ge_u32_e64 s12, v30
	s_xor_b32 s25, exec_lo, s25
	s_cbranch_execz .LBB39_121
; %bb.116:                              ;   in Loop: Header=BB39_15 Depth=1
	ds_load_b32 v1, v9 offset:4096
	s_waitcnt lgkmcnt(0)
	v_cmp_ne_u32_e32 vcc_lo, 0, v1
	s_cbranch_vccnz .LBB39_120
; %bb.117:                              ;   in Loop: Header=BB39_15 Depth=1
	s_and_saveexec_b32 s20, s5
	s_cbranch_execz .LBB39_119
; %bb.118:                              ;   in Loop: Header=BB39_15 Depth=1
	v_mov_b32_e32 v1, s12
	ds_store_b32 v9, v1 offset:4100
.LBB39_119:                             ;   in Loop: Header=BB39_15 Depth=1
	s_or_b32 exec_lo, exec_lo, s20
	s_waitcnt lgkmcnt(0)
	s_barrier
	buffer_gl0_inv
.LBB39_120:                             ;   in Loop: Header=BB39_15 Depth=1
	v_and_b32_e32 v3, s14, v3
	v_or_b32_e32 v4, s13, v4
	s_mov_b32 s20, 0
	s_mov_b32 s26, 8
.LBB39_121:                             ;   in Loop: Header=BB39_15 Depth=1
	s_or_saveexec_b32 s25, s25
	v_mov_b32_e32 v1, s26
	v_mov_b32_e32 v31, v30
	s_xor_b32 exec_lo, exec_lo, s25
; %bb.122:                              ;   in Loop: Header=BB39_15 Depth=1
	v_subrev_nc_u32_e32 v31, s12, v30
	v_mov_b32_e32 v1, 0
	s_or_b32 s20, s20, exec_lo
; %bb.123:                              ;   in Loop: Header=BB39_15 Depth=1
	s_or_b32 exec_lo, exec_lo, s25
	s_delay_alu instid0(SALU_CYCLE_1)
	s_and_b32 s20, s20, exec_lo
.LBB39_124:                             ;   in Loop: Header=BB39_15 Depth=1
	s_or_b32 exec_lo, exec_lo, s11
	s_mov_b32 s11, -1
                                        ; implicit-def: $sgpr25
                                        ; implicit-def: $sgpr27
                                        ; implicit-def: $sgpr28
	s_and_saveexec_b32 s26, s20
	s_delay_alu instid0(SALU_CYCLE_1)
	s_xor_b32 s20, exec_lo, s26
	s_cbranch_execz .LBB39_245
; %bb.125:                              ;   in Loop: Header=BB39_15 Depth=1
	v_cmp_eq_u32_e32 vcc_lo, 1, v31
	s_cmp_eq_u32 s16, 1
                                        ; implicit-def: $sgpr25
                                        ; implicit-def: $sgpr27
                                        ; implicit-def: $sgpr26
	s_cselect_b32 s11, -1, 0
	s_delay_alu instid0(SALU_CYCLE_1)
	s_and_b32 s29, s11, vcc_lo
	s_mov_b32 s11, -1
	s_and_saveexec_b32 s28, s29
	s_cbranch_execz .LBB39_151
; %bb.126:                              ;   in Loop: Header=BB39_15 Depth=1
	ds_load_b32 v1, v9 offset:4096
	s_waitcnt lgkmcnt(0)
	s_barrier
	buffer_gl0_inv
	v_readfirstlane_b32 s11, v1
	s_and_saveexec_b32 s25, s6
	s_cbranch_execz .LBB39_128
; %bb.127:                              ;   in Loop: Header=BB39_15 Depth=1
	ds_store_b32 v20, v9
.LBB39_128:                             ;   in Loop: Header=BB39_15 Depth=1
	s_or_b32 exec_lo, exec_lo, s25
	s_lshl_b32 s25, 1, s17
	v_or_b32_e32 v4, s13, v4
	v_and_or_b32 v3, v3, s14, s25
	s_cmp_eq_u32 s11, 0
	s_waitcnt lgkmcnt(0)
	s_barrier
	buffer_gl0_inv
	s_cbranch_scc1 .LBB39_137
; %bb.129:                              ;   in Loop: Header=BB39_15 Depth=1
	s_add_i32 s25, s11, s56
	s_mov_b32 s79, 0
	s_mul_hi_u32 s26, s25, s63
                                        ; implicit-def: $vgpr2
	s_delay_alu instid0(SALU_CYCLE_1) | instskip(NEXT) | instid1(SALU_CYCLE_1)
	s_mul_i32 s26, s26, s34
	s_sub_i32 s26, s25, s26
	s_delay_alu instid0(SALU_CYCLE_1) | instskip(SKIP_2) | instid1(SALU_CYCLE_1)
	s_sub_i32 s27, s26, s34
	s_cmp_ge_u32 s26, s34
	s_cselect_b32 s26, s27, s26
	s_sub_i32 s27, s26, s34
	s_cmp_ge_u32 s26, s34
	s_cselect_b32 s26, s27, s26
	s_delay_alu instid0(SALU_CYCLE_1)
	s_sub_i32 s26, s25, s26
	s_mov_b32 s25, exec_lo
	v_cmpx_gt_u32_e64 s26, v0
	s_cbranch_execz .LBB39_139
; %bb.130:                              ;   in Loop: Header=BB39_15 Depth=1
	v_mov_b32_e32 v8, v18
	v_mov_b32_e32 v32, v0
	s_mov_b32 s27, 0
                                        ; implicit-def: $sgpr79
	s_set_inst_prefetch_distance 0x1
	s_branch .LBB39_132
	.p2align	6
.LBB39_131:                             ;   in Loop: Header=BB39_132 Depth=2
	s_or_b32 exec_lo, exec_lo, s80
	s_waitcnt lgkmcnt(0)
	s_barrier
	buffer_gl0_inv
	ds_load_b64 v[1:2], v9 offset:3072
	v_add_nc_u32_e32 v32, s34, v32
	v_add_nc_u32_e32 v8, s53, v8
	s_waitcnt lgkmcnt(0)
	s_barrier
	buffer_gl0_inv
	v_cmp_le_u32_e32 vcc_lo, s26, v32
	v_readfirstlane_b32 s80, v1
	s_delay_alu instid0(VALU_DEP_1) | instskip(SKIP_1) | instid1(SALU_CYCLE_1)
	s_cmp_lg_u32 s80, 0
	s_cselect_b32 s80, -1, 0
	s_or_b32 s81, vcc_lo, s80
	s_delay_alu instid0(SALU_CYCLE_1) | instskip(NEXT) | instid1(SALU_CYCLE_1)
	s_and_b32 s81, exec_lo, s81
	s_or_b32 s27, s81, s27
	s_and_not1_b32 s79, s79, exec_lo
	s_and_b32 s80, s80, exec_lo
	s_delay_alu instid0(SALU_CYCLE_1)
	s_or_b32 s79, s79, s80
	s_and_not1_b32 exec_lo, exec_lo, s27
	s_cbranch_execz .LBB39_138
.LBB39_132:                             ;   Parent Loop BB39_15 Depth=1
                                        ; =>  This Inner Loop Header: Depth=2
	s_delay_alu instid0(VALU_DEP_1)
	v_cmp_gt_u32_e32 vcc_lo, s11, v32
	v_mov_b32_e32 v14, 0
	s_and_saveexec_b32 s80, vcc_lo
	s_cbranch_execz .LBB39_134
; %bb.133:                              ;   in Loop: Header=BB39_132 Depth=2
	ds_load_b32 v14, v8
.LBB39_134:                             ;   in Loop: Header=BB39_132 Depth=2
	s_or_b32 exec_lo, exec_lo, s80
	s_and_saveexec_b32 s80, vcc_lo
	s_cbranch_execz .LBB39_131
; %bb.135:                              ;   in Loop: Header=BB39_132 Depth=2
	s_waitcnt lgkmcnt(0)
	v_xor_b32_e32 v1, 0x80000000, v14
	s_delay_alu instid0(VALU_DEP_1) | instskip(NEXT) | instid1(VALU_DEP_1)
	v_and_b32_e32 v1, v1, v4
	v_cmp_eq_u32_e32 vcc_lo, v1, v3
	s_and_b32 exec_lo, exec_lo, vcc_lo
	s_cbranch_execz .LBB39_131
; %bb.136:                              ;   in Loop: Header=BB39_132 Depth=2
	ds_store_b64 v9, v[13:14] offset:3072
	s_branch .LBB39_131
.LBB39_137:                             ;   in Loop: Header=BB39_15 Depth=1
	s_mov_b32 s25, -1
	s_mov_b32 s79, 0
                                        ; implicit-def: $sgpr26
                                        ; implicit-def: $vgpr2
	s_mov_b32 s27, s25
	s_cbranch_execnz .LBB39_140
	s_branch .LBB39_150
.LBB39_138:                             ;   in Loop: Header=BB39_15 Depth=1
	s_set_inst_prefetch_distance 0x2
	s_or_b32 exec_lo, exec_lo, s27
	s_delay_alu instid0(SALU_CYCLE_1)
	s_and_b32 s79, s79, exec_lo
.LBB39_139:                             ;   in Loop: Header=BB39_15 Depth=1
	s_or_b32 exec_lo, exec_lo, s25
	s_mov_b32 s26, -1
	s_mov_b32 s25, 0
	s_delay_alu instid0(SALU_CYCLE_1)
	s_mov_b32 s27, s25
	s_branch .LBB39_150
.LBB39_140:                             ;   in Loop: Header=BB39_15 Depth=1
	s_mov_b32 s79, 0
                                        ; implicit-def: $vgpr2
	s_and_saveexec_b32 s25, s9
	s_cbranch_execz .LBB39_149
; %bb.141:                              ;   in Loop: Header=BB39_15 Depth=1
	v_mov_b32_e32 v8, v7
	v_mov_b32_e32 v32, v0
	s_mov_b32 s26, 0
                                        ; implicit-def: $sgpr27
	s_set_inst_prefetch_distance 0x1
	s_branch .LBB39_143
	.p2align	6
.LBB39_142:                             ;   in Loop: Header=BB39_143 Depth=2
	s_or_b32 exec_lo, exec_lo, s11
	s_waitcnt vmcnt(0) lgkmcnt(0)
	s_barrier
	buffer_gl0_inv
	ds_load_b64 v[1:2], v9 offset:3072
	v_add_nc_u32_e32 v32, s34, v32
	v_add_nc_u32_e32 v8, s40, v8
	s_waitcnt lgkmcnt(0)
	s_barrier
	buffer_gl0_inv
	v_cmp_le_u32_e32 vcc_lo, s64, v32
	v_readfirstlane_b32 s11, v1
	s_delay_alu instid0(VALU_DEP_1) | instskip(SKIP_1) | instid1(SALU_CYCLE_1)
	s_cmp_lg_u32 s11, 0
	s_cselect_b32 s11, -1, 0
	s_or_b32 s79, vcc_lo, s11
	s_delay_alu instid0(SALU_CYCLE_1) | instskip(NEXT) | instid1(SALU_CYCLE_1)
	s_and_b32 s79, exec_lo, s79
	s_or_b32 s26, s79, s26
	s_and_not1_b32 s27, s27, exec_lo
	s_and_b32 s11, s11, exec_lo
	s_delay_alu instid0(SALU_CYCLE_1)
	s_or_b32 s27, s27, s11
	s_and_not1_b32 exec_lo, exec_lo, s26
	s_cbranch_execz .LBB39_148
.LBB39_143:                             ;   Parent Loop BB39_15 Depth=1
                                        ; =>  This Inner Loop Header: Depth=2
	s_delay_alu instid0(VALU_DEP_1)
	v_cmp_gt_u32_e32 vcc_lo, s36, v32
	v_mov_b32_e32 v14, 0
	s_and_saveexec_b32 s79, vcc_lo
	s_cbranch_execz .LBB39_145
; %bb.144:                              ;   in Loop: Header=BB39_143 Depth=2
	v_lshlrev_b64 v[1:2], 2, v[8:9]
	s_delay_alu instid0(VALU_DEP_1) | instskip(NEXT) | instid1(VALU_DEP_1)
	v_add_co_u32 v1, s11, s31, v1
	v_add_co_ci_u32_e64 v2, s11, s33, v2, s11
	global_load_b32 v14, v[1:2], off
.LBB39_145:                             ;   in Loop: Header=BB39_143 Depth=2
	s_or_b32 exec_lo, exec_lo, s79
	s_and_saveexec_b32 s11, vcc_lo
	s_cbranch_execz .LBB39_142
; %bb.146:                              ;   in Loop: Header=BB39_143 Depth=2
	s_waitcnt vmcnt(0)
	v_xor_b32_e32 v1, 0x80000000, v14
	s_delay_alu instid0(VALU_DEP_1) | instskip(NEXT) | instid1(VALU_DEP_1)
	v_and_b32_e32 v1, v1, v4
	v_cmp_eq_u32_e32 vcc_lo, v1, v3
	s_and_b32 exec_lo, exec_lo, vcc_lo
	s_cbranch_execz .LBB39_142
; %bb.147:                              ;   in Loop: Header=BB39_143 Depth=2
	ds_store_b64 v9, v[13:14] offset:3072
	s_branch .LBB39_142
.LBB39_148:                             ;   in Loop: Header=BB39_15 Depth=1
	s_set_inst_prefetch_distance 0x2
	s_or_b32 exec_lo, exec_lo, s26
	s_delay_alu instid0(SALU_CYCLE_1)
	s_and_b32 s79, s27, exec_lo
.LBB39_149:                             ;   in Loop: Header=BB39_15 Depth=1
	s_or_b32 exec_lo, exec_lo, s25
	s_mov_b32 s27, -1
	s_mov_b32 s25, 0
	s_mov_b32 s26, 0
.LBB39_150:                             ;   in Loop: Header=BB39_15 Depth=1
	s_or_not1_b32 s11, s79, exec_lo
.LBB39_151:                             ;   in Loop: Header=BB39_15 Depth=1
	s_or_b32 exec_lo, exec_lo, s28
	s_mov_b32 s79, 0
                                        ; implicit-def: $vgpr1
	s_and_saveexec_b32 s28, s11
	s_cbranch_execz .LBB39_244
; %bb.152:                              ;   in Loop: Header=BB39_15 Depth=1
	v_dual_mov_b32 v32, 1 :: v_dual_mov_b32 v1, 1
	s_xor_b32 s29, s29, -1
	s_mov_b32 s80, 0
	s_and_saveexec_b32 s11, s29
	s_cbranch_execz .LBB39_162
; %bb.153:                              ;   in Loop: Header=BB39_15 Depth=1
	s_mov_b32 s79, exec_lo
                                        ; implicit-def: $sgpr80
                                        ; implicit-def: $sgpr29
	v_cmpx_ge_u32_e64 s16, v31
	s_xor_b32 s79, exec_lo, s79
	s_cbranch_execz .LBB39_159
; %bb.154:                              ;   in Loop: Header=BB39_15 Depth=1
	ds_load_b32 v1, v9 offset:4096
	s_waitcnt lgkmcnt(0)
	v_cmp_ne_u32_e32 vcc_lo, 0, v1
	s_cbranch_vccnz .LBB39_158
; %bb.155:                              ;   in Loop: Header=BB39_15 Depth=1
	s_and_saveexec_b32 s29, s5
	s_cbranch_execz .LBB39_157
; %bb.156:                              ;   in Loop: Header=BB39_15 Depth=1
	v_mov_b32_e32 v1, s16
	ds_store_b32 v9, v1 offset:4100
.LBB39_157:                             ;   in Loop: Header=BB39_15 Depth=1
	s_or_b32 exec_lo, exec_lo, s29
	s_waitcnt lgkmcnt(0)
	s_barrier
	buffer_gl0_inv
.LBB39_158:                             ;   in Loop: Header=BB39_15 Depth=1
	s_lshl_b32 s29, 1, s17
	v_or_b32_e32 v4, s13, v4
	v_and_or_b32 v3, v3, s14, s29
	s_mov_b32 s29, 0
	s_mov_b32 s80, 8
.LBB39_159:                             ;   in Loop: Header=BB39_15 Depth=1
	s_or_saveexec_b32 s79, s79
	v_mov_b32_e32 v1, s80
	s_xor_b32 exec_lo, exec_lo, s79
; %bb.160:                              ;   in Loop: Header=BB39_15 Depth=1
	v_subrev_nc_u32_e32 v31, s16, v31
	v_mov_b32_e32 v1, 0
	s_or_b32 s29, s29, exec_lo
; %bb.161:                              ;   in Loop: Header=BB39_15 Depth=1
	s_or_b32 exec_lo, exec_lo, s79
	s_delay_alu instid0(VALU_DEP_2)
	v_mov_b32_e32 v32, v31
	s_and_b32 s80, s29, exec_lo
.LBB39_162:                             ;   in Loop: Header=BB39_15 Depth=1
	s_or_b32 exec_lo, exec_lo, s11
	s_mov_b32 s11, -1
                                        ; implicit-def: $sgpr79
                                        ; implicit-def: $sgpr81
                                        ; implicit-def: $sgpr82
	s_and_saveexec_b32 s29, s80
	s_cbranch_execz .LBB39_243
; %bb.163:                              ;   in Loop: Header=BB39_15 Depth=1
	v_cmp_eq_u32_e32 vcc_lo, 1, v32
	s_cmp_eq_u32 s18, 1
                                        ; implicit-def: $sgpr79
                                        ; implicit-def: $sgpr81
                                        ; implicit-def: $sgpr80
	s_cselect_b32 s11, -1, 0
	s_delay_alu instid0(SALU_CYCLE_1)
	s_and_b32 s83, s11, vcc_lo
	s_mov_b32 s11, -1
	s_and_saveexec_b32 s82, s83
	s_cbranch_execz .LBB39_189
; %bb.164:                              ;   in Loop: Header=BB39_15 Depth=1
	ds_load_b32 v1, v9 offset:4096
	s_waitcnt lgkmcnt(0)
	s_barrier
	buffer_gl0_inv
	v_readfirstlane_b32 s11, v1
	s_and_saveexec_b32 s79, s6
	s_cbranch_execz .LBB39_166
; %bb.165:                              ;   in Loop: Header=BB39_15 Depth=1
	ds_store_b32 v20, v9
.LBB39_166:                             ;   in Loop: Header=BB39_15 Depth=1
	s_or_b32 exec_lo, exec_lo, s79
	s_lshl_b32 s79, 2, s17
	v_or_b32_e32 v4, s13, v4
	v_and_or_b32 v3, v3, s14, s79
	s_cmp_eq_u32 s11, 0
	s_waitcnt lgkmcnt(0)
	s_barrier
	buffer_gl0_inv
	s_cbranch_scc1 .LBB39_175
; %bb.167:                              ;   in Loop: Header=BB39_15 Depth=1
	s_add_i32 s79, s11, s56
	s_mov_b32 s84, 0
	s_mul_hi_u32 s80, s79, s63
                                        ; implicit-def: $vgpr2
	s_delay_alu instid0(SALU_CYCLE_1) | instskip(NEXT) | instid1(SALU_CYCLE_1)
	s_mul_i32 s80, s80, s34
	s_sub_i32 s80, s79, s80
	s_delay_alu instid0(SALU_CYCLE_1) | instskip(SKIP_2) | instid1(SALU_CYCLE_1)
	s_sub_i32 s81, s80, s34
	s_cmp_ge_u32 s80, s34
	s_cselect_b32 s80, s81, s80
	s_sub_i32 s81, s80, s34
	s_cmp_ge_u32 s80, s34
	s_cselect_b32 s80, s81, s80
	s_delay_alu instid0(SALU_CYCLE_1)
	s_sub_i32 s80, s79, s80
	s_mov_b32 s79, exec_lo
	v_cmpx_gt_u32_e64 s80, v0
	s_cbranch_execz .LBB39_177
; %bb.168:                              ;   in Loop: Header=BB39_15 Depth=1
	v_dual_mov_b32 v8, v18 :: v_dual_mov_b32 v31, v0
	s_mov_b32 s81, 0
                                        ; implicit-def: $sgpr84
	s_set_inst_prefetch_distance 0x1
	s_branch .LBB39_170
	.p2align	6
.LBB39_169:                             ;   in Loop: Header=BB39_170 Depth=2
	s_or_b32 exec_lo, exec_lo, s85
	s_waitcnt lgkmcnt(0)
	s_barrier
	buffer_gl0_inv
	ds_load_b64 v[1:2], v9 offset:3072
	v_add_nc_u32_e32 v31, s34, v31
	v_add_nc_u32_e32 v8, s53, v8
	s_waitcnt lgkmcnt(0)
	s_barrier
	buffer_gl0_inv
	v_cmp_le_u32_e32 vcc_lo, s80, v31
	v_readfirstlane_b32 s85, v1
	s_delay_alu instid0(VALU_DEP_1) | instskip(SKIP_1) | instid1(SALU_CYCLE_1)
	s_cmp_lg_u32 s85, 0
	s_cselect_b32 s85, -1, 0
	s_or_b32 s86, vcc_lo, s85
	s_delay_alu instid0(SALU_CYCLE_1) | instskip(NEXT) | instid1(SALU_CYCLE_1)
	s_and_b32 s86, exec_lo, s86
	s_or_b32 s81, s86, s81
	s_and_not1_b32 s84, s84, exec_lo
	s_and_b32 s85, s85, exec_lo
	s_delay_alu instid0(SALU_CYCLE_1)
	s_or_b32 s84, s84, s85
	s_and_not1_b32 exec_lo, exec_lo, s81
	s_cbranch_execz .LBB39_176
.LBB39_170:                             ;   Parent Loop BB39_15 Depth=1
                                        ; =>  This Inner Loop Header: Depth=2
	s_delay_alu instid0(VALU_DEP_1)
	v_cmp_gt_u32_e32 vcc_lo, s11, v31
	v_mov_b32_e32 v14, 0
	s_and_saveexec_b32 s85, vcc_lo
	s_cbranch_execz .LBB39_172
; %bb.171:                              ;   in Loop: Header=BB39_170 Depth=2
	ds_load_b32 v14, v8
.LBB39_172:                             ;   in Loop: Header=BB39_170 Depth=2
	s_or_b32 exec_lo, exec_lo, s85
	s_and_saveexec_b32 s85, vcc_lo
	s_cbranch_execz .LBB39_169
; %bb.173:                              ;   in Loop: Header=BB39_170 Depth=2
	s_waitcnt lgkmcnt(0)
	v_xor_b32_e32 v1, 0x80000000, v14
	s_delay_alu instid0(VALU_DEP_1) | instskip(NEXT) | instid1(VALU_DEP_1)
	v_and_b32_e32 v1, v1, v4
	v_cmp_eq_u32_e32 vcc_lo, v1, v3
	s_and_b32 exec_lo, exec_lo, vcc_lo
	s_cbranch_execz .LBB39_169
; %bb.174:                              ;   in Loop: Header=BB39_170 Depth=2
	ds_store_b64 v9, v[13:14] offset:3072
	s_branch .LBB39_169
.LBB39_175:                             ;   in Loop: Header=BB39_15 Depth=1
	s_mov_b32 s79, -1
	s_mov_b32 s84, 0
                                        ; implicit-def: $sgpr80
                                        ; implicit-def: $vgpr2
	s_mov_b32 s81, s79
	s_cbranch_execnz .LBB39_178
	s_branch .LBB39_188
.LBB39_176:                             ;   in Loop: Header=BB39_15 Depth=1
	s_set_inst_prefetch_distance 0x2
	s_or_b32 exec_lo, exec_lo, s81
	s_delay_alu instid0(SALU_CYCLE_1)
	s_and_b32 s84, s84, exec_lo
.LBB39_177:                             ;   in Loop: Header=BB39_15 Depth=1
	s_or_b32 exec_lo, exec_lo, s79
	s_mov_b32 s80, -1
	s_mov_b32 s79, 0
	s_delay_alu instid0(SALU_CYCLE_1)
	s_mov_b32 s81, s79
	s_branch .LBB39_188
.LBB39_178:                             ;   in Loop: Header=BB39_15 Depth=1
	s_mov_b32 s84, 0
                                        ; implicit-def: $vgpr2
	s_and_saveexec_b32 s79, s9
	s_cbranch_execz .LBB39_187
; %bb.179:                              ;   in Loop: Header=BB39_15 Depth=1
	v_dual_mov_b32 v8, v7 :: v_dual_mov_b32 v31, v0
	s_mov_b32 s80, 0
                                        ; implicit-def: $sgpr81
	s_set_inst_prefetch_distance 0x1
	s_branch .LBB39_181
	.p2align	6
.LBB39_180:                             ;   in Loop: Header=BB39_181 Depth=2
	s_or_b32 exec_lo, exec_lo, s11
	s_waitcnt vmcnt(0) lgkmcnt(0)
	s_barrier
	buffer_gl0_inv
	ds_load_b64 v[1:2], v9 offset:3072
	v_add_nc_u32_e32 v31, s34, v31
	v_add_nc_u32_e32 v8, s40, v8
	s_waitcnt lgkmcnt(0)
	s_barrier
	buffer_gl0_inv
	v_cmp_le_u32_e32 vcc_lo, s64, v31
	v_readfirstlane_b32 s11, v1
	s_delay_alu instid0(VALU_DEP_1) | instskip(SKIP_1) | instid1(SALU_CYCLE_1)
	s_cmp_lg_u32 s11, 0
	s_cselect_b32 s11, -1, 0
	s_or_b32 s84, vcc_lo, s11
	s_delay_alu instid0(SALU_CYCLE_1) | instskip(NEXT) | instid1(SALU_CYCLE_1)
	s_and_b32 s84, exec_lo, s84
	s_or_b32 s80, s84, s80
	s_and_not1_b32 s81, s81, exec_lo
	s_and_b32 s11, s11, exec_lo
	s_delay_alu instid0(SALU_CYCLE_1)
	s_or_b32 s81, s81, s11
	s_and_not1_b32 exec_lo, exec_lo, s80
	s_cbranch_execz .LBB39_186
.LBB39_181:                             ;   Parent Loop BB39_15 Depth=1
                                        ; =>  This Inner Loop Header: Depth=2
	s_delay_alu instid0(VALU_DEP_1)
	v_cmp_gt_u32_e32 vcc_lo, s36, v31
	v_mov_b32_e32 v14, 0
	s_and_saveexec_b32 s84, vcc_lo
	s_cbranch_execz .LBB39_183
; %bb.182:                              ;   in Loop: Header=BB39_181 Depth=2
	v_lshlrev_b64 v[1:2], 2, v[8:9]
	s_delay_alu instid0(VALU_DEP_1) | instskip(NEXT) | instid1(VALU_DEP_1)
	v_add_co_u32 v1, s11, s31, v1
	v_add_co_ci_u32_e64 v2, s11, s33, v2, s11
	global_load_b32 v14, v[1:2], off
.LBB39_183:                             ;   in Loop: Header=BB39_181 Depth=2
	s_or_b32 exec_lo, exec_lo, s84
	s_and_saveexec_b32 s11, vcc_lo
	s_cbranch_execz .LBB39_180
; %bb.184:                              ;   in Loop: Header=BB39_181 Depth=2
	s_waitcnt vmcnt(0)
	v_xor_b32_e32 v1, 0x80000000, v14
	s_delay_alu instid0(VALU_DEP_1) | instskip(NEXT) | instid1(VALU_DEP_1)
	v_and_b32_e32 v1, v1, v4
	v_cmp_eq_u32_e32 vcc_lo, v1, v3
	s_and_b32 exec_lo, exec_lo, vcc_lo
	s_cbranch_execz .LBB39_180
; %bb.185:                              ;   in Loop: Header=BB39_181 Depth=2
	ds_store_b64 v9, v[13:14] offset:3072
	s_branch .LBB39_180
.LBB39_186:                             ;   in Loop: Header=BB39_15 Depth=1
	s_set_inst_prefetch_distance 0x2
	s_or_b32 exec_lo, exec_lo, s80
	s_delay_alu instid0(SALU_CYCLE_1)
	s_and_b32 s84, s81, exec_lo
.LBB39_187:                             ;   in Loop: Header=BB39_15 Depth=1
	s_or_b32 exec_lo, exec_lo, s79
	s_mov_b32 s81, -1
	s_mov_b32 s79, 0
	s_mov_b32 s80, 0
.LBB39_188:                             ;   in Loop: Header=BB39_15 Depth=1
	s_or_not1_b32 s11, s84, exec_lo
.LBB39_189:                             ;   in Loop: Header=BB39_15 Depth=1
	s_or_b32 exec_lo, exec_lo, s82
	s_mov_b32 s84, 0
                                        ; implicit-def: $vgpr1
	s_and_saveexec_b32 s82, s11
	s_cbranch_execz .LBB39_242
; %bb.190:                              ;   in Loop: Header=BB39_15 Depth=1
	v_mov_b32_e32 v31, 1
	v_mov_b32_e32 v1, 1
	s_xor_b32 s83, s83, -1
	s_mov_b32 s85, 0
	s_and_saveexec_b32 s11, s83
	s_cbranch_execz .LBB39_200
; %bb.191:                              ;   in Loop: Header=BB39_15 Depth=1
	s_mov_b32 s84, exec_lo
                                        ; implicit-def: $sgpr85
                                        ; implicit-def: $sgpr83
	v_cmpx_ge_u32_e64 s18, v32
	s_xor_b32 s84, exec_lo, s84
	s_cbranch_execz .LBB39_197
; %bb.192:                              ;   in Loop: Header=BB39_15 Depth=1
	ds_load_b32 v1, v9 offset:4096
	s_waitcnt lgkmcnt(0)
	v_cmp_ne_u32_e32 vcc_lo, 0, v1
	s_cbranch_vccnz .LBB39_196
; %bb.193:                              ;   in Loop: Header=BB39_15 Depth=1
	s_and_saveexec_b32 s83, s5
	s_cbranch_execz .LBB39_195
; %bb.194:                              ;   in Loop: Header=BB39_15 Depth=1
	v_mov_b32_e32 v1, s18
	ds_store_b32 v9, v1 offset:4100
.LBB39_195:                             ;   in Loop: Header=BB39_15 Depth=1
	s_or_b32 exec_lo, exec_lo, s83
	s_waitcnt lgkmcnt(0)
	s_barrier
	buffer_gl0_inv
.LBB39_196:                             ;   in Loop: Header=BB39_15 Depth=1
	s_lshl_b32 s83, 2, s17
	v_or_b32_e32 v4, s13, v4
	v_and_or_b32 v3, v3, s14, s83
	s_mov_b32 s83, 0
	s_mov_b32 s85, 8
.LBB39_197:                             ;   in Loop: Header=BB39_15 Depth=1
	s_or_saveexec_b32 s84, s84
	v_mov_b32_e32 v1, s85
	s_xor_b32 exec_lo, exec_lo, s84
; %bb.198:                              ;   in Loop: Header=BB39_15 Depth=1
	v_subrev_nc_u32_e32 v32, s18, v32
	v_mov_b32_e32 v1, 0
	s_or_b32 s83, s83, exec_lo
; %bb.199:                              ;   in Loop: Header=BB39_15 Depth=1
	s_or_b32 exec_lo, exec_lo, s84
	s_delay_alu instid0(VALU_DEP_2)
	v_mov_b32_e32 v31, v32
	s_and_b32 s85, s83, exec_lo
.LBB39_200:                             ;   in Loop: Header=BB39_15 Depth=1
	s_or_b32 exec_lo, exec_lo, s11
	s_mov_b32 s84, -1
                                        ; implicit-def: $sgpr11
                                        ; implicit-def: $sgpr87
                                        ; implicit-def: $sgpr86
	s_and_saveexec_b32 s83, s85
	s_cbranch_execz .LBB39_241
; %bb.201:                              ;   in Loop: Header=BB39_15 Depth=1
	v_cmp_eq_u32_e32 vcc_lo, 1, v31
	s_cmp_eq_u32 s19, 1
	s_mov_b32 s88, -1
	s_cselect_b32 s11, -1, 0
                                        ; implicit-def: $sgpr87
                                        ; implicit-def: $sgpr86
	s_delay_alu instid0(SALU_CYCLE_1) | instskip(NEXT) | instid1(SALU_CYCLE_1)
	s_and_b32 s84, s11, vcc_lo
                                        ; implicit-def: $sgpr11
	s_and_saveexec_b32 s85, s84
	s_cbranch_execz .LBB39_228
; %bb.202:                              ;   in Loop: Header=BB39_15 Depth=1
	ds_load_b32 v1, v9 offset:4096
	s_waitcnt lgkmcnt(0)
	s_barrier
	buffer_gl0_inv
	v_readfirstlane_b32 s11, v1
	s_and_saveexec_b32 s86, s6
	s_cbranch_execz .LBB39_204
; %bb.203:                              ;   in Loop: Header=BB39_15 Depth=1
	ds_store_b32 v20, v9
.LBB39_204:                             ;   in Loop: Header=BB39_15 Depth=1
	s_or_b32 exec_lo, exec_lo, s86
	v_or_b32_e32 v3, s13, v3
	v_or_b32_e32 v4, s13, v4
	s_cmp_eq_u32 s11, 0
	s_waitcnt lgkmcnt(0)
	s_barrier
	buffer_gl0_inv
	s_cbranch_scc1 .LBB39_213
; %bb.205:                              ;   in Loop: Header=BB39_15 Depth=1
	s_add_i32 s86, s11, s56
                                        ; implicit-def: $vgpr2
	s_delay_alu instid0(SALU_CYCLE_1) | instskip(NEXT) | instid1(SALU_CYCLE_1)
	s_mul_hi_u32 s87, s86, s63
	s_mul_i32 s87, s87, s34
	s_delay_alu instid0(SALU_CYCLE_1) | instskip(NEXT) | instid1(SALU_CYCLE_1)
	s_sub_i32 s87, s86, s87
	s_sub_i32 s88, s87, s34
	s_cmp_ge_u32 s87, s34
	s_cselect_b32 s87, s88, s87
	s_delay_alu instid0(SALU_CYCLE_1)
	s_sub_i32 s88, s87, s34
	s_cmp_ge_u32 s87, s34
	s_cselect_b32 s87, s88, s87
	s_mov_b32 s88, 0
	s_sub_i32 s87, s86, s87
	s_mov_b32 s86, exec_lo
	v_cmpx_gt_u32_e64 s87, v0
	s_cbranch_execz .LBB39_215
; %bb.206:                              ;   in Loop: Header=BB39_15 Depth=1
	v_mov_b32_e32 v8, v18
	v_mov_b32_e32 v32, v0
                                        ; implicit-def: $sgpr89
	s_set_inst_prefetch_distance 0x1
	s_branch .LBB39_208
	.p2align	6
.LBB39_207:                             ;   in Loop: Header=BB39_208 Depth=2
	s_or_b32 exec_lo, exec_lo, s90
	s_waitcnt lgkmcnt(0)
	s_barrier
	buffer_gl0_inv
	ds_load_b64 v[1:2], v9 offset:3072
	v_add_nc_u32_e32 v32, s34, v32
	v_add_nc_u32_e32 v8, s53, v8
	s_waitcnt lgkmcnt(0)
	s_barrier
	buffer_gl0_inv
	v_cmp_le_u32_e32 vcc_lo, s87, v32
	v_readfirstlane_b32 s90, v1
	s_delay_alu instid0(VALU_DEP_1) | instskip(SKIP_1) | instid1(SALU_CYCLE_1)
	s_cmp_lg_u32 s90, 0
	s_cselect_b32 s90, -1, 0
	s_or_b32 s91, vcc_lo, s90
	s_delay_alu instid0(SALU_CYCLE_1) | instskip(NEXT) | instid1(SALU_CYCLE_1)
	s_and_b32 s91, exec_lo, s91
	s_or_b32 s88, s91, s88
	s_and_not1_b32 s89, s89, exec_lo
	s_and_b32 s90, s90, exec_lo
	s_delay_alu instid0(SALU_CYCLE_1)
	s_or_b32 s89, s89, s90
	s_and_not1_b32 exec_lo, exec_lo, s88
	s_cbranch_execz .LBB39_214
.LBB39_208:                             ;   Parent Loop BB39_15 Depth=1
                                        ; =>  This Inner Loop Header: Depth=2
	s_delay_alu instid0(VALU_DEP_1)
	v_cmp_gt_u32_e32 vcc_lo, s11, v32
	v_mov_b32_e32 v14, 0
	s_and_saveexec_b32 s90, vcc_lo
	s_cbranch_execz .LBB39_210
; %bb.209:                              ;   in Loop: Header=BB39_208 Depth=2
	ds_load_b32 v14, v8
.LBB39_210:                             ;   in Loop: Header=BB39_208 Depth=2
	s_or_b32 exec_lo, exec_lo, s90
	s_and_saveexec_b32 s90, vcc_lo
	s_cbranch_execz .LBB39_207
; %bb.211:                              ;   in Loop: Header=BB39_208 Depth=2
	s_waitcnt lgkmcnt(0)
	v_xor_b32_e32 v1, 0x80000000, v14
	s_delay_alu instid0(VALU_DEP_1) | instskip(NEXT) | instid1(VALU_DEP_1)
	v_and_b32_e32 v1, v1, v4
	v_cmp_eq_u32_e32 vcc_lo, v1, v3
	s_and_b32 exec_lo, exec_lo, vcc_lo
	s_cbranch_execz .LBB39_207
; %bb.212:                              ;   in Loop: Header=BB39_208 Depth=2
	ds_store_b64 v9, v[13:14] offset:3072
	s_branch .LBB39_207
.LBB39_213:                             ;   in Loop: Header=BB39_15 Depth=1
	s_mov_b32 s11, -1
	s_mov_b32 s88, 0
                                        ; implicit-def: $sgpr86
                                        ; implicit-def: $vgpr2
	s_branch .LBB39_216
.LBB39_214:                             ;   in Loop: Header=BB39_15 Depth=1
	s_set_inst_prefetch_distance 0x2
	s_or_b32 exec_lo, exec_lo, s88
	s_delay_alu instid0(SALU_CYCLE_1)
	s_and_b32 s88, s89, exec_lo
.LBB39_215:                             ;   in Loop: Header=BB39_15 Depth=1
	s_or_b32 exec_lo, exec_lo, s86
	s_mov_b32 s86, -1
	s_mov_b32 s11, 0
.LBB39_216:                             ;   in Loop: Header=BB39_15 Depth=1
	s_delay_alu instid0(SALU_CYCLE_1)
	s_and_b32 vcc_lo, exec_lo, s11
	s_mov_b32 s87, s11
	s_cbranch_vccz .LBB39_227
; %bb.217:                              ;   in Loop: Header=BB39_15 Depth=1
	s_mov_b32 s88, 0
                                        ; implicit-def: $vgpr2
	s_and_saveexec_b32 s86, s9
	s_cbranch_execz .LBB39_226
; %bb.218:                              ;   in Loop: Header=BB39_15 Depth=1
	v_mov_b32_e32 v8, v7
	v_mov_b32_e32 v32, v0
	s_mov_b32 s87, 0
                                        ; implicit-def: $sgpr88
	s_set_inst_prefetch_distance 0x1
	s_branch .LBB39_220
	.p2align	6
.LBB39_219:                             ;   in Loop: Header=BB39_220 Depth=2
	s_or_b32 exec_lo, exec_lo, s11
	s_waitcnt vmcnt(0) lgkmcnt(0)
	s_barrier
	buffer_gl0_inv
	ds_load_b64 v[1:2], v9 offset:3072
	v_add_nc_u32_e32 v32, s34, v32
	v_add_nc_u32_e32 v8, s40, v8
	s_waitcnt lgkmcnt(0)
	s_barrier
	buffer_gl0_inv
	v_cmp_le_u32_e32 vcc_lo, s64, v32
	v_readfirstlane_b32 s11, v1
	s_delay_alu instid0(VALU_DEP_1) | instskip(SKIP_1) | instid1(SALU_CYCLE_1)
	s_cmp_lg_u32 s11, 0
	s_cselect_b32 s11, -1, 0
	s_or_b32 s89, vcc_lo, s11
	s_delay_alu instid0(SALU_CYCLE_1) | instskip(NEXT) | instid1(SALU_CYCLE_1)
	s_and_b32 s89, exec_lo, s89
	s_or_b32 s87, s89, s87
	s_and_not1_b32 s88, s88, exec_lo
	s_and_b32 s11, s11, exec_lo
	s_delay_alu instid0(SALU_CYCLE_1)
	s_or_b32 s88, s88, s11
	s_and_not1_b32 exec_lo, exec_lo, s87
	s_cbranch_execz .LBB39_225
.LBB39_220:                             ;   Parent Loop BB39_15 Depth=1
                                        ; =>  This Inner Loop Header: Depth=2
	s_delay_alu instid0(VALU_DEP_1)
	v_cmp_gt_u32_e32 vcc_lo, s36, v32
	v_mov_b32_e32 v14, 0
	s_and_saveexec_b32 s89, vcc_lo
	s_cbranch_execz .LBB39_222
; %bb.221:                              ;   in Loop: Header=BB39_220 Depth=2
	v_lshlrev_b64 v[1:2], 2, v[8:9]
	s_delay_alu instid0(VALU_DEP_1) | instskip(NEXT) | instid1(VALU_DEP_1)
	v_add_co_u32 v1, s11, s31, v1
	v_add_co_ci_u32_e64 v2, s11, s33, v2, s11
	global_load_b32 v14, v[1:2], off
.LBB39_222:                             ;   in Loop: Header=BB39_220 Depth=2
	s_or_b32 exec_lo, exec_lo, s89
	s_and_saveexec_b32 s11, vcc_lo
	s_cbranch_execz .LBB39_219
; %bb.223:                              ;   in Loop: Header=BB39_220 Depth=2
	s_waitcnt vmcnt(0)
	v_xor_b32_e32 v1, 0x80000000, v14
	s_delay_alu instid0(VALU_DEP_1) | instskip(NEXT) | instid1(VALU_DEP_1)
	v_and_b32_e32 v1, v1, v4
	v_cmp_eq_u32_e32 vcc_lo, v1, v3
	s_and_b32 exec_lo, exec_lo, vcc_lo
	s_cbranch_execz .LBB39_219
; %bb.224:                              ;   in Loop: Header=BB39_220 Depth=2
	ds_store_b64 v9, v[13:14] offset:3072
	s_branch .LBB39_219
.LBB39_225:                             ;   in Loop: Header=BB39_15 Depth=1
	s_set_inst_prefetch_distance 0x2
	s_or_b32 exec_lo, exec_lo, s87
	s_delay_alu instid0(SALU_CYCLE_1)
	s_and_b32 s88, s88, exec_lo
.LBB39_226:                             ;   in Loop: Header=BB39_15 Depth=1
	s_or_b32 exec_lo, exec_lo, s86
	s_mov_b32 s87, -1
	s_mov_b32 s11, 0
	s_mov_b32 s86, 0
.LBB39_227:                             ;   in Loop: Header=BB39_15 Depth=1
	s_or_not1_b32 s88, s88, exec_lo
.LBB39_228:                             ;   in Loop: Header=BB39_15 Depth=1
	s_or_b32 exec_lo, exec_lo, s85
	s_mov_b32 s89, 0
                                        ; implicit-def: $vgpr1
                                        ; implicit-def: $vgpr8
	s_and_saveexec_b32 s85, s88
	s_cbranch_execz .LBB39_240
; %bb.229:                              ;   in Loop: Header=BB39_15 Depth=1
	v_dual_mov_b32 v1, 1 :: v_dual_mov_b32 v8, 1
	s_xor_b32 s88, s84, -1
	s_delay_alu instid0(SALU_CYCLE_1)
	s_and_saveexec_b32 s84, s88
	s_cbranch_execz .LBB39_239
; %bb.230:                              ;   in Loop: Header=BB39_15 Depth=1
	s_mov_b32 s88, exec_lo
                                        ; implicit-def: $sgpr89
	v_cmpx_ge_u32_e64 s19, v31
	s_xor_b32 s88, exec_lo, s88
	s_cbranch_execz .LBB39_236
; %bb.231:                              ;   in Loop: Header=BB39_15 Depth=1
	ds_load_b32 v1, v9 offset:4096
	s_waitcnt lgkmcnt(0)
	v_cmp_ne_u32_e32 vcc_lo, 0, v1
	s_cbranch_vccnz .LBB39_235
; %bb.232:                              ;   in Loop: Header=BB39_15 Depth=1
	s_and_saveexec_b32 s89, s5
	s_cbranch_execz .LBB39_234
; %bb.233:                              ;   in Loop: Header=BB39_15 Depth=1
	v_mov_b32_e32 v1, s19
	ds_store_b32 v9, v1 offset:4100
.LBB39_234:                             ;   in Loop: Header=BB39_15 Depth=1
	s_or_b32 exec_lo, exec_lo, s89
	s_waitcnt lgkmcnt(0)
	s_barrier
	buffer_gl0_inv
.LBB39_235:                             ;   in Loop: Header=BB39_15 Depth=1
	v_or_b32_e32 v3, s13, v3
	v_or_b32_e32 v4, s13, v4
	s_mov_b32 s89, 8
.LBB39_236:                             ;   in Loop: Header=BB39_15 Depth=1
	s_or_saveexec_b32 s88, s88
	v_mov_b32_e32 v1, s89
	s_xor_b32 exec_lo, exec_lo, s88
; %bb.237:                              ;   in Loop: Header=BB39_15 Depth=1
	v_subrev_nc_u32_e32 v31, s19, v31
	v_mov_b32_e32 v1, 8
; %bb.238:                              ;   in Loop: Header=BB39_15 Depth=1
	s_or_b32 exec_lo, exec_lo, s88
	s_delay_alu instid0(VALU_DEP_2)
	v_mov_b32_e32 v8, v31
.LBB39_239:                             ;   in Loop: Header=BB39_15 Depth=1
	s_or_b32 exec_lo, exec_lo, s84
	s_delay_alu instid0(SALU_CYCLE_1)
	s_mov_b32 s89, exec_lo
.LBB39_240:                             ;   in Loop: Header=BB39_15 Depth=1
	s_or_b32 exec_lo, exec_lo, s85
	s_delay_alu instid0(VALU_DEP_1)
	v_mov_b32_e32 v31, v8
	s_or_not1_b32 s84, s89, exec_lo
.LBB39_241:                             ;   in Loop: Header=BB39_15 Depth=1
	s_or_b32 exec_lo, exec_lo, s83
	s_delay_alu instid0(SALU_CYCLE_1)
	s_and_not1_b32 s79, s79, exec_lo
	s_and_b32 s11, s11, exec_lo
	v_mov_b32_e32 v32, v31
	s_or_b32 s79, s79, s11
	s_and_not1_b32 s11, s81, exec_lo
	s_and_b32 s81, s87, exec_lo
	s_and_not1_b32 s80, s80, exec_lo
	s_and_b32 s83, s86, exec_lo
	s_or_b32 s81, s11, s81
	s_or_b32 s80, s80, s83
	s_and_b32 s84, s84, exec_lo
.LBB39_242:                             ;   in Loop: Header=BB39_15 Depth=1
	s_or_b32 exec_lo, exec_lo, s82
	s_delay_alu instid0(SALU_CYCLE_1)
	s_and_b32 s82, s79, exec_lo
	s_and_b32 s81, s81, exec_lo
	s_and_b32 s79, s80, exec_lo
	s_or_not1_b32 s11, s84, exec_lo
.LBB39_243:                             ;   in Loop: Header=BB39_15 Depth=1
	s_or_b32 exec_lo, exec_lo, s29
	s_delay_alu instid0(SALU_CYCLE_1)
	s_and_not1_b32 s25, s25, exec_lo
	s_and_b32 s29, s82, exec_lo
	v_mov_b32_e32 v31, v32
	s_or_b32 s25, s25, s29
	s_and_not1_b32 s27, s27, exec_lo
	s_and_b32 s29, s81, exec_lo
	s_and_not1_b32 s26, s26, exec_lo
	s_and_b32 s79, s79, exec_lo
	s_or_b32 s27, s27, s29
	s_or_b32 s26, s26, s79
	s_and_b32 s79, s11, exec_lo
.LBB39_244:                             ;   in Loop: Header=BB39_15 Depth=1
	s_or_b32 exec_lo, exec_lo, s28
	s_delay_alu instid0(SALU_CYCLE_1)
	s_and_b32 s28, s25, exec_lo
	s_and_b32 s27, s27, exec_lo
	;; [unrolled: 1-line block ×3, first 2 shown]
	s_or_not1_b32 s11, s79, exec_lo
.LBB39_245:                             ;   in Loop: Header=BB39_15 Depth=1
	s_or_b32 exec_lo, exec_lo, s20
	s_mov_b32 s20, 0
	s_mov_b32 s26, 0
	s_and_saveexec_b32 s29, s11
	s_delay_alu instid0(SALU_CYCLE_1)
	s_xor_b32 s29, exec_lo, s29
; %bb.246:                              ;   in Loop: Header=BB39_15 Depth=1
	v_cmp_ne_u32_e32 vcc_lo, 8, v1
	v_cmp_eq_u32_e64 s11, 8, v1
	s_and_not1_b32 s28, s28, exec_lo
	s_and_not1_b32 s27, s27, exec_lo
	s_and_not1_b32 s25, s25, exec_lo
	s_and_b32 s26, vcc_lo, exec_lo
	s_and_b32 s20, s11, exec_lo
; %bb.247:                              ;   in Loop: Header=BB39_15 Depth=1
	s_or_b32 exec_lo, exec_lo, s29
	s_delay_alu instid0(SALU_CYCLE_1)
	s_and_not1_b32 s11, s15, exec_lo
	s_and_b32 s15, s28, exec_lo
	s_and_not1_b32 s21, s21, exec_lo
	s_or_b32 s15, s11, s15
	s_and_not1_b32 s11, s22, exec_lo
	s_and_b32 s22, s27, exec_lo
	s_and_b32 s25, s25, exec_lo
	s_or_b32 s22, s11, s22
	s_or_b32 s21, s21, s25
	s_and_b32 s11, s26, exec_lo
	s_and_b32 s20, s20, exec_lo
.LBB39_248:                             ;   in Loop: Header=BB39_15 Depth=1
	s_or_b32 exec_lo, exec_lo, s24
	s_delay_alu instid0(SALU_CYCLE_1)
	s_and_b32 vcc_lo, exec_lo, s23
	s_cbranch_vccz .LBB39_95
.LBB39_249:                             ;   in Loop: Header=BB39_15 Depth=1
	s_cmp_eq_u32 s19, 1
                                        ; implicit-def: $sgpr23
                                        ; implicit-def: $sgpr24
	s_cselect_b32 s15, -1, 0
	s_delay_alu instid0(SALU_CYCLE_1)
	s_and_b32 s22, s15, s10
	s_mov_b32 s10, -1
                                        ; implicit-def: $sgpr15
	s_and_saveexec_b32 s21, s22
	s_cbranch_execz .LBB39_275
; %bb.250:                              ;   in Loop: Header=BB39_15 Depth=1
	ds_load_b32 v1, v9 offset:4096
	s_waitcnt lgkmcnt(0)
	s_barrier
	buffer_gl0_inv
	v_readfirstlane_b32 s10, v1
	s_and_saveexec_b32 s15, s6
	s_cbranch_execz .LBB39_252
; %bb.251:                              ;   in Loop: Header=BB39_15 Depth=1
	ds_store_b32 v20, v9
.LBB39_252:                             ;   in Loop: Header=BB39_15 Depth=1
	s_or_b32 exec_lo, exec_lo, s15
	v_or_b32_e32 v29, s13, v29
	v_or_b32_e32 v28, s13, v28
	s_cmp_eq_u32 s10, 0
	s_waitcnt lgkmcnt(0)
	s_barrier
	buffer_gl0_inv
	s_cbranch_scc1 .LBB39_261
; %bb.253:                              ;   in Loop: Header=BB39_15 Depth=1
	s_add_i32 s15, s10, s56
	s_mov_b32 s25, 0
	s_mul_hi_u32 s23, s15, s63
                                        ; implicit-def: $vgpr15
	s_delay_alu instid0(SALU_CYCLE_1) | instskip(NEXT) | instid1(SALU_CYCLE_1)
	s_mul_i32 s23, s23, s34
	s_sub_i32 s23, s15, s23
	s_delay_alu instid0(SALU_CYCLE_1) | instskip(SKIP_2) | instid1(SALU_CYCLE_1)
	s_sub_i32 s24, s23, s34
	s_cmp_ge_u32 s23, s34
	s_cselect_b32 s23, s24, s23
	s_sub_i32 s24, s23, s34
	s_cmp_ge_u32 s23, s34
	s_cselect_b32 s23, s24, s23
	s_delay_alu instid0(SALU_CYCLE_1)
	s_sub_i32 s23, s15, s23
	s_mov_b32 s15, exec_lo
	v_cmpx_gt_u32_e64 s23, v0
	s_cbranch_execz .LBB39_263
; %bb.254:                              ;   in Loop: Header=BB39_15 Depth=1
	v_dual_mov_b32 v1, v18 :: v_dual_mov_b32 v2, v0
	s_mov_b32 s24, 0
                                        ; implicit-def: $sgpr25
	s_set_inst_prefetch_distance 0x1
	s_branch .LBB39_256
	.p2align	6
.LBB39_255:                             ;   in Loop: Header=BB39_256 Depth=2
	s_or_b32 exec_lo, exec_lo, s26
	s_waitcnt lgkmcnt(0)
	s_barrier
	buffer_gl0_inv
	ds_load_b64 v[14:15], v9 offset:3072
	v_add_nc_u32_e32 v2, s34, v2
	v_add_nc_u32_e32 v1, s53, v1
	s_waitcnt lgkmcnt(0)
	s_barrier
	buffer_gl0_inv
	v_cmp_le_u32_e32 vcc_lo, s23, v2
	v_readfirstlane_b32 s26, v14
	s_delay_alu instid0(VALU_DEP_1) | instskip(SKIP_1) | instid1(SALU_CYCLE_1)
	s_cmp_lg_u32 s26, 0
	s_cselect_b32 s26, -1, 0
	s_or_b32 s27, vcc_lo, s26
	s_delay_alu instid0(SALU_CYCLE_1) | instskip(NEXT) | instid1(SALU_CYCLE_1)
	s_and_b32 s27, exec_lo, s27
	s_or_b32 s24, s27, s24
	s_and_not1_b32 s25, s25, exec_lo
	s_and_b32 s26, s26, exec_lo
	s_delay_alu instid0(SALU_CYCLE_1)
	s_or_b32 s25, s25, s26
	s_and_not1_b32 exec_lo, exec_lo, s24
	s_cbranch_execz .LBB39_262
.LBB39_256:                             ;   Parent Loop BB39_15 Depth=1
                                        ; =>  This Inner Loop Header: Depth=2
	s_delay_alu instid0(VALU_DEP_1)
	v_cmp_gt_u32_e32 vcc_lo, s10, v2
	v_mov_b32_e32 v14, 0
	s_and_saveexec_b32 s26, vcc_lo
	s_cbranch_execz .LBB39_258
; %bb.257:                              ;   in Loop: Header=BB39_256 Depth=2
	ds_load_b32 v14, v1
.LBB39_258:                             ;   in Loop: Header=BB39_256 Depth=2
	s_or_b32 exec_lo, exec_lo, s26
	s_and_saveexec_b32 s26, vcc_lo
	s_cbranch_execz .LBB39_255
; %bb.259:                              ;   in Loop: Header=BB39_256 Depth=2
	s_waitcnt lgkmcnt(0)
	v_xor_b32_e32 v3, 0x80000000, v14
	s_delay_alu instid0(VALU_DEP_1) | instskip(NEXT) | instid1(VALU_DEP_1)
	v_and_b32_e32 v3, v3, v28
	v_cmp_eq_u32_e32 vcc_lo, v3, v29
	s_and_b32 exec_lo, exec_lo, vcc_lo
	s_cbranch_execz .LBB39_255
; %bb.260:                              ;   in Loop: Header=BB39_256 Depth=2
	ds_store_b64 v9, v[13:14] offset:3072
	s_branch .LBB39_255
.LBB39_261:                             ;   in Loop: Header=BB39_15 Depth=1
	s_mov_b32 s23, -1
	s_mov_b32 s25, 0
                                        ; implicit-def: $sgpr24
                                        ; implicit-def: $vgpr15
	s_mov_b32 s15, s23
	s_cbranch_execnz .LBB39_264
	s_branch .LBB39_274
.LBB39_262:                             ;   in Loop: Header=BB39_15 Depth=1
	s_set_inst_prefetch_distance 0x2
	s_or_b32 exec_lo, exec_lo, s24
	s_delay_alu instid0(SALU_CYCLE_1)
	s_and_b32 s25, s25, exec_lo
.LBB39_263:                             ;   in Loop: Header=BB39_15 Depth=1
	s_or_b32 exec_lo, exec_lo, s15
	s_mov_b32 s23, 0
	s_mov_b32 s24, -1
	s_mov_b32 s15, s23
	s_branch .LBB39_274
.LBB39_264:                             ;   in Loop: Header=BB39_15 Depth=1
	s_mov_b32 s25, 0
                                        ; implicit-def: $vgpr15
	s_and_saveexec_b32 s15, s9
	s_cbranch_execz .LBB39_273
; %bb.265:                              ;   in Loop: Header=BB39_15 Depth=1
	v_dual_mov_b32 v8, v7 :: v_dual_mov_b32 v1, v0
	s_mov_b32 s23, 0
                                        ; implicit-def: $sgpr24
	s_set_inst_prefetch_distance 0x1
	s_branch .LBB39_267
	.p2align	6
.LBB39_266:                             ;   in Loop: Header=BB39_267 Depth=2
	s_or_b32 exec_lo, exec_lo, s10
	s_waitcnt vmcnt(0) lgkmcnt(0)
	s_barrier
	buffer_gl0_inv
	ds_load_b64 v[14:15], v9 offset:3072
	v_add_nc_u32_e32 v1, s34, v1
	v_add_nc_u32_e32 v8, s40, v8
	s_waitcnt lgkmcnt(0)
	s_barrier
	buffer_gl0_inv
	v_cmp_le_u32_e32 vcc_lo, s64, v1
	v_readfirstlane_b32 s10, v14
	s_delay_alu instid0(VALU_DEP_1) | instskip(SKIP_1) | instid1(SALU_CYCLE_1)
	s_cmp_lg_u32 s10, 0
	s_cselect_b32 s10, -1, 0
	s_or_b32 s25, vcc_lo, s10
	s_delay_alu instid0(SALU_CYCLE_1) | instskip(NEXT) | instid1(SALU_CYCLE_1)
	s_and_b32 s25, exec_lo, s25
	s_or_b32 s23, s25, s23
	s_and_not1_b32 s24, s24, exec_lo
	s_and_b32 s10, s10, exec_lo
	s_delay_alu instid0(SALU_CYCLE_1)
	s_or_b32 s24, s24, s10
	s_and_not1_b32 exec_lo, exec_lo, s23
	s_cbranch_execz .LBB39_272
.LBB39_267:                             ;   Parent Loop BB39_15 Depth=1
                                        ; =>  This Inner Loop Header: Depth=2
	s_delay_alu instid0(VALU_DEP_1)
	v_cmp_gt_u32_e32 vcc_lo, s36, v1
	v_mov_b32_e32 v14, 0
	s_and_saveexec_b32 s25, vcc_lo
	s_cbranch_execz .LBB39_269
; %bb.268:                              ;   in Loop: Header=BB39_267 Depth=2
	v_lshlrev_b64 v[2:3], 2, v[8:9]
	s_delay_alu instid0(VALU_DEP_1) | instskip(NEXT) | instid1(VALU_DEP_1)
	v_add_co_u32 v2, s10, s31, v2
	v_add_co_ci_u32_e64 v3, s10, s33, v3, s10
	global_load_b32 v14, v[2:3], off
.LBB39_269:                             ;   in Loop: Header=BB39_267 Depth=2
	s_or_b32 exec_lo, exec_lo, s25
	s_and_saveexec_b32 s10, vcc_lo
	s_cbranch_execz .LBB39_266
; %bb.270:                              ;   in Loop: Header=BB39_267 Depth=2
	s_waitcnt vmcnt(0)
	v_xor_b32_e32 v2, 0x80000000, v14
	s_delay_alu instid0(VALU_DEP_1) | instskip(NEXT) | instid1(VALU_DEP_1)
	v_and_b32_e32 v2, v2, v28
	v_cmp_eq_u32_e32 vcc_lo, v2, v29
	s_and_b32 exec_lo, exec_lo, vcc_lo
	s_cbranch_execz .LBB39_266
; %bb.271:                              ;   in Loop: Header=BB39_267 Depth=2
	ds_store_b64 v9, v[13:14] offset:3072
	s_branch .LBB39_266
.LBB39_272:                             ;   in Loop: Header=BB39_15 Depth=1
	s_set_inst_prefetch_distance 0x2
	s_or_b32 exec_lo, exec_lo, s23
	s_delay_alu instid0(SALU_CYCLE_1)
	s_and_b32 s25, s24, exec_lo
.LBB39_273:                             ;   in Loop: Header=BB39_15 Depth=1
	s_or_b32 exec_lo, exec_lo, s15
	s_mov_b32 s24, 0
	s_mov_b32 s23, -1
	s_mov_b32 s15, 0
.LBB39_274:                             ;   in Loop: Header=BB39_15 Depth=1
	s_or_not1_b32 s10, s25, exec_lo
.LBB39_275:                             ;   in Loop: Header=BB39_15 Depth=1
	s_or_b32 exec_lo, exec_lo, s21
                                        ; implicit-def: $vgpr1
                                        ; implicit-def: $vgpr31
                                        ; implicit-def: $vgpr3
                                        ; implicit-def: $vgpr4
                                        ; implicit-def: $vgpr2
	s_and_saveexec_b32 s21, s10
	s_cbranch_execz .LBB39_410
; %bb.276:                              ;   in Loop: Header=BB39_15 Depth=1
	v_mov_b32_e32 v31, 1
	v_mov_b32_e32 v1, 1
	s_xor_b32 s22, s22, -1
	s_mov_b32 s28, 0
	s_and_saveexec_b32 s10, s22
	s_cbranch_execz .LBB39_286
; %bb.277:                              ;   in Loop: Header=BB39_15 Depth=1
	s_mov_b32 s25, exec_lo
                                        ; implicit-def: $sgpr26
                                        ; implicit-def: $sgpr22
	v_cmpx_ge_u32_e64 s19, v30
	s_xor_b32 s25, exec_lo, s25
	s_cbranch_execz .LBB39_283
; %bb.278:                              ;   in Loop: Header=BB39_15 Depth=1
	ds_load_b32 v1, v9 offset:4096
	s_waitcnt lgkmcnt(0)
	v_cmp_ne_u32_e32 vcc_lo, 0, v1
	s_cbranch_vccnz .LBB39_282
; %bb.279:                              ;   in Loop: Header=BB39_15 Depth=1
	s_and_saveexec_b32 s22, s5
	s_cbranch_execz .LBB39_281
; %bb.280:                              ;   in Loop: Header=BB39_15 Depth=1
	v_mov_b32_e32 v1, s19
	ds_store_b32 v9, v1 offset:4100
.LBB39_281:                             ;   in Loop: Header=BB39_15 Depth=1
	s_or_b32 exec_lo, exec_lo, s22
	s_waitcnt lgkmcnt(0)
	s_barrier
	buffer_gl0_inv
.LBB39_282:                             ;   in Loop: Header=BB39_15 Depth=1
	v_or_b32_e32 v29, s13, v29
	v_or_b32_e32 v28, s13, v28
	s_mov_b32 s22, 0
	s_mov_b32 s26, 5
.LBB39_283:                             ;   in Loop: Header=BB39_15 Depth=1
	s_or_saveexec_b32 s25, s25
	v_mov_b32_e32 v1, s26
	s_xor_b32 exec_lo, exec_lo, s25
; %bb.284:                              ;   in Loop: Header=BB39_15 Depth=1
	v_subrev_nc_u32_e32 v30, s19, v30
	v_mov_b32_e32 v1, 0
	s_or_b32 s22, s22, exec_lo
; %bb.285:                              ;   in Loop: Header=BB39_15 Depth=1
	s_or_b32 exec_lo, exec_lo, s25
	s_delay_alu instid0(VALU_DEP_2)
	v_mov_b32_e32 v31, v30
	s_and_b32 s28, s22, exec_lo
.LBB39_286:                             ;   in Loop: Header=BB39_15 Depth=1
	s_or_b32 exec_lo, exec_lo, s10
	s_mov_b32 s26, -1
                                        ; implicit-def: $sgpr22
                                        ; implicit-def: $sgpr25
                                        ; implicit-def: $sgpr27
	s_and_saveexec_b32 s10, s28
	s_delay_alu instid0(SALU_CYCLE_1)
	s_xor_b32 s19, exec_lo, s10
	s_cbranch_execz .LBB39_407
; %bb.287:                              ;   in Loop: Header=BB39_15 Depth=1
	v_cmp_eq_u32_e32 vcc_lo, 1, v31
	s_cmp_eq_u32 s18, 1
                                        ; implicit-def: $sgpr22
                                        ; implicit-def: $sgpr25
                                        ; implicit-def: $sgpr26
	s_cselect_b32 s10, -1, 0
	s_delay_alu instid0(SALU_CYCLE_1)
	s_and_b32 s28, s10, vcc_lo
	s_mov_b32 s10, -1
	s_and_saveexec_b32 s27, s28
	s_cbranch_execz .LBB39_313
; %bb.288:                              ;   in Loop: Header=BB39_15 Depth=1
	ds_load_b32 v1, v9 offset:4096
	s_waitcnt lgkmcnt(0)
	s_barrier
	buffer_gl0_inv
	v_readfirstlane_b32 s10, v1
	s_and_saveexec_b32 s22, s6
	s_cbranch_execz .LBB39_290
; %bb.289:                              ;   in Loop: Header=BB39_15 Depth=1
	ds_store_b32 v20, v9
.LBB39_290:                             ;   in Loop: Header=BB39_15 Depth=1
	s_or_b32 exec_lo, exec_lo, s22
	s_lshl_b32 s22, 2, s17
	v_or_b32_e32 v28, s13, v28
	v_and_or_b32 v29, v29, s14, s22
	s_cmp_eq_u32 s10, 0
	s_waitcnt lgkmcnt(0)
	s_barrier
	buffer_gl0_inv
	s_cbranch_scc1 .LBB39_299
; %bb.291:                              ;   in Loop: Header=BB39_15 Depth=1
	s_add_i32 s22, s10, s56
	s_mov_b32 s29, 0
	s_mul_hi_u32 s25, s22, s63
                                        ; implicit-def: $vgpr15
	s_delay_alu instid0(SALU_CYCLE_1) | instskip(NEXT) | instid1(SALU_CYCLE_1)
	s_mul_i32 s25, s25, s34
	s_sub_i32 s25, s22, s25
	s_delay_alu instid0(SALU_CYCLE_1) | instskip(SKIP_2) | instid1(SALU_CYCLE_1)
	s_sub_i32 s26, s25, s34
	s_cmp_ge_u32 s25, s34
	s_cselect_b32 s25, s26, s25
	s_sub_i32 s26, s25, s34
	s_cmp_ge_u32 s25, s34
	s_cselect_b32 s25, s26, s25
	s_delay_alu instid0(SALU_CYCLE_1)
	s_sub_i32 s25, s22, s25
	s_mov_b32 s22, exec_lo
	v_cmpx_gt_u32_e64 s25, v0
	s_cbranch_execz .LBB39_301
; %bb.292:                              ;   in Loop: Header=BB39_15 Depth=1
	v_dual_mov_b32 v1, v18 :: v_dual_mov_b32 v2, v0
	s_mov_b32 s26, 0
                                        ; implicit-def: $sgpr29
	s_set_inst_prefetch_distance 0x1
	s_branch .LBB39_294
	.p2align	6
.LBB39_293:                             ;   in Loop: Header=BB39_294 Depth=2
	s_or_b32 exec_lo, exec_lo, s79
	s_waitcnt lgkmcnt(0)
	s_barrier
	buffer_gl0_inv
	ds_load_b64 v[14:15], v9 offset:3072
	v_add_nc_u32_e32 v2, s34, v2
	v_add_nc_u32_e32 v1, s53, v1
	s_waitcnt lgkmcnt(0)
	s_barrier
	buffer_gl0_inv
	v_cmp_le_u32_e32 vcc_lo, s25, v2
	v_readfirstlane_b32 s79, v14
	s_delay_alu instid0(VALU_DEP_1) | instskip(SKIP_1) | instid1(SALU_CYCLE_1)
	s_cmp_lg_u32 s79, 0
	s_cselect_b32 s79, -1, 0
	s_or_b32 s80, vcc_lo, s79
	s_delay_alu instid0(SALU_CYCLE_1) | instskip(NEXT) | instid1(SALU_CYCLE_1)
	s_and_b32 s80, exec_lo, s80
	s_or_b32 s26, s80, s26
	s_and_not1_b32 s29, s29, exec_lo
	s_and_b32 s79, s79, exec_lo
	s_delay_alu instid0(SALU_CYCLE_1)
	s_or_b32 s29, s29, s79
	s_and_not1_b32 exec_lo, exec_lo, s26
	s_cbranch_execz .LBB39_300
.LBB39_294:                             ;   Parent Loop BB39_15 Depth=1
                                        ; =>  This Inner Loop Header: Depth=2
	s_delay_alu instid0(VALU_DEP_1)
	v_cmp_gt_u32_e32 vcc_lo, s10, v2
	v_mov_b32_e32 v14, 0
	s_and_saveexec_b32 s79, vcc_lo
	s_cbranch_execz .LBB39_296
; %bb.295:                              ;   in Loop: Header=BB39_294 Depth=2
	ds_load_b32 v14, v1
.LBB39_296:                             ;   in Loop: Header=BB39_294 Depth=2
	s_or_b32 exec_lo, exec_lo, s79
	s_and_saveexec_b32 s79, vcc_lo
	s_cbranch_execz .LBB39_293
; %bb.297:                              ;   in Loop: Header=BB39_294 Depth=2
	s_waitcnt lgkmcnt(0)
	v_xor_b32_e32 v3, 0x80000000, v14
	s_delay_alu instid0(VALU_DEP_1) | instskip(NEXT) | instid1(VALU_DEP_1)
	v_and_b32_e32 v3, v3, v28
	v_cmp_eq_u32_e32 vcc_lo, v3, v29
	s_and_b32 exec_lo, exec_lo, vcc_lo
	s_cbranch_execz .LBB39_293
; %bb.298:                              ;   in Loop: Header=BB39_294 Depth=2
	ds_store_b64 v9, v[13:14] offset:3072
	s_branch .LBB39_293
.LBB39_299:                             ;   in Loop: Header=BB39_15 Depth=1
	s_mov_b32 s22, -1
	s_mov_b32 s29, 0
                                        ; implicit-def: $sgpr25
                                        ; implicit-def: $vgpr15
	s_mov_b32 s26, s22
	s_cbranch_execnz .LBB39_302
	s_branch .LBB39_312
.LBB39_300:                             ;   in Loop: Header=BB39_15 Depth=1
	s_set_inst_prefetch_distance 0x2
	s_or_b32 exec_lo, exec_lo, s26
	s_delay_alu instid0(SALU_CYCLE_1)
	s_and_b32 s29, s29, exec_lo
.LBB39_301:                             ;   in Loop: Header=BB39_15 Depth=1
	s_or_b32 exec_lo, exec_lo, s22
	s_mov_b32 s22, 0
	s_mov_b32 s25, -1
	s_mov_b32 s26, s22
	s_branch .LBB39_312
.LBB39_302:                             ;   in Loop: Header=BB39_15 Depth=1
	s_mov_b32 s29, 0
                                        ; implicit-def: $vgpr15
	s_and_saveexec_b32 s22, s9
	s_cbranch_execz .LBB39_311
; %bb.303:                              ;   in Loop: Header=BB39_15 Depth=1
	v_dual_mov_b32 v8, v7 :: v_dual_mov_b32 v1, v0
	s_mov_b32 s25, 0
                                        ; implicit-def: $sgpr26
	s_set_inst_prefetch_distance 0x1
	s_branch .LBB39_305
	.p2align	6
.LBB39_304:                             ;   in Loop: Header=BB39_305 Depth=2
	s_or_b32 exec_lo, exec_lo, s10
	s_waitcnt vmcnt(0) lgkmcnt(0)
	s_barrier
	buffer_gl0_inv
	ds_load_b64 v[14:15], v9 offset:3072
	v_add_nc_u32_e32 v1, s34, v1
	v_add_nc_u32_e32 v8, s40, v8
	s_waitcnt lgkmcnt(0)
	s_barrier
	buffer_gl0_inv
	v_cmp_le_u32_e32 vcc_lo, s64, v1
	v_readfirstlane_b32 s10, v14
	s_delay_alu instid0(VALU_DEP_1) | instskip(SKIP_1) | instid1(SALU_CYCLE_1)
	s_cmp_lg_u32 s10, 0
	s_cselect_b32 s10, -1, 0
	s_or_b32 s29, vcc_lo, s10
	s_delay_alu instid0(SALU_CYCLE_1) | instskip(NEXT) | instid1(SALU_CYCLE_1)
	s_and_b32 s29, exec_lo, s29
	s_or_b32 s25, s29, s25
	s_and_not1_b32 s26, s26, exec_lo
	s_and_b32 s10, s10, exec_lo
	s_delay_alu instid0(SALU_CYCLE_1)
	s_or_b32 s26, s26, s10
	s_and_not1_b32 exec_lo, exec_lo, s25
	s_cbranch_execz .LBB39_310
.LBB39_305:                             ;   Parent Loop BB39_15 Depth=1
                                        ; =>  This Inner Loop Header: Depth=2
	s_delay_alu instid0(VALU_DEP_1)
	v_cmp_gt_u32_e32 vcc_lo, s36, v1
	v_mov_b32_e32 v14, 0
	s_and_saveexec_b32 s29, vcc_lo
	s_cbranch_execz .LBB39_307
; %bb.306:                              ;   in Loop: Header=BB39_305 Depth=2
	v_lshlrev_b64 v[2:3], 2, v[8:9]
	s_delay_alu instid0(VALU_DEP_1) | instskip(NEXT) | instid1(VALU_DEP_1)
	v_add_co_u32 v2, s10, s31, v2
	v_add_co_ci_u32_e64 v3, s10, s33, v3, s10
	global_load_b32 v14, v[2:3], off
.LBB39_307:                             ;   in Loop: Header=BB39_305 Depth=2
	s_or_b32 exec_lo, exec_lo, s29
	s_and_saveexec_b32 s10, vcc_lo
	s_cbranch_execz .LBB39_304
; %bb.308:                              ;   in Loop: Header=BB39_305 Depth=2
	s_waitcnt vmcnt(0)
	v_xor_b32_e32 v2, 0x80000000, v14
	s_delay_alu instid0(VALU_DEP_1) | instskip(NEXT) | instid1(VALU_DEP_1)
	v_and_b32_e32 v2, v2, v28
	v_cmp_eq_u32_e32 vcc_lo, v2, v29
	s_and_b32 exec_lo, exec_lo, vcc_lo
	s_cbranch_execz .LBB39_304
; %bb.309:                              ;   in Loop: Header=BB39_305 Depth=2
	ds_store_b64 v9, v[13:14] offset:3072
	s_branch .LBB39_304
.LBB39_310:                             ;   in Loop: Header=BB39_15 Depth=1
	s_set_inst_prefetch_distance 0x2
	s_or_b32 exec_lo, exec_lo, s25
	s_delay_alu instid0(SALU_CYCLE_1)
	s_and_b32 s29, s26, exec_lo
.LBB39_311:                             ;   in Loop: Header=BB39_15 Depth=1
	s_or_b32 exec_lo, exec_lo, s22
	s_mov_b32 s25, 0
	s_mov_b32 s22, -1
	s_mov_b32 s26, 0
.LBB39_312:                             ;   in Loop: Header=BB39_15 Depth=1
	s_or_not1_b32 s10, s29, exec_lo
.LBB39_313:                             ;   in Loop: Header=BB39_15 Depth=1
	s_or_b32 exec_lo, exec_lo, s27
	s_mov_b32 s29, 0
                                        ; implicit-def: $vgpr1
	s_and_saveexec_b32 s27, s10
	s_cbranch_execz .LBB39_406
; %bb.314:                              ;   in Loop: Header=BB39_15 Depth=1
	v_dual_mov_b32 v2, 1 :: v_dual_mov_b32 v1, 1
	s_xor_b32 s28, s28, -1
	s_mov_b32 s79, 0
	s_and_saveexec_b32 s10, s28
	s_cbranch_execz .LBB39_324
; %bb.315:                              ;   in Loop: Header=BB39_15 Depth=1
	s_mov_b32 s29, exec_lo
                                        ; implicit-def: $sgpr79
                                        ; implicit-def: $sgpr28
	v_cmpx_ge_u32_e64 s18, v31
	s_xor_b32 s29, exec_lo, s29
	s_cbranch_execz .LBB39_321
; %bb.316:                              ;   in Loop: Header=BB39_15 Depth=1
	ds_load_b32 v1, v9 offset:4096
	s_waitcnt lgkmcnt(0)
	v_cmp_ne_u32_e32 vcc_lo, 0, v1
	s_cbranch_vccnz .LBB39_320
; %bb.317:                              ;   in Loop: Header=BB39_15 Depth=1
	s_and_saveexec_b32 s28, s5
	s_cbranch_execz .LBB39_319
; %bb.318:                              ;   in Loop: Header=BB39_15 Depth=1
	v_mov_b32_e32 v1, s18
	ds_store_b32 v9, v1 offset:4100
.LBB39_319:                             ;   in Loop: Header=BB39_15 Depth=1
	s_or_b32 exec_lo, exec_lo, s28
	s_waitcnt lgkmcnt(0)
	s_barrier
	buffer_gl0_inv
.LBB39_320:                             ;   in Loop: Header=BB39_15 Depth=1
	s_lshl_b32 s28, 2, s17
	v_or_b32_e32 v28, s13, v28
	v_and_or_b32 v29, v29, s14, s28
	s_mov_b32 s28, 0
	s_mov_b32 s79, 5
.LBB39_321:                             ;   in Loop: Header=BB39_15 Depth=1
	s_or_saveexec_b32 s29, s29
	v_mov_b32_e32 v1, s79
	s_xor_b32 exec_lo, exec_lo, s29
; %bb.322:                              ;   in Loop: Header=BB39_15 Depth=1
	v_subrev_nc_u32_e32 v31, s18, v31
	v_mov_b32_e32 v1, 0
	s_or_b32 s28, s28, exec_lo
; %bb.323:                              ;   in Loop: Header=BB39_15 Depth=1
	s_or_b32 exec_lo, exec_lo, s29
	s_delay_alu instid0(VALU_DEP_2)
	v_mov_b32_e32 v2, v31
	s_and_b32 s79, s28, exec_lo
.LBB39_324:                             ;   in Loop: Header=BB39_15 Depth=1
	s_or_b32 exec_lo, exec_lo, s10
	s_mov_b32 s10, -1
                                        ; implicit-def: $sgpr28
                                        ; implicit-def: $sgpr29
                                        ; implicit-def: $sgpr80
	s_and_saveexec_b32 s18, s79
	s_cbranch_execz .LBB39_405
; %bb.325:                              ;   in Loop: Header=BB39_15 Depth=1
	v_cmp_eq_u32_e32 vcc_lo, 1, v2
	s_cmp_eq_u32 s16, 1
                                        ; implicit-def: $sgpr28
                                        ; implicit-def: $sgpr29
                                        ; implicit-def: $sgpr79
	s_cselect_b32 s10, -1, 0
	s_delay_alu instid0(SALU_CYCLE_1)
	s_and_b32 s81, s10, vcc_lo
	s_mov_b32 s10, -1
	s_and_saveexec_b32 s80, s81
	s_cbranch_execz .LBB39_351
; %bb.326:                              ;   in Loop: Header=BB39_15 Depth=1
	ds_load_b32 v1, v9 offset:4096
	s_waitcnt lgkmcnt(0)
	s_barrier
	buffer_gl0_inv
	v_readfirstlane_b32 s10, v1
	s_and_saveexec_b32 s28, s6
	s_cbranch_execz .LBB39_328
; %bb.327:                              ;   in Loop: Header=BB39_15 Depth=1
	ds_store_b32 v20, v9
.LBB39_328:                             ;   in Loop: Header=BB39_15 Depth=1
	s_or_b32 exec_lo, exec_lo, s28
	s_lshl_b32 s28, 1, s17
	v_or_b32_e32 v28, s13, v28
	v_and_or_b32 v29, v29, s14, s28
	s_cmp_eq_u32 s10, 0
	s_waitcnt lgkmcnt(0)
	s_barrier
	buffer_gl0_inv
	s_cbranch_scc1 .LBB39_337
; %bb.329:                              ;   in Loop: Header=BB39_15 Depth=1
	s_add_i32 s28, s10, s56
	s_mov_b32 s82, 0
	s_mul_hi_u32 s29, s28, s63
                                        ; implicit-def: $vgpr15
	s_delay_alu instid0(SALU_CYCLE_1) | instskip(NEXT) | instid1(SALU_CYCLE_1)
	s_mul_i32 s29, s29, s34
	s_sub_i32 s29, s28, s29
	s_delay_alu instid0(SALU_CYCLE_1) | instskip(SKIP_2) | instid1(SALU_CYCLE_1)
	s_sub_i32 s79, s29, s34
	s_cmp_ge_u32 s29, s34
	s_cselect_b32 s29, s79, s29
	s_sub_i32 s79, s29, s34
	s_cmp_ge_u32 s29, s34
	s_cselect_b32 s29, s79, s29
	s_delay_alu instid0(SALU_CYCLE_1)
	s_sub_i32 s29, s28, s29
	s_mov_b32 s28, exec_lo
	v_cmpx_gt_u32_e64 s29, v0
	s_cbranch_execz .LBB39_339
; %bb.330:                              ;   in Loop: Header=BB39_15 Depth=1
	v_mov_b32_e32 v1, v18
	v_mov_b32_e32 v3, v0
	s_mov_b32 s79, 0
                                        ; implicit-def: $sgpr82
	s_set_inst_prefetch_distance 0x1
	s_branch .LBB39_332
	.p2align	6
.LBB39_331:                             ;   in Loop: Header=BB39_332 Depth=2
	s_or_b32 exec_lo, exec_lo, s83
	s_waitcnt lgkmcnt(0)
	s_barrier
	buffer_gl0_inv
	ds_load_b64 v[14:15], v9 offset:3072
	v_add_nc_u32_e32 v3, s34, v3
	v_add_nc_u32_e32 v1, s53, v1
	s_waitcnt lgkmcnt(0)
	s_barrier
	buffer_gl0_inv
	v_cmp_le_u32_e32 vcc_lo, s29, v3
	v_readfirstlane_b32 s83, v14
	s_delay_alu instid0(VALU_DEP_1) | instskip(SKIP_1) | instid1(SALU_CYCLE_1)
	s_cmp_lg_u32 s83, 0
	s_cselect_b32 s83, -1, 0
	s_or_b32 s84, vcc_lo, s83
	s_delay_alu instid0(SALU_CYCLE_1) | instskip(NEXT) | instid1(SALU_CYCLE_1)
	s_and_b32 s84, exec_lo, s84
	s_or_b32 s79, s84, s79
	s_and_not1_b32 s82, s82, exec_lo
	s_and_b32 s83, s83, exec_lo
	s_delay_alu instid0(SALU_CYCLE_1)
	s_or_b32 s82, s82, s83
	s_and_not1_b32 exec_lo, exec_lo, s79
	s_cbranch_execz .LBB39_338
.LBB39_332:                             ;   Parent Loop BB39_15 Depth=1
                                        ; =>  This Inner Loop Header: Depth=2
	s_delay_alu instid0(VALU_DEP_1)
	v_cmp_gt_u32_e32 vcc_lo, s10, v3
	v_mov_b32_e32 v14, 0
	s_and_saveexec_b32 s83, vcc_lo
	s_cbranch_execz .LBB39_334
; %bb.333:                              ;   in Loop: Header=BB39_332 Depth=2
	ds_load_b32 v14, v1
.LBB39_334:                             ;   in Loop: Header=BB39_332 Depth=2
	s_or_b32 exec_lo, exec_lo, s83
	s_and_saveexec_b32 s83, vcc_lo
	s_cbranch_execz .LBB39_331
; %bb.335:                              ;   in Loop: Header=BB39_332 Depth=2
	s_waitcnt lgkmcnt(0)
	v_xor_b32_e32 v4, 0x80000000, v14
	s_delay_alu instid0(VALU_DEP_1) | instskip(NEXT) | instid1(VALU_DEP_1)
	v_and_b32_e32 v4, v4, v28
	v_cmp_eq_u32_e32 vcc_lo, v4, v29
	s_and_b32 exec_lo, exec_lo, vcc_lo
	s_cbranch_execz .LBB39_331
; %bb.336:                              ;   in Loop: Header=BB39_332 Depth=2
	ds_store_b64 v9, v[13:14] offset:3072
	s_branch .LBB39_331
.LBB39_337:                             ;   in Loop: Header=BB39_15 Depth=1
	s_mov_b32 s28, -1
	s_mov_b32 s82, 0
                                        ; implicit-def: $sgpr29
                                        ; implicit-def: $vgpr15
	s_mov_b32 s79, s28
	s_cbranch_execnz .LBB39_340
	s_branch .LBB39_350
.LBB39_338:                             ;   in Loop: Header=BB39_15 Depth=1
	s_set_inst_prefetch_distance 0x2
	s_or_b32 exec_lo, exec_lo, s79
	s_delay_alu instid0(SALU_CYCLE_1)
	s_and_b32 s82, s82, exec_lo
.LBB39_339:                             ;   in Loop: Header=BB39_15 Depth=1
	s_or_b32 exec_lo, exec_lo, s28
	s_mov_b32 s28, 0
	s_mov_b32 s29, -1
	s_mov_b32 s79, s28
	s_branch .LBB39_350
.LBB39_340:                             ;   in Loop: Header=BB39_15 Depth=1
	s_mov_b32 s82, 0
                                        ; implicit-def: $vgpr15
	s_and_saveexec_b32 s28, s9
	s_cbranch_execz .LBB39_349
; %bb.341:                              ;   in Loop: Header=BB39_15 Depth=1
	v_dual_mov_b32 v8, v7 :: v_dual_mov_b32 v1, v0
	s_mov_b32 s29, 0
                                        ; implicit-def: $sgpr79
	s_set_inst_prefetch_distance 0x1
	s_branch .LBB39_343
	.p2align	6
.LBB39_342:                             ;   in Loop: Header=BB39_343 Depth=2
	s_or_b32 exec_lo, exec_lo, s10
	s_waitcnt vmcnt(0) lgkmcnt(0)
	s_barrier
	buffer_gl0_inv
	ds_load_b64 v[14:15], v9 offset:3072
	v_add_nc_u32_e32 v1, s34, v1
	v_add_nc_u32_e32 v8, s40, v8
	s_waitcnt lgkmcnt(0)
	s_barrier
	buffer_gl0_inv
	v_cmp_le_u32_e32 vcc_lo, s64, v1
	v_readfirstlane_b32 s10, v14
	s_delay_alu instid0(VALU_DEP_1) | instskip(SKIP_1) | instid1(SALU_CYCLE_1)
	s_cmp_lg_u32 s10, 0
	s_cselect_b32 s10, -1, 0
	s_or_b32 s82, vcc_lo, s10
	s_delay_alu instid0(SALU_CYCLE_1) | instskip(NEXT) | instid1(SALU_CYCLE_1)
	s_and_b32 s82, exec_lo, s82
	s_or_b32 s29, s82, s29
	s_and_not1_b32 s79, s79, exec_lo
	s_and_b32 s10, s10, exec_lo
	s_delay_alu instid0(SALU_CYCLE_1)
	s_or_b32 s79, s79, s10
	s_and_not1_b32 exec_lo, exec_lo, s29
	s_cbranch_execz .LBB39_348
.LBB39_343:                             ;   Parent Loop BB39_15 Depth=1
                                        ; =>  This Inner Loop Header: Depth=2
	s_delay_alu instid0(VALU_DEP_1)
	v_cmp_gt_u32_e32 vcc_lo, s36, v1
	v_mov_b32_e32 v14, 0
	s_and_saveexec_b32 s82, vcc_lo
	s_cbranch_execz .LBB39_345
; %bb.344:                              ;   in Loop: Header=BB39_343 Depth=2
	v_lshlrev_b64 v[3:4], 2, v[8:9]
	s_delay_alu instid0(VALU_DEP_1) | instskip(NEXT) | instid1(VALU_DEP_1)
	v_add_co_u32 v3, s10, s31, v3
	v_add_co_ci_u32_e64 v4, s10, s33, v4, s10
	global_load_b32 v14, v[3:4], off
.LBB39_345:                             ;   in Loop: Header=BB39_343 Depth=2
	s_or_b32 exec_lo, exec_lo, s82
	s_and_saveexec_b32 s10, vcc_lo
	s_cbranch_execz .LBB39_342
; %bb.346:                              ;   in Loop: Header=BB39_343 Depth=2
	s_waitcnt vmcnt(0)
	v_xor_b32_e32 v3, 0x80000000, v14
	s_delay_alu instid0(VALU_DEP_1) | instskip(NEXT) | instid1(VALU_DEP_1)
	v_and_b32_e32 v3, v3, v28
	v_cmp_eq_u32_e32 vcc_lo, v3, v29
	s_and_b32 exec_lo, exec_lo, vcc_lo
	s_cbranch_execz .LBB39_342
; %bb.347:                              ;   in Loop: Header=BB39_343 Depth=2
	ds_store_b64 v9, v[13:14] offset:3072
	s_branch .LBB39_342
.LBB39_348:                             ;   in Loop: Header=BB39_15 Depth=1
	s_set_inst_prefetch_distance 0x2
	s_or_b32 exec_lo, exec_lo, s29
	s_delay_alu instid0(SALU_CYCLE_1)
	s_and_b32 s82, s79, exec_lo
.LBB39_349:                             ;   in Loop: Header=BB39_15 Depth=1
	s_or_b32 exec_lo, exec_lo, s28
	s_mov_b32 s29, 0
	s_mov_b32 s28, -1
	s_mov_b32 s79, 0
.LBB39_350:                             ;   in Loop: Header=BB39_15 Depth=1
	s_or_not1_b32 s10, s82, exec_lo
.LBB39_351:                             ;   in Loop: Header=BB39_15 Depth=1
	s_or_b32 exec_lo, exec_lo, s80
	s_mov_b32 s82, 0
                                        ; implicit-def: $vgpr1
	s_and_saveexec_b32 s80, s10
	s_cbranch_execz .LBB39_404
; %bb.352:                              ;   in Loop: Header=BB39_15 Depth=1
	v_mov_b32_e32 v3, 1
	v_mov_b32_e32 v1, 1
	s_xor_b32 s82, s81, -1
	s_mov_b32 s81, 0
	s_and_saveexec_b32 s10, s82
	s_cbranch_execz .LBB39_362
; %bb.353:                              ;   in Loop: Header=BB39_15 Depth=1
	s_mov_b32 s82, exec_lo
                                        ; implicit-def: $sgpr83
                                        ; implicit-def: $sgpr81
	v_cmpx_ge_u32_e64 s16, v2
	s_xor_b32 s82, exec_lo, s82
	s_cbranch_execz .LBB39_359
; %bb.354:                              ;   in Loop: Header=BB39_15 Depth=1
	ds_load_b32 v1, v9 offset:4096
	s_waitcnt lgkmcnt(0)
	v_cmp_ne_u32_e32 vcc_lo, 0, v1
	s_cbranch_vccnz .LBB39_358
; %bb.355:                              ;   in Loop: Header=BB39_15 Depth=1
	s_and_saveexec_b32 s81, s5
	s_cbranch_execz .LBB39_357
; %bb.356:                              ;   in Loop: Header=BB39_15 Depth=1
	v_mov_b32_e32 v1, s16
	ds_store_b32 v9, v1 offset:4100
.LBB39_357:                             ;   in Loop: Header=BB39_15 Depth=1
	s_or_b32 exec_lo, exec_lo, s81
	s_waitcnt lgkmcnt(0)
	s_barrier
	buffer_gl0_inv
.LBB39_358:                             ;   in Loop: Header=BB39_15 Depth=1
	s_lshl_b32 s17, 1, s17
	v_or_b32_e32 v28, s13, v28
	v_and_or_b32 v29, v29, s14, s17
	s_mov_b32 s81, 0
	s_mov_b32 s83, 5
.LBB39_359:                             ;   in Loop: Header=BB39_15 Depth=1
	s_or_saveexec_b32 s17, s82
	v_mov_b32_e32 v1, s83
	s_xor_b32 exec_lo, exec_lo, s17
; %bb.360:                              ;   in Loop: Header=BB39_15 Depth=1
	v_subrev_nc_u32_e32 v2, s16, v2
	v_mov_b32_e32 v1, 0
	s_or_b32 s81, s81, exec_lo
; %bb.361:                              ;   in Loop: Header=BB39_15 Depth=1
	s_or_b32 exec_lo, exec_lo, s17
	s_delay_alu instid0(VALU_DEP_2)
	v_mov_b32_e32 v3, v2
	s_and_b32 s81, s81, exec_lo
.LBB39_362:                             ;   in Loop: Header=BB39_15 Depth=1
	s_or_b32 exec_lo, exec_lo, s10
	s_mov_b32 s17, -1
                                        ; implicit-def: $sgpr10
                                        ; implicit-def: $sgpr82
                                        ; implicit-def: $sgpr83
	s_and_saveexec_b32 s16, s81
	s_cbranch_execz .LBB39_403
; %bb.363:                              ;   in Loop: Header=BB39_15 Depth=1
	v_cmp_eq_u32_e32 vcc_lo, 1, v3
	s_cmp_eq_u32 s12, 1
	s_mov_b32 s84, -1
	s_cselect_b32 s10, -1, 0
                                        ; implicit-def: $sgpr82
                                        ; implicit-def: $sgpr83
	s_delay_alu instid0(SALU_CYCLE_1) | instskip(NEXT) | instid1(SALU_CYCLE_1)
	s_and_b32 s17, s10, vcc_lo
                                        ; implicit-def: $sgpr10
	s_and_saveexec_b32 s81, s17
	s_cbranch_execz .LBB39_390
; %bb.364:                              ;   in Loop: Header=BB39_15 Depth=1
	ds_load_b32 v1, v9 offset:4096
	s_waitcnt lgkmcnt(0)
	s_barrier
	buffer_gl0_inv
	v_readfirstlane_b32 s10, v1
	s_and_saveexec_b32 s82, s6
	s_cbranch_execz .LBB39_366
; %bb.365:                              ;   in Loop: Header=BB39_15 Depth=1
	ds_store_b32 v20, v9
.LBB39_366:                             ;   in Loop: Header=BB39_15 Depth=1
	s_or_b32 exec_lo, exec_lo, s82
	v_and_b32_e32 v29, s14, v29
	v_or_b32_e32 v28, s13, v28
	s_cmp_eq_u32 s10, 0
	s_waitcnt lgkmcnt(0)
	s_barrier
	buffer_gl0_inv
	s_cbranch_scc1 .LBB39_375
; %bb.367:                              ;   in Loop: Header=BB39_15 Depth=1
	s_add_i32 s82, s10, s56
                                        ; implicit-def: $vgpr15
	s_delay_alu instid0(SALU_CYCLE_1) | instskip(NEXT) | instid1(SALU_CYCLE_1)
	s_mul_hi_u32 s83, s82, s63
	s_mul_i32 s83, s83, s34
	s_delay_alu instid0(SALU_CYCLE_1) | instskip(NEXT) | instid1(SALU_CYCLE_1)
	s_sub_i32 s83, s82, s83
	s_sub_i32 s84, s83, s34
	s_cmp_ge_u32 s83, s34
	s_cselect_b32 s83, s84, s83
	s_delay_alu instid0(SALU_CYCLE_1)
	s_sub_i32 s84, s83, s34
	s_cmp_ge_u32 s83, s34
	s_cselect_b32 s83, s84, s83
	s_mov_b32 s84, 0
	s_sub_i32 s83, s82, s83
	s_mov_b32 s82, exec_lo
	v_cmpx_gt_u32_e64 s83, v0
	s_cbranch_execz .LBB39_377
; %bb.368:                              ;   in Loop: Header=BB39_15 Depth=1
	v_dual_mov_b32 v1, v18 :: v_dual_mov_b32 v2, v0
                                        ; implicit-def: $sgpr85
	s_set_inst_prefetch_distance 0x1
	s_branch .LBB39_370
	.p2align	6
.LBB39_369:                             ;   in Loop: Header=BB39_370 Depth=2
	s_or_b32 exec_lo, exec_lo, s86
	s_waitcnt lgkmcnt(0)
	s_barrier
	buffer_gl0_inv
	ds_load_b64 v[14:15], v9 offset:3072
	v_add_nc_u32_e32 v2, s34, v2
	v_add_nc_u32_e32 v1, s53, v1
	s_waitcnt lgkmcnt(0)
	s_barrier
	buffer_gl0_inv
	v_cmp_le_u32_e32 vcc_lo, s83, v2
	v_readfirstlane_b32 s86, v14
	s_delay_alu instid0(VALU_DEP_1) | instskip(SKIP_1) | instid1(SALU_CYCLE_1)
	s_cmp_lg_u32 s86, 0
	s_cselect_b32 s86, -1, 0
	s_or_b32 s87, vcc_lo, s86
	s_delay_alu instid0(SALU_CYCLE_1) | instskip(NEXT) | instid1(SALU_CYCLE_1)
	s_and_b32 s87, exec_lo, s87
	s_or_b32 s84, s87, s84
	s_and_not1_b32 s85, s85, exec_lo
	s_and_b32 s86, s86, exec_lo
	s_delay_alu instid0(SALU_CYCLE_1)
	s_or_b32 s85, s85, s86
	s_and_not1_b32 exec_lo, exec_lo, s84
	s_cbranch_execz .LBB39_376
.LBB39_370:                             ;   Parent Loop BB39_15 Depth=1
                                        ; =>  This Inner Loop Header: Depth=2
	s_delay_alu instid0(VALU_DEP_1)
	v_cmp_gt_u32_e32 vcc_lo, s10, v2
	v_mov_b32_e32 v14, 0
	s_and_saveexec_b32 s86, vcc_lo
	s_cbranch_execz .LBB39_372
; %bb.371:                              ;   in Loop: Header=BB39_370 Depth=2
	ds_load_b32 v14, v1
.LBB39_372:                             ;   in Loop: Header=BB39_370 Depth=2
	s_or_b32 exec_lo, exec_lo, s86
	s_and_saveexec_b32 s86, vcc_lo
	s_cbranch_execz .LBB39_369
; %bb.373:                              ;   in Loop: Header=BB39_370 Depth=2
	s_waitcnt lgkmcnt(0)
	v_xor_b32_e32 v4, 0x80000000, v14
	s_delay_alu instid0(VALU_DEP_1) | instskip(NEXT) | instid1(VALU_DEP_1)
	v_and_b32_e32 v4, v4, v28
	v_cmp_eq_u32_e32 vcc_lo, v4, v29
	s_and_b32 exec_lo, exec_lo, vcc_lo
	s_cbranch_execz .LBB39_369
; %bb.374:                              ;   in Loop: Header=BB39_370 Depth=2
	ds_store_b64 v9, v[13:14] offset:3072
	s_branch .LBB39_369
.LBB39_375:                             ;   in Loop: Header=BB39_15 Depth=1
	s_mov_b32 s10, -1
	s_mov_b32 s84, 0
                                        ; implicit-def: $sgpr82
                                        ; implicit-def: $vgpr15
	s_branch .LBB39_378
.LBB39_376:                             ;   in Loop: Header=BB39_15 Depth=1
	s_set_inst_prefetch_distance 0x2
	s_or_b32 exec_lo, exec_lo, s84
	s_delay_alu instid0(SALU_CYCLE_1)
	s_and_b32 s84, s85, exec_lo
.LBB39_377:                             ;   in Loop: Header=BB39_15 Depth=1
	s_or_b32 exec_lo, exec_lo, s82
	s_mov_b32 s10, 0
	s_mov_b32 s82, -1
.LBB39_378:                             ;   in Loop: Header=BB39_15 Depth=1
	s_and_b32 vcc_lo, exec_lo, s10
	s_mov_b32 s83, s10
	s_cbranch_vccz .LBB39_389
; %bb.379:                              ;   in Loop: Header=BB39_15 Depth=1
	s_mov_b32 s84, 0
                                        ; implicit-def: $vgpr15
	s_and_saveexec_b32 s82, s9
	s_cbranch_execz .LBB39_388
; %bb.380:                              ;   in Loop: Header=BB39_15 Depth=1
	v_dual_mov_b32 v8, v7 :: v_dual_mov_b32 v1, v0
	s_mov_b32 s83, 0
                                        ; implicit-def: $sgpr84
	s_set_inst_prefetch_distance 0x1
	s_branch .LBB39_382
	.p2align	6
.LBB39_381:                             ;   in Loop: Header=BB39_382 Depth=2
	s_or_b32 exec_lo, exec_lo, s10
	s_waitcnt vmcnt(0) lgkmcnt(0)
	s_barrier
	buffer_gl0_inv
	ds_load_b64 v[14:15], v9 offset:3072
	v_add_nc_u32_e32 v1, s34, v1
	v_add_nc_u32_e32 v8, s40, v8
	s_waitcnt lgkmcnt(0)
	s_barrier
	buffer_gl0_inv
	v_cmp_le_u32_e32 vcc_lo, s64, v1
	v_readfirstlane_b32 s10, v14
	s_delay_alu instid0(VALU_DEP_1) | instskip(SKIP_1) | instid1(SALU_CYCLE_1)
	s_cmp_lg_u32 s10, 0
	s_cselect_b32 s10, -1, 0
	s_or_b32 s85, vcc_lo, s10
	s_delay_alu instid0(SALU_CYCLE_1) | instskip(NEXT) | instid1(SALU_CYCLE_1)
	s_and_b32 s85, exec_lo, s85
	s_or_b32 s83, s85, s83
	s_and_not1_b32 s84, s84, exec_lo
	s_and_b32 s10, s10, exec_lo
	s_delay_alu instid0(SALU_CYCLE_1)
	s_or_b32 s84, s84, s10
	s_and_not1_b32 exec_lo, exec_lo, s83
	s_cbranch_execz .LBB39_387
.LBB39_382:                             ;   Parent Loop BB39_15 Depth=1
                                        ; =>  This Inner Loop Header: Depth=2
	s_delay_alu instid0(VALU_DEP_1)
	v_cmp_gt_u32_e32 vcc_lo, s36, v1
	v_mov_b32_e32 v14, 0
	s_and_saveexec_b32 s85, vcc_lo
	s_cbranch_execz .LBB39_384
; %bb.383:                              ;   in Loop: Header=BB39_382 Depth=2
	v_lshlrev_b64 v[14:15], 2, v[8:9]
	s_delay_alu instid0(VALU_DEP_1) | instskip(NEXT) | instid1(VALU_DEP_1)
	v_add_co_u32 v14, s10, s31, v14
	v_add_co_ci_u32_e64 v15, s10, s33, v15, s10
	global_load_b32 v14, v[14:15], off
.LBB39_384:                             ;   in Loop: Header=BB39_382 Depth=2
	s_or_b32 exec_lo, exec_lo, s85
	s_and_saveexec_b32 s10, vcc_lo
	s_cbranch_execz .LBB39_381
; %bb.385:                              ;   in Loop: Header=BB39_382 Depth=2
	s_waitcnt vmcnt(0)
	v_xor_b32_e32 v2, 0x80000000, v14
	s_delay_alu instid0(VALU_DEP_1) | instskip(NEXT) | instid1(VALU_DEP_1)
	v_and_b32_e32 v2, v2, v28
	v_cmp_eq_u32_e32 vcc_lo, v2, v29
	s_and_b32 exec_lo, exec_lo, vcc_lo
	s_cbranch_execz .LBB39_381
; %bb.386:                              ;   in Loop: Header=BB39_382 Depth=2
	ds_store_b64 v9, v[13:14] offset:3072
	s_branch .LBB39_381
.LBB39_387:                             ;   in Loop: Header=BB39_15 Depth=1
	s_set_inst_prefetch_distance 0x2
	s_or_b32 exec_lo, exec_lo, s83
	s_delay_alu instid0(SALU_CYCLE_1)
	s_and_b32 s84, s84, exec_lo
.LBB39_388:                             ;   in Loop: Header=BB39_15 Depth=1
	s_or_b32 exec_lo, exec_lo, s82
	s_mov_b32 s82, 0
	s_mov_b32 s10, -1
	s_mov_b32 s83, 0
.LBB39_389:                             ;   in Loop: Header=BB39_15 Depth=1
	s_or_not1_b32 s84, s84, exec_lo
.LBB39_390:                             ;   in Loop: Header=BB39_15 Depth=1
	s_or_b32 exec_lo, exec_lo, s81
	s_mov_b32 s85, 0
                                        ; implicit-def: $vgpr1
                                        ; implicit-def: $vgpr2
	s_and_saveexec_b32 s81, s84
	s_cbranch_execz .LBB39_402
; %bb.391:                              ;   in Loop: Header=BB39_15 Depth=1
	v_dual_mov_b32 v1, 1 :: v_dual_mov_b32 v2, 1
	s_xor_b32 s84, s17, -1
	s_delay_alu instid0(SALU_CYCLE_1)
	s_and_saveexec_b32 s17, s84
	s_cbranch_execz .LBB39_401
; %bb.392:                              ;   in Loop: Header=BB39_15 Depth=1
	s_mov_b32 s84, exec_lo
                                        ; implicit-def: $sgpr85
	v_cmpx_ge_u32_e64 s12, v3
	s_xor_b32 s84, exec_lo, s84
	s_cbranch_execz .LBB39_398
; %bb.393:                              ;   in Loop: Header=BB39_15 Depth=1
	ds_load_b32 v1, v9 offset:4096
	s_waitcnt lgkmcnt(0)
	v_cmp_ne_u32_e32 vcc_lo, 0, v1
	s_cbranch_vccnz .LBB39_397
; %bb.394:                              ;   in Loop: Header=BB39_15 Depth=1
	s_and_saveexec_b32 s85, s5
	s_cbranch_execz .LBB39_396
; %bb.395:                              ;   in Loop: Header=BB39_15 Depth=1
	v_mov_b32_e32 v1, s12
	ds_store_b32 v9, v1 offset:4100
.LBB39_396:                             ;   in Loop: Header=BB39_15 Depth=1
	s_or_b32 exec_lo, exec_lo, s85
	s_waitcnt lgkmcnt(0)
	s_barrier
	buffer_gl0_inv
.LBB39_397:                             ;   in Loop: Header=BB39_15 Depth=1
	v_and_b32_e32 v29, s14, v29
	v_or_b32_e32 v28, s13, v28
	s_mov_b32 s85, 5
.LBB39_398:                             ;   in Loop: Header=BB39_15 Depth=1
	s_or_saveexec_b32 s13, s84
	v_mov_b32_e32 v1, s85
	s_xor_b32 exec_lo, exec_lo, s13
; %bb.399:                              ;   in Loop: Header=BB39_15 Depth=1
	v_subrev_nc_u32_e32 v3, s12, v3
	v_mov_b32_e32 v1, 5
; %bb.400:                              ;   in Loop: Header=BB39_15 Depth=1
	s_or_b32 exec_lo, exec_lo, s13
	s_delay_alu instid0(VALU_DEP_2)
	v_mov_b32_e32 v2, v3
.LBB39_401:                             ;   in Loop: Header=BB39_15 Depth=1
	s_or_b32 exec_lo, exec_lo, s17
	s_delay_alu instid0(SALU_CYCLE_1)
	s_mov_b32 s85, exec_lo
.LBB39_402:                             ;   in Loop: Header=BB39_15 Depth=1
	s_or_b32 exec_lo, exec_lo, s81
	s_delay_alu instid0(VALU_DEP_1)
	v_mov_b32_e32 v3, v2
	s_or_not1_b32 s17, s85, exec_lo
.LBB39_403:                             ;   in Loop: Header=BB39_15 Depth=1
	s_or_b32 exec_lo, exec_lo, s16
	s_delay_alu instid0(SALU_CYCLE_1)
	s_and_not1_b32 s12, s28, exec_lo
	s_and_b32 s10, s10, exec_lo
	s_and_not1_b32 s13, s79, exec_lo
	s_or_b32 s28, s12, s10
	s_and_not1_b32 s10, s29, exec_lo
	s_and_b32 s12, s82, exec_lo
	s_and_b32 s14, s83, exec_lo
	v_mov_b32_e32 v2, v3
	s_or_b32 s29, s10, s12
	s_or_b32 s79, s13, s14
	s_and_b32 s82, s17, exec_lo
.LBB39_404:                             ;   in Loop: Header=BB39_15 Depth=1
	s_or_b32 exec_lo, exec_lo, s80
	s_delay_alu instid0(SALU_CYCLE_1)
	s_and_b32 s80, s28, exec_lo
	s_and_b32 s29, s29, exec_lo
	;; [unrolled: 1-line block ×3, first 2 shown]
	s_or_not1_b32 s10, s82, exec_lo
.LBB39_405:                             ;   in Loop: Header=BB39_15 Depth=1
	s_or_b32 exec_lo, exec_lo, s18
	s_delay_alu instid0(SALU_CYCLE_1)
	s_and_not1_b32 s12, s22, exec_lo
	s_and_b32 s13, s80, exec_lo
	s_and_not1_b32 s14, s26, exec_lo
	s_or_b32 s22, s12, s13
	s_and_not1_b32 s12, s25, exec_lo
	s_and_b32 s13, s29, exec_lo
	s_and_b32 s16, s28, exec_lo
	v_mov_b32_e32 v31, v2
	s_or_b32 s25, s12, s13
	s_or_b32 s26, s14, s16
	s_and_b32 s29, s10, exec_lo
.LBB39_406:                             ;   in Loop: Header=BB39_15 Depth=1
	s_or_b32 exec_lo, exec_lo, s27
	s_delay_alu instid0(SALU_CYCLE_1)
	s_and_b32 s27, s22, exec_lo
	s_and_b32 s25, s25, exec_lo
	;; [unrolled: 1-line block ×3, first 2 shown]
	s_or_not1_b32 s26, s29, exec_lo
.LBB39_407:                             ;   in Loop: Header=BB39_15 Depth=1
	s_or_b32 exec_lo, exec_lo, s19
	s_mov_b32 s10, s20
	s_mov_b32 s12, s11
	s_and_saveexec_b32 s13, s26
; %bb.408:                              ;   in Loop: Header=BB39_15 Depth=1
	v_cmp_eq_u32_e32 vcc_lo, 5, v1
	v_cmp_ne_u32_e64 s10, 5, v1
	s_and_not1_b32 s12, s11, exec_lo
	s_and_not1_b32 s14, s20, exec_lo
	;; [unrolled: 1-line block ×3, first 2 shown]
	s_and_b32 s16, vcc_lo, exec_lo
	s_and_b32 s10, s10, exec_lo
	s_and_not1_b32 s25, s25, exec_lo
	s_and_not1_b32 s22, s22, exec_lo
	s_or_b32 s12, s12, s10
	s_or_b32 s10, s14, s16
; %bb.409:                              ;   in Loop: Header=BB39_15 Depth=1
	s_or_b32 exec_lo, exec_lo, s13
	s_delay_alu instid0(SALU_CYCLE_1)
	s_and_not1_b32 s13, s23, exec_lo
	s_and_b32 s14, s27, exec_lo
	v_dual_mov_b32 v3, v29 :: v_dual_mov_b32 v4, v28
	s_or_b32 s23, s13, s14
	s_and_not1_b32 s13, s24, exec_lo
	s_and_b32 s14, s25, exec_lo
	v_mov_b32_e32 v2, v15
	s_and_not1_b32 s15, s15, exec_lo
	s_and_b32 s16, s22, exec_lo
	s_or_b32 s24, s13, s14
	s_and_not1_b32 s11, s11, exec_lo
	s_and_b32 s12, s12, exec_lo
	s_and_not1_b32 s13, s20, exec_lo
	s_and_b32 s10, s10, exec_lo
	s_or_b32 s15, s15, s16
	s_or_b32 s11, s11, s12
	;; [unrolled: 1-line block ×3, first 2 shown]
.LBB39_410:                             ;   in Loop: Header=BB39_15 Depth=1
	s_or_b32 exec_lo, exec_lo, s21
	s_mov_b32 s22, s15
	s_mov_b32 s21, s15
	s_and_saveexec_b32 s10, s20
.LBB39_411:                             ;   in Loop: Header=BB39_15 Depth=1
	v_mov_b32_e32 v1, 0
	s_and_not1_b32 s15, s15, exec_lo
	s_and_not1_b32 s23, s23, exec_lo
	;; [unrolled: 1-line block ×5, first 2 shown]
	s_or_b32 s11, s11, exec_lo
.LBB39_412:                             ;   in Loop: Header=BB39_15 Depth=1
	s_or_b32 exec_lo, exec_lo, s10
	s_delay_alu instid0(SALU_CYCLE_1)
	s_and_not1_b32 s10, s78, exec_lo
	s_and_b32 s13, s15, exec_lo
	s_and_not1_b32 s14, s75, exec_lo
	s_or_b32 s78, s10, s13
	s_and_not1_b32 s10, s77, exec_lo
	s_and_b32 s13, s23, exec_lo
	s_and_b32 s15, s24, exec_lo
	s_or_b32 s77, s10, s13
	s_or_b32 s75, s14, s15
	s_and_not1_b32 s10, s76, exec_lo
	s_and_b32 s13, s22, exec_lo
	s_and_not1_b32 s14, s74, exec_lo
	s_and_b32 s15, s21, exec_lo
	s_mov_b32 s12, -1
	s_or_b32 s76, s10, s13
	s_or_b32 s74, s14, s15
                                        ; implicit-def: $vgpr28
                                        ; implicit-def: $vgpr29
                                        ; implicit-def: $vgpr30
                                        ; implicit-def: $vgpr15
	s_and_saveexec_b32 s10, s11
	s_delay_alu instid0(SALU_CYCLE_1)
	s_xor_b32 s10, exec_lo, s10
	s_cbranch_execz .LBB39_14
; %bb.413:                              ;   in Loop: Header=BB39_15 Depth=1
	s_mov_b32 s11, -1
	s_mov_b32 s13, exec_lo
	v_cmpx_eq_u32_e32 0, v1
	s_cbranch_execz .LBB39_13
; %bb.414:                              ;   in Loop: Header=BB39_15 Depth=1
	s_xor_b32 s68, s68, 1
	s_add_i32 s14, s73, -2
	s_cmp_eq_u32 s73, 0
	s_mov_b32 s73, s14
	s_cselect_b32 s11, -1, 0
	s_xor_b32 s12, exec_lo, -1
	s_or_not1_b32 s11, s11, exec_lo
	s_branch .LBB39_13
.LBB39_415:
	s_or_b32 exec_lo, exec_lo, s47
	s_xor_b32 s9, s72, -1
	s_xor_b32 s12, s70, -1
	;; [unrolled: 1-line block ×5, first 2 shown]
	s_mov_b32 s7, 0
	s_and_saveexec_b32 s8, s6
	s_delay_alu instid0(SALU_CYCLE_1)
	s_xor_b32 s6, exec_lo, s8
	s_cbranch_execz .LBB39_472
; %bb.416:
	s_mov_b32 s8, 0
	s_and_saveexec_b32 s7, s11
	s_delay_alu instid0(SALU_CYCLE_1)
	s_xor_b32 s7, exec_lo, s7
	s_cbranch_execz .LBB39_470
; %bb.417:
	;; [unrolled: 6-line block ×3, first 2 shown]
	s_and_saveexec_b32 s12, s9
	s_delay_alu instid0(SALU_CYCLE_1)
	s_xor_b32 s9, exec_lo, s12
	s_cbranch_execz .LBB39_466
; %bb.419:
	s_and_saveexec_b32 s11, s10
	s_delay_alu instid0(SALU_CYCLE_1)
	s_xor_b32 s10, exec_lo, s11
; %bb.420:
	v_xor_b32_e32 v2, 0x80000000, v3
; %bb.421:
	s_or_b32 exec_lo, exec_lo, s10
	s_and_saveexec_b32 s10, s5
	s_cbranch_execz .LBB39_423
; %bb.422:
	v_mov_b32_e32 v1, 0
	ds_store_b32 v1, v1 offset:4108
.LBB39_423:
	s_or_b32 exec_lo, exec_lo, s10
	v_mov_b32_e32 v1, 0
	s_waitcnt lgkmcnt(0)
	s_barrier
	buffer_gl0_inv
	s_and_saveexec_b32 s5, s4
	s_cbranch_execz .LBB39_425
; %bb.424:
	global_load_b32 v1, v[5:6], off
.LBB39_425:
	s_or_b32 exec_lo, exec_lo, s5
	s_clause 0x1
	s_load_b32 s5, s[0:1], 0x1c8
	s_load_b32 s10, s[0:1], 0x2a8
	v_add_nc_u32_e32 v4, s34, v0
	s_mul_i32 s12, s50, s49
	s_mov_b32 s1, 0
	s_add_i32 s0, s12, s35
	s_mul_i32 s12, s46, s48
	s_add_i32 s11, s36, 31
	s_add_i32 s14, s12, s41
	s_lshl_b64 s[12:13], s[0:1], 2
	v_mul_lo_u32 v3, s30, v4
	s_and_not1_b32 s11, s11, 31
	s_mov_b32 s15, s1
	s_add_u32 s12, s44, s12
	s_addc_u32 s13, s45, s13
	s_lshl_b64 s[14:15], s[14:15], 3
	s_mov_b32 s0, -1
	s_add_u32 s14, s42, s14
	s_addc_u32 s15, s43, s15
	s_mov_b32 s16, 0
	s_mov_b32 s17, exec_lo
	v_cmpx_gt_u32_e64 s11, v0
	s_cbranch_execz .LBB39_441
; %bb.426:
	v_mul_lo_u32 v7, s30, v4
	v_xor_b32_e32 v4, 0x80000000, v2
	v_dual_mov_b32 v8, 0 :: v_dual_mov_b32 v9, v0
                                        ; implicit-def: $sgpr18
                                        ; implicit-def: $vgpr12
	s_branch .LBB39_428
.LBB39_427:                             ;   in Loop: Header=BB39_428 Depth=1
	s_or_b32 exec_lo, exec_lo, s19
	s_xor_b32 s19, s21, -1
	s_and_b32 s0, exec_lo, s0
	v_mov_b32_e32 v1, v13
	s_or_b32 s16, s0, s16
	v_mov_b32_e32 v9, v11
	s_and_not1_b32 s0, s18, exec_lo
	s_and_b32 s18, s19, exec_lo
	s_delay_alu instid0(SALU_CYCLE_1)
	s_or_b32 s18, s0, s18
	s_and_not1_b32 exec_lo, exec_lo, s16
	s_cbranch_execz .LBB39_440
.LBB39_428:                             ; =>This Inner Loop Header: Depth=1
	s_delay_alu instid0(VALU_DEP_1) | instskip(SKIP_2) | instid1(VALU_DEP_2)
	v_add_nc_u32_e32 v11, s34, v9
	v_mov_b32_e32 v13, 0
	s_mov_b32 s0, exec_lo
	v_cmpx_gt_u32_e64 s36, v11
	s_cbranch_execz .LBB39_430
; %bb.429:                              ;   in Loop: Header=BB39_428 Depth=1
	v_lshlrev_b64 v[13:14], 2, v[7:8]
	s_delay_alu instid0(VALU_DEP_1) | instskip(NEXT) | instid1(VALU_DEP_2)
	v_add_co_u32 v13, vcc_lo, s31, v13
	v_add_co_ci_u32_e32 v14, vcc_lo, s33, v14, vcc_lo
	global_load_b32 v13, v[13:14], off
.LBB39_430:                             ;   in Loop: Header=BB39_428 Depth=1
	s_or_b32 exec_lo, exec_lo, s0
	s_waitcnt vmcnt(0)
	v_xor_b32_e32 v10, 0x80000000, v1
	s_delay_alu instid0(VALU_DEP_1) | instskip(SKIP_4) | instid1(VALU_DEP_2)
	v_cmp_gt_u32_e32 vcc_lo, v10, v4
	v_cndmask_b32_e64 v14, 0, 1, vcc_lo
	v_cmp_lt_u32_e32 vcc_lo, v10, v4
	v_cndmask_b32_e64 v10, 0, 1, vcc_lo
	v_cmp_gt_u32_e32 vcc_lo, s36, v9
	v_cndmask_b32_e64 v10, v10, v14, s3
	s_delay_alu instid0(VALU_DEP_1) | instskip(NEXT) | instid1(VALU_DEP_1)
	v_and_b32_e32 v10, 1, v10
	v_cmp_eq_u32_e64 s0, 1, v10
	s_delay_alu instid0(VALU_DEP_1) | instskip(NEXT) | instid1(SALU_CYCLE_1)
	s_and_b32 s20, vcc_lo, s0
	v_cndmask_b32_e64 v10, 0, 1, s20
	s_delay_alu instid0(VALU_DEP_1) | instskip(SKIP_2) | instid1(SALU_CYCLE_1)
	v_cmp_ne_u32_e32 vcc_lo, 0, v10
	s_cmp_lg_u32 vcc_lo, 0
	s_cselect_b32 s0, -1, 0
	s_and_b32 s0, s2, s0
	s_delay_alu instid0(SALU_CYCLE_1)
	s_and_saveexec_b32 s19, s0
	s_cbranch_execz .LBB39_434
; %bb.431:                              ;   in Loop: Header=BB39_428 Depth=1
	s_mov_b32 s23, exec_lo
	s_bcnt1_i32_b32 s21, vcc_lo
	v_mbcnt_lo_u32_b32 v10, s23, 0
	s_mov_b32 s22, exec_lo
                                        ; implicit-def: $vgpr12
	s_delay_alu instid0(VALU_DEP_1)
	v_cmpx_eq_u32_e32 0, v10
	s_cbranch_execz .LBB39_433
; %bb.432:                              ;   in Loop: Header=BB39_428 Depth=1
	s_bcnt1_i32_b32 s0, s23
	s_delay_alu instid0(SALU_CYCLE_1)
	s_mul_i32 s0, s21, s0
	s_waitcnt lgkmcnt(0)
	v_mov_b32_e32 v12, s0
	ds_add_rtn_u32 v12, v8, v12 offset:4108
.LBB39_433:                             ;   in Loop: Header=BB39_428 Depth=1
	s_or_b32 exec_lo, exec_lo, s22
	s_waitcnt lgkmcnt(0)
	v_readfirstlane_b32 s0, v12
	s_delay_alu instid0(VALU_DEP_1)
	v_mad_u32_u24 v12, s21, v10, s0
.LBB39_434:                             ;   in Loop: Header=BB39_428 Depth=1
	s_or_b32 exec_lo, exec_lo, s19
	s_waitcnt lgkmcnt(0)
	ds_bpermute_b32 v12, v8, v12
	s_mov_b32 s0, -1
	s_mov_b32 s22, -1
                                        ; implicit-def: $sgpr21
	s_and_saveexec_b32 s19, s20
	s_cbranch_execz .LBB39_438
; %bb.435:                              ;   in Loop: Header=BB39_428 Depth=1
	v_and_b32_e32 v10, vcc_lo, v16
	s_mov_b32 s20, 0
	s_mov_b32 s21, exec_lo
	s_waitcnt lgkmcnt(0)
	s_delay_alu instid0(VALU_DEP_1) | instskip(NEXT) | instid1(VALU_DEP_1)
	v_bcnt_u32_b32 v10, v10, v12
	v_cmpx_gt_u32_e64 s37, v10
	s_cbranch_execz .LBB39_437
; %bb.436:                              ;   in Loop: Header=BB39_428 Depth=1
	v_mul_lo_u32 v14, v10, s5
	v_mov_b32_e32 v15, v8
	v_mul_lo_u32 v17, v10, s10
	v_mov_b32_e32 v18, v8
	v_mov_b32_e32 v10, v8
	s_mov_b32 s20, exec_lo
	v_lshlrev_b64 v[14:15], 2, v[14:15]
	s_delay_alu instid0(VALU_DEP_3) | instskip(NEXT) | instid1(VALU_DEP_2)
	v_lshlrev_b64 v[17:18], 3, v[17:18]
	v_add_co_u32 v14, vcc_lo, s12, v14
	s_delay_alu instid0(VALU_DEP_3) | instskip(NEXT) | instid1(VALU_DEP_3)
	v_add_co_ci_u32_e32 v15, vcc_lo, s13, v15, vcc_lo
	v_add_co_u32 v17, vcc_lo, s14, v17
	s_delay_alu instid0(VALU_DEP_4)
	v_add_co_ci_u32_e32 v18, vcc_lo, s15, v18, vcc_lo
	global_store_b32 v[14:15], v1, off
	global_store_b64 v[17:18], v[9:10], off
.LBB39_437:                             ;   in Loop: Header=BB39_428 Depth=1
	s_or_b32 exec_lo, exec_lo, s21
	s_mov_b32 s21, -1
	s_or_not1_b32 s22, s20, exec_lo
.LBB39_438:                             ;   in Loop: Header=BB39_428 Depth=1
	s_or_b32 exec_lo, exec_lo, s19
	s_and_saveexec_b32 s19, s22
	s_cbranch_execz .LBB39_427
; %bb.439:                              ;   in Loop: Header=BB39_428 Depth=1
	v_cmp_le_u32_e32 vcc_lo, s11, v11
	v_add_nc_u32_e32 v7, s40, v7
	s_and_not1_b32 s21, s21, exec_lo
	s_or_not1_b32 s0, vcc_lo, exec_lo
	s_branch .LBB39_427
.LBB39_440:
	s_or_b32 exec_lo, exec_lo, s16
	s_delay_alu instid0(SALU_CYCLE_1)
	s_mov_b32 s16, exec_lo
	s_or_not1_b32 s0, s18, exec_lo
.LBB39_441:
	s_or_b32 exec_lo, exec_lo, s17
	s_and_saveexec_b32 s3, s0
	s_cbranch_execz .LBB39_464
; %bb.442:
	s_waitcnt vmcnt(0)
	v_dual_mov_b32 v4, 0 :: v_dual_mov_b32 v1, 0
	s_waitcnt lgkmcnt(0)
	s_waitcnt_vscnt null, 0x0
	s_barrier
	buffer_gl0_inv
	s_and_saveexec_b32 s0, s4
	s_cbranch_execz .LBB39_444
; %bb.443:
	global_load_b32 v1, v[5:6], off
.LBB39_444:
	s_or_b32 exec_lo, exec_lo, s0
	s_mov_b32 s4, 0
                                        ; implicit-def: $sgpr1
                                        ; implicit-def: $sgpr17
                                        ; implicit-def: $sgpr18
                                        ; implicit-def: $vgpr5
	s_branch .LBB39_447
.LBB39_445:                             ;   in Loop: Header=BB39_447 Depth=1
	s_or_b32 exec_lo, exec_lo, s21
	v_mov_b32_e32 v0, v6
	s_and_not1_b32 s0, s18, exec_lo
	s_and_b32 s18, s23, exec_lo
	s_and_not1_b32 s17, s17, exec_lo
	s_and_b32 s20, s20, exec_lo
	s_or_b32 s18, s0, s18
	s_or_b32 s17, s17, s20
.LBB39_446:                             ;   in Loop: Header=BB39_447 Depth=1
	s_or_b32 exec_lo, exec_lo, s19
	s_xor_b32 s0, s18, -1
	s_and_b32 s19, exec_lo, s17
	s_delay_alu instid0(SALU_CYCLE_1) | instskip(SKIP_2) | instid1(SALU_CYCLE_1)
	s_or_b32 s4, s19, s4
	s_and_not1_b32 s1, s1, exec_lo
	s_and_b32 s0, s0, exec_lo
	s_or_b32 s1, s1, s0
	s_and_not1_b32 exec_lo, exec_lo, s4
	s_cbranch_execz .LBB39_462
.LBB39_447:                             ; =>This Inner Loop Header: Depth=1
	s_or_b32 s18, s18, exec_lo
	s_or_b32 s17, s17, exec_lo
	s_mov_b32 s19, exec_lo
	v_cmpx_gt_u32_e64 s11, v0
	s_cbranch_execz .LBB39_446
; %bb.448:                              ;   in Loop: Header=BB39_447 Depth=1
	v_dual_mov_b32 v7, 0 :: v_dual_add_nc_u32 v6, s34, v0
	s_mov_b32 s0, exec_lo
	s_delay_alu instid0(VALU_DEP_1)
	v_cmpx_gt_u32_e64 s36, v6
	s_cbranch_execz .LBB39_450
; %bb.449:                              ;   in Loop: Header=BB39_447 Depth=1
	v_lshlrev_b64 v[7:8], 2, v[3:4]
	s_delay_alu instid0(VALU_DEP_1) | instskip(NEXT) | instid1(VALU_DEP_2)
	v_add_co_u32 v7, vcc_lo, s31, v7
	v_add_co_ci_u32_e32 v8, vcc_lo, s33, v8, vcc_lo
	global_load_b32 v7, v[7:8], off
.LBB39_450:                             ;   in Loop: Header=BB39_447 Depth=1
	s_or_b32 exec_lo, exec_lo, s0
	v_cmp_gt_u32_e32 vcc_lo, s36, v0
	s_waitcnt vmcnt(0)
	v_cmp_eq_u32_e64 s0, v1, v2
	s_delay_alu instid0(VALU_DEP_1) | instskip(NEXT) | instid1(SALU_CYCLE_1)
	s_and_b32 s21, vcc_lo, s0
	v_cndmask_b32_e64 v8, 0, 1, s21
	s_delay_alu instid0(VALU_DEP_1) | instskip(SKIP_2) | instid1(SALU_CYCLE_1)
	v_cmp_ne_u32_e32 vcc_lo, 0, v8
	s_cmp_lg_u32 vcc_lo, 0
	s_cselect_b32 s0, -1, 0
	s_and_b32 s0, s2, s0
	s_delay_alu instid0(SALU_CYCLE_1)
	s_and_saveexec_b32 s20, s0
	s_cbranch_execz .LBB39_454
; %bb.451:                              ;   in Loop: Header=BB39_447 Depth=1
	s_mov_b32 s24, exec_lo
	s_bcnt1_i32_b32 s22, vcc_lo
	v_mbcnt_lo_u32_b32 v5, s24, 0
	s_mov_b32 s23, exec_lo
                                        ; implicit-def: $vgpr8
	s_delay_alu instid0(VALU_DEP_1)
	v_cmpx_eq_u32_e32 0, v5
	s_cbranch_execz .LBB39_453
; %bb.452:                              ;   in Loop: Header=BB39_447 Depth=1
	s_bcnt1_i32_b32 s0, s24
	s_delay_alu instid0(SALU_CYCLE_1) | instskip(NEXT) | instid1(SALU_CYCLE_1)
	s_mul_i32 s0, s22, s0
	v_mov_b32_e32 v8, s0
	ds_add_rtn_u32 v8, v4, v8 offset:4108
.LBB39_453:                             ;   in Loop: Header=BB39_447 Depth=1
	s_or_b32 exec_lo, exec_lo, s23
	s_waitcnt lgkmcnt(0)
	v_readfirstlane_b32 s0, v8
	s_delay_alu instid0(VALU_DEP_1)
	v_mad_u32_u24 v5, s22, v5, s0
.LBB39_454:                             ;   in Loop: Header=BB39_447 Depth=1
	s_or_b32 exec_lo, exec_lo, s20
	ds_bpermute_b32 v5, v4, v5
	s_cmp_eq_u32 vcc_lo, 0
	s_mov_b32 s20, -1
	s_cselect_b32 s22, -1, 0
	s_mov_b32 s23, -1
	s_waitcnt lgkmcnt(0)
	v_cmp_gt_u32_e64 s0, s37, v5
	s_delay_alu instid0(VALU_DEP_1) | instskip(SKIP_3) | instid1(SALU_CYCLE_1)
	s_or_b32 s0, s22, s0
	s_mov_b32 s22, -1
	v_cndmask_b32_e64 v1, v1, v7, s0
	s_and_b32 s24, s21, s0
	s_and_saveexec_b32 s21, s24
	s_cbranch_execz .LBB39_460
; %bb.455:                              ;   in Loop: Header=BB39_447 Depth=1
	v_and_b32_e32 v1, vcc_lo, v16
	v_sub_nc_u32_e32 v8, s37, v5
	s_mov_b32 s24, -1
	s_mov_b32 s23, exec_lo
	s_delay_alu instid0(VALU_DEP_2) | instskip(NEXT) | instid1(VALU_DEP_1)
	v_bcnt_u32_b32 v1, v1, 0
	v_cmp_le_u32_e64 s22, v8, v1
	v_cmpx_gt_u32_e64 v8, v1
	s_cbranch_execz .LBB39_459
; %bb.456:                              ;   in Loop: Header=BB39_447 Depth=1
	v_add_nc_u32_e32 v1, v5, v1
	s_delay_alu instid0(VALU_DEP_3) | instskip(SKIP_1) | instid1(VALU_DEP_1)
	s_mov_b32 s25, s22
	s_mov_b32 s24, exec_lo
	v_cmpx_gt_u32_e64 s37, v1
	s_cbranch_execz .LBB39_458
; %bb.457:                              ;   in Loop: Header=BB39_447 Depth=1
	v_mul_lo_u32 v8, v1, s5
	v_mov_b32_e32 v9, v4
	v_mul_lo_u32 v10, v1, s10
	v_mov_b32_e32 v11, v4
	v_mov_b32_e32 v1, v4
	s_or_b32 s25, s22, exec_lo
	v_lshlrev_b64 v[8:9], 2, v[8:9]
	s_delay_alu instid0(VALU_DEP_3) | instskip(NEXT) | instid1(VALU_DEP_2)
	v_lshlrev_b64 v[10:11], 3, v[10:11]
	v_add_co_u32 v8, vcc_lo, s12, v8
	s_delay_alu instid0(VALU_DEP_3) | instskip(NEXT) | instid1(VALU_DEP_3)
	v_add_co_ci_u32_e32 v9, vcc_lo, s13, v9, vcc_lo
	v_add_co_u32 v10, vcc_lo, s14, v10
	s_delay_alu instid0(VALU_DEP_4)
	v_add_co_ci_u32_e32 v11, vcc_lo, s15, v11, vcc_lo
	global_store_b32 v[8:9], v2, off
	global_store_b64 v[10:11], v[0:1], off
.LBB39_458:                             ;   in Loop: Header=BB39_447 Depth=1
	s_or_b32 exec_lo, exec_lo, s24
	s_delay_alu instid0(SALU_CYCLE_1)
	s_and_not1_b32 s22, s22, exec_lo
	s_and_b32 s25, s25, exec_lo
	s_xor_b32 s24, exec_lo, -1
	s_or_b32 s22, s22, s25
.LBB39_459:                             ;   in Loop: Header=BB39_447 Depth=1
	s_or_b32 exec_lo, exec_lo, s23
	v_mov_b32_e32 v1, v7
	s_or_not1_b32 s23, s24, exec_lo
	s_or_b32 s0, s0, exec_lo
	s_or_not1_b32 s22, s22, exec_lo
.LBB39_460:                             ;   in Loop: Header=BB39_447 Depth=1
	s_or_b32 exec_lo, exec_lo, s21
	s_and_saveexec_b32 s21, s22
	s_cbranch_execz .LBB39_445
; %bb.461:                              ;   in Loop: Header=BB39_447 Depth=1
	v_add_nc_u32_e32 v3, s40, v3
	s_xor_b32 s0, s0, -1
	s_or_b32 s23, s23, exec_lo
	s_or_not1_b32 s20, s0, exec_lo
	s_branch .LBB39_445
.LBB39_462:
	s_or_b32 exec_lo, exec_lo, s4
	s_mov_b32 s0, 0
	s_and_saveexec_b32 s2, s1
	s_delay_alu instid0(SALU_CYCLE_1)
	s_xor_b32 s1, exec_lo, s2
	s_cbranch_execnz .LBB39_494
.LBB39_463:
	s_or_b32 exec_lo, exec_lo, s1
	s_delay_alu instid0(SALU_CYCLE_1)
	s_and_b32 s1, s0, exec_lo
	s_and_not1_b32 s16, s16, exec_lo
.LBB39_464:
	s_or_b32 exec_lo, exec_lo, s3
	s_and_saveexec_b32 s0, s16
	s_delay_alu instid0(SALU_CYCLE_1)
	s_xor_b32 s0, exec_lo, s0
	s_cbranch_execnz .LBB39_490
.LBB39_465:
	s_or_b32 exec_lo, exec_lo, s0
	s_delay_alu instid0(SALU_CYCLE_1)
	s_and_b32 s11, s1, exec_lo
.LBB39_466:
	s_and_not1_saveexec_b32 s0, s9
	s_cbranch_execnz .LBB39_486
.LBB39_467:
	s_or_b32 exec_lo, exec_lo, s0
	s_delay_alu instid0(SALU_CYCLE_1)
	s_and_b32 s11, s11, exec_lo
.LBB39_468:
	s_and_not1_saveexec_b32 s0, s8
	s_cbranch_execnz .LBB39_482
.LBB39_469:
	s_or_b32 exec_lo, exec_lo, s0
	s_delay_alu instid0(SALU_CYCLE_1)
	s_and_b32 s8, s11, exec_lo
.LBB39_470:
	s_and_not1_saveexec_b32 s0, s7
	s_cbranch_execnz .LBB39_478
.LBB39_471:
	s_or_b32 exec_lo, exec_lo, s0
	s_delay_alu instid0(SALU_CYCLE_1)
	s_and_b32 s7, s8, exec_lo
.LBB39_472:
	s_and_not1_saveexec_b32 s0, s6
	s_cbranch_execnz .LBB39_476
; %bb.473:
	s_or_b32 exec_lo, exec_lo, s0
	s_and_saveexec_b32 s0, s7
.LBB39_474:
	; divergent unreachable
.LBB39_475:
	s_nop 0
	s_sendmsg sendmsg(MSG_DEALLOC_VGPRS)
	s_endpgm
.LBB39_476:
	s_cbranch_execnz .LBB39_480
; %bb.477:
	s_or_b32 s7, s7, exec_lo
	s_or_b32 exec_lo, exec_lo, s0
	s_and_saveexec_b32 s0, s7
	s_cbranch_execnz .LBB39_474
	s_branch .LBB39_475
.LBB39_478:
	s_cbranch_execnz .LBB39_484
; %bb.479:
	s_or_b32 s8, s8, exec_lo
	s_branch .LBB39_471
.LBB39_480:
	s_trap 2
	s_sendmsg_rtn_b32 s0, sendmsg(MSG_RTN_GET_DOORBELL)
	s_mov_b32 ttmp2, m0
	s_waitcnt lgkmcnt(0)
	s_and_b32 s0, s0, 0x3ff
	s_delay_alu instid0(SALU_CYCLE_1) | instskip(NEXT) | instid1(SALU_CYCLE_1)
	s_bitset1_b32 s0, 10
	s_mov_b32 m0, s0
	s_sendmsg sendmsg(MSG_INTERRUPT)
	s_mov_b32 m0, ttmp2
.LBB39_481:                             ; =>This Inner Loop Header: Depth=1
	s_sethalt 5
	s_branch .LBB39_481
.LBB39_482:
	s_cbranch_execnz .LBB39_488
; %bb.483:
	s_or_b32 s11, s11, exec_lo
	s_branch .LBB39_469
.LBB39_484:
	s_trap 2
	s_sendmsg_rtn_b32 s0, sendmsg(MSG_RTN_GET_DOORBELL)
	s_mov_b32 ttmp2, m0
	s_waitcnt lgkmcnt(0)
	s_and_b32 s0, s0, 0x3ff
	s_delay_alu instid0(SALU_CYCLE_1) | instskip(NEXT) | instid1(SALU_CYCLE_1)
	s_bitset1_b32 s0, 10
	s_mov_b32 m0, s0
	s_sendmsg sendmsg(MSG_INTERRUPT)
	s_mov_b32 m0, ttmp2
.LBB39_485:                             ; =>This Inner Loop Header: Depth=1
	s_sethalt 5
	s_branch .LBB39_485
.LBB39_486:
	s_cbranch_execnz .LBB39_492
; %bb.487:
	s_or_b32 s11, s11, exec_lo
	s_branch .LBB39_467
.LBB39_488:
	s_trap 2
	s_sendmsg_rtn_b32 s0, sendmsg(MSG_RTN_GET_DOORBELL)
	s_mov_b32 ttmp2, m0
	s_waitcnt lgkmcnt(0)
	s_and_b32 s0, s0, 0x3ff
	s_delay_alu instid0(SALU_CYCLE_1) | instskip(NEXT) | instid1(SALU_CYCLE_1)
	s_bitset1_b32 s0, 10
	s_mov_b32 m0, s0
	s_sendmsg sendmsg(MSG_INTERRUPT)
	s_mov_b32 m0, ttmp2
.LBB39_489:                             ; =>This Inner Loop Header: Depth=1
	s_sethalt 5
	s_branch .LBB39_489
.LBB39_490:
	s_cbranch_execnz .LBB39_496
; %bb.491:
	s_or_b32 s1, s1, exec_lo
	s_branch .LBB39_465
.LBB39_492:
	s_trap 2
	s_sendmsg_rtn_b32 s0, sendmsg(MSG_RTN_GET_DOORBELL)
	s_mov_b32 ttmp2, m0
	s_waitcnt lgkmcnt(0)
	s_and_b32 s0, s0, 0x3ff
	s_delay_alu instid0(SALU_CYCLE_1) | instskip(NEXT) | instid1(SALU_CYCLE_1)
	s_bitset1_b32 s0, 10
	s_mov_b32 m0, s0
	s_sendmsg sendmsg(MSG_INTERRUPT)
	s_mov_b32 m0, ttmp2
.LBB39_493:                             ; =>This Inner Loop Header: Depth=1
	s_sethalt 5
	s_branch .LBB39_493
.LBB39_494:
	s_cbranch_execnz .LBB39_498
; %bb.495:
	s_mov_b32 s0, exec_lo
	s_branch .LBB39_463
.LBB39_496:
	s_trap 2
	s_sendmsg_rtn_b32 s0, sendmsg(MSG_RTN_GET_DOORBELL)
	s_mov_b32 ttmp2, m0
	s_waitcnt lgkmcnt(0)
	s_and_b32 s0, s0, 0x3ff
	s_delay_alu instid0(SALU_CYCLE_1) | instskip(NEXT) | instid1(SALU_CYCLE_1)
	s_bitset1_b32 s0, 10
	s_mov_b32 m0, s0
	s_sendmsg sendmsg(MSG_INTERRUPT)
	s_mov_b32 m0, ttmp2
.LBB39_497:                             ; =>This Inner Loop Header: Depth=1
	s_sethalt 5
	s_branch .LBB39_497
.LBB39_498:
	s_trap 2
	s_sendmsg_rtn_b32 s0, sendmsg(MSG_RTN_GET_DOORBELL)
	s_mov_b32 ttmp2, m0
	s_waitcnt lgkmcnt(0)
	s_and_b32 s0, s0, 0x3ff
	s_delay_alu instid0(SALU_CYCLE_1) | instskip(NEXT) | instid1(SALU_CYCLE_1)
	s_bitset1_b32 s0, 10
	s_mov_b32 m0, s0
	s_sendmsg sendmsg(MSG_INTERRUPT)
	s_mov_b32 m0, ttmp2
.LBB39_499:                             ; =>This Inner Loop Header: Depth=1
	s_sethalt 5
	s_branch .LBB39_499
	.section	.rodata,"a",@progbits
	.p2align	6, 0x0
	.amdhsa_kernel _ZN2at6native6sbtopk10gatherTopKIijLin1ELb0EEEvNS_4cuda6detail10TensorInfoIKT_T0_EES8_S8_bS8_S8_NS5_IS6_S8_EES8_NS5_IlS8_EES8_PS6_
		.amdhsa_group_segment_fixed_size 4112
		.amdhsa_private_segment_fixed_size 0
		.amdhsa_kernarg_size 952
		.amdhsa_user_sgpr_count 13
		.amdhsa_user_sgpr_dispatch_ptr 0
		.amdhsa_user_sgpr_queue_ptr 0
		.amdhsa_user_sgpr_kernarg_segment_ptr 1
		.amdhsa_user_sgpr_dispatch_id 0
		.amdhsa_user_sgpr_private_segment_size 0
		.amdhsa_wavefront_size32 1
		.amdhsa_uses_dynamic_stack 0
		.amdhsa_enable_private_segment 0
		.amdhsa_system_sgpr_workgroup_id_x 1
		.amdhsa_system_sgpr_workgroup_id_y 1
		.amdhsa_system_sgpr_workgroup_id_z 1
		.amdhsa_system_sgpr_workgroup_info 0
		.amdhsa_system_vgpr_workitem_id 0
		.amdhsa_next_free_vgpr 43
		.amdhsa_next_free_sgpr 92
		.amdhsa_reserve_vcc 1
		.amdhsa_float_round_mode_32 0
		.amdhsa_float_round_mode_16_64 0
		.amdhsa_float_denorm_mode_32 3
		.amdhsa_float_denorm_mode_16_64 3
		.amdhsa_dx10_clamp 1
		.amdhsa_ieee_mode 1
		.amdhsa_fp16_overflow 0
		.amdhsa_workgroup_processor_mode 1
		.amdhsa_memory_ordered 1
		.amdhsa_forward_progress 0
		.amdhsa_shared_vgpr_count 0
		.amdhsa_exception_fp_ieee_invalid_op 0
		.amdhsa_exception_fp_denorm_src 0
		.amdhsa_exception_fp_ieee_div_zero 0
		.amdhsa_exception_fp_ieee_overflow 0
		.amdhsa_exception_fp_ieee_underflow 0
		.amdhsa_exception_fp_ieee_inexact 0
		.amdhsa_exception_int_div_zero 0
	.end_amdhsa_kernel
	.section	.text._ZN2at6native6sbtopk10gatherTopKIijLin1ELb0EEEvNS_4cuda6detail10TensorInfoIKT_T0_EES8_S8_bS8_S8_NS5_IS6_S8_EES8_NS5_IlS8_EES8_PS6_,"axG",@progbits,_ZN2at6native6sbtopk10gatherTopKIijLin1ELb0EEEvNS_4cuda6detail10TensorInfoIKT_T0_EES8_S8_bS8_S8_NS5_IS6_S8_EES8_NS5_IlS8_EES8_PS6_,comdat
.Lfunc_end39:
	.size	_ZN2at6native6sbtopk10gatherTopKIijLin1ELb0EEEvNS_4cuda6detail10TensorInfoIKT_T0_EES8_S8_bS8_S8_NS5_IS6_S8_EES8_NS5_IlS8_EES8_PS6_, .Lfunc_end39-_ZN2at6native6sbtopk10gatherTopKIijLin1ELb0EEEvNS_4cuda6detail10TensorInfoIKT_T0_EES8_S8_bS8_S8_NS5_IS6_S8_EES8_NS5_IlS8_EES8_PS6_
                                        ; -- End function
	.section	.AMDGPU.csdata,"",@progbits
; Kernel info:
; codeLenInByte = 16048
; NumSgprs: 94
; NumVgprs: 43
; ScratchSize: 0
; MemoryBound: 0
; FloatMode: 240
; IeeeMode: 1
; LDSByteSize: 4112 bytes/workgroup (compile time only)
; SGPRBlocks: 11
; VGPRBlocks: 5
; NumSGPRsForWavesPerEU: 94
; NumVGPRsForWavesPerEU: 43
; Occupancy: 16
; WaveLimiterHint : 1
; COMPUTE_PGM_RSRC2:SCRATCH_EN: 0
; COMPUTE_PGM_RSRC2:USER_SGPR: 13
; COMPUTE_PGM_RSRC2:TRAP_HANDLER: 0
; COMPUTE_PGM_RSRC2:TGID_X_EN: 1
; COMPUTE_PGM_RSRC2:TGID_Y_EN: 1
; COMPUTE_PGM_RSRC2:TGID_Z_EN: 1
; COMPUTE_PGM_RSRC2:TIDIG_COMP_CNT: 0
	.section	.text._ZN2at6native6mbtopk23computeBlockDigitCountsIljmLi1EEEvNS_4cuda6detail10TensorInfoIKT_T0_EEjPjjS8_iijT1_PSB_Ps,"axG",@progbits,_ZN2at6native6mbtopk23computeBlockDigitCountsIljmLi1EEEvNS_4cuda6detail10TensorInfoIKT_T0_EEjPjjS8_iijT1_PSB_Ps,comdat
	.protected	_ZN2at6native6mbtopk23computeBlockDigitCountsIljmLi1EEEvNS_4cuda6detail10TensorInfoIKT_T0_EEjPjjS8_iijT1_PSB_Ps ; -- Begin function _ZN2at6native6mbtopk23computeBlockDigitCountsIljmLi1EEEvNS_4cuda6detail10TensorInfoIKT_T0_EEjPjjS8_iijT1_PSB_Ps
	.globl	_ZN2at6native6mbtopk23computeBlockDigitCountsIljmLi1EEEvNS_4cuda6detail10TensorInfoIKT_T0_EEjPjjS8_iijT1_PSB_Ps
	.p2align	8
	.type	_ZN2at6native6mbtopk23computeBlockDigitCountsIljmLi1EEEvNS_4cuda6detail10TensorInfoIKT_T0_EEjPjjS8_iijT1_PSB_Ps,@function
_ZN2at6native6mbtopk23computeBlockDigitCountsIljmLi1EEEvNS_4cuda6detail10TensorInfoIKT_T0_EEjPjjS8_iijT1_PSB_Ps: ; @_ZN2at6native6mbtopk23computeBlockDigitCountsIljmLi1EEEvNS_4cuda6detail10TensorInfoIKT_T0_EEjPjjS8_iijT1_PSB_Ps
; %bb.0:
	s_clause 0x2
	s_load_b32 s16, s[0:1], 0xf8
	s_load_b128 s[8:11], s[0:1], 0xe8
	s_load_b64 s[2:3], s[0:1], 0x118
	s_waitcnt lgkmcnt(0)
	v_cvt_f32_u32_e32 v1, s16
	s_sub_i32 s5, 0, s16
	s_mul_i32 s3, s3, s15
	s_delay_alu instid0(SALU_CYCLE_1) | instskip(NEXT) | instid1(VALU_DEP_1)
	s_add_i32 s3, s3, s14
	v_rcp_iflag_f32_e32 v1, v1
	s_mul_i32 s14, s3, s2
	s_delay_alu instid0(SALU_CYCLE_1) | instskip(SKIP_3) | instid1(VALU_DEP_1)
	s_add_i32 s14, s14, s13
	s_mov_b32 s13, 0
	s_waitcnt_depctr 0xfff
	v_mul_f32_e32 v1, 0x4f7ffffe, v1
	v_cvt_u32_f32_e32 v1, v1
	s_delay_alu instid0(VALU_DEP_1) | instskip(NEXT) | instid1(VALU_DEP_1)
	v_readfirstlane_b32 s4, v1
	s_mul_i32 s5, s5, s4
	s_delay_alu instid0(SALU_CYCLE_1) | instskip(NEXT) | instid1(SALU_CYCLE_1)
	s_mul_hi_u32 s2, s4, s5
	s_add_i32 s4, s4, s2
	s_delay_alu instid0(SALU_CYCLE_1) | instskip(NEXT) | instid1(SALU_CYCLE_1)
	s_mul_hi_u32 s2, s14, s4
	s_mul_i32 s3, s2, s16
	s_add_i32 s4, s2, 1
	s_sub_i32 s3, s14, s3
	s_delay_alu instid0(SALU_CYCLE_1)
	s_sub_i32 s5, s3, s16
	s_cmp_ge_u32 s3, s16
	s_cselect_b32 s2, s4, s2
	s_cselect_b32 s3, s5, s3
	s_add_i32 s4, s2, 1
	s_cmp_ge_u32 s3, s16
	s_cselect_b32 s12, s4, s2
	s_delay_alu instid0(SALU_CYCLE_1)
	s_cmp_ge_u32 s12, s8
	s_cbranch_scc1 .LBB40_29
; %bb.1:
	s_clause 0x1
	s_load_b128 s[4:7], s[0:1], 0x100
	s_load_b64 s[2:3], s[0:1], 0x110
	s_lshl_b64 s[18:19], s[12:13], 3
	v_cmp_gt_u32_e32 vcc_lo, 0x100, v0
	v_lshlrev_b32_e32 v5, 2, v0
	s_waitcnt lgkmcnt(0)
	s_add_u32 s6, s6, s18
	s_addc_u32 s7, s7, s19
	s_and_saveexec_b32 s8, vcc_lo
	s_cbranch_execz .LBB40_3
; %bb.2:
	v_mov_b32_e32 v1, 0
	ds_store_b32 v5, v1
.LBB40_3:
	s_or_b32 exec_lo, exec_lo, s8
	s_load_b32 s8, s[0:1], 0xd8
	s_mul_i32 s13, s12, s16
	s_waitcnt lgkmcnt(0)
	s_sub_i32 s13, s14, s13
	s_barrier
	s_mul_i32 s15, s11, s13
	s_add_i32 s13, s13, 1
	s_lshl_b32 s15, s15, 8
	buffer_gl0_inv
	s_sub_i32 s17, s8, s15
	s_delay_alu instid0(SALU_CYCLE_1) | instskip(SKIP_4) | instid1(VALU_DEP_1)
	s_add_u32 s17, s17, 0xff
	s_addc_u32 s18, 0, 0
	s_cmp_lt_u32 s13, s16
	v_alignbit_b32 v1, s18, s17, 8
	s_mov_b32 s13, 0
	v_readfirstlane_b32 s17, v1
	s_delay_alu instid0(VALU_DEP_1) | instskip(NEXT) | instid1(SALU_CYCLE_1)
	s_cselect_b32 s16, s11, s17
	s_cmp_lt_i32 s16, 1
	s_cbranch_scc1 .LBB40_25
; %bb.4:
	s_clause 0x1
	s_load_b32 s11, s[0:1], 0x6c
	s_load_b64 s[18:19], s[0:1], 0x0
	s_load_b64 s[6:7], s[6:7], 0x0
	s_waitcnt lgkmcnt(0)
	s_mul_i32 s12, s11, s12
	s_delay_alu instid0(SALU_CYCLE_1) | instskip(NEXT) | instid1(SALU_CYCLE_1)
	s_lshl_b64 s[20:21], s[12:13], 3
	s_add_u32 s1, s18, s20
	s_addc_u32 s11, s19, s21
	s_and_b32 s10, s10, 0xff
	s_cmp_lt_u32 s16, 4
	s_cbranch_scc1 .LBB40_19
; %bb.5:
	v_add_nc_u32_e32 v1, s15, v0
	s_and_b32 s13, s16, 0x7ffffffc
	s_lshl_b32 s12, s9, 10
	s_mov_b32 s17, 0
	s_mov_b32 s18, 0
	v_dual_mov_b32 v11, 1 :: v_dual_add_nc_u32 v2, 0x200, v1
	s_delay_alu instid0(VALU_DEP_1) | instskip(SKIP_4) | instid1(VALU_DEP_3)
	v_mul_lo_u32 v8, s9, v2
	v_mov_b32_e32 v2, 0
	v_add_nc_u32_e32 v6, 0x300, v1
	v_add_nc_u32_e32 v3, 0x100, v1
	v_mul_lo_u32 v10, s9, v1
	v_mul_lo_u32 v7, s9, v6
	s_delay_alu instid0(VALU_DEP_3)
	v_mul_lo_u32 v9, s9, v3
	s_branch .LBB40_7
.LBB40_6:                               ;   in Loop: Header=BB40_7 Depth=1
	s_or_b32 exec_lo, exec_lo, s19
	v_add_nc_u32_e32 v6, 0x400, v6
	s_add_i32 s18, s18, 4
	s_add_i32 s17, s17, s12
	s_cmp_eq_u32 s13, s18
	s_cbranch_scc1 .LBB40_19
.LBB40_7:                               ; =>This Inner Loop Header: Depth=1
	v_add_nc_u32_e32 v1, 0xfffffd00, v6
	s_mov_b32 s19, exec_lo
	s_delay_alu instid0(VALU_DEP_1)
	v_cmpx_gt_u32_e64 s8, v1
	s_cbranch_execz .LBB40_10
; %bb.8:                                ;   in Loop: Header=BB40_7 Depth=1
	v_add_nc_u32_e32 v1, s17, v10
	s_delay_alu instid0(VALU_DEP_1) | instskip(NEXT) | instid1(VALU_DEP_1)
	v_lshlrev_b64 v[3:4], 3, v[1:2]
	v_add_co_u32 v3, s0, s1, v3
	s_delay_alu instid0(VALU_DEP_1) | instskip(SKIP_4) | instid1(VALU_DEP_2)
	v_add_co_ci_u32_e64 v4, s0, s11, v4, s0
	global_load_b64 v[3:4], v[3:4], off
	s_waitcnt vmcnt(0)
	v_xor_b32_e32 v4, 0x80000000, v4
	v_xor_b32_e32 v12, s6, v3
	;; [unrolled: 1-line block ×3, first 2 shown]
	s_delay_alu instid0(VALU_DEP_2) | instskip(NEXT) | instid1(VALU_DEP_2)
	v_and_b32_e32 v12, s4, v12
	v_and_b32_e32 v13, s5, v1
	s_delay_alu instid0(VALU_DEP_1) | instskip(NEXT) | instid1(VALU_DEP_1)
	v_cmp_eq_u64_e64 s0, 0, v[12:13]
	s_and_b32 exec_lo, exec_lo, s0
	s_cbranch_execz .LBB40_10
; %bb.9:                                ;   in Loop: Header=BB40_7 Depth=1
	v_lshrrev_b64 v[3:4], s10, v[3:4]
	s_delay_alu instid0(VALU_DEP_1) | instskip(NEXT) | instid1(VALU_DEP_1)
	v_and_b32_e32 v1, 0xff, v3
	v_lshlrev_b32_e32 v1, 2, v1
	ds_add_u32 v1, v11
.LBB40_10:                              ;   in Loop: Header=BB40_7 Depth=1
	s_or_b32 exec_lo, exec_lo, s19
	v_add_nc_u32_e32 v1, 0xfffffe00, v6
	s_mov_b32 s19, exec_lo
	s_delay_alu instid0(VALU_DEP_1)
	v_cmpx_gt_u32_e64 s8, v1
	s_cbranch_execz .LBB40_13
; %bb.11:                               ;   in Loop: Header=BB40_7 Depth=1
	v_add_nc_u32_e32 v1, s17, v9
	s_delay_alu instid0(VALU_DEP_1) | instskip(NEXT) | instid1(VALU_DEP_1)
	v_lshlrev_b64 v[3:4], 3, v[1:2]
	v_add_co_u32 v3, s0, s1, v3
	s_delay_alu instid0(VALU_DEP_1) | instskip(SKIP_4) | instid1(VALU_DEP_2)
	v_add_co_ci_u32_e64 v4, s0, s11, v4, s0
	global_load_b64 v[3:4], v[3:4], off
	s_waitcnt vmcnt(0)
	v_xor_b32_e32 v4, 0x80000000, v4
	v_xor_b32_e32 v12, s6, v3
	;; [unrolled: 1-line block ×3, first 2 shown]
	s_delay_alu instid0(VALU_DEP_2) | instskip(NEXT) | instid1(VALU_DEP_2)
	v_and_b32_e32 v12, s4, v12
	v_and_b32_e32 v13, s5, v1
	s_delay_alu instid0(VALU_DEP_1) | instskip(NEXT) | instid1(VALU_DEP_1)
	v_cmp_eq_u64_e64 s0, 0, v[12:13]
	s_and_b32 exec_lo, exec_lo, s0
	s_cbranch_execz .LBB40_13
; %bb.12:                               ;   in Loop: Header=BB40_7 Depth=1
	v_lshrrev_b64 v[3:4], s10, v[3:4]
	s_delay_alu instid0(VALU_DEP_1) | instskip(NEXT) | instid1(VALU_DEP_1)
	v_and_b32_e32 v1, 0xff, v3
	v_lshlrev_b32_e32 v1, 2, v1
	ds_add_u32 v1, v11
.LBB40_13:                              ;   in Loop: Header=BB40_7 Depth=1
	s_or_b32 exec_lo, exec_lo, s19
	v_add_nc_u32_e32 v1, 0xffffff00, v6
	s_mov_b32 s19, exec_lo
	s_delay_alu instid0(VALU_DEP_1)
	v_cmpx_gt_u32_e64 s8, v1
	s_cbranch_execz .LBB40_16
; %bb.14:                               ;   in Loop: Header=BB40_7 Depth=1
	v_add_nc_u32_e32 v1, s17, v8
	s_delay_alu instid0(VALU_DEP_1) | instskip(NEXT) | instid1(VALU_DEP_1)
	v_lshlrev_b64 v[3:4], 3, v[1:2]
	v_add_co_u32 v3, s0, s1, v3
	s_delay_alu instid0(VALU_DEP_1) | instskip(SKIP_4) | instid1(VALU_DEP_2)
	v_add_co_ci_u32_e64 v4, s0, s11, v4, s0
	global_load_b64 v[3:4], v[3:4], off
	s_waitcnt vmcnt(0)
	v_xor_b32_e32 v4, 0x80000000, v4
	v_xor_b32_e32 v12, s6, v3
	;; [unrolled: 1-line block ×3, first 2 shown]
	s_delay_alu instid0(VALU_DEP_2) | instskip(NEXT) | instid1(VALU_DEP_2)
	v_and_b32_e32 v12, s4, v12
	v_and_b32_e32 v13, s5, v1
	s_delay_alu instid0(VALU_DEP_1) | instskip(NEXT) | instid1(VALU_DEP_1)
	v_cmp_eq_u64_e64 s0, 0, v[12:13]
	s_and_b32 exec_lo, exec_lo, s0
	s_cbranch_execz .LBB40_16
; %bb.15:                               ;   in Loop: Header=BB40_7 Depth=1
	v_lshrrev_b64 v[3:4], s10, v[3:4]
	s_delay_alu instid0(VALU_DEP_1) | instskip(NEXT) | instid1(VALU_DEP_1)
	v_and_b32_e32 v1, 0xff, v3
	v_lshlrev_b32_e32 v1, 2, v1
	ds_add_u32 v1, v11
.LBB40_16:                              ;   in Loop: Header=BB40_7 Depth=1
	s_or_b32 exec_lo, exec_lo, s19
	s_delay_alu instid0(SALU_CYCLE_1)
	s_mov_b32 s19, exec_lo
	v_cmpx_gt_u32_e64 s8, v6
	s_cbranch_execz .LBB40_6
; %bb.17:                               ;   in Loop: Header=BB40_7 Depth=1
	v_add_nc_u32_e32 v1, s17, v7
	s_delay_alu instid0(VALU_DEP_1) | instskip(NEXT) | instid1(VALU_DEP_1)
	v_lshlrev_b64 v[3:4], 3, v[1:2]
	v_add_co_u32 v3, s0, s1, v3
	s_delay_alu instid0(VALU_DEP_1) | instskip(SKIP_4) | instid1(VALU_DEP_2)
	v_add_co_ci_u32_e64 v4, s0, s11, v4, s0
	global_load_b64 v[3:4], v[3:4], off
	s_waitcnt vmcnt(0)
	v_xor_b32_e32 v4, 0x80000000, v4
	v_xor_b32_e32 v12, s6, v3
	;; [unrolled: 1-line block ×3, first 2 shown]
	s_delay_alu instid0(VALU_DEP_2) | instskip(NEXT) | instid1(VALU_DEP_2)
	v_and_b32_e32 v12, s4, v12
	v_and_b32_e32 v13, s5, v1
	s_delay_alu instid0(VALU_DEP_1) | instskip(NEXT) | instid1(VALU_DEP_1)
	v_cmp_eq_u64_e64 s0, 0, v[12:13]
	s_and_b32 exec_lo, exec_lo, s0
	s_cbranch_execz .LBB40_6
; %bb.18:                               ;   in Loop: Header=BB40_7 Depth=1
	v_lshrrev_b64 v[3:4], s10, v[3:4]
	s_delay_alu instid0(VALU_DEP_1) | instskip(NEXT) | instid1(VALU_DEP_1)
	v_and_b32_e32 v1, 0xff, v3
	v_lshlrev_b32_e32 v1, 2, v1
	ds_add_u32 v1, v11
	s_branch .LBB40_6
.LBB40_19:
	s_and_b32 s12, s16, 3
	s_delay_alu instid0(SALU_CYCLE_1)
	s_cmp_eq_u32 s12, 0
	s_cbranch_scc1 .LBB40_25
; %bb.20:
	s_lshl_b32 s0, s13, 8
	v_dual_mov_b32 v2, 0 :: v_dual_mov_b32 v7, 1
	v_add3_u32 v6, s0, s15, v0
	s_delay_alu instid0(VALU_DEP_1)
	v_mul_lo_u32 v1, s9, v6
	s_lshl_b32 s9, s9, 8
	s_set_inst_prefetch_distance 0x1
	s_branch .LBB40_22
	.p2align	6
.LBB40_21:                              ;   in Loop: Header=BB40_22 Depth=1
	s_or_b32 exec_lo, exec_lo, s13
	v_add_nc_u32_e32 v1, s9, v1
	v_add_nc_u32_e32 v6, 0x100, v6
	s_add_i32 s12, s12, -1
	s_delay_alu instid0(SALU_CYCLE_1)
	s_cmp_lg_u32 s12, 0
	s_cbranch_scc0 .LBB40_25
.LBB40_22:                              ; =>This Inner Loop Header: Depth=1
	s_mov_b32 s13, exec_lo
	v_cmpx_gt_u32_e64 s8, v6
	s_cbranch_execz .LBB40_21
; %bb.23:                               ;   in Loop: Header=BB40_22 Depth=1
	s_delay_alu instid0(VALU_DEP_2) | instskip(NEXT) | instid1(VALU_DEP_1)
	v_lshlrev_b64 v[3:4], 3, v[1:2]
	v_add_co_u32 v3, s0, s1, v3
	s_delay_alu instid0(VALU_DEP_1) | instskip(SKIP_4) | instid1(VALU_DEP_2)
	v_add_co_ci_u32_e64 v4, s0, s11, v4, s0
	global_load_b64 v[3:4], v[3:4], off
	s_waitcnt vmcnt(0)
	v_xor_b32_e32 v4, 0x80000000, v4
	v_xor_b32_e32 v10, s6, v3
	;; [unrolled: 1-line block ×3, first 2 shown]
	s_delay_alu instid0(VALU_DEP_1) | instskip(NEXT) | instid1(VALU_DEP_3)
	v_and_b32_e32 v9, s5, v8
	v_and_b32_e32 v8, s4, v10
	s_delay_alu instid0(VALU_DEP_1) | instskip(NEXT) | instid1(VALU_DEP_1)
	v_cmp_eq_u64_e64 s0, 0, v[8:9]
	s_and_b32 exec_lo, exec_lo, s0
	s_cbranch_execz .LBB40_21
; %bb.24:                               ;   in Loop: Header=BB40_22 Depth=1
	v_lshrrev_b64 v[3:4], s10, v[3:4]
	s_delay_alu instid0(VALU_DEP_1) | instskip(NEXT) | instid1(VALU_DEP_1)
	v_and_b32_e32 v3, 0xff, v3
	v_lshlrev_b32_e32 v3, 2, v3
	ds_add_u32 v3, v7
	s_branch .LBB40_21
.LBB40_25:
	s_set_inst_prefetch_distance 0x2
	v_mov_b32_e32 v1, 0
	s_waitcnt lgkmcnt(0)
	s_barrier
	buffer_gl0_inv
	s_and_saveexec_b32 s0, vcc_lo
	s_cbranch_execz .LBB40_27
; %bb.26:
	ds_load_b32 v1, v5
.LBB40_27:
	s_or_b32 exec_lo, exec_lo, s0
	s_and_saveexec_b32 s0, vcc_lo
	s_cbranch_execz .LBB40_29
; %bb.28:
	v_lshl_or_b32 v2, s14, 8, v0
	v_mov_b32_e32 v3, 0
	s_delay_alu instid0(VALU_DEP_1) | instskip(NEXT) | instid1(VALU_DEP_1)
	v_lshlrev_b64 v[2:3], 1, v[2:3]
	v_add_co_u32 v2, vcc_lo, s2, v2
	s_delay_alu instid0(VALU_DEP_2)
	v_add_co_ci_u32_e32 v3, vcc_lo, s3, v3, vcc_lo
	s_waitcnt lgkmcnt(0)
	global_store_b16 v[2:3], v1, off
.LBB40_29:
	s_nop 0
	s_sendmsg sendmsg(MSG_DEALLOC_VGPRS)
	s_endpgm
	.section	.rodata,"a",@progbits
	.p2align	6, 0x0
	.amdhsa_kernel _ZN2at6native6mbtopk23computeBlockDigitCountsIljmLi1EEEvNS_4cuda6detail10TensorInfoIKT_T0_EEjPjjS8_iijT1_PSB_Ps
		.amdhsa_group_segment_fixed_size 1024
		.amdhsa_private_segment_fixed_size 0
		.amdhsa_kernarg_size 536
		.amdhsa_user_sgpr_count 13
		.amdhsa_user_sgpr_dispatch_ptr 0
		.amdhsa_user_sgpr_queue_ptr 0
		.amdhsa_user_sgpr_kernarg_segment_ptr 1
		.amdhsa_user_sgpr_dispatch_id 0
		.amdhsa_user_sgpr_private_segment_size 0
		.amdhsa_wavefront_size32 1
		.amdhsa_uses_dynamic_stack 0
		.amdhsa_enable_private_segment 0
		.amdhsa_system_sgpr_workgroup_id_x 1
		.amdhsa_system_sgpr_workgroup_id_y 1
		.amdhsa_system_sgpr_workgroup_id_z 1
		.amdhsa_system_sgpr_workgroup_info 0
		.amdhsa_system_vgpr_workitem_id 0
		.amdhsa_next_free_vgpr 14
		.amdhsa_next_free_sgpr 22
		.amdhsa_reserve_vcc 1
		.amdhsa_float_round_mode_32 0
		.amdhsa_float_round_mode_16_64 0
		.amdhsa_float_denorm_mode_32 3
		.amdhsa_float_denorm_mode_16_64 3
		.amdhsa_dx10_clamp 1
		.amdhsa_ieee_mode 1
		.amdhsa_fp16_overflow 0
		.amdhsa_workgroup_processor_mode 1
		.amdhsa_memory_ordered 1
		.amdhsa_forward_progress 0
		.amdhsa_shared_vgpr_count 0
		.amdhsa_exception_fp_ieee_invalid_op 0
		.amdhsa_exception_fp_denorm_src 0
		.amdhsa_exception_fp_ieee_div_zero 0
		.amdhsa_exception_fp_ieee_overflow 0
		.amdhsa_exception_fp_ieee_underflow 0
		.amdhsa_exception_fp_ieee_inexact 0
		.amdhsa_exception_int_div_zero 0
	.end_amdhsa_kernel
	.section	.text._ZN2at6native6mbtopk23computeBlockDigitCountsIljmLi1EEEvNS_4cuda6detail10TensorInfoIKT_T0_EEjPjjS8_iijT1_PSB_Ps,"axG",@progbits,_ZN2at6native6mbtopk23computeBlockDigitCountsIljmLi1EEEvNS_4cuda6detail10TensorInfoIKT_T0_EEjPjjS8_iijT1_PSB_Ps,comdat
.Lfunc_end40:
	.size	_ZN2at6native6mbtopk23computeBlockDigitCountsIljmLi1EEEvNS_4cuda6detail10TensorInfoIKT_T0_EEjPjjS8_iijT1_PSB_Ps, .Lfunc_end40-_ZN2at6native6mbtopk23computeBlockDigitCountsIljmLi1EEEvNS_4cuda6detail10TensorInfoIKT_T0_EEjPjjS8_iijT1_PSB_Ps
                                        ; -- End function
	.section	.AMDGPU.csdata,"",@progbits
; Kernel info:
; codeLenInByte = 1528
; NumSgprs: 24
; NumVgprs: 14
; ScratchSize: 0
; MemoryBound: 0
; FloatMode: 240
; IeeeMode: 1
; LDSByteSize: 1024 bytes/workgroup (compile time only)
; SGPRBlocks: 2
; VGPRBlocks: 1
; NumSGPRsForWavesPerEU: 24
; NumVGPRsForWavesPerEU: 14
; Occupancy: 16
; WaveLimiterHint : 1
; COMPUTE_PGM_RSRC2:SCRATCH_EN: 0
; COMPUTE_PGM_RSRC2:USER_SGPR: 13
; COMPUTE_PGM_RSRC2:TRAP_HANDLER: 0
; COMPUTE_PGM_RSRC2:TGID_X_EN: 1
; COMPUTE_PGM_RSRC2:TGID_Y_EN: 1
; COMPUTE_PGM_RSRC2:TGID_Z_EN: 1
; COMPUTE_PGM_RSRC2:TIDIG_COMP_CNT: 0
	.section	.text._ZN2at6native6mbtopk29computeBlockwiseWithinKCountsImlEEvPT_PsPjjibS6_PT0_S6_S4_S6_j,"axG",@progbits,_ZN2at6native6mbtopk29computeBlockwiseWithinKCountsImlEEvPT_PsPjjibS6_PT0_S6_S4_S6_j,comdat
	.protected	_ZN2at6native6mbtopk29computeBlockwiseWithinKCountsImlEEvPT_PsPjjibS6_PT0_S6_S4_S6_j ; -- Begin function _ZN2at6native6mbtopk29computeBlockwiseWithinKCountsImlEEvPT_PsPjjibS6_PT0_S6_S4_S6_j
	.globl	_ZN2at6native6mbtopk29computeBlockwiseWithinKCountsImlEEvPT_PsPjjibS6_PT0_S6_S4_S6_j
	.p2align	8
	.type	_ZN2at6native6mbtopk29computeBlockwiseWithinKCountsImlEEvPT_PsPjjibS6_PT0_S6_S4_S6_j,@function
_ZN2at6native6mbtopk29computeBlockwiseWithinKCountsImlEEvPT_PsPjjibS6_PT0_S6_S4_S6_j: ; @_ZN2at6native6mbtopk29computeBlockwiseWithinKCountsImlEEvPT_PsPjjibS6_PT0_S6_S4_S6_j
; %bb.0:
	s_clause 0x2
	s_load_b128 s[16:19], s[0:1], 0x18
	s_load_b64 s[2:3], s[0:1], 0x58
	s_load_b32 s4, s[0:1], 0x50
	s_waitcnt lgkmcnt(0)
	v_cvt_f32_u32_e32 v1, s16
	s_mul_i32 s3, s3, s15
	s_delay_alu instid0(SALU_CYCLE_1) | instskip(NEXT) | instid1(VALU_DEP_1)
	s_add_i32 s3, s3, s14
	v_rcp_iflag_f32_e32 v1, v1
	s_mul_i32 s2, s3, s2
	s_delay_alu instid0(SALU_CYCLE_1) | instskip(NEXT) | instid1(SALU_CYCLE_1)
	s_add_i32 s20, s2, s13
	s_cmp_ge_u32 s20, s4
	s_waitcnt_depctr 0xfff
	v_mul_f32_e32 v1, 0x4f7ffffe, v1
	s_delay_alu instid0(VALU_DEP_1) | instskip(NEXT) | instid1(VALU_DEP_1)
	v_cvt_u32_f32_e32 v1, v1
	v_readfirstlane_b32 s2, v1
	s_cbranch_scc1 .LBB41_40
; %bb.1:
	s_sub_i32 s3, 0, s16
	s_mov_b32 s21, 0
	s_delay_alu instid0(VALU_DEP_1)
	s_mul_i32 s3, s3, s2
	s_mov_b32 s27, s21
	s_mul_hi_u32 s3, s2, s3
	v_cmp_gt_u32_e32 vcc_lo, 0x100, v0
	s_add_i32 s4, s2, s3
	s_clause 0x1
	s_load_b64 s[2:3], s[0:1], 0x10
	s_load_b128 s[12:15], s[0:1], 0x0
	s_mul_hi_u32 s4, s20, s4
	s_delay_alu instid0(SALU_CYCLE_1) | instskip(SKIP_2) | instid1(SALU_CYCLE_1)
	s_mul_i32 s5, s4, s16
	s_add_i32 s6, s4, 1
	s_sub_i32 s5, s20, s5
	s_sub_i32 s7, s5, s16
	s_cmp_ge_u32 s5, s16
	s_cselect_b32 s4, s6, s4
	s_cselect_b32 s5, s7, s5
	s_add_i32 s6, s4, 1
	s_cmp_ge_u32 s5, s16
	s_cselect_b32 s26, s6, s4
	s_delay_alu instid0(SALU_CYCLE_1)
	s_lshl_b64 s[24:25], s[26:27], 2
	s_waitcnt lgkmcnt(0)
	s_add_u32 s4, s2, s24
	s_addc_u32 s5, s3, s25
	s_and_saveexec_b32 s3, vcc_lo
	s_cbranch_execz .LBB41_8
; %bb.2:
	s_mul_i32 s2, s26, s16
	s_mov_b32 s7, s21
	s_lshl_b32 s6, s2, 8
	v_lshlrev_b32_e32 v1, 1, v0
	s_lshl_b64 s[6:7], s[6:7], 1
	v_mov_b32_e32 v3, 0
	s_add_u32 s2, s14, s6
	s_addc_u32 s6, s15, s7
	v_add_co_u32 v1, s2, s2, v1
	s_delay_alu instid0(VALU_DEP_1)
	v_add_co_ci_u32_e64 v2, null, s6, 0, s2
	s_cmp_lt_u32 s16, 4
	s_cbranch_scc1 .LBB41_41
; %bb.3:
	v_mov_b32_e32 v3, 0
	s_mov_b32 s6, 0
	.p2align	6
.LBB41_4:                               ; =>This Inner Loop Header: Depth=1
	s_clause 0x3
	global_load_i16 v4, v[1:2], off
	global_load_i16 v5, v[1:2], off offset:512
	global_load_i16 v6, v[1:2], off offset:1024
	global_load_i16 v7, v[1:2], off offset:1536
	v_add_co_u32 v1, s2, 0x800, v1
	s_delay_alu instid0(VALU_DEP_1)
	v_add_co_ci_u32_e64 v2, s2, 0, v2, s2
	s_add_i32 s2, s6, 7
	s_add_i32 s6, s6, 4
	s_cmp_ge_u32 s2, s16
	s_waitcnt vmcnt(2)
	v_add3_u32 v3, v3, v4, v5
	s_waitcnt vmcnt(0)
	s_delay_alu instid0(VALU_DEP_1)
	v_add3_u32 v3, v3, v6, v7
	s_cbranch_scc0 .LBB41_4
; %bb.5:
	s_cmp_ge_u32 s6, s16
	s_cbranch_scc1 .LBB41_7
.LBB41_6:                               ; =>This Inner Loop Header: Depth=1
	global_load_i16 v4, v[1:2], off
	v_add_co_u32 v1, s2, 0x200, v1
	s_delay_alu instid0(VALU_DEP_1) | instskip(SKIP_1) | instid1(SALU_CYCLE_1)
	v_add_co_ci_u32_e64 v2, s2, 0, v2, s2
	s_add_i32 s6, s6, 1
	s_cmp_lt_u32 s6, s16
	s_waitcnt vmcnt(0)
	v_add_nc_u32_e32 v3, v3, v4
	s_cbranch_scc1 .LBB41_6
.LBB41_7:
	v_lshlrev_b32_e32 v1, 2, v0
	ds_store_b32 v1, v3 offset:1056
.LBB41_8:
	s_or_b32 exec_lo, exec_lo, s3
	s_load_b32 s19, s[4:5], 0x0
	v_mov_b32_e32 v2, 0
	s_waitcnt lgkmcnt(0)
	s_barrier
	buffer_gl0_inv
	s_and_saveexec_b32 s2, vcc_lo
	s_cbranch_execz .LBB41_10
; %bb.9:
	v_lshlrev_b32_e32 v1, 2, v0
	ds_load_b32 v2, v1 offset:1056
.LBB41_10:
	s_or_b32 exec_lo, exec_lo, s2
	v_lshrrev_b32_e32 v5, 5, v0
	v_cmp_gt_u32_e64 s2, 32, v0
	v_mbcnt_lo_u32_b32 v4, -1, 0
	s_delay_alu instid0(VALU_DEP_3)
	v_add_lshl_u32 v1, v5, v0, 2
	s_waitcnt lgkmcnt(0)
	ds_store_b32 v1, v2
	s_waitcnt lgkmcnt(0)
	s_barrier
	buffer_gl0_inv
	s_and_saveexec_b32 s4, s2
	s_cbranch_execz .LBB41_12
; %bb.11:
	v_and_b32_e32 v3, 0xfc, v0
	s_delay_alu instid0(VALU_DEP_1)
	v_lshl_or_b32 v14, v0, 5, v3
	ds_load_2addr_b32 v[6:7], v14 offset1:1
	ds_load_2addr_b32 v[8:9], v14 offset0:2 offset1:3
	ds_load_2addr_b32 v[10:11], v14 offset0:4 offset1:5
	;; [unrolled: 1-line block ×3, first 2 shown]
	; wave barrier
	s_waitcnt lgkmcnt(3)
	v_add_nc_u32_e32 v3, v7, v6
	v_and_b32_e32 v7, 15, v4
	s_waitcnt lgkmcnt(2)
	s_delay_alu instid0(VALU_DEP_2) | instskip(NEXT) | instid1(VALU_DEP_2)
	v_add3_u32 v3, v3, v8, v9
	v_cmp_ne_u32_e64 s3, 0, v7
	v_bfe_i32 v9, v4, 4, 1
	s_waitcnt lgkmcnt(1)
	s_delay_alu instid0(VALU_DEP_3) | instskip(SKIP_1) | instid1(VALU_DEP_1)
	v_add3_u32 v3, v3, v10, v11
	s_waitcnt lgkmcnt(0)
	v_add3_u32 v3, v3, v12, v13
	s_delay_alu instid0(VALU_DEP_1) | instskip(NEXT) | instid1(VALU_DEP_1)
	v_mov_b32_dpp v8, v3 row_shr:1 row_mask:0xf bank_mask:0xf
	v_cndmask_b32_e64 v8, 0, v8, s3
	v_cmp_lt_u32_e64 s3, 1, v7
	s_delay_alu instid0(VALU_DEP_2) | instskip(NEXT) | instid1(VALU_DEP_1)
	v_add_nc_u32_e32 v3, v8, v3
	v_mov_b32_dpp v8, v3 row_shr:2 row_mask:0xf bank_mask:0xf
	s_delay_alu instid0(VALU_DEP_1) | instskip(SKIP_1) | instid1(VALU_DEP_2)
	v_cndmask_b32_e64 v8, 0, v8, s3
	v_cmp_lt_u32_e64 s3, 3, v7
	v_add_nc_u32_e32 v3, v3, v8
	s_delay_alu instid0(VALU_DEP_1) | instskip(NEXT) | instid1(VALU_DEP_1)
	v_mov_b32_dpp v8, v3 row_shr:4 row_mask:0xf bank_mask:0xf
	v_cndmask_b32_e64 v8, 0, v8, s3
	v_cmp_lt_u32_e64 s3, 7, v7
	s_delay_alu instid0(VALU_DEP_2) | instskip(NEXT) | instid1(VALU_DEP_1)
	v_add_nc_u32_e32 v3, v3, v8
	v_mov_b32_dpp v8, v3 row_shr:8 row_mask:0xf bank_mask:0xf
	s_delay_alu instid0(VALU_DEP_1) | instskip(SKIP_1) | instid1(VALU_DEP_2)
	v_cndmask_b32_e64 v7, 0, v8, s3
	v_add_nc_u32_e32 v8, -1, v4
	v_add_nc_u32_e32 v3, v3, v7
	s_delay_alu instid0(VALU_DEP_2) | instskip(SKIP_3) | instid1(VALU_DEP_2)
	v_cmp_gt_i32_e64 s3, 0, v8
	ds_swizzle_b32 v7, v3 offset:swizzle(BROADCAST,32,15)
	v_cndmask_b32_e64 v8, v8, v4, s3
	v_cmp_eq_u32_e64 s3, 0, v0
	v_lshlrev_b32_e32 v8, 2, v8
	s_waitcnt lgkmcnt(0)
	v_and_b32_e32 v7, v9, v7
	s_delay_alu instid0(VALU_DEP_1) | instskip(SKIP_3) | instid1(VALU_DEP_1)
	v_add_nc_u32_e32 v3, v3, v7
	ds_bpermute_b32 v3, v8, v3
	s_waitcnt lgkmcnt(0)
	v_add_nc_u32_e32 v3, v3, v6
	v_cndmask_b32_e64 v10, v3, v2, s3
	ds_store_b32 v14, v10
	; wave barrier
	ds_load_2addr_b32 v[2:3], v14 offset0:1 offset1:2
	ds_load_2addr_b32 v[6:7], v14 offset0:3 offset1:4
	ds_load_2addr_b32 v[8:9], v14 offset0:5 offset1:6
	ds_load_b32 v11, v14 offset:28
	s_waitcnt lgkmcnt(3)
	v_add_nc_u32_e32 v2, v2, v10
	s_delay_alu instid0(VALU_DEP_1) | instskip(SKIP_1) | instid1(VALU_DEP_1)
	v_add_nc_u32_e32 v3, v3, v2
	s_waitcnt lgkmcnt(2)
	v_add_nc_u32_e32 v6, v6, v3
	s_delay_alu instid0(VALU_DEP_1) | instskip(SKIP_1) | instid1(VALU_DEP_1)
	v_add_nc_u32_e32 v7, v7, v6
	;; [unrolled: 4-line block ×3, first 2 shown]
	s_waitcnt lgkmcnt(0)
	v_add_nc_u32_e32 v10, v11, v9
	ds_store_2addr_b32 v14, v2, v3 offset0:1 offset1:2
	ds_store_2addr_b32 v14, v6, v7 offset0:3 offset1:4
	;; [unrolled: 1-line block ×3, first 2 shown]
	ds_store_b32 v14, v10 offset:28
.LBB41_12:
	s_or_b32 exec_lo, exec_lo, s4
	s_waitcnt lgkmcnt(0)
	s_barrier
	buffer_gl0_inv
	ds_load_b32 v1, v1
	s_waitcnt lgkmcnt(0)
	s_barrier
	buffer_gl0_inv
	s_and_saveexec_b32 s3, vcc_lo
	s_cbranch_execz .LBB41_14
; %bb.13:
	v_lshlrev_b32_e32 v2, 2, v0
	ds_store_b32 v2, v1 offset:1056
.LBB41_14:
	s_or_b32 exec_lo, exec_lo, s3
	s_clause 0x1
	s_load_b256 s[4:11], s[0:1], 0x28
	s_load_b64 s[22:23], s[0:1], 0x48
	s_waitcnt lgkmcnt(0)
	s_barrier
	buffer_gl0_inv
	s_and_saveexec_b32 s3, vcc_lo
	s_cbranch_execz .LBB41_23
; %bb.15:
	v_mov_b32_e32 v6, 0
	s_mov_b32 s0, exec_lo
	v_cmpx_ne_u32_e32 0, v0
	s_cbranch_execz .LBB41_17
; %bb.16:
	v_lshlrev_b32_e32 v2, 2, v0
	ds_load_b32 v6, v2 offset:1052
.LBB41_17:
	s_or_b32 exec_lo, exec_lo, s0
	s_waitcnt lgkmcnt(0)
	v_cmp_gt_u32_e32 vcc_lo, s19, v6
	v_cmp_le_u32_e64 s0, s19, v1
	s_delay_alu instid0(VALU_DEP_1) | instskip(NEXT) | instid1(SALU_CYCLE_1)
	s_and_b32 s0, vcc_lo, s0
	s_and_b32 exec_lo, exec_lo, s0
	s_cbranch_execz .LBB41_23
; %bb.18:
	s_lshl_b64 s[0:1], s[26:27], 3
	v_mov_b32_e32 v1, 0
	s_add_u32 s12, s12, s0
	s_addc_u32 s13, s13, s1
	global_load_b64 v[2:3], v1, s[12:13]
	s_lshl_b64 s[12:13], 0xff, s17
	s_delay_alu instid0(SALU_CYCLE_1) | instskip(SKIP_2) | instid1(SALU_CYCLE_1)
	v_not_b32_e32 v10, s12
	v_not_b32_e32 v9, s13
	s_mul_i32 s12, s26, s16
	s_cmp_lg_u32 s20, s12
	s_waitcnt vmcnt(0)
	v_and_b32_e32 v2, v2, v10
	v_lshlrev_b64 v[7:8], s17, v[0:1]
	v_and_b32_e32 v3, v3, v9
	s_delay_alu instid0(VALU_DEP_1) | instskip(NEXT) | instid1(VALU_DEP_3)
	v_or_b32_e32 v3, v3, v8
	v_or_b32_e32 v2, v2, v7
	ds_store_b64 v1, v[2:3] offset:2112
	s_cbranch_scc1 .LBB41_23
; %bb.19:
	s_add_u32 s12, s10, s0
	s_addc_u32 s13, s11, s1
	s_cmp_lt_i32 s17, 1
	s_mov_b32 s10, -1
	global_store_b64 v1, v[2:3], s[12:13]
	s_cbranch_scc0 .LBB41_21
; %bb.20:
	v_xor_b32_e32 v3, 0x80000000, v3
	v_mov_b32_e32 v1, 0
	s_add_u32 s0, s6, s0
	s_addc_u32 s1, s7, s1
	s_mov_b32 s10, 0
	global_store_b64 v1, v[2:3], s[0:1]
.LBB41_21:
	s_and_not1_b32 vcc_lo, exec_lo, s10
	s_cbranch_vccnz .LBB41_23
; %bb.22:
	v_sub_nc_u32_e32 v1, s19, v6
	v_mov_b32_e32 v2, 0
	s_add_u32 s0, s8, s24
	s_addc_u32 s1, s9, s25
	global_store_b32 v2, v1, s[0:1]
.LBB41_23:
	s_or_b32 exec_lo, exec_lo, s3
	v_mov_b32_e32 v3, 0
	s_waitcnt lgkmcnt(0)
	s_waitcnt_vscnt null, 0x0
	s_barrier
	buffer_gl0_inv
	s_bitcmp0_b32 s18, 0
	ds_load_b64 v[1:2], v3 offset:2112
	s_mov_b32 s6, 0
	s_waitcnt lgkmcnt(0)
	v_lshrrev_b64 v[1:2], s17, v[1:2]
	s_delay_alu instid0(VALU_DEP_1)
	v_dual_mov_b32 v1, v3 :: v_dual_and_b32 v2, 0xff, v1
	s_cbranch_scc0 .LBB41_25
; %bb.24:
	v_dual_mov_b32 v7, v3 :: v_dual_and_b32 v6, 0xe0, v0
	s_delay_alu instid0(VALU_DEP_2) | instskip(NEXT) | instid1(VALU_DEP_2)
	v_cmp_gt_u64_e64 s0, v[2:3], v[0:1]
	v_cmp_gt_u64_e32 vcc_lo, v[2:3], v[6:7]
	s_delay_alu instid0(VALU_DEP_2)
	s_and_b32 s1, s0, exec_lo
	s_and_b32 s3, vcc_lo, exec_lo
	s_and_not1_b32 vcc_lo, exec_lo, s6
	s_cbranch_vccz .LBB41_26
	s_branch .LBB41_27
.LBB41_25:
                                        ; implicit-def: $sgpr1
                                        ; implicit-def: $sgpr3
.LBB41_26:
	v_or_b32_e32 v6, 31, v0
	v_mov_b32_e32 v7, 0
	s_delay_alu instid0(VALU_DEP_3) | instskip(SKIP_2) | instid1(VALU_DEP_2)
	v_cmp_lt_u64_e32 vcc_lo, v[2:3], v[0:1]
	s_and_not1_b32 s1, s1, exec_lo
	s_and_not1_b32 s3, s3, exec_lo
	v_cmp_lt_u64_e64 s0, v[2:3], v[6:7]
	s_and_b32 s6, vcc_lo, exec_lo
	s_delay_alu instid0(SALU_CYCLE_1) | instskip(NEXT) | instid1(VALU_DEP_1)
	s_or_b32 s1, s1, s6
	s_and_b32 s0, s0, exec_lo
	s_delay_alu instid0(SALU_CYCLE_1)
	s_or_b32 s3, s3, s0
.LBB41_27:
	v_mov_b32_e32 v1, 0
	s_and_saveexec_b32 s0, s3
	s_cbranch_execz .LBB41_31
; %bb.28:
	v_mov_b32_e32 v1, 0
	s_and_saveexec_b32 s3, s1
	s_cbranch_execz .LBB41_30
; %bb.29:
	s_lshl_b32 s6, s20, 8
	s_mov_b32 s7, 0
	v_lshlrev_b32_e32 v1, 1, v0
	s_lshl_b64 s[6:7], s[6:7], 1
	s_delay_alu instid0(SALU_CYCLE_1)
	s_add_u32 s6, s14, s6
	s_addc_u32 s7, s15, s7
	global_load_i16 v1, v1, s[6:7]
.LBB41_30:
	s_or_b32 exec_lo, exec_lo, s3
	v_cmp_gt_u32_e32 vcc_lo, 16, v4
	v_cndmask_b32_e64 v2, 0, 1, vcc_lo
	v_cmp_gt_u32_e32 vcc_lo, 24, v4
	s_delay_alu instid0(VALU_DEP_2) | instskip(SKIP_2) | instid1(VALU_DEP_3)
	v_lshlrev_b32_e32 v2, 4, v2
	v_cndmask_b32_e64 v3, 0, 1, vcc_lo
	v_cmp_gt_u32_e32 vcc_lo, 28, v4
	v_add_lshl_u32 v2, v2, v4, 2
	s_delay_alu instid0(VALU_DEP_3)
	v_lshlrev_b32_e32 v3, 3, v3
	s_waitcnt vmcnt(0)
	ds_bpermute_b32 v2, v2, v1
	v_add_lshl_u32 v3, v3, v4, 2
	s_waitcnt lgkmcnt(0)
	v_add_nc_u32_e32 v1, v2, v1
	ds_bpermute_b32 v2, v3, v1
	v_cndmask_b32_e64 v3, 0, 1, vcc_lo
	v_cmp_gt_u32_e32 vcc_lo, 30, v4
	s_delay_alu instid0(VALU_DEP_2) | instskip(NEXT) | instid1(VALU_DEP_1)
	v_lshlrev_b32_e32 v3, 2, v3
	v_add_lshl_u32 v3, v3, v4, 2
	s_waitcnt lgkmcnt(0)
	v_add_nc_u32_e32 v1, v2, v1
	ds_bpermute_b32 v2, v3, v1
	v_cndmask_b32_e64 v3, 0, 1, vcc_lo
	v_cmp_ne_u32_e32 vcc_lo, 31, v4
	s_delay_alu instid0(VALU_DEP_2) | instskip(NEXT) | instid1(VALU_DEP_1)
	v_lshlrev_b32_e32 v3, 1, v3
	v_add_lshl_u32 v3, v3, v4, 2
	s_waitcnt lgkmcnt(0)
	v_add_nc_u32_e32 v1, v2, v1
	ds_bpermute_b32 v2, v3, v1
	v_add_co_ci_u32_e32 v3, vcc_lo, 0, v4, vcc_lo
	s_waitcnt lgkmcnt(0)
	v_add_nc_u32_e32 v1, v2, v1
	s_delay_alu instid0(VALU_DEP_2)
	v_lshlrev_b32_e32 v2, 2, v3
	ds_bpermute_b32 v2, v2, v1
	s_waitcnt lgkmcnt(0)
	v_add_nc_u32_e32 v1, v2, v1
.LBB41_31:
	s_or_b32 exec_lo, exec_lo, s0
	v_and_b32_e32 v2, 31, v0
	s_mov_b32 s0, exec_lo
	s_delay_alu instid0(VALU_DEP_1)
	v_cmpx_eq_u32_e32 0, v2
	s_cbranch_execz .LBB41_33
; %bb.32:
	v_lshlrev_b32_e32 v2, 2, v5
	ds_store_b32 v2, v1 offset:2080
.LBB41_33:
	s_or_b32 exec_lo, exec_lo, s0
	s_waitcnt lgkmcnt(0)
	s_barrier
	buffer_gl0_inv
	s_and_saveexec_b32 s0, s2
	s_cbranch_execz .LBB41_40
; %bb.34:
	v_mov_b32_e32 v1, 0
	s_mov_b32 s0, exec_lo
	v_cmpx_gt_u32_e32 8, v0
	s_cbranch_execz .LBB41_36
; %bb.35:
	v_lshlrev_b32_e32 v1, 2, v0
	ds_load_b32 v1, v1 offset:2080
.LBB41_36:
	s_or_b32 exec_lo, exec_lo, s0
	v_cmp_gt_u32_e32 vcc_lo, 28, v4
	s_mov_b32 s0, exec_lo
	v_cndmask_b32_e64 v2, 0, 1, vcc_lo
	v_cmp_gt_u32_e32 vcc_lo, 30, v4
	s_delay_alu instid0(VALU_DEP_2) | instskip(SKIP_2) | instid1(VALU_DEP_3)
	v_lshlrev_b32_e32 v2, 2, v2
	v_cndmask_b32_e64 v3, 0, 1, vcc_lo
	v_cmp_ne_u32_e32 vcc_lo, 31, v4
	v_add_lshl_u32 v2, v2, v4, 2
	s_delay_alu instid0(VALU_DEP_3)
	v_lshlrev_b32_e32 v3, 1, v3
	s_waitcnt lgkmcnt(0)
	ds_bpermute_b32 v2, v2, v1
	v_add_lshl_u32 v3, v3, v4, 2
	s_waitcnt lgkmcnt(0)
	v_add_nc_u32_e32 v1, v2, v1
	ds_bpermute_b32 v2, v3, v1
	v_add_co_ci_u32_e32 v3, vcc_lo, 0, v4, vcc_lo
	s_waitcnt lgkmcnt(0)
	v_add_nc_u32_e32 v1, v2, v1
	s_delay_alu instid0(VALU_DEP_2)
	v_lshlrev_b32_e32 v2, 2, v3
	ds_bpermute_b32 v2, v2, v1
	v_cmpx_eq_u32_e32 0, v0
	s_cbranch_execz .LBB41_38
; %bb.37:
	s_lshl_b64 s[2:3], s[20:21], 2
	v_mov_b32_e32 v3, 0
	s_add_u32 s2, s4, s2
	s_addc_u32 s3, s5, s3
	global_load_b32 v4, v3, s[2:3]
	s_waitcnt vmcnt(0) lgkmcnt(0)
	v_add3_u32 v1, v2, v1, v4
	global_store_b32 v3, v1, s[2:3]
.LBB41_38:
	s_or_b32 exec_lo, exec_lo, s0
	v_or_b32_e32 v0, s17, v0
	s_delay_alu instid0(VALU_DEP_1)
	v_cmp_eq_u32_e32 vcc_lo, 0, v0
	s_and_b32 exec_lo, exec_lo, vcc_lo
	s_cbranch_execz .LBB41_40
; %bb.39:
	v_mov_b32_e32 v0, 0
	s_lshl_b32 s0, s20, 8
	s_mov_b32 s1, 0
	s_delay_alu instid0(SALU_CYCLE_1)
	s_lshl_b64 s[0:1], s[0:1], 1
	ds_load_b32 v1, v0 offset:2112
	s_add_u32 s0, s14, s0
	s_addc_u32 s1, s15, s1
	s_waitcnt lgkmcnt(0)
	v_and_b32_e32 v1, 0xff, v1
	s_delay_alu instid0(VALU_DEP_1) | instskip(SKIP_2) | instid1(SALU_CYCLE_1)
	v_lshlrev_b32_e32 v1, 1, v1
	global_load_i16 v1, v1, s[0:1]
	s_lshl_b64 s[0:1], s[20:21], 2
	s_add_u32 s0, s22, s0
	s_addc_u32 s1, s23, s1
	s_waitcnt vmcnt(0)
	global_store_b32 v0, v1, s[0:1]
.LBB41_40:
	s_nop 0
	s_sendmsg sendmsg(MSG_DEALLOC_VGPRS)
	s_endpgm
.LBB41_41:
	s_mov_b32 s6, s21
	s_delay_alu instid0(SALU_CYCLE_1)
	s_cmp_ge_u32 s6, s16
	s_cbranch_scc0 .LBB41_6
	s_branch .LBB41_7
	.section	.rodata,"a",@progbits
	.p2align	6, 0x0
	.amdhsa_kernel _ZN2at6native6mbtopk29computeBlockwiseWithinKCountsImlEEvPT_PsPjjibS6_PT0_S6_S4_S6_j
		.amdhsa_group_segment_fixed_size 2120
		.amdhsa_private_segment_fixed_size 0
		.amdhsa_kernarg_size 344
		.amdhsa_user_sgpr_count 13
		.amdhsa_user_sgpr_dispatch_ptr 0
		.amdhsa_user_sgpr_queue_ptr 0
		.amdhsa_user_sgpr_kernarg_segment_ptr 1
		.amdhsa_user_sgpr_dispatch_id 0
		.amdhsa_user_sgpr_private_segment_size 0
		.amdhsa_wavefront_size32 1
		.amdhsa_uses_dynamic_stack 0
		.amdhsa_enable_private_segment 0
		.amdhsa_system_sgpr_workgroup_id_x 1
		.amdhsa_system_sgpr_workgroup_id_y 1
		.amdhsa_system_sgpr_workgroup_id_z 1
		.amdhsa_system_sgpr_workgroup_info 0
		.amdhsa_system_vgpr_workitem_id 0
		.amdhsa_next_free_vgpr 15
		.amdhsa_next_free_sgpr 28
		.amdhsa_reserve_vcc 1
		.amdhsa_float_round_mode_32 0
		.amdhsa_float_round_mode_16_64 0
		.amdhsa_float_denorm_mode_32 3
		.amdhsa_float_denorm_mode_16_64 3
		.amdhsa_dx10_clamp 1
		.amdhsa_ieee_mode 1
		.amdhsa_fp16_overflow 0
		.amdhsa_workgroup_processor_mode 1
		.amdhsa_memory_ordered 1
		.amdhsa_forward_progress 0
		.amdhsa_shared_vgpr_count 0
		.amdhsa_exception_fp_ieee_invalid_op 0
		.amdhsa_exception_fp_denorm_src 0
		.amdhsa_exception_fp_ieee_div_zero 0
		.amdhsa_exception_fp_ieee_overflow 0
		.amdhsa_exception_fp_ieee_underflow 0
		.amdhsa_exception_fp_ieee_inexact 0
		.amdhsa_exception_int_div_zero 0
	.end_amdhsa_kernel
	.section	.text._ZN2at6native6mbtopk29computeBlockwiseWithinKCountsImlEEvPT_PsPjjibS6_PT0_S6_S4_S6_j,"axG",@progbits,_ZN2at6native6mbtopk29computeBlockwiseWithinKCountsImlEEvPT_PsPjjibS6_PT0_S6_S4_S6_j,comdat
.Lfunc_end41:
	.size	_ZN2at6native6mbtopk29computeBlockwiseWithinKCountsImlEEvPT_PsPjjibS6_PT0_S6_S4_S6_j, .Lfunc_end41-_ZN2at6native6mbtopk29computeBlockwiseWithinKCountsImlEEvPT_PsPjjibS6_PT0_S6_S4_S6_j
                                        ; -- End function
	.section	.AMDGPU.csdata,"",@progbits
; Kernel info:
; codeLenInByte = 2296
; NumSgprs: 30
; NumVgprs: 15
; ScratchSize: 0
; MemoryBound: 0
; FloatMode: 240
; IeeeMode: 1
; LDSByteSize: 2120 bytes/workgroup (compile time only)
; SGPRBlocks: 3
; VGPRBlocks: 1
; NumSGPRsForWavesPerEU: 30
; NumVGPRsForWavesPerEU: 15
; Occupancy: 16
; WaveLimiterHint : 1
; COMPUTE_PGM_RSRC2:SCRATCH_EN: 0
; COMPUTE_PGM_RSRC2:USER_SGPR: 13
; COMPUTE_PGM_RSRC2:TRAP_HANDLER: 0
; COMPUTE_PGM_RSRC2:TGID_X_EN: 1
; COMPUTE_PGM_RSRC2:TGID_Y_EN: 1
; COMPUTE_PGM_RSRC2:TGID_Z_EN: 1
; COMPUTE_PGM_RSRC2:TIDIG_COMP_CNT: 0
	.section	.text._ZN2at6native6mbtopk10gatherTopKIljLi1EEEvNS_4cuda6detail10TensorInfoIKT_T0_EES8_S8_bjS8_NS5_IS6_S8_EES8_NS5_IlS8_EES8_jjPS6_PjSD_j,"axG",@progbits,_ZN2at6native6mbtopk10gatherTopKIljLi1EEEvNS_4cuda6detail10TensorInfoIKT_T0_EES8_S8_bjS8_NS5_IS6_S8_EES8_NS5_IlS8_EES8_jjPS6_PjSD_j,comdat
	.protected	_ZN2at6native6mbtopk10gatherTopKIljLi1EEEvNS_4cuda6detail10TensorInfoIKT_T0_EES8_S8_bjS8_NS5_IS6_S8_EES8_NS5_IlS8_EES8_jjPS6_PjSD_j ; -- Begin function _ZN2at6native6mbtopk10gatherTopKIljLi1EEEvNS_4cuda6detail10TensorInfoIKT_T0_EES8_S8_bjS8_NS5_IS6_S8_EES8_NS5_IlS8_EES8_jjPS6_PjSD_j
	.globl	_ZN2at6native6mbtopk10gatherTopKIljLi1EEEvNS_4cuda6detail10TensorInfoIKT_T0_EES8_S8_bjS8_NS5_IS6_S8_EES8_NS5_IlS8_EES8_jjPS6_PjSD_j
	.p2align	8
	.type	_ZN2at6native6mbtopk10gatherTopKIljLi1EEEvNS_4cuda6detail10TensorInfoIKT_T0_EES8_S8_bjS8_NS5_IS6_S8_EES8_NS5_IlS8_EES8_jjPS6_PjSD_j,@function
_ZN2at6native6mbtopk10gatherTopKIljLi1EEEvNS_4cuda6detail10TensorInfoIKT_T0_EES8_S8_bjS8_NS5_IS6_S8_EES8_NS5_IlS8_EES8_jjPS6_PjSD_j: ; @_ZN2at6native6mbtopk10gatherTopKIljLi1EEEvNS_4cuda6detail10TensorInfoIKT_T0_EES8_S8_bjS8_NS5_IS6_S8_EES8_NS5_IlS8_EES8_jjPS6_PjSD_j
; %bb.0:
	s_clause 0x1
	s_load_b64 s[2:3], s[0:1], 0x2d8
	s_load_b32 s4, s[0:1], 0x2d0
	s_waitcnt lgkmcnt(0)
	s_mul_i32 s3, s3, s15
	s_delay_alu instid0(SALU_CYCLE_1) | instskip(NEXT) | instid1(SALU_CYCLE_1)
	s_add_i32 s3, s3, s14
	s_mul_i32 s2, s3, s2
	s_delay_alu instid0(SALU_CYCLE_1) | instskip(NEXT) | instid1(SALU_CYCLE_1)
	s_add_i32 s2, s2, s13
	s_cmp_ge_u32 s2, s4
	s_cbranch_scc1 .LBB42_40
; %bb.1:
	s_load_b256 s[4:11], s[0:1], 0x2a8
	s_mov_b32 s25, 0
	s_waitcnt lgkmcnt(0)
	v_cvt_f32_u32_e32 v1, s6
	s_sub_i32 s7, 0, s6
	s_delay_alu instid0(VALU_DEP_1) | instskip(SKIP_2) | instid1(VALU_DEP_1)
	v_rcp_iflag_f32_e32 v1, v1
	s_waitcnt_depctr 0xfff
	v_mul_f32_e32 v1, 0x4f7ffffe, v1
	v_cvt_u32_f32_e32 v1, v1
	s_delay_alu instid0(VALU_DEP_1) | instskip(NEXT) | instid1(VALU_DEP_1)
	v_readfirstlane_b32 s3, v1
	s_mul_i32 s7, s7, s3
	s_delay_alu instid0(SALU_CYCLE_1) | instskip(NEXT) | instid1(SALU_CYCLE_1)
	s_mul_hi_u32 s7, s3, s7
	s_add_i32 s3, s3, s7
	s_delay_alu instid0(SALU_CYCLE_1) | instskip(NEXT) | instid1(SALU_CYCLE_1)
	s_mul_hi_u32 s3, s2, s3
	s_mul_i32 s7, s3, s6
	s_add_i32 s12, s3, 1
	s_sub_i32 s7, s2, s7
	s_delay_alu instid0(SALU_CYCLE_1)
	s_sub_i32 s13, s7, s6
	s_cmp_ge_u32 s7, s6
	s_cselect_b32 s3, s12, s3
	s_cselect_b32 s7, s13, s7
	s_add_i32 s12, s3, 1
	s_cmp_ge_u32 s7, s6
	s_cselect_b32 s24, s12, s3
	s_delay_alu instid0(SALU_CYCLE_1)
	s_mul_i32 s12, s24, s6
	s_lshl_b64 s[14:15], s[24:25], 3
	s_sub_i32 s7, s2, s12
	s_add_u32 s2, s8, s14
	s_addc_u32 s3, s9, s15
	s_clause 0x2
	s_load_b64 s[18:19], s[0:1], 0x1d0
	s_load_b64 s[20:21], s[0:1], 0xf0
	;; [unrolled: 1-line block ×4, first 2 shown]
	v_cmp_ne_u32_e64 s2, 0, v0
	v_cmp_eq_u32_e64 s3, 0, v0
	s_delay_alu instid0(VALU_DEP_1)
	s_and_saveexec_b32 s30, s3
	s_cbranch_execz .LBB42_17
; %bb.2:
	s_load_b64 s[8:9], s[0:1], 0x2c8
	s_mov_b32 s13, s25
	s_delay_alu instid0(SALU_CYCLE_1) | instskip(NEXT) | instid1(SALU_CYCLE_1)
	s_lshl_b64 s[26:27], s[12:13], 2
	s_add_u32 s12, s10, s26
	s_addc_u32 s13, s11, s27
	s_waitcnt lgkmcnt(0)
	s_add_u32 s14, s8, s26
	s_addc_u32 s15, s9, s27
	s_cmp_lt_u32 s6, 4
	s_cbranch_scc1 .LBB42_14
; %bb.3:
	s_mov_b32 s31, s25
	s_mov_b32 s33, s25
	;; [unrolled: 1-line block ×3, first 2 shown]
.LBB42_4:                               ; =>This Inner Loop Header: Depth=1
	s_add_u32 s12, s10, s26
	s_addc_u32 s13, s11, s27
	s_add_u32 s28, s8, s26
	s_load_b128 s[12:15], s[12:13], 0x0
	s_addc_u32 s29, s9, s27
	s_cmp_ge_u32 s34, s7
	s_cbranch_scc0 .LBB42_11
; %bb.5:                                ;   in Loop: Header=BB42_4 Depth=1
	s_add_i32 s35, s34, 1
	s_delay_alu instid0(SALU_CYCLE_1)
	s_cmp_ge_u32 s35, s7
	s_cbranch_scc0 .LBB42_12
.LBB42_6:                               ;   in Loop: Header=BB42_4 Depth=1
	s_add_i32 s35, s35, 1
	s_delay_alu instid0(SALU_CYCLE_1)
	s_cmp_ge_u32 s35, s7
	s_cbranch_scc0 .LBB42_13
.LBB42_7:                               ;   in Loop: Header=BB42_4 Depth=1
	s_add_i32 s35, s35, 1
	s_delay_alu instid0(SALU_CYCLE_1)
	s_cmp_ge_u32 s35, s7
	s_cbranch_scc1 .LBB42_9
.LBB42_8:                               ;   in Loop: Header=BB42_4 Depth=1
	s_load_b32 s28, s[28:29], 0xc
	s_waitcnt lgkmcnt(0)
	s_add_i32 s25, s25, s15
	s_add_i32 s31, s28, s31
.LBB42_9:                               ;   in Loop: Header=BB42_4 Depth=1
	s_waitcnt lgkmcnt(0)
	s_add_i32 s12, s12, s33
	s_delay_alu instid0(SALU_CYCLE_1) | instskip(NEXT) | instid1(SALU_CYCLE_1)
	s_add_i32 s12, s12, s13
	s_add_i32 s12, s12, s14
	s_delay_alu instid0(SALU_CYCLE_1)
	s_add_i32 s33, s12, s15
	s_add_u32 s10, s10, 16
	s_addc_u32 s11, s11, 0
	s_add_u32 s8, s8, 16
	s_addc_u32 s9, s9, 0
	s_add_i32 s29, s35, 4
	s_add_u32 s14, s8, s26
	s_addc_u32 s15, s9, s27
	s_add_u32 s12, s10, s26
	s_addc_u32 s13, s11, s27
	s_add_i32 s28, s35, 1
	s_cmp_ge_u32 s29, s6
	s_cbranch_scc1 .LBB42_15
; %bb.10:                               ;   in Loop: Header=BB42_4 Depth=1
	s_mov_b32 s34, s28
	s_branch .LBB42_4
.LBB42_11:                              ;   in Loop: Header=BB42_4 Depth=1
	s_load_b32 s35, s[28:29], 0x0
	s_waitcnt lgkmcnt(0)
	s_add_i32 s25, s12, s25
	s_add_i32 s31, s35, s31
	;; [unrolled: 1-line block ×3, first 2 shown]
	s_delay_alu instid0(SALU_CYCLE_1)
	s_cmp_ge_u32 s35, s7
	s_cbranch_scc1 .LBB42_6
.LBB42_12:                              ;   in Loop: Header=BB42_4 Depth=1
	s_load_b32 s36, s[28:29], 0x4
	s_waitcnt lgkmcnt(0)
	s_add_i32 s25, s25, s13
	s_add_i32 s31, s36, s31
	;; [unrolled: 1-line block ×3, first 2 shown]
	s_delay_alu instid0(SALU_CYCLE_1)
	s_cmp_ge_u32 s35, s7
	s_cbranch_scc1 .LBB42_7
.LBB42_13:                              ;   in Loop: Header=BB42_4 Depth=1
	s_load_b32 s36, s[28:29], 0x8
	s_waitcnt lgkmcnt(0)
	s_add_i32 s25, s25, s14
	s_add_i32 s31, s36, s31
	;; [unrolled: 1-line block ×3, first 2 shown]
	s_delay_alu instid0(SALU_CYCLE_1)
	s_cmp_ge_u32 s35, s7
	s_cbranch_scc0 .LBB42_8
	s_branch .LBB42_9
.LBB42_14:
	s_mov_b32 s31, 0
	s_mov_b32 s33, 0
	;; [unrolled: 1-line block ×3, first 2 shown]
	s_delay_alu instid0(SALU_CYCLE_1)
	s_cmp_ge_u32 s8, s6
	s_cbranch_scc0 .LBB42_38
	s_branch .LBB42_16
.LBB42_15:
	s_add_i32 s8, s34, 4
	s_delay_alu instid0(SALU_CYCLE_1)
	s_cmp_ge_u32 s8, s6
	s_cbranch_scc0 .LBB42_38
.LBB42_16:
	v_dual_mov_b32 v1, s31 :: v_dual_mov_b32 v2, s33
	v_dual_mov_b32 v3, s25 :: v_dual_mov_b32 v4, 0
	ds_store_b96 v4, v[1:3] offset:1056
.LBB42_17:
	s_or_b32 exec_lo, exec_lo, s30
	s_clause 0x3
	s_load_b32 s12, s[0:1], 0x23c
	s_load_b32 s13, s[0:1], 0x15c
	;; [unrolled: 1-line block ×3, first 2 shown]
	s_load_b128 s[8:11], s[0:1], 0xd8
	s_waitcnt lgkmcnt(0)
	s_mul_i32 s11, s5, s7
	s_add_i32 s7, s7, 1
	s_lshl_b32 s25, s11, 8
	s_barrier
	buffer_gl0_inv
	s_sub_i32 s11, s8, s25
	s_delay_alu instid0(SALU_CYCLE_1) | instskip(SKIP_4) | instid1(VALU_DEP_1)
	s_add_u32 s11, s11, 0xff
	s_addc_u32 s15, 0, 0
	s_cmp_lt_u32 s7, s6
	v_alignbit_b32 v1, s15, s11, 8
	s_mov_b32 s7, 0
	v_readfirstlane_b32 s11, v1
	s_delay_alu instid0(VALU_DEP_1) | instskip(NEXT) | instid1(SALU_CYCLE_1)
	s_cselect_b32 s5, s5, s11
	s_cmp_eq_u32 s5, 0
	s_cbranch_scc1 .LBB42_40
; %bb.18:
	v_dual_mov_b32 v5, 0 :: v_dual_lshlrev_b32 v6, 3, v0
	s_mul_i32 s6, s24, s14
	s_mul_i32 s14, s24, s13
	s_mul_i32 s26, s24, s12
	ds_load_b96 v[1:3], v5 offset:1056
	s_clause 0x1
	s_load_b32 s24, s[0:1], 0xe8
	s_load_b32 s11, s[0:1], 0x1c8
	v_add_nc_u32_e32 v11, -1, v0
	s_lshl_b64 s[0:1], s[6:7], 3
	s_mov_b32 s15, s7
	v_lshrrev_b32_e32 v4, 5, v0
	s_add_u32 s12, s22, s0
	s_addc_u32 s13, s23, s1
	s_lshl_b64 s[0:1], s[14:15], 3
	s_mov_b32 s27, s7
	v_lshrrev_b32_e32 v7, 2, v0
	v_mbcnt_lo_u32_b32 v10, -1, 0
	s_add_u32 s14, s20, s0
	s_addc_u32 s15, s21, s1
	s_lshl_b64 s[0:1], s[26:27], 3
	v_add_lshl_u32 v8, v4, v0, 2
	s_add_u32 s18, s18, s0
	s_addc_u32 s19, s19, s1
	s_xor_b32 s7, s17, 0x80000000
	v_cmp_gt_u32_e64 s0, 32, v0
	s_waitcnt lgkmcnt(0)
	v_add_nc_u32_e32 v9, v1, v2
	v_add_nc_u32_e32 v1, s25, v0
	v_lshrrev_b32_e32 v2, 5, v11
	v_add_lshl_u32 v0, v7, v6, 2
	v_and_b32_e32 v12, 15, v10
	v_bfe_i32 v13, v10, 4, 1
	v_mul_lo_u32 v4, s24, v1
	v_add_lshl_u32 v11, v2, v11, 2
	v_add_nc_u32_e32 v14, -1, v10
	s_bitcmp1_b32 s10, 0
	s_mov_b32 s6, s16
	s_cselect_b32 s1, -1, 0
	s_lshl_b32 s10, s24, 8
                                        ; implicit-def: $vgpr6_vgpr7
	s_branch .LBB42_21
.LBB42_19:                              ;   in Loop: Header=BB42_21 Depth=1
	s_or_b32 exec_lo, exec_lo, s20
	v_add_nc_u32_e32 v9, v17, v9
.LBB42_20:                              ;   in Loop: Header=BB42_21 Depth=1
	v_add_nc_u32_e32 v3, v16, v3
	v_add_nc_u32_e32 v4, s10, v4
	;; [unrolled: 1-line block ×3, first 2 shown]
	s_add_i32 s5, s5, -1
	s_delay_alu instid0(SALU_CYCLE_1)
	s_cmp_lg_u32 s5, 0
	s_cbranch_scc0 .LBB42_40
.LBB42_21:                              ; =>This Inner Loop Header: Depth=1
	v_dual_mov_b32 v2, 0 :: v_dual_mov_b32 v15, 0
	s_mov_b32 s20, exec_lo
	v_cmpx_gt_u32_e64 s8, v1
	s_cbranch_execz .LBB42_23
; %bb.22:                               ;   in Loop: Header=BB42_21 Depth=1
	v_lshlrev_b64 v[6:7], 3, v[4:5]
	s_delay_alu instid0(VALU_DEP_1) | instskip(NEXT) | instid1(VALU_DEP_2)
	v_add_co_u32 v6, vcc_lo, s12, v6
	v_add_co_ci_u32_e32 v7, vcc_lo, s13, v7, vcc_lo
	global_load_b64 v[6:7], v[6:7], off
	s_waitcnt vmcnt(0)
	v_xor_b32_e32 v16, 0x80000000, v7
	v_mov_b32_e32 v15, v6
	s_delay_alu instid0(VALU_DEP_1) | instskip(SKIP_4) | instid1(VALU_DEP_2)
	v_cmp_lt_u64_e32 vcc_lo, s[6:7], v[15:16]
	v_cndmask_b32_e64 v2, 0, 1, vcc_lo
	v_cmp_gt_u64_e32 vcc_lo, s[6:7], v[15:16]
	v_cndmask_b32_e64 v15, 0, 1, vcc_lo
	v_cmp_eq_u64_e32 vcc_lo, s[16:17], v[6:7]
	v_cndmask_b32_e64 v2, v15, v2, s1
	v_cndmask_b32_e64 v15, 0, 1, vcc_lo
	s_delay_alu instid0(VALU_DEP_2)
	v_and_b32_e32 v2, 1, v2
.LBB42_23:                              ;   in Loop: Header=BB42_21 Depth=1
	s_or_b32 exec_lo, exec_lo, s20
	ds_store_b32 v8, v2
	s_waitcnt lgkmcnt(0)
	s_waitcnt_vscnt null, 0x0
	s_barrier
	buffer_gl0_inv
	s_and_saveexec_b32 s20, s0
	s_cbranch_execz .LBB42_25
; %bb.24:                               ;   in Loop: Header=BB42_21 Depth=1
	ds_load_2addr_b32 v[16:17], v0 offset1:1
	ds_load_2addr_b32 v[18:19], v0 offset0:2 offset1:3
	ds_load_2addr_b32 v[20:21], v0 offset0:4 offset1:5
	;; [unrolled: 1-line block ×3, first 2 shown]
	v_cmp_ne_u32_e32 vcc_lo, 0, v12
	; wave barrier
	s_waitcnt lgkmcnt(3)
	v_add_nc_u32_e32 v17, v17, v16
	s_waitcnt lgkmcnt(2)
	s_delay_alu instid0(VALU_DEP_1) | instskip(SKIP_1) | instid1(VALU_DEP_1)
	v_add3_u32 v17, v17, v18, v19
	s_waitcnt lgkmcnt(1)
	v_add3_u32 v17, v17, v20, v21
	s_waitcnt lgkmcnt(0)
	s_delay_alu instid0(VALU_DEP_1) | instskip(NEXT) | instid1(VALU_DEP_1)
	v_add3_u32 v17, v17, v22, v23
	v_mov_b32_dpp v18, v17 row_shr:1 row_mask:0xf bank_mask:0xf
	s_delay_alu instid0(VALU_DEP_1) | instskip(SKIP_1) | instid1(VALU_DEP_2)
	v_cndmask_b32_e32 v18, 0, v18, vcc_lo
	v_cmp_lt_u32_e32 vcc_lo, 1, v12
	v_add_nc_u32_e32 v17, v18, v17
	s_delay_alu instid0(VALU_DEP_1) | instskip(NEXT) | instid1(VALU_DEP_1)
	v_mov_b32_dpp v18, v17 row_shr:2 row_mask:0xf bank_mask:0xf
	v_cndmask_b32_e32 v18, 0, v18, vcc_lo
	v_cmp_lt_u32_e32 vcc_lo, 3, v12
	s_delay_alu instid0(VALU_DEP_2) | instskip(NEXT) | instid1(VALU_DEP_1)
	v_add_nc_u32_e32 v17, v17, v18
	v_mov_b32_dpp v18, v17 row_shr:4 row_mask:0xf bank_mask:0xf
	s_delay_alu instid0(VALU_DEP_1) | instskip(SKIP_1) | instid1(VALU_DEP_2)
	v_cndmask_b32_e32 v18, 0, v18, vcc_lo
	v_cmp_lt_u32_e32 vcc_lo, 7, v12
	v_add_nc_u32_e32 v17, v17, v18
	s_delay_alu instid0(VALU_DEP_1) | instskip(NEXT) | instid1(VALU_DEP_1)
	v_mov_b32_dpp v18, v17 row_shr:8 row_mask:0xf bank_mask:0xf
	v_cndmask_b32_e32 v18, 0, v18, vcc_lo
	v_cmp_gt_i32_e32 vcc_lo, 0, v14
	s_delay_alu instid0(VALU_DEP_2)
	v_add_nc_u32_e32 v17, v17, v18
	v_cndmask_b32_e32 v19, v14, v10, vcc_lo
	ds_swizzle_b32 v18, v17 offset:swizzle(BROADCAST,32,15)
	v_lshlrev_b32_e32 v19, 2, v19
	s_waitcnt lgkmcnt(0)
	v_and_b32_e32 v18, v13, v18
	s_delay_alu instid0(VALU_DEP_1) | instskip(SKIP_3) | instid1(VALU_DEP_1)
	v_add_nc_u32_e32 v17, v17, v18
	ds_bpermute_b32 v17, v19, v17
	s_waitcnt lgkmcnt(0)
	v_add_nc_u32_e32 v16, v17, v16
	v_cndmask_b32_e64 v22, v16, v2, s3
	ds_store_b32 v0, v22
	; wave barrier
	ds_load_2addr_b32 v[16:17], v0 offset0:1 offset1:2
	ds_load_2addr_b32 v[18:19], v0 offset0:3 offset1:4
	;; [unrolled: 1-line block ×3, first 2 shown]
	ds_load_b32 v23, v0 offset:28
	s_waitcnt lgkmcnt(3)
	v_add_nc_u32_e32 v16, v16, v22
	s_delay_alu instid0(VALU_DEP_1) | instskip(SKIP_1) | instid1(VALU_DEP_1)
	v_add_nc_u32_e32 v17, v17, v16
	s_waitcnt lgkmcnt(2)
	v_add_nc_u32_e32 v18, v18, v17
	s_delay_alu instid0(VALU_DEP_1) | instskip(SKIP_1) | instid1(VALU_DEP_1)
	v_add_nc_u32_e32 v19, v19, v18
	s_waitcnt lgkmcnt(1)
	v_add_nc_u32_e32 v20, v20, v19
	s_delay_alu instid0(VALU_DEP_1) | instskip(SKIP_1) | instid1(VALU_DEP_1)
	v_add_nc_u32_e32 v21, v21, v20
	s_waitcnt lgkmcnt(0)
	v_add_nc_u32_e32 v22, v23, v21
	ds_store_2addr_b32 v0, v16, v17 offset0:1 offset1:2
	ds_store_2addr_b32 v0, v18, v19 offset0:3 offset1:4
	;; [unrolled: 1-line block ×3, first 2 shown]
	ds_store_b32 v0, v22 offset:28
.LBB42_25:                              ;   in Loop: Header=BB42_21 Depth=1
	s_or_b32 exec_lo, exec_lo, s20
	v_mov_b32_e32 v17, 0
	s_waitcnt lgkmcnt(0)
	s_barrier
	buffer_gl0_inv
	s_and_saveexec_b32 s20, s2
	s_cbranch_execz .LBB42_27
; %bb.26:                               ;   in Loop: Header=BB42_21 Depth=1
	ds_load_b32 v17, v11
.LBB42_27:                              ;   in Loop: Header=BB42_21 Depth=1
	s_or_b32 exec_lo, exec_lo, s20
	ds_load_b32 v16, v5 offset:1048
	s_mov_b32 s20, exec_lo
	s_waitcnt lgkmcnt(0)
	s_barrier
	buffer_gl0_inv
	v_cmpx_ne_u32_e32 0, v2
	s_cbranch_execz .LBB42_29
; %bb.28:                               ;   in Loop: Header=BB42_21 Depth=1
	v_add_nc_u32_e32 v2, v17, v3
	v_mov_b32_e32 v18, v5
	v_mov_b32_e32 v20, v5
	s_delay_alu instid0(VALU_DEP_3) | instskip(SKIP_2) | instid1(VALU_DEP_3)
	v_mul_lo_u32 v17, v2, s11
	v_mul_lo_u32 v19, v2, s4
	v_mov_b32_e32 v2, v5
	v_lshlrev_b64 v[17:18], 3, v[17:18]
	s_delay_alu instid0(VALU_DEP_3) | instskip(NEXT) | instid1(VALU_DEP_2)
	v_lshlrev_b64 v[19:20], 3, v[19:20]
	v_add_co_u32 v17, vcc_lo, s14, v17
	s_delay_alu instid0(VALU_DEP_3) | instskip(NEXT) | instid1(VALU_DEP_3)
	v_add_co_ci_u32_e32 v18, vcc_lo, s15, v18, vcc_lo
	v_add_co_u32 v19, vcc_lo, s18, v19
	s_delay_alu instid0(VALU_DEP_4)
	v_add_co_ci_u32_e32 v20, vcc_lo, s19, v20, vcc_lo
	global_store_b64 v[17:18], v[6:7], off
	global_store_b64 v[19:20], v[1:2], off
.LBB42_29:                              ;   in Loop: Header=BB42_21 Depth=1
	s_or_b32 exec_lo, exec_lo, s20
	v_cmp_le_u32_e32 vcc_lo, s9, v9
	s_cbranch_vccnz .LBB42_20
; %bb.30:                               ;   in Loop: Header=BB42_21 Depth=1
	ds_store_b32 v8, v15
	s_waitcnt lgkmcnt(0)
	s_waitcnt_vscnt null, 0x0
	s_barrier
	buffer_gl0_inv
	s_and_saveexec_b32 s20, s0
	s_cbranch_execz .LBB42_32
; %bb.31:                               ;   in Loop: Header=BB42_21 Depth=1
	ds_load_2addr_b32 v[17:18], v0 offset1:1
	ds_load_2addr_b32 v[19:20], v0 offset0:2 offset1:3
	ds_load_2addr_b32 v[21:22], v0 offset0:4 offset1:5
	;; [unrolled: 1-line block ×3, first 2 shown]
	v_cmp_ne_u32_e32 vcc_lo, 0, v12
	; wave barrier
	s_waitcnt lgkmcnt(3)
	v_add_nc_u32_e32 v2, v18, v17
	s_waitcnt lgkmcnt(2)
	s_delay_alu instid0(VALU_DEP_1) | instskip(SKIP_1) | instid1(VALU_DEP_1)
	v_add3_u32 v2, v2, v19, v20
	s_waitcnt lgkmcnt(1)
	v_add3_u32 v2, v2, v21, v22
	s_waitcnt lgkmcnt(0)
	s_delay_alu instid0(VALU_DEP_1) | instskip(NEXT) | instid1(VALU_DEP_1)
	v_add3_u32 v2, v2, v23, v24
	v_mov_b32_dpp v18, v2 row_shr:1 row_mask:0xf bank_mask:0xf
	s_delay_alu instid0(VALU_DEP_1) | instskip(SKIP_1) | instid1(VALU_DEP_2)
	v_cndmask_b32_e32 v18, 0, v18, vcc_lo
	v_cmp_lt_u32_e32 vcc_lo, 1, v12
	v_add_nc_u32_e32 v2, v18, v2
	s_delay_alu instid0(VALU_DEP_1) | instskip(NEXT) | instid1(VALU_DEP_1)
	v_mov_b32_dpp v18, v2 row_shr:2 row_mask:0xf bank_mask:0xf
	v_cndmask_b32_e32 v18, 0, v18, vcc_lo
	v_cmp_lt_u32_e32 vcc_lo, 3, v12
	s_delay_alu instid0(VALU_DEP_2) | instskip(NEXT) | instid1(VALU_DEP_1)
	v_add_nc_u32_e32 v2, v2, v18
	v_mov_b32_dpp v18, v2 row_shr:4 row_mask:0xf bank_mask:0xf
	s_delay_alu instid0(VALU_DEP_1) | instskip(SKIP_1) | instid1(VALU_DEP_2)
	v_cndmask_b32_e32 v18, 0, v18, vcc_lo
	v_cmp_lt_u32_e32 vcc_lo, 7, v12
	v_add_nc_u32_e32 v2, v2, v18
	s_delay_alu instid0(VALU_DEP_1) | instskip(NEXT) | instid1(VALU_DEP_1)
	v_mov_b32_dpp v18, v2 row_shr:8 row_mask:0xf bank_mask:0xf
	v_cndmask_b32_e32 v18, 0, v18, vcc_lo
	v_cmp_gt_i32_e32 vcc_lo, 0, v14
	s_delay_alu instid0(VALU_DEP_2)
	v_add_nc_u32_e32 v2, v2, v18
	v_cndmask_b32_e32 v19, v14, v10, vcc_lo
	ds_swizzle_b32 v18, v2 offset:swizzle(BROADCAST,32,15)
	v_lshlrev_b32_e32 v19, 2, v19
	s_waitcnt lgkmcnt(0)
	v_and_b32_e32 v18, v13, v18
	s_delay_alu instid0(VALU_DEP_1) | instskip(SKIP_3) | instid1(VALU_DEP_1)
	v_add_nc_u32_e32 v2, v2, v18
	ds_bpermute_b32 v2, v19, v2
	s_waitcnt lgkmcnt(0)
	v_add_nc_u32_e32 v2, v2, v17
	v_cndmask_b32_e64 v2, v2, v15, s3
	ds_store_b32 v0, v2
	; wave barrier
	ds_load_2addr_b32 v[17:18], v0 offset0:1 offset1:2
	ds_load_2addr_b32 v[19:20], v0 offset0:3 offset1:4
	;; [unrolled: 1-line block ×3, first 2 shown]
	ds_load_b32 v23, v0 offset:28
	s_waitcnt lgkmcnt(3)
	v_add_nc_u32_e32 v2, v17, v2
	s_delay_alu instid0(VALU_DEP_1) | instskip(SKIP_1) | instid1(VALU_DEP_1)
	v_add_nc_u32_e32 v17, v18, v2
	s_waitcnt lgkmcnt(2)
	v_add_nc_u32_e32 v18, v19, v17
	s_delay_alu instid0(VALU_DEP_1) | instskip(SKIP_1) | instid1(VALU_DEP_1)
	v_add_nc_u32_e32 v19, v20, v18
	;; [unrolled: 4-line block ×3, first 2 shown]
	s_waitcnt lgkmcnt(0)
	v_add_nc_u32_e32 v22, v23, v21
	ds_store_2addr_b32 v0, v2, v17 offset0:1 offset1:2
	ds_store_2addr_b32 v0, v18, v19 offset0:3 offset1:4
	;; [unrolled: 1-line block ×3, first 2 shown]
	ds_store_b32 v0, v22 offset:28
.LBB42_32:                              ;   in Loop: Header=BB42_21 Depth=1
	s_or_b32 exec_lo, exec_lo, s20
	v_mov_b32_e32 v2, 0
	s_waitcnt lgkmcnt(0)
	s_barrier
	buffer_gl0_inv
	s_and_saveexec_b32 s20, s2
	s_cbranch_execz .LBB42_34
; %bb.33:                               ;   in Loop: Header=BB42_21 Depth=1
	ds_load_b32 v2, v11
.LBB42_34:                              ;   in Loop: Header=BB42_21 Depth=1
	s_or_b32 exec_lo, exec_lo, s20
	ds_load_b32 v17, v5 offset:1048
	s_mov_b32 s20, exec_lo
	s_waitcnt lgkmcnt(0)
	s_barrier
	buffer_gl0_inv
	v_cmpx_ne_u32_e32 0, v15
	s_cbranch_execz .LBB42_19
; %bb.35:                               ;   in Loop: Header=BB42_21 Depth=1
	v_add_nc_u32_e32 v2, v2, v9
	s_delay_alu instid0(VALU_DEP_1)
	v_cmp_gt_u32_e32 vcc_lo, s9, v2
	s_and_b32 exec_lo, exec_lo, vcc_lo
	s_cbranch_execz .LBB42_19
; %bb.36:                               ;   in Loop: Header=BB42_21 Depth=1
	v_mul_lo_u32 v18, v2, s11
	v_mov_b32_e32 v19, v5
	v_mul_lo_u32 v20, v2, s4
	v_mov_b32_e32 v21, v5
	v_mov_b32_e32 v2, v5
	s_delay_alu instid0(VALU_DEP_4) | instskip(NEXT) | instid1(VALU_DEP_3)
	v_lshlrev_b64 v[18:19], 3, v[18:19]
	v_lshlrev_b64 v[20:21], 3, v[20:21]
	s_delay_alu instid0(VALU_DEP_2) | instskip(NEXT) | instid1(VALU_DEP_3)
	v_add_co_u32 v18, vcc_lo, s14, v18
	v_add_co_ci_u32_e32 v19, vcc_lo, s15, v19, vcc_lo
	s_delay_alu instid0(VALU_DEP_3) | instskip(NEXT) | instid1(VALU_DEP_4)
	v_add_co_u32 v20, vcc_lo, s18, v20
	v_add_co_ci_u32_e32 v21, vcc_lo, s19, v21, vcc_lo
	global_store_b64 v[18:19], v[6:7], off
	global_store_b64 v[20:21], v[1:2], off
	s_branch .LBB42_19
	.p2align	6
.LBB42_37:                              ;   in Loop: Header=BB42_38 Depth=1
	s_add_u32 s12, s12, 4
	s_addc_u32 s13, s13, 0
	s_waitcnt lgkmcnt(0)
	s_add_i32 s33, s9, s33
	s_add_u32 s14, s14, 4
	s_addc_u32 s15, s15, 0
	s_add_i32 s8, s8, 1
	s_delay_alu instid0(SALU_CYCLE_1)
	s_cmp_lt_u32 s8, s6
	s_cbranch_scc0 .LBB42_16
.LBB42_38:                              ; =>This Inner Loop Header: Depth=1
	s_load_b32 s9, s[12:13], 0x0
	s_cmp_ge_u32 s8, s7
	s_cbranch_scc1 .LBB42_37
; %bb.39:                               ;   in Loop: Header=BB42_38 Depth=1
	s_load_b32 s10, s[14:15], 0x0
	s_waitcnt lgkmcnt(0)
	s_add_i32 s25, s9, s25
	s_add_i32 s31, s10, s31
	s_branch .LBB42_37
.LBB42_40:
	s_nop 0
	s_sendmsg sendmsg(MSG_DEALLOC_VGPRS)
	s_endpgm
	.section	.rodata,"a",@progbits
	.p2align	6, 0x0
	.amdhsa_kernel _ZN2at6native6mbtopk10gatherTopKIljLi1EEEvNS_4cuda6detail10TensorInfoIKT_T0_EES8_S8_bjS8_NS5_IS6_S8_EES8_NS5_IlS8_EES8_jjPS6_PjSD_j
		.amdhsa_group_segment_fixed_size 1068
		.amdhsa_private_segment_fixed_size 0
		.amdhsa_kernarg_size 984
		.amdhsa_user_sgpr_count 13
		.amdhsa_user_sgpr_dispatch_ptr 0
		.amdhsa_user_sgpr_queue_ptr 0
		.amdhsa_user_sgpr_kernarg_segment_ptr 1
		.amdhsa_user_sgpr_dispatch_id 0
		.amdhsa_user_sgpr_private_segment_size 0
		.amdhsa_wavefront_size32 1
		.amdhsa_uses_dynamic_stack 0
		.amdhsa_enable_private_segment 0
		.amdhsa_system_sgpr_workgroup_id_x 1
		.amdhsa_system_sgpr_workgroup_id_y 1
		.amdhsa_system_sgpr_workgroup_id_z 1
		.amdhsa_system_sgpr_workgroup_info 0
		.amdhsa_system_vgpr_workitem_id 0
		.amdhsa_next_free_vgpr 25
		.amdhsa_next_free_sgpr 37
		.amdhsa_reserve_vcc 1
		.amdhsa_float_round_mode_32 0
		.amdhsa_float_round_mode_16_64 0
		.amdhsa_float_denorm_mode_32 3
		.amdhsa_float_denorm_mode_16_64 3
		.amdhsa_dx10_clamp 1
		.amdhsa_ieee_mode 1
		.amdhsa_fp16_overflow 0
		.amdhsa_workgroup_processor_mode 1
		.amdhsa_memory_ordered 1
		.amdhsa_forward_progress 0
		.amdhsa_shared_vgpr_count 0
		.amdhsa_exception_fp_ieee_invalid_op 0
		.amdhsa_exception_fp_denorm_src 0
		.amdhsa_exception_fp_ieee_div_zero 0
		.amdhsa_exception_fp_ieee_overflow 0
		.amdhsa_exception_fp_ieee_underflow 0
		.amdhsa_exception_fp_ieee_inexact 0
		.amdhsa_exception_int_div_zero 0
	.end_amdhsa_kernel
	.section	.text._ZN2at6native6mbtopk10gatherTopKIljLi1EEEvNS_4cuda6detail10TensorInfoIKT_T0_EES8_S8_bjS8_NS5_IS6_S8_EES8_NS5_IlS8_EES8_jjPS6_PjSD_j,"axG",@progbits,_ZN2at6native6mbtopk10gatherTopKIljLi1EEEvNS_4cuda6detail10TensorInfoIKT_T0_EES8_S8_bjS8_NS5_IS6_S8_EES8_NS5_IlS8_EES8_jjPS6_PjSD_j,comdat
.Lfunc_end42:
	.size	_ZN2at6native6mbtopk10gatherTopKIljLi1EEEvNS_4cuda6detail10TensorInfoIKT_T0_EES8_S8_bjS8_NS5_IS6_S8_EES8_NS5_IlS8_EES8_jjPS6_PjSD_j, .Lfunc_end42-_ZN2at6native6mbtopk10gatherTopKIljLi1EEEvNS_4cuda6detail10TensorInfoIKT_T0_EES8_S8_bjS8_NS5_IS6_S8_EES8_NS5_IlS8_EES8_jjPS6_PjSD_j
                                        ; -- End function
	.section	.AMDGPU.csdata,"",@progbits
; Kernel info:
; codeLenInByte = 2512
; NumSgprs: 39
; NumVgprs: 25
; ScratchSize: 0
; MemoryBound: 0
; FloatMode: 240
; IeeeMode: 1
; LDSByteSize: 1068 bytes/workgroup (compile time only)
; SGPRBlocks: 4
; VGPRBlocks: 3
; NumSGPRsForWavesPerEU: 39
; NumVGPRsForWavesPerEU: 25
; Occupancy: 16
; WaveLimiterHint : 1
; COMPUTE_PGM_RSRC2:SCRATCH_EN: 0
; COMPUTE_PGM_RSRC2:USER_SGPR: 13
; COMPUTE_PGM_RSRC2:TRAP_HANDLER: 0
; COMPUTE_PGM_RSRC2:TGID_X_EN: 1
; COMPUTE_PGM_RSRC2:TGID_Y_EN: 1
; COMPUTE_PGM_RSRC2:TGID_Z_EN: 1
; COMPUTE_PGM_RSRC2:TIDIG_COMP_CNT: 0
	.section	.text._ZN2at6native6sbtopk10gatherTopKIljLi1ELb0EEEvNS_4cuda6detail10TensorInfoIKT_T0_EES8_S8_bS8_S8_NS5_IS6_S8_EES8_NS5_IlS8_EES8_PS6_,"axG",@progbits,_ZN2at6native6sbtopk10gatherTopKIljLi1ELb0EEEvNS_4cuda6detail10TensorInfoIKT_T0_EES8_S8_bS8_S8_NS5_IS6_S8_EES8_NS5_IlS8_EES8_PS6_,comdat
	.protected	_ZN2at6native6sbtopk10gatherTopKIljLi1ELb0EEEvNS_4cuda6detail10TensorInfoIKT_T0_EES8_S8_bS8_S8_NS5_IS6_S8_EES8_NS5_IlS8_EES8_PS6_ ; -- Begin function _ZN2at6native6sbtopk10gatherTopKIljLi1ELb0EEEvNS_4cuda6detail10TensorInfoIKT_T0_EES8_S8_bS8_S8_NS5_IS6_S8_EES8_NS5_IlS8_EES8_PS6_
	.globl	_ZN2at6native6sbtopk10gatherTopKIljLi1ELb0EEEvNS_4cuda6detail10TensorInfoIKT_T0_EES8_S8_bS8_S8_NS5_IS6_S8_EES8_NS5_IlS8_EES8_PS6_
	.p2align	8
	.type	_ZN2at6native6sbtopk10gatherTopKIljLi1ELb0EEEvNS_4cuda6detail10TensorInfoIKT_T0_EES8_S8_bS8_S8_NS5_IS6_S8_EES8_NS5_IlS8_EES8_PS6_,@function
_ZN2at6native6sbtopk10gatherTopKIljLi1ELb0EEEvNS_4cuda6detail10TensorInfoIKT_T0_EES8_S8_bS8_S8_NS5_IS6_S8_EES8_NS5_IlS8_EES8_PS6_: ; @_ZN2at6native6sbtopk10gatherTopKIljLi1ELb0EEEvNS_4cuda6detail10TensorInfoIKT_T0_EES8_S8_bS8_S8_NS5_IS6_S8_EES8_NS5_IlS8_EES8_PS6_
; %bb.0:
	s_clause 0x1
	s_load_b64 s[4:5], s[0:1], 0x2b8
	s_load_b128 s[36:39], s[0:1], 0xd8
	s_add_u32 s6, s0, 0x2b8
	s_addc_u32 s7, s1, 0
	s_waitcnt lgkmcnt(0)
	s_mul_i32 s2, s5, s15
	s_delay_alu instid0(SALU_CYCLE_1) | instskip(NEXT) | instid1(SALU_CYCLE_1)
	s_add_i32 s2, s2, s14
	s_mul_i32 s45, s2, s4
	s_delay_alu instid0(SALU_CYCLE_1) | instskip(NEXT) | instid1(SALU_CYCLE_1)
	s_add_i32 s45, s45, s13
	s_cmp_ge_u32 s45, s39
	s_cbranch_scc1 .LBB43_466
; %bb.1:
	s_clause 0x4
	s_load_b64 s[34:35], s[0:1], 0x1d0
	s_load_b64 s[40:41], s[0:1], 0xf0
	s_load_b32 s30, s[0:1], 0xe8
	s_load_b32 s8, s[0:1], 0x6c
	s_load_b64 s[2:3], s[0:1], 0x0
	v_cmp_eq_u32_e64 s5, 0, v0
	s_mov_b32 s43, 0
	s_delay_alu instid0(VALU_DEP_1)
	s_and_saveexec_b32 s9, s5
	s_cbranch_execz .LBB43_3
; %bb.2:
	v_dual_mov_b32 v1, 0 :: v_dual_mov_b32 v2, s36
	s_delay_alu instid0(VALU_DEP_1)
	v_mov_b32_e32 v3, v1
	ds_store_b96 v1, v[1:3] offset:4096
.LBB43_3:
	s_or_b32 exec_lo, exec_lo, s9
	s_waitcnt lgkmcnt(0)
	s_barrier
	buffer_gl0_inv
	s_load_b32 s10, s[6:7], 0xc
	s_mul_i32 s42, s8, s45
	v_mbcnt_lo_u32_b32 v28, -1, 0
	s_lshl_b64 s[8:9], s[42:43], 3
	v_cmp_gt_u32_e32 vcc_lo, 32, v0
	s_add_u32 s31, s2, s8
	s_addc_u32 s33, s3, s9
	s_bitcmp1_b32 s38, 0
	v_cmp_gt_i32_e64 s2, 4, v28
	s_cselect_b32 s3, -1, 0
	v_mul_lo_u32 v13, v0, s30
	s_xor_b32 s48, s3, -1
	v_mov_b32_e32 v5, 0
	s_and_b32 s49, vcc_lo, s2
	s_clause 0x1
	s_load_b32 s46, s[0:1], 0x23c
	s_load_b32 s47, s[0:1], 0x15c
	v_lshlrev_b32_e32 v38, 5, v0
	v_lshl_or_b32 v39, v28, 2, 0xc00
	s_mov_b32 s71, 62
	v_lshlrev_b32_e32 v36, 2, v13
	s_mov_b32 s66, 0
	s_waitcnt lgkmcnt(0)
	s_and_b32 s42, s10, 0xffff
	s_bfe_u32 s2, s10, 0xb0005
	s_lshl_b32 s50, s42, 2
	s_cmpk_gt_u32 s36, 0x180
	v_cvt_f32_u32_e32 v1, s50
	s_cselect_b32 s51, -1, 0
	s_cmp_gt_u32 s42, 31
	v_cvt_f32_u32_e32 v2, s42
	s_cselect_b32 s52, -1, 0
	v_rcp_iflag_f32_e32 v1, v1
	s_add_i32 s53, s42, -1
	s_mul_i32 s44, s30, s42
	s_add_i32 s9, s53, s36
	s_cmp_lt_u32 s13, s4
	v_rcp_iflag_f32_e32 v2, v2
	s_cselect_b32 s8, 12, 18
	v_lshlrev_b32_e32 v30, 3, v0
	s_add_u32 s38, s6, s8
	s_addc_u32 s39, s7, 0
	s_waitcnt_depctr 0xfff
	v_mul_f32_e32 v1, 0x4f7ffffe, v1
	s_add_i32 s6, s2, -1
	s_bfe_u32 s54, s42, 0x30005
	s_cmp_gt_u32 s6, 6
	v_dual_mul_f32 v2, 0x4f7ffffe, v2 :: v_dual_lshlrev_b32 v29, 2, v0
	v_cvt_u32_f32_e32 v1, v1
	s_cselect_b32 s55, -1, 0
	s_and_b32 s56, s2, 0x7f8
	s_cmp_lg_u32 s54, 0
	v_dual_mov_b32 v15, 0 :: v_dual_add_nc_u32 v32, 0xc00, v30
	v_readfirstlane_b32 s2, v1
	s_cselect_b32 s57, -1, 0
	s_sub_i32 s6, 0, s50
	v_cvt_u32_f32_e32 v2, v2
	v_lshrrev_b32_e32 v1, 3, v0
	s_mul_i32 s6, s6, s2
	v_mov_b32_e32 v14, v15
	s_mul_hi_u32 s7, s2, s6
	v_mad_u64_u32 v[18:19], null, s30, v29, s[30:31]
	v_and_b32_e32 v31, 0x7c, v1
	s_add_i32 s58, s2, s7
	v_cmp_gt_u32_e64 s4, s36, v0
	s_mul_hi_u32 s2, s36, s58
	v_cmp_gt_u32_e64 s6, 2, v0
	s_mul_i32 s7, s2, s50
	v_cmp_eq_u32_e64 s2, 0, v28
	s_sub_i32 s7, s36, s7
                                        ; implicit-def: $sgpr65
                                        ; implicit-def: $sgpr69
                                        ; implicit-def: $sgpr68
                                        ; implicit-def: $sgpr70
                                        ; implicit-def: $sgpr67
                                        ; implicit-def: $sgpr72
                                        ; implicit-def: $sgpr74
                                        ; implicit-def: $sgpr73
                                        ; implicit-def: $sgpr75
                                        ; implicit-def: $sgpr76
	v_mov_b32_e32 v6, 0
	s_sub_i32 s8, s7, s50
	s_cmp_ge_u32 s7, s50
	v_mov_b32_e32 v40, s37
	s_cselect_b32 s7, s8, s7
	v_readfirstlane_b32 s8, v2
	s_sub_i32 s10, s7, s50
	s_cmp_ge_u32 s7, s50
	v_lshlrev_b64 v[1:2], v28, -1
	s_cselect_b32 s10, s10, s7
	v_lshlrev_b64 v[2:3], 3, v[13:14]
	s_sub_i32 s59, s36, s10
	s_sub_i32 s7, 0, s42
	v_add_nc_u32_e32 v33, s59, v0
	s_mul_i32 s7, s7, s8
	v_not_b32_e32 v27, v1
	s_mul_hi_u32 s7, s8, s7
	v_add_co_u32 v11, vcc_lo, s31, v2
	v_mul_lo_u32 v14, v33, s30
	s_add_i32 s60, s8, s7
	v_add_co_ci_u32_e32 v12, vcc_lo, s33, v3, vcc_lo
	s_mul_hi_u32 s7, s9, s60
	v_or_b32_e32 v3, 3, v29
	s_mul_i32 s7, s7, s42
	v_mov_b32_e32 v22, v6
	s_delay_alu instid0(VALU_DEP_4)
	v_lshlrev_b64 v[1:2], 3, v[14:15]
	s_sub_i32 s7, s9, s7
	v_mul_lo_u32 v35, s30, v3
	s_sub_i32 s8, s7, s42
	s_cmp_ge_u32 s7, s42
	v_dual_mov_b32 v20, v6 :: v_dual_mov_b32 v19, v5
	v_add_co_u32 v16, vcc_lo, s31, v1
	v_add3_u32 v1, s42, s36, v0
	s_cselect_b32 s8, s8, s7
	v_add_co_ci_u32_e32 v17, vcc_lo, s33, v2, vcc_lo
	v_or_b32_e32 v2, 2, v29
	s_delay_alu instid0(VALU_DEP_3)
	v_subrev_nc_u32_e32 v1, s10, v1
	s_sub_i32 s11, s8, s42
	s_cmp_ge_u32 s8, s42
	v_cmp_gt_u32_e64 s7, s59, v29
	s_cselect_b32 s11, s11, s8
	v_mul_lo_u32 v34, s30, v2
	v_mul_lo_u32 v37, s30, v1
	s_sub_i32 s61, s9, s11
	v_cmp_gt_u32_e64 s8, s36, v33
	v_cmp_gt_u32_e64 s9, s61, v0
	v_mov_b32_e32 v1, 1
	v_mov_b32_e32 v21, v5
	s_lshl_b32 s62, s44, 2
	s_lshl_b32 s63, s42, 5
	;; [unrolled: 1-line block ×3, first 2 shown]
	s_branch .LBB43_6
.LBB43_4:                               ;   in Loop: Header=BB43_6 Depth=1
	s_or_b32 exec_lo, exec_lo, s13
	v_dual_mov_b32 v19, v25 :: v_dual_mov_b32 v20, v26
	v_dual_mov_b32 v21, v23 :: v_dual_mov_b32 v22, v24
	v_mov_b32_e32 v40, v41
	v_dual_mov_b32 v5, v9 :: v_dual_mov_b32 v6, v10
	s_and_not1_b32 s13, s76, exec_lo
	s_and_b32 s12, s12, exec_lo
	s_and_not1_b32 s75, s75, exec_lo
	s_or_b32 s76, s13, s12
	s_and_not1_b32 s73, s73, exec_lo
	s_and_not1_b32 s74, s74, exec_lo
	;; [unrolled: 1-line block ×3, first 2 shown]
	s_or_not1_b32 s12, s11, exec_lo
.LBB43_5:                               ;   in Loop: Header=BB43_6 Depth=1
	s_or_b32 exec_lo, exec_lo, s10
	s_delay_alu instid0(SALU_CYCLE_1) | instskip(NEXT) | instid1(SALU_CYCLE_1)
	s_and_b32 s10, exec_lo, s12
	s_or_b32 s43, s10, s43
	s_and_not1_b32 s10, s67, exec_lo
	s_and_b32 s11, s76, exec_lo
	s_and_not1_b32 s12, s70, exec_lo
	s_or_b32 s67, s10, s11
	s_and_b32 s10, s75, exec_lo
	s_and_not1_b32 s11, s68, exec_lo
	s_and_b32 s13, s73, exec_lo
	s_or_b32 s70, s12, s10
	s_or_b32 s68, s11, s13
	s_and_not1_b32 s10, s69, exec_lo
	s_and_b32 s11, s74, exec_lo
	s_and_not1_b32 s12, s65, exec_lo
	s_and_b32 s13, s72, exec_lo
	s_or_b32 s69, s10, s11
	s_or_b32 s65, s12, s13
	s_and_not1_b32 exec_lo, exec_lo, s43
	s_cbranch_execz .LBB43_406
.LBB43_6:                               ; =>This Loop Header: Depth=1
                                        ;     Child Loop BB43_14 Depth 2
                                        ;     Child Loop BB43_29 Depth 2
	;; [unrolled: 1-line block ×24, first 2 shown]
	ds_load_b64 v[2:3], v15 offset:4096
	s_waitcnt lgkmcnt(0)
	v_readfirstlane_b32 s77, v2
	s_delay_alu instid0(VALU_DEP_1)
	s_cmp_lg_u32 s77, 0
	s_cbranch_scc1 .LBB43_36
; %bb.7:                                ;   in Loop: Header=BB43_6 Depth=1
	s_and_b32 vcc_lo, exec_lo, s51
	s_cbranch_vccz .LBB43_22
; %bb.8:                                ;   in Loop: Header=BB43_6 Depth=1
	v_cmp_gt_u32_e32 vcc_lo, 0x181, v3
	s_mov_b32 s77, 0
	s_mov_b32 s10, 0
	s_cbranch_vccz .LBB43_23
; %bb.9:                                ;   in Loop: Header=BB43_6 Depth=1
	v_mov_b32_e32 v2, 0
	v_mov_b32_e32 v3, 0
	s_and_saveexec_b32 s10, s4
	s_cbranch_execz .LBB43_11
; %bb.10:                               ;   in Loop: Header=BB43_6 Depth=1
	global_load_b64 v[2:3], v[11:12], off
.LBB43_11:                              ;   in Loop: Header=BB43_6 Depth=1
	s_or_b32 exec_lo, exec_lo, s10
	s_and_saveexec_b32 s12, s4
	s_cbranch_execz .LBB43_87
; %bb.12:                               ;   in Loop: Header=BB43_6 Depth=1
	global_load_u16 v4, v15, s[38:39]
	v_mov_b32_e32 v10, v0
	s_mov_b32 s13, 0
	s_waitcnt vmcnt(0)
	v_add_nc_u32_e32 v7, v0, v4
	v_mul_lo_u32 v9, s30, v4
	s_delay_alu instid0(VALU_DEP_2)
	v_mul_lo_u32 v14, s30, v7
	s_branch .LBB43_14
.LBB43_13:                              ;   in Loop: Header=BB43_14 Depth=2
	s_or_b32 exec_lo, exec_lo, s11
	s_waitcnt vmcnt(0)
	v_mov_b32_e32 v2, v7
	v_dual_mov_b32 v3, v8 :: v_dual_add_nc_u32 v14, v14, v9
	s_and_not1_b32 exec_lo, exec_lo, s13
	s_cbranch_execz .LBB43_87
.LBB43_14:                              ;   Parent Loop BB43_6 Depth=1
                                        ; =>  This Inner Loop Header: Depth=2
	v_dual_mov_b32 v7, 0 :: v_dual_add_nc_u32 v10, v10, v4
	v_mov_b32_e32 v8, 0
	s_mov_b32 s11, exec_lo
	s_delay_alu instid0(VALU_DEP_2)
	v_cmp_le_u32_e32 vcc_lo, s36, v10
	v_cmpx_gt_u32_e64 s36, v10
	s_cbranch_execz .LBB43_16
; %bb.15:                               ;   in Loop: Header=BB43_14 Depth=2
	v_lshlrev_b64 v[7:8], 3, v[14:15]
	s_delay_alu instid0(VALU_DEP_1) | instskip(NEXT) | instid1(VALU_DEP_1)
	v_add_co_u32 v7, s10, s31, v7
	v_add_co_ci_u32_e64 v8, s10, s33, v8, s10
	global_load_b64 v[7:8], v[7:8], off
.LBB43_16:                              ;   in Loop: Header=BB43_14 Depth=2
	s_or_b32 exec_lo, exec_lo, s11
	s_waitcnt lgkmcnt(0)
	v_xor_b32_e32 v23, 0x80000000, v3
	s_delay_alu instid0(VALU_DEP_1) | instskip(SKIP_1) | instid1(VALU_DEP_1)
	v_and_b32_e32 v24, v23, v20
	v_and_b32_e32 v23, v2, v19
	v_cmp_eq_u64_e64 s10, v[23:24], v[21:22]
	v_mov_b32_e32 v23, 0
	s_delay_alu instid0(VALU_DEP_2) | instskip(SKIP_1) | instid1(SALU_CYCLE_1)
	s_cmp_lg_u32 s10, 0
	s_cselect_b32 s11, -1, 0
	s_and_b32 s11, s2, s11
	s_delay_alu instid0(SALU_CYCLE_1)
	s_and_saveexec_b32 s14, s11
	s_cbranch_execz .LBB43_20
; %bb.17:                               ;   in Loop: Header=BB43_14 Depth=2
	s_mov_b32 s17, exec_lo
	s_bcnt1_i32_b32 s15, s10
	v_mbcnt_lo_u32_b32 v23, s17, 0
	s_mov_b32 s16, exec_lo
                                        ; implicit-def: $vgpr24
	s_delay_alu instid0(VALU_DEP_1)
	v_cmpx_eq_u32_e32 0, v23
	s_cbranch_execz .LBB43_19
; %bb.18:                               ;   in Loop: Header=BB43_14 Depth=2
	s_bcnt1_i32_b32 s11, s17
	s_delay_alu instid0(SALU_CYCLE_1) | instskip(NEXT) | instid1(SALU_CYCLE_1)
	s_mul_i32 s11, s15, s11
	v_mov_b32_e32 v24, s11
	ds_add_rtn_u32 v24, v15, v24 offset:4104
.LBB43_19:                              ;   in Loop: Header=BB43_14 Depth=2
	s_or_b32 exec_lo, exec_lo, s16
	s_waitcnt lgkmcnt(0)
	v_readfirstlane_b32 s11, v24
	s_delay_alu instid0(VALU_DEP_1)
	v_mad_u32_u24 v23, s15, v23, s11
.LBB43_20:                              ;   in Loop: Header=BB43_14 Depth=2
	s_or_b32 exec_lo, exec_lo, s14
	ds_bpermute_b32 v23, v15, v23
	s_and_b32 s11, exec_lo, vcc_lo
	s_delay_alu instid0(SALU_CYCLE_1)
	s_or_b32 s13, s11, s13
	s_and_saveexec_b32 s11, s10
	s_cbranch_execz .LBB43_13
; %bb.21:                               ;   in Loop: Header=BB43_14 Depth=2
	v_and_b32_e32 v24, s10, v27
	s_delay_alu instid0(VALU_DEP_1) | instskip(NEXT) | instid1(VALU_DEP_1)
	v_bcnt_u32_b32 v24, v24, 0
	v_lshlrev_b32_e32 v24, 3, v24
	s_waitcnt lgkmcnt(0)
	s_delay_alu instid0(VALU_DEP_1)
	v_lshl_add_u32 v23, v23, 3, v24
	ds_store_b64 v23, v[2:3]
	s_branch .LBB43_13
.LBB43_22:                              ;   in Loop: Header=BB43_6 Depth=1
	s_mov_b32 s77, -1
	s_mov_b32 s10, 0
.LBB43_23:                              ;   in Loop: Header=BB43_6 Depth=1
	s_and_b32 vcc_lo, exec_lo, s77
	s_cbranch_vccz .LBB43_34
.LBB43_24:                              ;   in Loop: Header=BB43_6 Depth=1
	v_mov_b32_e32 v2, 0
	v_mov_b32_e32 v3, 0
	s_and_saveexec_b32 s10, s4
	s_cbranch_execz .LBB43_26
; %bb.25:                               ;   in Loop: Header=BB43_6 Depth=1
	global_load_b64 v[2:3], v[11:12], off
.LBB43_26:                              ;   in Loop: Header=BB43_6 Depth=1
	s_or_b32 exec_lo, exec_lo, s10
	s_and_saveexec_b32 s11, s4
	s_cbranch_execz .LBB43_31
; %bb.27:                               ;   in Loop: Header=BB43_6 Depth=1
	global_load_u16 v4, v15, s[38:39]
	v_mov_b32_e32 v24, v0
	s_mov_b32 s12, 0
	v_mov_b32_e32 v23, v30
	s_waitcnt vmcnt(0)
	v_add_nc_u32_e32 v7, v0, v4
	v_mul_lo_u32 v9, s30, v4
	v_lshlrev_b32_e32 v10, 3, v4
	s_delay_alu instid0(VALU_DEP_3)
	v_mul_lo_u32 v14, s30, v7
	s_set_inst_prefetch_distance 0x1
	s_branch .LBB43_29
	.p2align	6
.LBB43_28:                              ;   in Loop: Header=BB43_29 Depth=2
	s_or_b32 exec_lo, exec_lo, s13
	ds_store_b64 v23, v[2:3]
	s_waitcnt vmcnt(0)
	v_mov_b32_e32 v2, v7
	v_add_nc_u32_e32 v23, v23, v10
	v_dual_mov_b32 v3, v8 :: v_dual_add_nc_u32 v14, v14, v9
	s_and_b32 s10, exec_lo, vcc_lo
	s_delay_alu instid0(SALU_CYCLE_1) | instskip(NEXT) | instid1(SALU_CYCLE_1)
	s_or_b32 s12, s10, s12
	s_and_not1_b32 exec_lo, exec_lo, s12
	s_cbranch_execz .LBB43_31
.LBB43_29:                              ;   Parent Loop BB43_6 Depth=1
                                        ; =>  This Inner Loop Header: Depth=2
	v_dual_mov_b32 v7, 0 :: v_dual_add_nc_u32 v24, v24, v4
	v_mov_b32_e32 v8, 0
	s_mov_b32 s13, exec_lo
	s_delay_alu instid0(VALU_DEP_2)
	v_cmp_le_u32_e32 vcc_lo, s36, v24
	v_cmpx_gt_u32_e64 s36, v24
	s_cbranch_execz .LBB43_28
; %bb.30:                               ;   in Loop: Header=BB43_29 Depth=2
	v_lshlrev_b64 v[7:8], 3, v[14:15]
	s_delay_alu instid0(VALU_DEP_1) | instskip(NEXT) | instid1(VALU_DEP_1)
	v_add_co_u32 v7, s10, s31, v7
	v_add_co_ci_u32_e64 v8, s10, s33, v8, s10
	global_load_b64 v[7:8], v[7:8], off
	s_branch .LBB43_28
.LBB43_31:                              ;   in Loop: Header=BB43_6 Depth=1
	s_set_inst_prefetch_distance 0x2
	s_or_b32 exec_lo, exec_lo, s11
	s_waitcnt vmcnt(0) lgkmcnt(0)
	s_barrier
	buffer_gl0_inv
	s_and_saveexec_b32 s10, s5
	s_cbranch_execz .LBB43_33
; %bb.32:                               ;   in Loop: Header=BB43_6 Depth=1
	v_mov_b32_e32 v2, s36
	ds_store_b32 v15, v2 offset:4096
.LBB43_33:                              ;   in Loop: Header=BB43_6 Depth=1
	s_or_b32 exec_lo, exec_lo, s10
	s_mov_b32 s10, -1
	s_waitcnt lgkmcnt(0)
	s_barrier
                                        ; implicit-def: $sgpr77
.LBB43_34:                              ;   in Loop: Header=BB43_6 Depth=1
	s_and_b32 vcc_lo, exec_lo, s10
	s_cbranch_vccz .LBB43_36
; %bb.35:                               ;   in Loop: Header=BB43_6 Depth=1
	buffer_gl0_inv
	ds_load_b32 v2, v15 offset:4096
	s_waitcnt lgkmcnt(0)
	v_readfirstlane_b32 s77, v2
.LBB43_36:                              ;   in Loop: Header=BB43_6 Depth=1
	s_delay_alu instid0(VALU_DEP_1)
	s_cmp_lt_i32 s77, 1
	s_cbranch_scc0 .LBB43_48
; %bb.37:                               ;   in Loop: Header=BB43_6 Depth=1
	v_dual_mov_b32 v7, 0 :: v_dual_mov_b32 v8, 0
	v_dual_mov_b32 v9, 0 :: v_dual_mov_b32 v10, 0
	s_mov_b32 s25, 0
	s_and_saveexec_b32 s24, s7
	s_cbranch_execz .LBB43_41
; %bb.38:                               ;   in Loop: Header=BB43_6 Depth=1
	v_mov_b32_e32 v2, v29
	s_and_b32 s26, s71, 0xfe
	s_mov_b32 s27, 0
	s_mov_b32 s28, 0
	;; [unrolled: 1-line block ×5, first 2 shown]
.LBB43_39:                              ;   Parent Loop BB43_6 Depth=1
                                        ; =>  This Inner Loop Header: Depth=2
	v_add_nc_u32_e32 v14, s27, v36
	v_add_nc_u32_e32 v2, s50, v2
	s_delay_alu instid0(VALU_DEP_2) | instskip(SKIP_1) | instid1(VALU_DEP_1)
	v_lshlrev_b64 v[3:4], 3, v[14:15]
	v_add_nc_u32_e32 v14, s27, v18
	v_lshlrev_b64 v[7:8], 3, v[14:15]
	v_add_nc_u32_e32 v14, s27, v34
	s_delay_alu instid0(VALU_DEP_4) | instskip(SKIP_1) | instid1(VALU_DEP_3)
	v_add_co_u32 v3, vcc_lo, s31, v3
	v_add_co_ci_u32_e32 v4, vcc_lo, s33, v4, vcc_lo
	v_lshlrev_b64 v[9:10], 3, v[14:15]
	v_add_co_u32 v7, vcc_lo, s31, v7
	global_load_b64 v[3:4], v[3:4], off
	v_add_nc_u32_e32 v14, s27, v35
	v_add_co_ci_u32_e32 v8, vcc_lo, s33, v8, vcc_lo
	v_add_co_u32 v9, vcc_lo, s31, v9
	v_add_co_ci_u32_e32 v10, vcc_lo, s33, v10, vcc_lo
	s_delay_alu instid0(VALU_DEP_4)
	v_lshlrev_b64 v[23:24], 3, v[14:15]
	s_clause 0x1
	global_load_b64 v[7:8], v[7:8], off
	global_load_b64 v[9:10], v[9:10], off
	v_mov_b32_e32 v26, v15
	s_add_i32 s27, s27, s62
	v_add_co_u32 v23, vcc_lo, s31, v23
	v_add_co_ci_u32_e32 v24, vcc_lo, s33, v24, vcc_lo
	v_cmp_le_u32_e32 vcc_lo, s59, v2
	global_load_b64 v[23:24], v[23:24], off
	s_waitcnt vmcnt(3)
	v_xor_b32_e32 v4, 0x80000000, v4
	v_and_b32_e32 v45, v3, v19
	s_delay_alu instid0(VALU_DEP_2)
	v_and_b32_e32 v46, v4, v20
	v_lshrrev_b64 v[3:4], s26, v[3:4]
	s_waitcnt vmcnt(2)
	v_xor_b32_e32 v8, 0x80000000, v8
	v_and_b32_e32 v47, v7, v19
	s_waitcnt vmcnt(1)
	v_xor_b32_e32 v10, 0x80000000, v10
	v_and_b32_e32 v14, 3, v3
	v_cmp_eq_u64_e64 s10, v[45:46], v[21:22]
	v_and_b32_e32 v48, v8, v20
	v_lshrrev_b64 v[7:8], s26, v[7:8]
	v_and_b32_e32 v45, v9, v19
	v_cmp_eq_u64_e64 s12, 0, v[14:15]
	v_lshrrev_b64 v[8:9], s26, v[9:10]
	v_mov_b32_e32 v42, v15
	v_cmp_eq_u64_e64 s13, 1, v[14:15]
	v_and_b32_e32 v25, 3, v7
	s_waitcnt vmcnt(0)
	v_xor_b32_e32 v24, 0x80000000, v24
	v_cmp_eq_u64_e64 s14, 2, v[14:15]
	v_cmp_eq_u64_e64 s15, 3, v[14:15]
	s_and_b32 s12, s10, s12
	v_dual_mov_b32 v44, v15 :: v_dual_and_b32 v41, 3, v8
	v_cmp_eq_u64_e64 s11, v[47:48], v[21:22]
	v_and_b32_e32 v46, v10, v20
	v_cmp_eq_u64_e64 s17, 0, v[25:26]
	v_cmp_eq_u64_e64 s18, 1, v[25:26]
	;; [unrolled: 1-line block ×3, first 2 shown]
	v_lshrrev_b64 v[9:10], s26, v[23:24]
	v_cndmask_b32_e64 v7, 0, 1, s12
	s_and_b32 s12, s10, s13
	v_cmp_eq_u64_e64 s20, 3, v[25:26]
	v_and_b32_e32 v3, v23, v19
	v_and_b32_e32 v4, v24, v20
	v_cndmask_b32_e64 v8, 0, 1, s12
	s_and_b32 s12, s10, s14
	s_and_b32 s10, s10, s15
	v_cmp_eq_u64_e64 s16, v[45:46], v[21:22]
	v_cndmask_b32_e64 v10, 0, 1, s12
	v_cmp_eq_u64_e64 s12, 0, v[41:42]
	v_cmp_eq_u64_e64 s13, 1, v[41:42]
	v_cndmask_b32_e64 v14, 0, 1, s10
	s_and_b32 s17, s11, s17
	s_and_b32 s18, s11, s18
	;; [unrolled: 1-line block ×3, first 2 shown]
	v_and_b32_e32 v43, 3, v9
	v_cmp_eq_u64_e64 s14, 2, v[41:42]
	v_cmp_eq_u64_e64 s15, 3, v[41:42]
	;; [unrolled: 1-line block ×3, first 2 shown]
	v_cmp_ne_u32_e64 s21, 0, v7
	v_cndmask_b32_e64 v3, 0, 1, s17
	v_cndmask_b32_e64 v4, 0, 1, s18
	;; [unrolled: 1-line block ×3, first 2 shown]
	s_and_b32 s11, s11, s20
	v_cmp_ne_u32_e64 s17, 0, v8
	v_cndmask_b32_e64 v8, 0, 1, s11
	v_cmp_ne_u32_e64 s19, 0, v14
	s_and_b32 s12, s16, s12
	s_and_b32 s13, s16, s13
	v_cmp_eq_u64_e64 s11, 0, v[43:44]
	v_cmp_eq_u64_e64 s20, 1, v[43:44]
	;; [unrolled: 1-line block ×4, first 2 shown]
	s_bcnt1_i32_b32 s80, s21
	v_cmp_ne_u32_e64 s21, 0, v3
	v_cndmask_b32_e64 v3, 0, 1, s12
	v_cmp_ne_u32_e64 s12, 0, v4
	v_cndmask_b32_e64 v4, 0, 1, s13
	v_cmp_ne_u32_e64 s13, 0, v7
	s_and_b32 s14, s16, s14
	s_and_b32 s15, s16, s15
	v_cndmask_b32_e64 v7, 0, 1, s14
	v_cmp_ne_u32_e64 s14, 0, v8
	v_cndmask_b32_e64 v8, 0, 1, s15
	v_cmp_ne_u32_e64 s18, 0, v10
	s_bcnt1_i32_b32 s19, s19
	s_and_b32 s11, s10, s11
	s_add_i32 s19, s19, s28
	s_bcnt1_i32_b32 s28, s12
	s_and_b32 s12, s10, s20
	s_bcnt1_i32_b32 s20, s13
	s_and_b32 s13, s10, s22
	s_and_b32 s10, s10, s23
	v_cmp_ne_u32_e64 s15, 0, v3
	v_cndmask_b32_e64 v3, 0, 1, s11
	v_cmp_ne_u32_e64 s11, 0, v4
	v_cndmask_b32_e64 v4, 0, 1, s12
	v_cmp_ne_u32_e64 s12, 0, v7
	v_cndmask_b32_e64 v7, 0, 1, s13
	v_cmp_ne_u32_e64 s13, 0, v8
	v_cndmask_b32_e64 v8, 0, 1, s10
	s_bcnt1_i32_b32 s18, s18
	s_add_i32 s16, s80, s79
	s_add_i32 s18, s18, s29
	s_bcnt1_i32_b32 s21, s21
	s_bcnt1_i32_b32 s14, s14
	;; [unrolled: 1-line block ×3, first 2 shown]
	s_add_i32 s16, s16, s21
	s_add_i32 s18, s18, s20
	;; [unrolled: 1-line block ×3, first 2 shown]
	v_cmp_ne_u32_e64 s10, 0, v3
	s_bcnt1_i32_b32 s19, s11
	v_cmp_ne_u32_e64 s11, 0, v4
	s_bcnt1_i32_b32 s20, s12
	;; [unrolled: 2-line block ×3, first 2 shown]
	v_cmp_ne_u32_e64 s13, 0, v8
	s_add_i32 s17, s17, s78
	s_bcnt1_i32_b32 s15, s15
	s_add_i32 s17, s17, s28
	s_add_i32 s15, s16, s15
	;; [unrolled: 1-line block ×5, first 2 shown]
	s_bcnt1_i32_b32 s10, s10
	s_bcnt1_i32_b32 s11, s11
	;; [unrolled: 1-line block ×4, first 2 shown]
	s_add_i32 s79, s15, s10
	s_add_i32 s78, s16, s11
	;; [unrolled: 1-line block ×4, first 2 shown]
	v_dual_mov_b32 v7, s79 :: v_dual_mov_b32 v8, s78
	v_dual_mov_b32 v9, s29 :: v_dual_mov_b32 v10, s28
	s_or_b32 s25, vcc_lo, s25
	s_delay_alu instid0(SALU_CYCLE_1)
	s_and_not1_b32 exec_lo, exec_lo, s25
	s_cbranch_execnz .LBB43_39
; %bb.40:                               ;   in Loop: Header=BB43_6 Depth=1
	s_or_b32 exec_lo, exec_lo, s25
.LBB43_41:                              ;   in Loop: Header=BB43_6 Depth=1
	s_delay_alu instid0(SALU_CYCLE_1)
	s_or_b32 exec_lo, exec_lo, s24
	v_mov_b32_e32 v23, 0
	v_mov_b32_e32 v24, 0
	s_and_saveexec_b32 s10, s8
	s_cbranch_execz .LBB43_43
; %bb.42:                               ;   in Loop: Header=BB43_6 Depth=1
	global_load_b64 v[23:24], v[16:17], off
.LBB43_43:                              ;   in Loop: Header=BB43_6 Depth=1
	s_or_b32 exec_lo, exec_lo, s10
	s_and_saveexec_b32 s14, s8
	s_cbranch_execz .LBB43_50
; %bb.44:                               ;   in Loop: Header=BB43_6 Depth=1
	v_mov_b32_e32 v2, v37
	v_mov_b32_e32 v25, v33
	s_and_b32 s16, s71, 0xfe
	s_mov_b32 s15, 0
	s_branch .LBB43_46
.LBB43_45:                              ;   in Loop: Header=BB43_46 Depth=2
	s_or_b32 exec_lo, exec_lo, s11
	s_waitcnt vmcnt(0)
	v_xor_b32_e32 v24, 0x80000000, v24
	s_and_b32 s12, exec_lo, vcc_lo
	v_add_nc_u32_e32 v2, s44, v2
	s_or_b32 s15, s12, s15
	s_delay_alu instid0(VALU_DEP_2) | instskip(SKIP_2) | instid1(VALU_DEP_3)
	v_lshrrev_b64 v[41:42], s16, v[23:24]
	v_and_b32_e32 v23, v23, v19
	v_and_b32_e32 v24, v24, v20
	;; [unrolled: 1-line block ×3, first 2 shown]
	s_delay_alu instid0(VALU_DEP_2) | instskip(NEXT) | instid1(VALU_DEP_2)
	v_cmp_eq_u64_e64 s10, v[23:24], v[21:22]
	v_cmp_eq_u64_e64 s11, 0, v[14:15]
	v_cmp_eq_u64_e32 vcc_lo, 1, v[14:15]
	v_cmp_eq_u64_e64 s12, 2, v[14:15]
	v_cmp_eq_u64_e64 s13, 3, v[14:15]
	s_delay_alu instid0(VALU_DEP_4) | instskip(NEXT) | instid1(SALU_CYCLE_1)
	s_and_b32 s11, s10, s11
	v_cndmask_b32_e64 v14, 0, 1, s11
	s_and_b32 s11, s10, vcc_lo
	s_delay_alu instid0(SALU_CYCLE_1)
	v_cndmask_b32_e64 v23, 0, 1, s11
	s_and_b32 s11, s10, s12
	s_and_b32 s10, s10, s13
	v_cndmask_b32_e64 v24, 0, 1, s11
	v_cndmask_b32_e64 v26, 0, 1, s10
	v_cmp_ne_u32_e32 vcc_lo, 0, v14
	v_cmp_ne_u32_e64 s10, 0, v23
	s_delay_alu instid0(VALU_DEP_4) | instskip(NEXT) | instid1(VALU_DEP_4)
	v_cmp_ne_u32_e64 s11, 0, v24
	v_cmp_ne_u32_e64 s12, 0, v26
	s_bcnt1_i32_b32 s13, vcc_lo
	s_delay_alu instid0(VALU_DEP_3)
	s_bcnt1_i32_b32 s10, s10
	v_dual_mov_b32 v24, v4 :: v_dual_add_nc_u32 v7, s13, v7
	s_bcnt1_i32_b32 s11, s11
	s_bcnt1_i32_b32 s12, s12
	v_add_nc_u32_e32 v8, s10, v8
	v_add_nc_u32_e32 v9, s11, v9
	v_dual_mov_b32 v23, v3 :: v_dual_add_nc_u32 v10, s12, v10
	s_and_not1_b32 exec_lo, exec_lo, s15
	s_cbranch_execz .LBB43_49
.LBB43_46:                              ;   Parent Loop BB43_6 Depth=1
                                        ; =>  This Inner Loop Header: Depth=2
	s_delay_alu instid0(VALU_DEP_1) | instskip(SKIP_3) | instid1(VALU_DEP_3)
	v_add_nc_u32_e32 v25, s42, v25
	v_mov_b32_e32 v3, 0
	v_mov_b32_e32 v4, 0
	s_mov_b32 s11, exec_lo
	v_cmp_le_u32_e32 vcc_lo, s36, v25
	v_cmpx_gt_u32_e64 s36, v25
	s_cbranch_execz .LBB43_45
; %bb.47:                               ;   in Loop: Header=BB43_46 Depth=2
	v_mov_b32_e32 v3, v15
	s_delay_alu instid0(VALU_DEP_1) | instskip(NEXT) | instid1(VALU_DEP_1)
	v_lshlrev_b64 v[3:4], 3, v[2:3]
	v_add_co_u32 v3, s10, s31, v3
	s_delay_alu instid0(VALU_DEP_1)
	v_add_co_ci_u32_e64 v4, s10, s33, v4, s10
	global_load_b64 v[3:4], v[3:4], off
	s_branch .LBB43_45
.LBB43_48:                              ;   in Loop: Header=BB43_6 Depth=1
                                        ; implicit-def: $vgpr10
	s_cbranch_execnz .LBB43_51
	s_branch .LBB43_60
.LBB43_49:                              ;   in Loop: Header=BB43_6 Depth=1
	s_or_b32 exec_lo, exec_lo, s15
.LBB43_50:                              ;   in Loop: Header=BB43_6 Depth=1
	s_delay_alu instid0(SALU_CYCLE_1)
	s_or_b32 exec_lo, exec_lo, s14
	s_branch .LBB43_60
.LBB43_51:                              ;   in Loop: Header=BB43_6 Depth=1
	s_mul_hi_u32 s10, s77, s58
	v_dual_mov_b32 v7, 0 :: v_dual_mov_b32 v8, 0
	s_mul_i32 s10, s10, s50
	v_dual_mov_b32 v9, 0 :: v_dual_mov_b32 v10, 0
	s_sub_i32 s10, s77, s10
	s_mov_b32 s80, 0
	s_sub_i32 s11, s10, s50
	s_cmp_ge_u32 s10, s50
	s_mov_b32 s79, exec_lo
	s_cselect_b32 s10, s11, s10
	s_delay_alu instid0(SALU_CYCLE_1) | instskip(SKIP_2) | instid1(SALU_CYCLE_1)
	s_sub_i32 s11, s10, s50
	s_cmp_ge_u32 s10, s50
	s_cselect_b32 s10, s11, s10
	s_sub_i32 s78, s77, s10
	s_delay_alu instid0(SALU_CYCLE_1)
	v_cmpx_gt_u32_e64 s78, v29
	s_cbranch_execz .LBB43_55
; %bb.52:                               ;   in Loop: Header=BB43_6 Depth=1
	v_dual_mov_b32 v2, v38 :: v_dual_mov_b32 v3, v29
	s_and_b32 s81, s71, 0xfe
	s_mov_b32 s82, 0
	s_mov_b32 s83, 0
	;; [unrolled: 1-line block ×4, first 2 shown]
.LBB43_53:                              ;   Parent Loop BB43_6 Depth=1
                                        ; =>  This Inner Loop Header: Depth=2
	ds_load_b128 v[7:10], v2
	s_waitcnt vmcnt(0)
	ds_load_b128 v[23:26], v2 offset:16
	v_dual_mov_b32 v44, v15 :: v_dual_add_nc_u32 v3, s50, v3
	v_mov_b32_e32 v42, v15
	v_mov_b32_e32 v46, v15
	s_delay_alu instid0(VALU_DEP_3)
	v_cmp_le_u32_e32 vcc_lo, s78, v3
	s_waitcnt lgkmcnt(1)
	v_xor_b32_e32 v8, 0x80000000, v8
	s_waitcnt lgkmcnt(0)
	v_and_b32_e32 v53, v25, v19
	v_xor_b32_e32 v10, 0x80000000, v10
	v_xor_b32_e32 v24, 0x80000000, v24
	v_and_b32_e32 v47, v7, v19
	v_and_b32_e32 v48, v8, v20
	v_lshrrev_b64 v[7:8], s81, v[7:8]
	v_xor_b32_e32 v26, 0x80000000, v26
	v_and_b32_e32 v49, v9, v19
	v_lshrrev_b64 v[8:9], s81, v[9:10]
	v_and_b32_e32 v50, v10, v20
	v_lshrrev_b64 v[9:10], s81, v[23:24]
	v_and_b32_e32 v51, v23, v19
	v_and_b32_e32 v52, v24, v20
	v_lshrrev_b64 v[23:24], s81, v[25:26]
	v_and_b32_e32 v14, 3, v7
	v_and_b32_e32 v41, 3, v8
	v_and_b32_e32 v43, 3, v9
	v_cmp_eq_u64_e64 s10, v[47:48], v[21:22]
	v_and_b32_e32 v54, v26, v20
	v_cmp_eq_u64_e64 s14, 0, v[14:15]
	v_and_b32_e32 v45, 3, v23
	v_cmp_eq_u64_e64 s11, v[49:50], v[21:22]
	v_cmp_eq_u64_e64 s15, 0, v[41:42]
	;; [unrolled: 1-line block ×6, first 2 shown]
	s_and_b32 s14, s10, s14
	v_cmp_eq_u64_e64 s18, 1, v[14:15]
	v_cndmask_b32_e64 v4, 0, 1, s14
	s_and_b32 s14, s11, s15
	v_cmp_eq_u64_e64 s19, 1, v[41:42]
	v_cndmask_b32_e64 v7, 0, 1, s14
	;; [unrolled: 3-line block ×4, first 2 shown]
	s_and_b32 s14, s10, s18
	v_cmp_eq_u64_e64 s22, 2, v[14:15]
	v_cmp_eq_u64_e64 s26, 3, v[14:15]
	v_cndmask_b32_e64 v10, 0, 1, s14
	s_and_b32 s14, s11, s19
	v_cmp_eq_u64_e64 s23, 2, v[41:42]
	v_cmp_eq_u64_e64 s27, 3, v[41:42]
	v_cndmask_b32_e64 v14, 0, 1, s14
	;; [unrolled: 4-line block ×4, first 2 shown]
	s_and_b32 s14, s10, s22
	s_and_b32 s10, s10, s26
	v_cndmask_b32_e64 v25, 0, 1, s14
	s_and_b32 s14, s11, s23
	v_cndmask_b32_e64 v43, 0, 1, s10
	;; [unrolled: 2-line block ×7, first 2 shown]
	v_cndmask_b32_e64 v46, 0, 1, s10
	v_cmp_ne_u32_e64 s10, 0, v4
	v_cmp_ne_u32_e64 s14, 0, v10
	;; [unrolled: 1-line block ×12, first 2 shown]
	s_bcnt1_i32_b32 s10, s10
	s_bcnt1_i32_b32 s14, s14
	s_bcnt1_i32_b32 s18, s18
	s_bcnt1_i32_b32 s22, s22
	v_cmp_ne_u32_e64 s13, 0, v9
	v_cmp_ne_u32_e64 s17, 0, v24
	;; [unrolled: 1-line block ×4, first 2 shown]
	s_bcnt1_i32_b32 s11, s11
	s_bcnt1_i32_b32 s15, s15
	s_bcnt1_i32_b32 s19, s19
	s_bcnt1_i32_b32 s23, s23
	s_add_i32 s10, s10, s85
	s_add_i32 s14, s14, s84
	s_add_i32 s18, s18, s83
	s_add_i32 s22, s22, s82
	s_bcnt1_i32_b32 s12, s12
	s_bcnt1_i32_b32 s16, s16
	s_bcnt1_i32_b32 s20, s20
	s_bcnt1_i32_b32 s24, s24
	s_add_i32 s10, s10, s11
	s_add_i32 s11, s14, s15
	s_add_i32 s14, s18, s19
	s_add_i32 s15, s22, s23
	;; [unrolled: 8-line block ×3, first 2 shown]
	s_add_i32 s85, s10, s13
	s_add_i32 s84, s11, s17
	;; [unrolled: 1-line block ×4, first 2 shown]
	v_dual_mov_b32 v7, s85 :: v_dual_add_nc_u32 v2, s63, v2
	v_dual_mov_b32 v8, s84 :: v_dual_mov_b32 v9, s83
	v_mov_b32_e32 v10, s82
	s_or_b32 s80, vcc_lo, s80
	s_delay_alu instid0(SALU_CYCLE_1)
	s_and_not1_b32 exec_lo, exec_lo, s80
	s_cbranch_execnz .LBB43_53
; %bb.54:                               ;   in Loop: Header=BB43_6 Depth=1
	s_or_b32 exec_lo, exec_lo, s80
.LBB43_55:                              ;   in Loop: Header=BB43_6 Depth=1
	s_delay_alu instid0(SALU_CYCLE_1) | instskip(SKIP_2) | instid1(VALU_DEP_1)
	s_or_b32 exec_lo, exec_lo, s79
	v_add_nc_u32_e32 v2, s78, v0
	s_mov_b32 s15, exec_lo
	v_cmpx_gt_u32_e64 s77, v2
	s_cbranch_execz .LBB43_59
; %bb.56:                               ;   in Loop: Header=BB43_6 Depth=1
	v_lshlrev_b32_e32 v3, 3, v2
	s_and_b32 s17, s71, 0xfe
	s_mov_b32 s16, 0
.LBB43_57:                              ;   Parent Loop BB43_6 Depth=1
                                        ; =>  This Inner Loop Header: Depth=2
	s_waitcnt vmcnt(0)
	ds_load_b64 v[23:24], v3
	v_add_nc_u32_e32 v2, s42, v2
	v_add_nc_u32_e32 v3, s64, v3
	s_delay_alu instid0(VALU_DEP_2) | instskip(SKIP_3) | instid1(VALU_DEP_2)
	v_cmp_le_u32_e32 vcc_lo, s77, v2
	s_waitcnt lgkmcnt(0)
	v_xor_b32_e32 v24, 0x80000000, v24
	v_and_b32_e32 v25, v23, v19
	v_and_b32_e32 v26, v24, v20
	v_lshrrev_b64 v[23:24], s17, v[23:24]
	s_delay_alu instid0(VALU_DEP_2) | instskip(NEXT) | instid1(VALU_DEP_2)
	v_cmp_eq_u64_e64 s10, v[25:26], v[21:22]
	v_and_b32_e32 v14, 3, v23
	s_delay_alu instid0(VALU_DEP_1) | instskip(SKIP_3) | instid1(VALU_DEP_4)
	v_cmp_eq_u64_e64 s11, 0, v[14:15]
	v_cmp_eq_u64_e64 s12, 1, v[14:15]
	;; [unrolled: 1-line block ×4, first 2 shown]
	s_and_b32 s11, s10, s11
	s_delay_alu instid0(SALU_CYCLE_1) | instskip(NEXT) | instid1(VALU_DEP_4)
	v_cndmask_b32_e64 v4, 0, 1, s11
	s_and_b32 s11, s10, s12
	s_delay_alu instid0(SALU_CYCLE_1)
	v_cndmask_b32_e64 v14, 0, 1, s11
	s_and_b32 s11, s10, s13
	s_and_b32 s10, s10, s14
	v_cndmask_b32_e64 v23, 0, 1, s11
	v_cndmask_b32_e64 v24, 0, 1, s10
	v_cmp_ne_u32_e64 s10, 0, v4
	v_cmp_ne_u32_e64 s11, 0, v14
	s_delay_alu instid0(VALU_DEP_4) | instskip(NEXT) | instid1(VALU_DEP_4)
	v_cmp_ne_u32_e64 s12, 0, v23
	v_cmp_ne_u32_e64 s13, 0, v24
	s_delay_alu instid0(VALU_DEP_4) | instskip(NEXT) | instid1(VALU_DEP_3)
	s_bcnt1_i32_b32 s10, s10
	s_bcnt1_i32_b32 s11, s11
	v_add_nc_u32_e32 v7, s10, v7
	s_bcnt1_i32_b32 s12, s12
	s_bcnt1_i32_b32 s13, s13
	v_add_nc_u32_e32 v8, s11, v8
	v_add_nc_u32_e32 v9, s12, v9
	;; [unrolled: 1-line block ×3, first 2 shown]
	s_or_b32 s16, vcc_lo, s16
	s_delay_alu instid0(SALU_CYCLE_1)
	s_and_not1_b32 exec_lo, exec_lo, s16
	s_cbranch_execnz .LBB43_57
; %bb.58:                               ;   in Loop: Header=BB43_6 Depth=1
	s_or_b32 exec_lo, exec_lo, s16
.LBB43_59:                              ;   in Loop: Header=BB43_6 Depth=1
	s_delay_alu instid0(SALU_CYCLE_1)
	s_or_b32 exec_lo, exec_lo, s15
.LBB43_60:                              ;   in Loop: Header=BB43_6 Depth=1
	s_lshl_b32 s10, s66, 7
	s_and_saveexec_b32 s11, s2
	s_cbranch_execz .LBB43_62
; %bb.61:                               ;   in Loop: Header=BB43_6 Depth=1
	v_or_b32_e32 v2, s10, v31
	s_delay_alu instid0(VALU_DEP_1)
	v_lshlrev_b32_e32 v2, 2, v2
	ds_store_b128 v2, v[7:10] offset:3072
.LBB43_62:                              ;   in Loop: Header=BB43_6 Depth=1
	s_or_b32 exec_lo, exec_lo, s11
	s_waitcnt vmcnt(0) lgkmcnt(0)
	s_barrier
	buffer_gl0_inv
	s_and_saveexec_b32 s11, s49
	s_cbranch_execz .LBB43_72
; %bb.63:                               ;   in Loop: Header=BB43_6 Depth=1
	v_mov_b32_e32 v2, 0
	s_and_not1_b32 vcc_lo, exec_lo, s52
	s_cbranch_vccnz .LBB43_71
; %bb.64:                               ;   in Loop: Header=BB43_6 Depth=1
	v_mov_b32_e32 v2, 0
	s_and_not1_b32 vcc_lo, exec_lo, s55
	s_mov_b32 s12, 0
	s_cbranch_vccnz .LBB43_68
; %bb.65:                               ;   in Loop: Header=BB43_6 Depth=1
	v_lshl_add_u32 v3, s66, 9, v39
	v_mov_b32_e32 v2, 0
	.p2align	6
.LBB43_66:                              ;   Parent Loop BB43_6 Depth=1
                                        ; =>  This Inner Loop Header: Depth=2
	ds_load_2addr_b32 v[7:8], v3 offset1:4
	ds_load_2addr_b32 v[9:10], v3 offset0:8 offset1:12
	ds_load_2addr_b32 v[23:24], v3 offset0:16 offset1:20
	;; [unrolled: 1-line block ×3, first 2 shown]
	v_add_nc_u32_e32 v3, 0x80, v3
	s_add_i32 s12, s12, 8
	s_delay_alu instid0(SALU_CYCLE_1) | instskip(SKIP_3) | instid1(VALU_DEP_1)
	s_cmp_eq_u32 s56, s12
	s_waitcnt lgkmcnt(3)
	v_add3_u32 v2, v7, v2, v8
	s_waitcnt lgkmcnt(2)
	v_add3_u32 v2, v9, v2, v10
	s_waitcnt lgkmcnt(1)
	s_delay_alu instid0(VALU_DEP_1) | instskip(SKIP_1) | instid1(VALU_DEP_1)
	v_add3_u32 v2, v23, v2, v24
	s_waitcnt lgkmcnt(0)
	v_add3_u32 v2, v25, v2, v26
	s_cbranch_scc0 .LBB43_66
; %bb.67:                               ;   in Loop: Header=BB43_6 Depth=1
	s_mov_b32 s12, s56
.LBB43_68:                              ;   in Loop: Header=BB43_6 Depth=1
	s_and_not1_b32 vcc_lo, exec_lo, s57
	s_cbranch_vccnz .LBB43_71
; %bb.69:                               ;   in Loop: Header=BB43_6 Depth=1
	s_lshl_b32 s13, s66, 9
	s_lshl_b32 s12, s12, 4
	s_delay_alu instid0(SALU_CYCLE_1)
	v_add3_u32 v3, s13, s12, v39
	s_mov_b32 s12, s54
.LBB43_70:                              ;   Parent Loop BB43_6 Depth=1
                                        ; =>  This Inner Loop Header: Depth=2
	ds_load_b32 v4, v3
	v_add_nc_u32_e32 v3, 16, v3
	s_add_i32 s12, s12, -1
	s_delay_alu instid0(SALU_CYCLE_1)
	s_cmp_lg_u32 s12, 0
	s_waitcnt lgkmcnt(0)
	v_add_nc_u32_e32 v2, v4, v2
	s_cbranch_scc1 .LBB43_70
.LBB43_71:                              ;   in Loop: Header=BB43_6 Depth=1
	v_add_lshl_u32 v3, s10, v28, 2
	ds_store_b32 v3, v2 offset:3072
.LBB43_72:                              ;   in Loop: Header=BB43_6 Depth=1
	s_or_b32 exec_lo, exec_lo, s11
	s_lshl_b32 s10, s10, 2
	s_waitcnt lgkmcnt(0)
	v_mov_b32_e32 v2, s10
	s_barrier
	buffer_gl0_inv
	s_and_b32 s19, s71, 0xfe
	v_cmp_eq_u32_e64 s10, 1, v40
	ds_load_b128 v[7:10], v2 offset:3072
	s_lshl_b64 s[12:13], 3, s19
	s_mov_b32 s22, 0
	s_and_not1_b32 vcc_lo, exec_lo, s48
	s_not_b64 s[14:15], s[12:13]
	s_waitcnt lgkmcnt(0)
	v_readfirstlane_b32 s16, v7
	v_readfirstlane_b32 s18, v8
	;; [unrolled: 1-line block ×4, first 2 shown]
	s_cbranch_vccnz .LBB43_85
; %bb.73:                               ;   in Loop: Header=BB43_6 Depth=1
	s_cmp_eq_u32 s16, 1
	v_dual_mov_b32 v24, v22 :: v_dual_mov_b32 v23, v21
	v_dual_mov_b32 v26, v20 :: v_dual_mov_b32 v25, v19
	;; [unrolled: 1-line block ×3, first 2 shown]
	s_cselect_b32 s11, -1, 0
	s_mov_b32 s28, -1
	s_and_b32 s27, s11, s10
                                        ; implicit-def: $sgpr17
                                        ; implicit-def: $sgpr24
                                        ; implicit-def: $sgpr23
	s_delay_alu instid0(SALU_CYCLE_1)
	s_and_saveexec_b32 s22, s27
	s_cbranch_execz .LBB43_104
; %bb.74:                               ;   in Loop: Header=BB43_6 Depth=1
	ds_load_b32 v2, v15 offset:4096
	s_waitcnt lgkmcnt(0)
	s_barrier
	buffer_gl0_inv
	v_readfirstlane_b32 s11, v2
	s_and_saveexec_b32 s17, s6
	s_cbranch_execz .LBB43_76
; %bb.75:                               ;   in Loop: Header=BB43_6 Depth=1
	v_mov_b32_e32 v14, v15
	ds_store_b64 v32, v[14:15]
.LBB43_76:                              ;   in Loop: Header=BB43_6 Depth=1
	s_or_b32 exec_lo, exec_lo, s17
	v_and_b32_e32 v24, s15, v22
	v_and_b32_e32 v23, s14, v21
	v_or_b32_e32 v26, s13, v20
	v_or_b32_e32 v25, s12, v19
	s_cmp_eq_u32 s11, 0
	s_waitcnt lgkmcnt(0)
	s_barrier
	buffer_gl0_inv
	s_cbranch_scc1 .LBB43_90
; %bb.77:                               ;   in Loop: Header=BB43_6 Depth=1
	s_add_i32 s17, s11, s53
	s_mov_b32 s25, 0
	s_mul_hi_u32 s23, s17, s60
                                        ; implicit-def: $vgpr9_vgpr10
	s_delay_alu instid0(SALU_CYCLE_1) | instskip(NEXT) | instid1(SALU_CYCLE_1)
	s_mul_i32 s23, s23, s42
	s_sub_i32 s23, s17, s23
	s_delay_alu instid0(SALU_CYCLE_1) | instskip(SKIP_2) | instid1(SALU_CYCLE_1)
	s_sub_i32 s24, s23, s42
	s_cmp_ge_u32 s23, s42
	s_cselect_b32 s23, s24, s23
	s_sub_i32 s24, s23, s42
	s_cmp_ge_u32 s23, s42
	s_cselect_b32 s23, s24, s23
	s_delay_alu instid0(SALU_CYCLE_1)
	s_sub_i32 s23, s17, s23
	s_mov_b32 s17, exec_lo
	v_cmpx_gt_u32_e64 s23, v0
	s_cbranch_execz .LBB43_92
; %bb.78:                               ;   in Loop: Header=BB43_6 Depth=1
	v_dual_mov_b32 v14, v30 :: v_dual_mov_b32 v41, v0
                                        ; implicit-def: $sgpr24
	s_set_inst_prefetch_distance 0x1
	s_branch .LBB43_80
	.p2align	6
.LBB43_79:                              ;   in Loop: Header=BB43_80 Depth=2
	s_or_b32 exec_lo, exec_lo, s26
	s_waitcnt lgkmcnt(0)
	s_barrier
	buffer_gl0_inv
	ds_load_b128 v[7:10], v15 offset:3072
	v_add_nc_u32_e32 v41, s42, v41
	v_add_nc_u32_e32 v14, s64, v14
	s_waitcnt lgkmcnt(0)
	s_barrier
	buffer_gl0_inv
	v_cmp_le_u32_e32 vcc_lo, s23, v41
	v_readfirstlane_b32 s29, v8
	v_readfirstlane_b32 s28, v7
	s_delay_alu instid0(VALU_DEP_1) | instskip(SKIP_1) | instid1(SALU_CYCLE_1)
	s_cmp_lg_u64 s[28:29], 0
	s_cselect_b32 s26, -1, 0
	s_or_b32 s28, vcc_lo, s26
	s_delay_alu instid0(SALU_CYCLE_1) | instskip(NEXT) | instid1(SALU_CYCLE_1)
	s_and_b32 s28, exec_lo, s28
	s_or_b32 s25, s28, s25
	s_and_not1_b32 s24, s24, exec_lo
	s_and_b32 s26, s26, exec_lo
	s_delay_alu instid0(SALU_CYCLE_1)
	s_or_b32 s24, s24, s26
	s_and_not1_b32 exec_lo, exec_lo, s25
	s_cbranch_execz .LBB43_91
.LBB43_80:                              ;   Parent Loop BB43_6 Depth=1
                                        ; =>  This Inner Loop Header: Depth=2
	v_mov_b32_e32 v3, 0
	v_mov_b32_e32 v4, 0
	v_cmp_gt_u32_e32 vcc_lo, s11, v41
	s_and_saveexec_b32 s26, vcc_lo
	s_cbranch_execz .LBB43_82
; %bb.81:                               ;   in Loop: Header=BB43_80 Depth=2
	ds_load_b64 v[3:4], v14
.LBB43_82:                              ;   in Loop: Header=BB43_80 Depth=2
	s_or_b32 exec_lo, exec_lo, s26
	s_and_saveexec_b32 s26, vcc_lo
	s_cbranch_execz .LBB43_79
; %bb.83:                               ;   in Loop: Header=BB43_80 Depth=2
	s_waitcnt lgkmcnt(0)
	v_xor_b32_e32 v2, 0x80000000, v4
	v_and_b32_e32 v7, v3, v25
	s_delay_alu instid0(VALU_DEP_2) | instskip(NEXT) | instid1(VALU_DEP_1)
	v_and_b32_e32 v8, v2, v26
	v_cmp_eq_u64_e32 vcc_lo, v[7:8], v[23:24]
	s_and_b32 exec_lo, exec_lo, vcc_lo
	s_cbranch_execz .LBB43_79
; %bb.84:                               ;   in Loop: Header=BB43_80 Depth=2
	v_mov_b32_e32 v2, v15
	ds_store_b128 v15, v[1:4] offset:3072
	s_branch .LBB43_79
.LBB43_85:                              ;   in Loop: Header=BB43_6 Depth=1
	s_mov_b32 s11, 0
                                        ; implicit-def: $sgpr23
                                        ; implicit-def: $sgpr24
                                        ; implicit-def: $sgpr17
                                        ; implicit-def: $vgpr2
                                        ; implicit-def: $vgpr41
                                        ; implicit-def: $vgpr23_vgpr24
                                        ; implicit-def: $vgpr25_vgpr26
                                        ; implicit-def: $vgpr9_vgpr10
	s_cbranch_execnz .LBB43_240
.LBB43_86:                              ;   in Loop: Header=BB43_6 Depth=1
	s_mov_b32 s25, s17
	s_mov_b32 s26, s17
	s_and_saveexec_b32 s10, s22
	s_cbranch_execnz .LBB43_402
	s_branch .LBB43_403
.LBB43_87:                              ;   in Loop: Header=BB43_6 Depth=1
	s_or_b32 exec_lo, exec_lo, s12
	s_waitcnt vmcnt(0) lgkmcnt(0)
	s_barrier
	buffer_gl0_inv
	s_and_saveexec_b32 s10, s5
	s_cbranch_execz .LBB43_89
; %bb.88:                               ;   in Loop: Header=BB43_6 Depth=1
	ds_load_b32 v2, v15 offset:4104
	s_waitcnt lgkmcnt(0)
	ds_store_b32 v15, v2 offset:4096
.LBB43_89:                              ;   in Loop: Header=BB43_6 Depth=1
	s_or_b32 exec_lo, exec_lo, s10
	s_waitcnt lgkmcnt(0)
	s_mov_b32 s10, -1
	s_barrier
	s_and_b32 vcc_lo, exec_lo, s77
	s_cbranch_vccnz .LBB43_24
	s_branch .LBB43_34
.LBB43_90:                              ;   in Loop: Header=BB43_6 Depth=1
	s_mov_b32 s17, -1
	s_mov_b32 s25, 0
                                        ; implicit-def: $sgpr23
                                        ; implicit-def: $vgpr9_vgpr10
	s_mov_b32 s24, s17
	s_cbranch_execnz .LBB43_93
	s_branch .LBB43_103
.LBB43_91:                              ;   in Loop: Header=BB43_6 Depth=1
	s_set_inst_prefetch_distance 0x2
	s_or_b32 exec_lo, exec_lo, s25
	s_delay_alu instid0(SALU_CYCLE_1)
	s_and_b32 s25, s24, exec_lo
.LBB43_92:                              ;   in Loop: Header=BB43_6 Depth=1
	s_or_b32 exec_lo, exec_lo, s17
	s_mov_b32 s23, -1
	s_mov_b32 s17, 0
	s_delay_alu instid0(SALU_CYCLE_1)
	s_mov_b32 s24, s17
	s_branch .LBB43_103
.LBB43_93:                              ;   in Loop: Header=BB43_6 Depth=1
	s_mov_b32 s25, 0
                                        ; implicit-def: $vgpr9_vgpr10
	s_and_saveexec_b32 s17, s9
	s_cbranch_execz .LBB43_102
; %bb.94:                               ;   in Loop: Header=BB43_6 Depth=1
	v_dual_mov_b32 v14, v13 :: v_dual_mov_b32 v41, v0
	s_mov_b32 s24, 0
                                        ; implicit-def: $sgpr23
	s_set_inst_prefetch_distance 0x1
	s_branch .LBB43_96
	.p2align	6
.LBB43_95:                              ;   in Loop: Header=BB43_96 Depth=2
	s_or_b32 exec_lo, exec_lo, s11
	s_waitcnt vmcnt(0) lgkmcnt(0)
	s_barrier
	buffer_gl0_inv
	ds_load_b128 v[7:10], v15 offset:3072
	v_add_nc_u32_e32 v41, s42, v41
	v_add_nc_u32_e32 v14, s44, v14
	s_waitcnt lgkmcnt(0)
	s_barrier
	buffer_gl0_inv
	v_cmp_le_u32_e32 vcc_lo, s61, v41
	v_readfirstlane_b32 s29, v8
	v_readfirstlane_b32 s28, v7
	s_delay_alu instid0(VALU_DEP_1) | instskip(SKIP_1) | instid1(SALU_CYCLE_1)
	s_cmp_lg_u64 s[28:29], 0
	s_cselect_b32 s11, -1, 0
	s_or_b32 s25, vcc_lo, s11
	s_delay_alu instid0(SALU_CYCLE_1) | instskip(NEXT) | instid1(SALU_CYCLE_1)
	s_and_b32 s25, exec_lo, s25
	s_or_b32 s24, s25, s24
	s_and_not1_b32 s23, s23, exec_lo
	s_and_b32 s11, s11, exec_lo
	s_delay_alu instid0(SALU_CYCLE_1)
	s_or_b32 s23, s23, s11
	s_and_not1_b32 exec_lo, exec_lo, s24
	s_cbranch_execz .LBB43_101
.LBB43_96:                              ;   Parent Loop BB43_6 Depth=1
                                        ; =>  This Inner Loop Header: Depth=2
	v_mov_b32_e32 v3, 0
	v_mov_b32_e32 v4, 0
	v_cmp_gt_u32_e32 vcc_lo, s36, v41
	s_and_saveexec_b32 s25, vcc_lo
	s_cbranch_execz .LBB43_98
; %bb.97:                               ;   in Loop: Header=BB43_96 Depth=2
	v_lshlrev_b64 v[2:3], 3, v[14:15]
	s_delay_alu instid0(VALU_DEP_1) | instskip(NEXT) | instid1(VALU_DEP_1)
	v_add_co_u32 v2, s11, s31, v2
	v_add_co_ci_u32_e64 v3, s11, s33, v3, s11
	global_load_b64 v[3:4], v[2:3], off
.LBB43_98:                              ;   in Loop: Header=BB43_96 Depth=2
	s_or_b32 exec_lo, exec_lo, s25
	s_and_saveexec_b32 s11, vcc_lo
	s_cbranch_execz .LBB43_95
; %bb.99:                               ;   in Loop: Header=BB43_96 Depth=2
	s_waitcnt vmcnt(0)
	v_xor_b32_e32 v2, 0x80000000, v4
	v_and_b32_e32 v7, v3, v25
	s_delay_alu instid0(VALU_DEP_2) | instskip(NEXT) | instid1(VALU_DEP_1)
	v_and_b32_e32 v8, v2, v26
	v_cmp_eq_u64_e32 vcc_lo, v[7:8], v[23:24]
	s_and_b32 exec_lo, exec_lo, vcc_lo
	s_cbranch_execz .LBB43_95
; %bb.100:                              ;   in Loop: Header=BB43_96 Depth=2
	v_mov_b32_e32 v2, v15
	ds_store_b128 v15, v[1:4] offset:3072
	s_branch .LBB43_95
.LBB43_101:                             ;   in Loop: Header=BB43_6 Depth=1
	s_set_inst_prefetch_distance 0x2
	s_or_b32 exec_lo, exec_lo, s24
	s_delay_alu instid0(SALU_CYCLE_1)
	s_and_b32 s25, s23, exec_lo
.LBB43_102:                             ;   in Loop: Header=BB43_6 Depth=1
	s_or_b32 exec_lo, exec_lo, s17
	s_mov_b32 s24, -1
	s_mov_b32 s17, 0
	s_mov_b32 s23, 0
.LBB43_103:                             ;   in Loop: Header=BB43_6 Depth=1
	s_or_not1_b32 s28, s25, exec_lo
.LBB43_104:                             ;   in Loop: Header=BB43_6 Depth=1
	s_or_b32 exec_lo, exec_lo, s22
	s_mov_b32 s25, 0
	s_mov_b32 s22, 0
	;; [unrolled: 1-line block ×3, first 2 shown]
                                        ; implicit-def: $vgpr2
                                        ; implicit-def: $vgpr41
	s_and_saveexec_b32 s26, s28
	s_cbranch_execz .LBB43_239
; %bb.105:                              ;   in Loop: Header=BB43_6 Depth=1
	v_dual_mov_b32 v41, 1 :: v_dual_mov_b32 v2, 1
	s_xor_b32 s27, s27, -1
	s_delay_alu instid0(SALU_CYCLE_1)
	s_and_saveexec_b32 s11, s27
	s_cbranch_execz .LBB43_115
; %bb.106:                              ;   in Loop: Header=BB43_6 Depth=1
	s_mov_b32 s27, exec_lo
                                        ; implicit-def: $sgpr28
                                        ; implicit-def: $sgpr22
	v_cmpx_ge_u32_e64 s16, v40
	s_xor_b32 s27, exec_lo, s27
	s_cbranch_execz .LBB43_112
; %bb.107:                              ;   in Loop: Header=BB43_6 Depth=1
	ds_load_b32 v2, v15 offset:4096
	s_waitcnt lgkmcnt(0)
	v_cmp_ne_u32_e32 vcc_lo, 0, v2
	s_cbranch_vccnz .LBB43_111
; %bb.108:                              ;   in Loop: Header=BB43_6 Depth=1
	s_and_saveexec_b32 s22, s5
	s_cbranch_execz .LBB43_110
; %bb.109:                              ;   in Loop: Header=BB43_6 Depth=1
	v_mov_b32_e32 v2, s16
	ds_store_b32 v15, v2 offset:4100
.LBB43_110:                             ;   in Loop: Header=BB43_6 Depth=1
	s_or_b32 exec_lo, exec_lo, s22
	s_waitcnt lgkmcnt(0)
	s_barrier
	buffer_gl0_inv
.LBB43_111:                             ;   in Loop: Header=BB43_6 Depth=1
	v_and_b32_e32 v24, s15, v24
	v_and_b32_e32 v23, s14, v23
	v_or_b32_e32 v26, s13, v26
	v_or_b32_e32 v25, s12, v25
	s_mov_b32 s22, 0
	s_mov_b32 s28, 8
.LBB43_112:                             ;   in Loop: Header=BB43_6 Depth=1
	s_or_saveexec_b32 s27, s27
	v_dual_mov_b32 v2, s28 :: v_dual_mov_b32 v41, v40
	s_xor_b32 exec_lo, exec_lo, s27
; %bb.113:                              ;   in Loop: Header=BB43_6 Depth=1
	v_subrev_nc_u32_e32 v41, s16, v40
	v_mov_b32_e32 v2, 0
	s_or_b32 s22, s22, exec_lo
; %bb.114:                              ;   in Loop: Header=BB43_6 Depth=1
	s_or_b32 exec_lo, exec_lo, s27
	s_delay_alu instid0(SALU_CYCLE_1)
	s_and_b32 s22, s22, exec_lo
.LBB43_115:                             ;   in Loop: Header=BB43_6 Depth=1
	s_or_b32 exec_lo, exec_lo, s11
	s_mov_b32 s11, -1
                                        ; implicit-def: $sgpr27
                                        ; implicit-def: $sgpr29
                                        ; implicit-def: $sgpr77
	s_and_saveexec_b32 s28, s22
	s_delay_alu instid0(SALU_CYCLE_1)
	s_xor_b32 s22, exec_lo, s28
	s_cbranch_execz .LBB43_236
; %bb.116:                              ;   in Loop: Header=BB43_6 Depth=1
	v_cmp_eq_u32_e32 vcc_lo, 1, v41
	s_cmp_eq_u32 s18, 1
                                        ; implicit-def: $sgpr27
                                        ; implicit-def: $sgpr29
                                        ; implicit-def: $sgpr28
	s_cselect_b32 s11, -1, 0
	s_delay_alu instid0(SALU_CYCLE_1)
	s_and_b32 s78, s11, vcc_lo
	s_mov_b32 s11, -1
	s_and_saveexec_b32 s77, s78
	s_cbranch_execz .LBB43_142
; %bb.117:                              ;   in Loop: Header=BB43_6 Depth=1
	ds_load_b32 v2, v15 offset:4096
	s_waitcnt lgkmcnt(0)
	s_barrier
	buffer_gl0_inv
	v_readfirstlane_b32 s11, v2
	s_and_saveexec_b32 s27, s6
	s_cbranch_execz .LBB43_119
; %bb.118:                              ;   in Loop: Header=BB43_6 Depth=1
	v_mov_b32_e32 v14, v15
	ds_store_b64 v32, v[14:15]
.LBB43_119:                             ;   in Loop: Header=BB43_6 Depth=1
	s_or_b32 exec_lo, exec_lo, s27
	v_and_b32_e32 v2, s15, v24
	v_and_b32_e32 v3, s14, v23
	s_lshl_b64 s[28:29], 1, s19
	v_or_b32_e32 v26, s13, v26
	v_or_b32_e32 v25, s12, v25
	;; [unrolled: 1-line block ×4, first 2 shown]
	s_cmp_eq_u32 s11, 0
	s_waitcnt lgkmcnt(0)
	s_barrier
	buffer_gl0_inv
	s_cbranch_scc1 .LBB43_128
; %bb.120:                              ;   in Loop: Header=BB43_6 Depth=1
	s_add_i32 s27, s11, s53
	s_mov_b32 s79, 0
	s_mul_hi_u32 s28, s27, s60
                                        ; implicit-def: $vgpr9_vgpr10
	s_delay_alu instid0(SALU_CYCLE_1) | instskip(NEXT) | instid1(SALU_CYCLE_1)
	s_mul_i32 s28, s28, s42
	s_sub_i32 s28, s27, s28
	s_delay_alu instid0(SALU_CYCLE_1) | instskip(SKIP_2) | instid1(SALU_CYCLE_1)
	s_sub_i32 s29, s28, s42
	s_cmp_ge_u32 s28, s42
	s_cselect_b32 s28, s29, s28
	s_sub_i32 s29, s28, s42
	s_cmp_ge_u32 s28, s42
	s_cselect_b32 s28, s29, s28
	s_delay_alu instid0(SALU_CYCLE_1)
	s_sub_i32 s28, s27, s28
	s_mov_b32 s27, exec_lo
	v_cmpx_gt_u32_e64 s28, v0
	s_cbranch_execz .LBB43_130
; %bb.121:                              ;   in Loop: Header=BB43_6 Depth=1
	v_mov_b32_e32 v14, v30
	v_mov_b32_e32 v42, v0
                                        ; implicit-def: $sgpr29
	s_set_inst_prefetch_distance 0x1
	s_branch .LBB43_123
	.p2align	6
.LBB43_122:                             ;   in Loop: Header=BB43_123 Depth=2
	s_or_b32 exec_lo, exec_lo, s80
	s_waitcnt lgkmcnt(0)
	s_barrier
	buffer_gl0_inv
	ds_load_b128 v[7:10], v15 offset:3072
	v_add_nc_u32_e32 v42, s42, v42
	v_add_nc_u32_e32 v14, s64, v14
	s_waitcnt lgkmcnt(0)
	s_barrier
	buffer_gl0_inv
	v_cmp_le_u32_e32 vcc_lo, s28, v42
	v_readfirstlane_b32 s81, v8
	v_readfirstlane_b32 s80, v7
	s_delay_alu instid0(VALU_DEP_1) | instskip(SKIP_1) | instid1(SALU_CYCLE_1)
	s_cmp_lg_u64 s[80:81], 0
	s_cselect_b32 s80, -1, 0
	s_or_b32 s81, vcc_lo, s80
	s_delay_alu instid0(SALU_CYCLE_1) | instskip(NEXT) | instid1(SALU_CYCLE_1)
	s_and_b32 s81, exec_lo, s81
	s_or_b32 s79, s81, s79
	s_and_not1_b32 s29, s29, exec_lo
	s_and_b32 s80, s80, exec_lo
	s_delay_alu instid0(SALU_CYCLE_1)
	s_or_b32 s29, s29, s80
	s_and_not1_b32 exec_lo, exec_lo, s79
	s_cbranch_execz .LBB43_129
.LBB43_123:                             ;   Parent Loop BB43_6 Depth=1
                                        ; =>  This Inner Loop Header: Depth=2
	v_mov_b32_e32 v3, 0
	v_mov_b32_e32 v4, 0
	v_cmp_gt_u32_e32 vcc_lo, s11, v42
	s_and_saveexec_b32 s80, vcc_lo
	s_cbranch_execz .LBB43_125
; %bb.124:                              ;   in Loop: Header=BB43_123 Depth=2
	ds_load_b64 v[3:4], v14
.LBB43_125:                             ;   in Loop: Header=BB43_123 Depth=2
	s_or_b32 exec_lo, exec_lo, s80
	s_and_saveexec_b32 s80, vcc_lo
	s_cbranch_execz .LBB43_122
; %bb.126:                              ;   in Loop: Header=BB43_123 Depth=2
	s_waitcnt lgkmcnt(0)
	v_xor_b32_e32 v2, 0x80000000, v4
	v_and_b32_e32 v7, v3, v25
	s_delay_alu instid0(VALU_DEP_2) | instskip(NEXT) | instid1(VALU_DEP_1)
	v_and_b32_e32 v8, v2, v26
	v_cmp_eq_u64_e32 vcc_lo, v[7:8], v[23:24]
	s_and_b32 exec_lo, exec_lo, vcc_lo
	s_cbranch_execz .LBB43_122
; %bb.127:                              ;   in Loop: Header=BB43_123 Depth=2
	v_mov_b32_e32 v2, v15
	ds_store_b128 v15, v[1:4] offset:3072
	s_branch .LBB43_122
.LBB43_128:                             ;   in Loop: Header=BB43_6 Depth=1
	s_mov_b32 s27, -1
	s_mov_b32 s79, 0
                                        ; implicit-def: $sgpr28
                                        ; implicit-def: $vgpr9_vgpr10
	s_mov_b32 s29, s27
	s_cbranch_execnz .LBB43_131
	s_branch .LBB43_141
.LBB43_129:                             ;   in Loop: Header=BB43_6 Depth=1
	s_set_inst_prefetch_distance 0x2
	s_or_b32 exec_lo, exec_lo, s79
	s_delay_alu instid0(SALU_CYCLE_1)
	s_and_b32 s79, s29, exec_lo
.LBB43_130:                             ;   in Loop: Header=BB43_6 Depth=1
	s_or_b32 exec_lo, exec_lo, s27
	s_mov_b32 s28, -1
	s_mov_b32 s27, 0
	s_delay_alu instid0(SALU_CYCLE_1)
	s_mov_b32 s29, s27
	s_branch .LBB43_141
.LBB43_131:                             ;   in Loop: Header=BB43_6 Depth=1
	s_mov_b32 s79, 0
                                        ; implicit-def: $vgpr9_vgpr10
	s_and_saveexec_b32 s27, s9
	s_cbranch_execz .LBB43_140
; %bb.132:                              ;   in Loop: Header=BB43_6 Depth=1
	v_mov_b32_e32 v14, v13
	v_mov_b32_e32 v42, v0
	s_mov_b32 s29, 0
                                        ; implicit-def: $sgpr28
	s_set_inst_prefetch_distance 0x1
	s_branch .LBB43_134
	.p2align	6
.LBB43_133:                             ;   in Loop: Header=BB43_134 Depth=2
	s_or_b32 exec_lo, exec_lo, s11
	s_waitcnt vmcnt(0) lgkmcnt(0)
	s_barrier
	buffer_gl0_inv
	ds_load_b128 v[7:10], v15 offset:3072
	v_add_nc_u32_e32 v42, s42, v42
	v_add_nc_u32_e32 v14, s44, v14
	s_waitcnt lgkmcnt(0)
	s_barrier
	buffer_gl0_inv
	v_cmp_le_u32_e32 vcc_lo, s61, v42
	v_readfirstlane_b32 s81, v8
	v_readfirstlane_b32 s80, v7
	s_delay_alu instid0(VALU_DEP_1) | instskip(SKIP_1) | instid1(SALU_CYCLE_1)
	s_cmp_lg_u64 s[80:81], 0
	s_cselect_b32 s11, -1, 0
	s_or_b32 s79, vcc_lo, s11
	s_delay_alu instid0(SALU_CYCLE_1) | instskip(NEXT) | instid1(SALU_CYCLE_1)
	s_and_b32 s79, exec_lo, s79
	s_or_b32 s29, s79, s29
	s_and_not1_b32 s28, s28, exec_lo
	s_and_b32 s11, s11, exec_lo
	s_delay_alu instid0(SALU_CYCLE_1)
	s_or_b32 s28, s28, s11
	s_and_not1_b32 exec_lo, exec_lo, s29
	s_cbranch_execz .LBB43_139
.LBB43_134:                             ;   Parent Loop BB43_6 Depth=1
                                        ; =>  This Inner Loop Header: Depth=2
	v_mov_b32_e32 v3, 0
	v_mov_b32_e32 v4, 0
	v_cmp_gt_u32_e32 vcc_lo, s36, v42
	s_and_saveexec_b32 s79, vcc_lo
	s_cbranch_execz .LBB43_136
; %bb.135:                              ;   in Loop: Header=BB43_134 Depth=2
	v_lshlrev_b64 v[2:3], 3, v[14:15]
	s_delay_alu instid0(VALU_DEP_1) | instskip(NEXT) | instid1(VALU_DEP_1)
	v_add_co_u32 v2, s11, s31, v2
	v_add_co_ci_u32_e64 v3, s11, s33, v3, s11
	global_load_b64 v[3:4], v[2:3], off
.LBB43_136:                             ;   in Loop: Header=BB43_134 Depth=2
	s_or_b32 exec_lo, exec_lo, s79
	s_and_saveexec_b32 s11, vcc_lo
	s_cbranch_execz .LBB43_133
; %bb.137:                              ;   in Loop: Header=BB43_134 Depth=2
	s_waitcnt vmcnt(0)
	v_xor_b32_e32 v2, 0x80000000, v4
	v_and_b32_e32 v7, v3, v25
	s_delay_alu instid0(VALU_DEP_2) | instskip(NEXT) | instid1(VALU_DEP_1)
	v_and_b32_e32 v8, v2, v26
	v_cmp_eq_u64_e32 vcc_lo, v[7:8], v[23:24]
	s_and_b32 exec_lo, exec_lo, vcc_lo
	s_cbranch_execz .LBB43_133
; %bb.138:                              ;   in Loop: Header=BB43_134 Depth=2
	v_mov_b32_e32 v2, v15
	ds_store_b128 v15, v[1:4] offset:3072
	s_branch .LBB43_133
.LBB43_139:                             ;   in Loop: Header=BB43_6 Depth=1
	s_set_inst_prefetch_distance 0x2
	s_or_b32 exec_lo, exec_lo, s29
	s_delay_alu instid0(SALU_CYCLE_1)
	s_and_b32 s79, s28, exec_lo
.LBB43_140:                             ;   in Loop: Header=BB43_6 Depth=1
	s_or_b32 exec_lo, exec_lo, s27
	s_mov_b32 s29, -1
	s_mov_b32 s27, 0
	s_mov_b32 s28, 0
.LBB43_141:                             ;   in Loop: Header=BB43_6 Depth=1
	s_or_not1_b32 s11, s79, exec_lo
.LBB43_142:                             ;   in Loop: Header=BB43_6 Depth=1
	s_or_b32 exec_lo, exec_lo, s77
	s_mov_b32 s79, 0
                                        ; implicit-def: $vgpr2
	s_and_saveexec_b32 s77, s11
	s_cbranch_execz .LBB43_235
; %bb.143:                              ;   in Loop: Header=BB43_6 Depth=1
	v_mov_b32_e32 v42, 1
	v_mov_b32_e32 v2, 1
	s_xor_b32 s78, s78, -1
	s_mov_b32 s80, 0
	s_and_saveexec_b32 s11, s78
	s_cbranch_execz .LBB43_153
; %bb.144:                              ;   in Loop: Header=BB43_6 Depth=1
	s_mov_b32 s79, exec_lo
                                        ; implicit-def: $sgpr80
                                        ; implicit-def: $sgpr78
	v_cmpx_ge_u32_e64 s18, v41
	s_xor_b32 s79, exec_lo, s79
	s_cbranch_execz .LBB43_150
; %bb.145:                              ;   in Loop: Header=BB43_6 Depth=1
	ds_load_b32 v2, v15 offset:4096
	s_waitcnt lgkmcnt(0)
	v_cmp_ne_u32_e32 vcc_lo, 0, v2
	s_cbranch_vccnz .LBB43_149
; %bb.146:                              ;   in Loop: Header=BB43_6 Depth=1
	s_and_saveexec_b32 s78, s5
	s_cbranch_execz .LBB43_148
; %bb.147:                              ;   in Loop: Header=BB43_6 Depth=1
	v_mov_b32_e32 v2, s18
	ds_store_b32 v15, v2 offset:4100
.LBB43_148:                             ;   in Loop: Header=BB43_6 Depth=1
	s_or_b32 exec_lo, exec_lo, s78
	s_waitcnt lgkmcnt(0)
	s_barrier
	buffer_gl0_inv
.LBB43_149:                             ;   in Loop: Header=BB43_6 Depth=1
	v_and_b32_e32 v2, s15, v24
	v_and_b32_e32 v3, s14, v23
	s_lshl_b64 s[80:81], 1, s19
	v_or_b32_e32 v26, s13, v26
	v_or_b32_e32 v25, s12, v25
	v_or_b32_e32 v24, s81, v2
	v_or_b32_e32 v23, s80, v3
	s_mov_b32 s78, 0
	s_mov_b32 s80, 8
.LBB43_150:                             ;   in Loop: Header=BB43_6 Depth=1
	s_or_saveexec_b32 s79, s79
	v_mov_b32_e32 v2, s80
	s_xor_b32 exec_lo, exec_lo, s79
; %bb.151:                              ;   in Loop: Header=BB43_6 Depth=1
	v_subrev_nc_u32_e32 v41, s18, v41
	v_mov_b32_e32 v2, 0
	s_or_b32 s78, s78, exec_lo
; %bb.152:                              ;   in Loop: Header=BB43_6 Depth=1
	s_or_b32 exec_lo, exec_lo, s79
	s_delay_alu instid0(VALU_DEP_2)
	v_mov_b32_e32 v42, v41
	s_and_b32 s80, s78, exec_lo
.LBB43_153:                             ;   in Loop: Header=BB43_6 Depth=1
	s_or_b32 exec_lo, exec_lo, s11
	s_mov_b32 s11, -1
                                        ; implicit-def: $sgpr79
                                        ; implicit-def: $sgpr81
                                        ; implicit-def: $sgpr82
	s_and_saveexec_b32 s78, s80
	s_cbranch_execz .LBB43_234
; %bb.154:                              ;   in Loop: Header=BB43_6 Depth=1
	v_cmp_eq_u32_e32 vcc_lo, 1, v42
	s_cmp_eq_u32 s20, 1
                                        ; implicit-def: $sgpr79
                                        ; implicit-def: $sgpr81
                                        ; implicit-def: $sgpr80
	s_cselect_b32 s11, -1, 0
	s_delay_alu instid0(SALU_CYCLE_1)
	s_and_b32 s83, s11, vcc_lo
	s_mov_b32 s11, -1
	s_and_saveexec_b32 s82, s83
	s_cbranch_execz .LBB43_180
; %bb.155:                              ;   in Loop: Header=BB43_6 Depth=1
	ds_load_b32 v2, v15 offset:4096
	s_waitcnt lgkmcnt(0)
	s_barrier
	buffer_gl0_inv
	v_readfirstlane_b32 s11, v2
	s_and_saveexec_b32 s79, s6
	s_cbranch_execz .LBB43_157
; %bb.156:                              ;   in Loop: Header=BB43_6 Depth=1
	v_mov_b32_e32 v14, v15
	ds_store_b64 v32, v[14:15]
.LBB43_157:                             ;   in Loop: Header=BB43_6 Depth=1
	s_or_b32 exec_lo, exec_lo, s79
	v_and_b32_e32 v2, s15, v24
	v_and_b32_e32 v3, s14, v23
	s_lshl_b64 s[80:81], 2, s19
	v_or_b32_e32 v26, s13, v26
	v_or_b32_e32 v25, s12, v25
	;; [unrolled: 1-line block ×4, first 2 shown]
	s_cmp_eq_u32 s11, 0
	s_waitcnt lgkmcnt(0)
	s_barrier
	buffer_gl0_inv
	s_cbranch_scc1 .LBB43_166
; %bb.158:                              ;   in Loop: Header=BB43_6 Depth=1
	s_add_i32 s79, s11, s53
	s_mov_b32 s84, 0
	s_mul_hi_u32 s80, s79, s60
                                        ; implicit-def: $vgpr9_vgpr10
	s_delay_alu instid0(SALU_CYCLE_1) | instskip(NEXT) | instid1(SALU_CYCLE_1)
	s_mul_i32 s80, s80, s42
	s_sub_i32 s80, s79, s80
	s_delay_alu instid0(SALU_CYCLE_1) | instskip(SKIP_2) | instid1(SALU_CYCLE_1)
	s_sub_i32 s81, s80, s42
	s_cmp_ge_u32 s80, s42
	s_cselect_b32 s80, s81, s80
	s_sub_i32 s81, s80, s42
	s_cmp_ge_u32 s80, s42
	s_cselect_b32 s80, s81, s80
	s_delay_alu instid0(SALU_CYCLE_1)
	s_sub_i32 s80, s79, s80
	s_mov_b32 s79, exec_lo
	v_cmpx_gt_u32_e64 s80, v0
	s_cbranch_execz .LBB43_168
; %bb.159:                              ;   in Loop: Header=BB43_6 Depth=1
	v_dual_mov_b32 v14, v30 :: v_dual_mov_b32 v41, v0
                                        ; implicit-def: $sgpr81
	s_set_inst_prefetch_distance 0x1
	s_branch .LBB43_161
	.p2align	6
.LBB43_160:                             ;   in Loop: Header=BB43_161 Depth=2
	s_or_b32 exec_lo, exec_lo, s85
	s_waitcnt lgkmcnt(0)
	s_barrier
	buffer_gl0_inv
	ds_load_b128 v[7:10], v15 offset:3072
	v_add_nc_u32_e32 v41, s42, v41
	v_add_nc_u32_e32 v14, s64, v14
	s_waitcnt lgkmcnt(0)
	s_barrier
	buffer_gl0_inv
	v_cmp_le_u32_e32 vcc_lo, s80, v41
	v_readfirstlane_b32 s87, v8
	v_readfirstlane_b32 s86, v7
	s_delay_alu instid0(VALU_DEP_1) | instskip(SKIP_1) | instid1(SALU_CYCLE_1)
	s_cmp_lg_u64 s[86:87], 0
	s_cselect_b32 s85, -1, 0
	s_or_b32 s86, vcc_lo, s85
	s_delay_alu instid0(SALU_CYCLE_1) | instskip(NEXT) | instid1(SALU_CYCLE_1)
	s_and_b32 s86, exec_lo, s86
	s_or_b32 s84, s86, s84
	s_and_not1_b32 s81, s81, exec_lo
	s_and_b32 s85, s85, exec_lo
	s_delay_alu instid0(SALU_CYCLE_1)
	s_or_b32 s81, s81, s85
	s_and_not1_b32 exec_lo, exec_lo, s84
	s_cbranch_execz .LBB43_167
.LBB43_161:                             ;   Parent Loop BB43_6 Depth=1
                                        ; =>  This Inner Loop Header: Depth=2
	v_mov_b32_e32 v3, 0
	v_mov_b32_e32 v4, 0
	v_cmp_gt_u32_e32 vcc_lo, s11, v41
	s_and_saveexec_b32 s85, vcc_lo
	s_cbranch_execz .LBB43_163
; %bb.162:                              ;   in Loop: Header=BB43_161 Depth=2
	ds_load_b64 v[3:4], v14
.LBB43_163:                             ;   in Loop: Header=BB43_161 Depth=2
	s_or_b32 exec_lo, exec_lo, s85
	s_and_saveexec_b32 s85, vcc_lo
	s_cbranch_execz .LBB43_160
; %bb.164:                              ;   in Loop: Header=BB43_161 Depth=2
	s_waitcnt lgkmcnt(0)
	v_xor_b32_e32 v2, 0x80000000, v4
	v_and_b32_e32 v7, v3, v25
	s_delay_alu instid0(VALU_DEP_2) | instskip(NEXT) | instid1(VALU_DEP_1)
	v_and_b32_e32 v8, v2, v26
	v_cmp_eq_u64_e32 vcc_lo, v[7:8], v[23:24]
	s_and_b32 exec_lo, exec_lo, vcc_lo
	s_cbranch_execz .LBB43_160
; %bb.165:                              ;   in Loop: Header=BB43_161 Depth=2
	v_mov_b32_e32 v2, v15
	ds_store_b128 v15, v[1:4] offset:3072
	s_branch .LBB43_160
.LBB43_166:                             ;   in Loop: Header=BB43_6 Depth=1
	s_mov_b32 s79, -1
	s_mov_b32 s84, 0
                                        ; implicit-def: $sgpr80
                                        ; implicit-def: $vgpr9_vgpr10
	s_mov_b32 s81, s79
	s_cbranch_execnz .LBB43_169
	s_branch .LBB43_179
.LBB43_167:                             ;   in Loop: Header=BB43_6 Depth=1
	s_set_inst_prefetch_distance 0x2
	s_or_b32 exec_lo, exec_lo, s84
	s_delay_alu instid0(SALU_CYCLE_1)
	s_and_b32 s84, s81, exec_lo
.LBB43_168:                             ;   in Loop: Header=BB43_6 Depth=1
	s_or_b32 exec_lo, exec_lo, s79
	s_mov_b32 s80, -1
	s_mov_b32 s79, 0
	s_delay_alu instid0(SALU_CYCLE_1)
	s_mov_b32 s81, s79
	s_branch .LBB43_179
.LBB43_169:                             ;   in Loop: Header=BB43_6 Depth=1
	s_mov_b32 s84, 0
                                        ; implicit-def: $vgpr9_vgpr10
	s_and_saveexec_b32 s79, s9
	s_cbranch_execz .LBB43_178
; %bb.170:                              ;   in Loop: Header=BB43_6 Depth=1
	v_dual_mov_b32 v14, v13 :: v_dual_mov_b32 v41, v0
	s_mov_b32 s81, 0
                                        ; implicit-def: $sgpr80
	s_set_inst_prefetch_distance 0x1
	s_branch .LBB43_172
	.p2align	6
.LBB43_171:                             ;   in Loop: Header=BB43_172 Depth=2
	s_or_b32 exec_lo, exec_lo, s11
	s_waitcnt vmcnt(0) lgkmcnt(0)
	s_barrier
	buffer_gl0_inv
	ds_load_b128 v[7:10], v15 offset:3072
	v_add_nc_u32_e32 v41, s42, v41
	v_add_nc_u32_e32 v14, s44, v14
	s_waitcnt lgkmcnt(0)
	s_barrier
	buffer_gl0_inv
	v_cmp_le_u32_e32 vcc_lo, s61, v41
	v_readfirstlane_b32 s85, v8
	v_readfirstlane_b32 s84, v7
	s_delay_alu instid0(VALU_DEP_1) | instskip(SKIP_1) | instid1(SALU_CYCLE_1)
	s_cmp_lg_u64 s[84:85], 0
	s_cselect_b32 s11, -1, 0
	s_or_b32 s84, vcc_lo, s11
	s_delay_alu instid0(SALU_CYCLE_1) | instskip(NEXT) | instid1(SALU_CYCLE_1)
	s_and_b32 s84, exec_lo, s84
	s_or_b32 s81, s84, s81
	s_and_not1_b32 s80, s80, exec_lo
	s_and_b32 s11, s11, exec_lo
	s_delay_alu instid0(SALU_CYCLE_1)
	s_or_b32 s80, s80, s11
	s_and_not1_b32 exec_lo, exec_lo, s81
	s_cbranch_execz .LBB43_177
.LBB43_172:                             ;   Parent Loop BB43_6 Depth=1
                                        ; =>  This Inner Loop Header: Depth=2
	v_mov_b32_e32 v3, 0
	v_mov_b32_e32 v4, 0
	v_cmp_gt_u32_e32 vcc_lo, s36, v41
	s_and_saveexec_b32 s84, vcc_lo
	s_cbranch_execz .LBB43_174
; %bb.173:                              ;   in Loop: Header=BB43_172 Depth=2
	v_lshlrev_b64 v[2:3], 3, v[14:15]
	s_delay_alu instid0(VALU_DEP_1) | instskip(NEXT) | instid1(VALU_DEP_1)
	v_add_co_u32 v2, s11, s31, v2
	v_add_co_ci_u32_e64 v3, s11, s33, v3, s11
	global_load_b64 v[3:4], v[2:3], off
.LBB43_174:                             ;   in Loop: Header=BB43_172 Depth=2
	s_or_b32 exec_lo, exec_lo, s84
	s_and_saveexec_b32 s11, vcc_lo
	s_cbranch_execz .LBB43_171
; %bb.175:                              ;   in Loop: Header=BB43_172 Depth=2
	s_waitcnt vmcnt(0)
	v_xor_b32_e32 v2, 0x80000000, v4
	v_and_b32_e32 v7, v3, v25
	s_delay_alu instid0(VALU_DEP_2) | instskip(NEXT) | instid1(VALU_DEP_1)
	v_and_b32_e32 v8, v2, v26
	v_cmp_eq_u64_e32 vcc_lo, v[7:8], v[23:24]
	s_and_b32 exec_lo, exec_lo, vcc_lo
	s_cbranch_execz .LBB43_171
; %bb.176:                              ;   in Loop: Header=BB43_172 Depth=2
	v_mov_b32_e32 v2, v15
	ds_store_b128 v15, v[1:4] offset:3072
	s_branch .LBB43_171
.LBB43_177:                             ;   in Loop: Header=BB43_6 Depth=1
	s_set_inst_prefetch_distance 0x2
	s_or_b32 exec_lo, exec_lo, s81
	s_delay_alu instid0(SALU_CYCLE_1)
	s_and_b32 s84, s80, exec_lo
.LBB43_178:                             ;   in Loop: Header=BB43_6 Depth=1
	s_or_b32 exec_lo, exec_lo, s79
	s_mov_b32 s81, -1
	s_mov_b32 s79, 0
	s_mov_b32 s80, 0
.LBB43_179:                             ;   in Loop: Header=BB43_6 Depth=1
	s_or_not1_b32 s11, s84, exec_lo
.LBB43_180:                             ;   in Loop: Header=BB43_6 Depth=1
	s_or_b32 exec_lo, exec_lo, s82
	s_mov_b32 s84, 0
                                        ; implicit-def: $vgpr2
	s_and_saveexec_b32 s82, s11
	s_cbranch_execz .LBB43_233
; %bb.181:                              ;   in Loop: Header=BB43_6 Depth=1
	v_dual_mov_b32 v41, 1 :: v_dual_mov_b32 v2, 1
	s_xor_b32 s83, s83, -1
	s_mov_b32 s85, 0
	s_and_saveexec_b32 s11, s83
	s_cbranch_execz .LBB43_191
; %bb.182:                              ;   in Loop: Header=BB43_6 Depth=1
	s_mov_b32 s84, exec_lo
                                        ; implicit-def: $sgpr85
                                        ; implicit-def: $sgpr83
	v_cmpx_ge_u32_e64 s20, v42
	s_xor_b32 s84, exec_lo, s84
	s_cbranch_execz .LBB43_188
; %bb.183:                              ;   in Loop: Header=BB43_6 Depth=1
	ds_load_b32 v2, v15 offset:4096
	s_waitcnt lgkmcnt(0)
	v_cmp_ne_u32_e32 vcc_lo, 0, v2
	s_cbranch_vccnz .LBB43_187
; %bb.184:                              ;   in Loop: Header=BB43_6 Depth=1
	s_and_saveexec_b32 s83, s5
	s_cbranch_execz .LBB43_186
; %bb.185:                              ;   in Loop: Header=BB43_6 Depth=1
	v_mov_b32_e32 v2, s20
	ds_store_b32 v15, v2 offset:4100
.LBB43_186:                             ;   in Loop: Header=BB43_6 Depth=1
	s_or_b32 exec_lo, exec_lo, s83
	s_waitcnt lgkmcnt(0)
	s_barrier
	buffer_gl0_inv
.LBB43_187:                             ;   in Loop: Header=BB43_6 Depth=1
	v_and_b32_e32 v2, s15, v24
	v_and_b32_e32 v3, s14, v23
	s_lshl_b64 s[86:87], 2, s19
	v_or_b32_e32 v26, s13, v26
	v_or_b32_e32 v25, s12, v25
	;; [unrolled: 1-line block ×4, first 2 shown]
	s_mov_b32 s83, 0
	s_mov_b32 s85, 8
.LBB43_188:                             ;   in Loop: Header=BB43_6 Depth=1
	s_or_saveexec_b32 s84, s84
	v_mov_b32_e32 v2, s85
	s_xor_b32 exec_lo, exec_lo, s84
; %bb.189:                              ;   in Loop: Header=BB43_6 Depth=1
	v_subrev_nc_u32_e32 v42, s20, v42
	v_mov_b32_e32 v2, 0
	s_or_b32 s83, s83, exec_lo
; %bb.190:                              ;   in Loop: Header=BB43_6 Depth=1
	s_or_b32 exec_lo, exec_lo, s84
	s_delay_alu instid0(VALU_DEP_2)
	v_mov_b32_e32 v41, v42
	s_and_b32 s85, s83, exec_lo
.LBB43_191:                             ;   in Loop: Header=BB43_6 Depth=1
	s_or_b32 exec_lo, exec_lo, s11
	s_mov_b32 s84, -1
                                        ; implicit-def: $sgpr11
                                        ; implicit-def: $sgpr87
                                        ; implicit-def: $sgpr86
	s_and_saveexec_b32 s83, s85
	s_cbranch_execz .LBB43_232
; %bb.192:                              ;   in Loop: Header=BB43_6 Depth=1
	v_cmp_eq_u32_e32 vcc_lo, 1, v41
	s_cmp_eq_u32 s21, 1
	s_mov_b32 s88, -1
	s_cselect_b32 s11, -1, 0
                                        ; implicit-def: $sgpr87
                                        ; implicit-def: $sgpr86
	s_delay_alu instid0(SALU_CYCLE_1) | instskip(NEXT) | instid1(SALU_CYCLE_1)
	s_and_b32 s84, s11, vcc_lo
                                        ; implicit-def: $sgpr11
	s_and_saveexec_b32 s85, s84
	s_cbranch_execz .LBB43_219
; %bb.193:                              ;   in Loop: Header=BB43_6 Depth=1
	ds_load_b32 v2, v15 offset:4096
	s_waitcnt lgkmcnt(0)
	s_barrier
	buffer_gl0_inv
	v_readfirstlane_b32 s11, v2
	s_and_saveexec_b32 s86, s6
	s_cbranch_execz .LBB43_195
; %bb.194:                              ;   in Loop: Header=BB43_6 Depth=1
	v_mov_b32_e32 v14, v15
	ds_store_b64 v32, v[14:15]
.LBB43_195:                             ;   in Loop: Header=BB43_6 Depth=1
	s_or_b32 exec_lo, exec_lo, s86
	v_or_b32_e32 v24, s13, v24
	v_or_b32_e32 v23, s12, v23
	;; [unrolled: 1-line block ×4, first 2 shown]
	s_cmp_eq_u32 s11, 0
	s_waitcnt lgkmcnt(0)
	s_barrier
	buffer_gl0_inv
	s_cbranch_scc1 .LBB43_204
; %bb.196:                              ;   in Loop: Header=BB43_6 Depth=1
	s_add_i32 s86, s11, s53
                                        ; implicit-def: $vgpr9_vgpr10
	s_delay_alu instid0(SALU_CYCLE_1) | instskip(NEXT) | instid1(SALU_CYCLE_1)
	s_mul_hi_u32 s87, s86, s60
	s_mul_i32 s87, s87, s42
	s_delay_alu instid0(SALU_CYCLE_1) | instskip(NEXT) | instid1(SALU_CYCLE_1)
	s_sub_i32 s87, s86, s87
	s_sub_i32 s88, s87, s42
	s_cmp_ge_u32 s87, s42
	s_cselect_b32 s87, s88, s87
	s_delay_alu instid0(SALU_CYCLE_1)
	s_sub_i32 s88, s87, s42
	s_cmp_ge_u32 s87, s42
	s_cselect_b32 s87, s88, s87
	s_mov_b32 s88, 0
	s_sub_i32 s87, s86, s87
	s_mov_b32 s86, exec_lo
	v_cmpx_gt_u32_e64 s87, v0
	s_cbranch_execz .LBB43_206
; %bb.197:                              ;   in Loop: Header=BB43_6 Depth=1
	v_mov_b32_e32 v14, v30
	v_mov_b32_e32 v42, v0
	s_mov_b32 s89, 0
                                        ; implicit-def: $sgpr88
	s_set_inst_prefetch_distance 0x1
	s_branch .LBB43_199
	.p2align	6
.LBB43_198:                             ;   in Loop: Header=BB43_199 Depth=2
	s_or_b32 exec_lo, exec_lo, s90
	s_waitcnt lgkmcnt(0)
	s_barrier
	buffer_gl0_inv
	ds_load_b128 v[7:10], v15 offset:3072
	v_add_nc_u32_e32 v42, s42, v42
	v_add_nc_u32_e32 v14, s64, v14
	s_waitcnt lgkmcnt(0)
	s_barrier
	buffer_gl0_inv
	v_cmp_le_u32_e32 vcc_lo, s87, v42
	v_readfirstlane_b32 s91, v8
	v_readfirstlane_b32 s90, v7
	s_delay_alu instid0(VALU_DEP_1) | instskip(SKIP_1) | instid1(SALU_CYCLE_1)
	s_cmp_lg_u64 s[90:91], 0
	s_cselect_b32 s90, -1, 0
	s_or_b32 s91, vcc_lo, s90
	s_delay_alu instid0(SALU_CYCLE_1) | instskip(NEXT) | instid1(SALU_CYCLE_1)
	s_and_b32 s91, exec_lo, s91
	s_or_b32 s89, s91, s89
	s_and_not1_b32 s88, s88, exec_lo
	s_and_b32 s90, s90, exec_lo
	s_delay_alu instid0(SALU_CYCLE_1)
	s_or_b32 s88, s88, s90
	s_and_not1_b32 exec_lo, exec_lo, s89
	s_cbranch_execz .LBB43_205
.LBB43_199:                             ;   Parent Loop BB43_6 Depth=1
                                        ; =>  This Inner Loop Header: Depth=2
	v_mov_b32_e32 v3, 0
	v_mov_b32_e32 v4, 0
	v_cmp_gt_u32_e32 vcc_lo, s11, v42
	s_and_saveexec_b32 s90, vcc_lo
	s_cbranch_execz .LBB43_201
; %bb.200:                              ;   in Loop: Header=BB43_199 Depth=2
	ds_load_b64 v[3:4], v14
.LBB43_201:                             ;   in Loop: Header=BB43_199 Depth=2
	s_or_b32 exec_lo, exec_lo, s90
	s_and_saveexec_b32 s90, vcc_lo
	s_cbranch_execz .LBB43_198
; %bb.202:                              ;   in Loop: Header=BB43_199 Depth=2
	s_waitcnt lgkmcnt(0)
	v_xor_b32_e32 v2, 0x80000000, v4
	v_and_b32_e32 v7, v3, v25
	s_delay_alu instid0(VALU_DEP_2) | instskip(NEXT) | instid1(VALU_DEP_1)
	v_and_b32_e32 v8, v2, v26
	v_cmp_eq_u64_e32 vcc_lo, v[7:8], v[23:24]
	s_and_b32 exec_lo, exec_lo, vcc_lo
	s_cbranch_execz .LBB43_198
; %bb.203:                              ;   in Loop: Header=BB43_199 Depth=2
	v_mov_b32_e32 v2, v15
	ds_store_b128 v15, v[1:4] offset:3072
	s_branch .LBB43_198
.LBB43_204:                             ;   in Loop: Header=BB43_6 Depth=1
	s_mov_b32 s11, -1
	s_mov_b32 s88, 0
                                        ; implicit-def: $sgpr86
                                        ; implicit-def: $vgpr9_vgpr10
	s_branch .LBB43_207
.LBB43_205:                             ;   in Loop: Header=BB43_6 Depth=1
	s_set_inst_prefetch_distance 0x2
	s_or_b32 exec_lo, exec_lo, s89
	s_delay_alu instid0(SALU_CYCLE_1)
	s_and_b32 s88, s88, exec_lo
.LBB43_206:                             ;   in Loop: Header=BB43_6 Depth=1
	s_or_b32 exec_lo, exec_lo, s86
	s_mov_b32 s86, -1
	s_mov_b32 s11, 0
.LBB43_207:                             ;   in Loop: Header=BB43_6 Depth=1
	s_delay_alu instid0(SALU_CYCLE_1)
	s_and_b32 vcc_lo, exec_lo, s11
	s_mov_b32 s87, s11
	s_cbranch_vccz .LBB43_218
; %bb.208:                              ;   in Loop: Header=BB43_6 Depth=1
	s_mov_b32 s88, 0
                                        ; implicit-def: $vgpr9_vgpr10
	s_and_saveexec_b32 s86, s9
	s_cbranch_execz .LBB43_217
; %bb.209:                              ;   in Loop: Header=BB43_6 Depth=1
	v_mov_b32_e32 v14, v13
	v_mov_b32_e32 v42, v0
                                        ; implicit-def: $sgpr87
	s_set_inst_prefetch_distance 0x1
	s_branch .LBB43_211
	.p2align	6
.LBB43_210:                             ;   in Loop: Header=BB43_211 Depth=2
	s_or_b32 exec_lo, exec_lo, s11
	s_waitcnt vmcnt(0) lgkmcnt(0)
	s_barrier
	buffer_gl0_inv
	ds_load_b128 v[7:10], v15 offset:3072
	v_add_nc_u32_e32 v42, s42, v42
	v_add_nc_u32_e32 v14, s44, v14
	s_waitcnt lgkmcnt(0)
	s_barrier
	buffer_gl0_inv
	v_cmp_le_u32_e32 vcc_lo, s61, v42
	v_readfirstlane_b32 s91, v8
	v_readfirstlane_b32 s90, v7
	s_delay_alu instid0(VALU_DEP_1) | instskip(SKIP_1) | instid1(SALU_CYCLE_1)
	s_cmp_lg_u64 s[90:91], 0
	s_cselect_b32 s11, -1, 0
	s_or_b32 s89, vcc_lo, s11
	s_delay_alu instid0(SALU_CYCLE_1) | instskip(NEXT) | instid1(SALU_CYCLE_1)
	s_and_b32 s89, exec_lo, s89
	s_or_b32 s88, s89, s88
	s_and_not1_b32 s87, s87, exec_lo
	s_and_b32 s11, s11, exec_lo
	s_delay_alu instid0(SALU_CYCLE_1)
	s_or_b32 s87, s87, s11
	s_and_not1_b32 exec_lo, exec_lo, s88
	s_cbranch_execz .LBB43_216
.LBB43_211:                             ;   Parent Loop BB43_6 Depth=1
                                        ; =>  This Inner Loop Header: Depth=2
	v_mov_b32_e32 v3, 0
	v_mov_b32_e32 v4, 0
	v_cmp_gt_u32_e32 vcc_lo, s36, v42
	s_and_saveexec_b32 s89, vcc_lo
	s_cbranch_execz .LBB43_213
; %bb.212:                              ;   in Loop: Header=BB43_211 Depth=2
	v_lshlrev_b64 v[2:3], 3, v[14:15]
	s_delay_alu instid0(VALU_DEP_1) | instskip(NEXT) | instid1(VALU_DEP_1)
	v_add_co_u32 v2, s11, s31, v2
	v_add_co_ci_u32_e64 v3, s11, s33, v3, s11
	global_load_b64 v[3:4], v[2:3], off
.LBB43_213:                             ;   in Loop: Header=BB43_211 Depth=2
	s_or_b32 exec_lo, exec_lo, s89
	s_and_saveexec_b32 s11, vcc_lo
	s_cbranch_execz .LBB43_210
; %bb.214:                              ;   in Loop: Header=BB43_211 Depth=2
	s_waitcnt vmcnt(0)
	v_xor_b32_e32 v2, 0x80000000, v4
	v_and_b32_e32 v7, v3, v25
	s_delay_alu instid0(VALU_DEP_2) | instskip(NEXT) | instid1(VALU_DEP_1)
	v_and_b32_e32 v8, v2, v26
	v_cmp_eq_u64_e32 vcc_lo, v[7:8], v[23:24]
	s_and_b32 exec_lo, exec_lo, vcc_lo
	s_cbranch_execz .LBB43_210
; %bb.215:                              ;   in Loop: Header=BB43_211 Depth=2
	v_mov_b32_e32 v2, v15
	ds_store_b128 v15, v[1:4] offset:3072
	s_branch .LBB43_210
.LBB43_216:                             ;   in Loop: Header=BB43_6 Depth=1
	s_set_inst_prefetch_distance 0x2
	s_or_b32 exec_lo, exec_lo, s88
	s_delay_alu instid0(SALU_CYCLE_1)
	s_and_b32 s88, s87, exec_lo
.LBB43_217:                             ;   in Loop: Header=BB43_6 Depth=1
	s_or_b32 exec_lo, exec_lo, s86
	s_mov_b32 s87, -1
	s_mov_b32 s11, 0
	s_mov_b32 s86, 0
.LBB43_218:                             ;   in Loop: Header=BB43_6 Depth=1
	s_or_not1_b32 s88, s88, exec_lo
.LBB43_219:                             ;   in Loop: Header=BB43_6 Depth=1
	s_or_b32 exec_lo, exec_lo, s85
	s_mov_b32 s89, 0
                                        ; implicit-def: $vgpr2
                                        ; implicit-def: $vgpr3
	s_and_saveexec_b32 s85, s88
	s_cbranch_execz .LBB43_231
; %bb.220:                              ;   in Loop: Header=BB43_6 Depth=1
	v_dual_mov_b32 v2, 1 :: v_dual_mov_b32 v3, 1
	s_xor_b32 s88, s84, -1
	s_delay_alu instid0(SALU_CYCLE_1)
	s_and_saveexec_b32 s84, s88
	s_cbranch_execz .LBB43_230
; %bb.221:                              ;   in Loop: Header=BB43_6 Depth=1
	s_mov_b32 s88, exec_lo
                                        ; implicit-def: $sgpr89
	v_cmpx_ge_u32_e64 s21, v41
	s_xor_b32 s88, exec_lo, s88
	s_cbranch_execz .LBB43_227
; %bb.222:                              ;   in Loop: Header=BB43_6 Depth=1
	ds_load_b32 v2, v15 offset:4096
	s_waitcnt lgkmcnt(0)
	v_cmp_ne_u32_e32 vcc_lo, 0, v2
	s_cbranch_vccnz .LBB43_226
; %bb.223:                              ;   in Loop: Header=BB43_6 Depth=1
	s_and_saveexec_b32 s89, s5
	s_cbranch_execz .LBB43_225
; %bb.224:                              ;   in Loop: Header=BB43_6 Depth=1
	v_mov_b32_e32 v2, s21
	ds_store_b32 v15, v2 offset:4100
.LBB43_225:                             ;   in Loop: Header=BB43_6 Depth=1
	s_or_b32 exec_lo, exec_lo, s89
	s_waitcnt lgkmcnt(0)
	s_barrier
	buffer_gl0_inv
.LBB43_226:                             ;   in Loop: Header=BB43_6 Depth=1
	v_or_b32_e32 v24, s13, v24
	v_or_b32_e32 v23, s12, v23
	;; [unrolled: 1-line block ×4, first 2 shown]
	s_mov_b32 s89, 8
.LBB43_227:                             ;   in Loop: Header=BB43_6 Depth=1
	s_or_saveexec_b32 s88, s88
	v_mov_b32_e32 v2, s89
	s_xor_b32 exec_lo, exec_lo, s88
; %bb.228:                              ;   in Loop: Header=BB43_6 Depth=1
	v_subrev_nc_u32_e32 v41, s21, v41
	v_mov_b32_e32 v2, 8
; %bb.229:                              ;   in Loop: Header=BB43_6 Depth=1
	s_or_b32 exec_lo, exec_lo, s88
	s_delay_alu instid0(VALU_DEP_2)
	v_mov_b32_e32 v3, v41
.LBB43_230:                             ;   in Loop: Header=BB43_6 Depth=1
	s_or_b32 exec_lo, exec_lo, s84
	s_delay_alu instid0(SALU_CYCLE_1)
	s_mov_b32 s89, exec_lo
.LBB43_231:                             ;   in Loop: Header=BB43_6 Depth=1
	s_or_b32 exec_lo, exec_lo, s85
	s_delay_alu instid0(VALU_DEP_1)
	v_mov_b32_e32 v41, v3
	s_or_not1_b32 s84, s89, exec_lo
.LBB43_232:                             ;   in Loop: Header=BB43_6 Depth=1
	s_or_b32 exec_lo, exec_lo, s83
	s_delay_alu instid0(SALU_CYCLE_1)
	s_and_not1_b32 s79, s79, exec_lo
	s_and_b32 s11, s11, exec_lo
	v_mov_b32_e32 v42, v41
	s_or_b32 s79, s79, s11
	s_and_not1_b32 s11, s81, exec_lo
	s_and_b32 s81, s87, exec_lo
	s_and_not1_b32 s80, s80, exec_lo
	s_and_b32 s83, s86, exec_lo
	s_or_b32 s81, s11, s81
	s_or_b32 s80, s80, s83
	s_and_b32 s84, s84, exec_lo
.LBB43_233:                             ;   in Loop: Header=BB43_6 Depth=1
	s_or_b32 exec_lo, exec_lo, s82
	s_delay_alu instid0(SALU_CYCLE_1)
	s_and_b32 s82, s79, exec_lo
	s_and_b32 s81, s81, exec_lo
	;; [unrolled: 1-line block ×3, first 2 shown]
	s_or_not1_b32 s11, s84, exec_lo
.LBB43_234:                             ;   in Loop: Header=BB43_6 Depth=1
	s_or_b32 exec_lo, exec_lo, s78
	s_delay_alu instid0(SALU_CYCLE_1)
	s_and_not1_b32 s27, s27, exec_lo
	s_and_b32 s78, s82, exec_lo
	v_mov_b32_e32 v41, v42
	s_or_b32 s27, s27, s78
	s_and_not1_b32 s29, s29, exec_lo
	s_and_b32 s78, s81, exec_lo
	s_and_not1_b32 s28, s28, exec_lo
	s_and_b32 s79, s79, exec_lo
	s_or_b32 s29, s29, s78
	s_or_b32 s28, s28, s79
	s_and_b32 s79, s11, exec_lo
.LBB43_235:                             ;   in Loop: Header=BB43_6 Depth=1
	s_or_b32 exec_lo, exec_lo, s77
	s_delay_alu instid0(SALU_CYCLE_1)
	s_and_b32 s77, s27, exec_lo
	s_and_b32 s29, s29, exec_lo
	;; [unrolled: 1-line block ×3, first 2 shown]
	s_or_not1_b32 s11, s79, exec_lo
.LBB43_236:                             ;   in Loop: Header=BB43_6 Depth=1
	s_or_b32 exec_lo, exec_lo, s22
	s_mov_b32 s22, 0
	s_mov_b32 s28, 0
	s_and_saveexec_b32 s78, s11
	s_delay_alu instid0(SALU_CYCLE_1)
	s_xor_b32 s78, exec_lo, s78
; %bb.237:                              ;   in Loop: Header=BB43_6 Depth=1
	v_cmp_ne_u32_e32 vcc_lo, 8, v2
	v_cmp_eq_u32_e64 s11, 8, v2
	s_and_not1_b32 s77, s77, exec_lo
	s_and_not1_b32 s29, s29, exec_lo
	;; [unrolled: 1-line block ×3, first 2 shown]
	s_and_b32 s28, vcc_lo, exec_lo
	s_and_b32 s22, s11, exec_lo
; %bb.238:                              ;   in Loop: Header=BB43_6 Depth=1
	s_or_b32 exec_lo, exec_lo, s78
	s_delay_alu instid0(SALU_CYCLE_1)
	s_and_not1_b32 s11, s17, exec_lo
	s_and_b32 s17, s77, exec_lo
	s_and_not1_b32 s23, s23, exec_lo
	s_or_b32 s17, s11, s17
	s_and_not1_b32 s11, s24, exec_lo
	s_and_b32 s24, s29, exec_lo
	s_and_b32 s27, s27, exec_lo
	s_or_b32 s24, s11, s24
	s_or_b32 s23, s23, s27
	s_and_b32 s11, s28, exec_lo
	s_and_b32 s22, s22, exec_lo
.LBB43_239:                             ;   in Loop: Header=BB43_6 Depth=1
	s_or_b32 exec_lo, exec_lo, s26
	s_delay_alu instid0(SALU_CYCLE_1)
	s_and_b32 vcc_lo, exec_lo, s25
	s_cbranch_vccz .LBB43_86
.LBB43_240:                             ;   in Loop: Header=BB43_6 Depth=1
	s_delay_alu instid0(VALU_DEP_1) | instskip(SKIP_1) | instid1(SALU_CYCLE_1)
	s_cmp_eq_u32 s21, 1
                                        ; implicit-def: $sgpr25
                                        ; implicit-def: $sgpr26
	s_cselect_b32 s17, -1, 0
	s_and_b32 s24, s17, s10
	s_mov_b32 s10, -1
                                        ; implicit-def: $sgpr17
	s_and_saveexec_b32 s23, s24
	s_cbranch_execz .LBB43_266
; %bb.241:                              ;   in Loop: Header=BB43_6 Depth=1
	ds_load_b32 v2, v15 offset:4096
	s_waitcnt lgkmcnt(0)
	s_barrier
	buffer_gl0_inv
	v_readfirstlane_b32 s10, v2
	s_and_saveexec_b32 s17, s6
	s_cbranch_execz .LBB43_243
; %bb.242:                              ;   in Loop: Header=BB43_6 Depth=1
	v_mov_b32_e32 v14, v15
	ds_store_b64 v32, v[14:15]
.LBB43_243:                             ;   in Loop: Header=BB43_6 Depth=1
	s_or_b32 exec_lo, exec_lo, s17
	v_or_b32_e32 v22, s13, v22
	v_or_b32_e32 v21, s12, v21
	;; [unrolled: 1-line block ×4, first 2 shown]
	s_cmp_eq_u32 s10, 0
	s_waitcnt lgkmcnt(0)
	s_barrier
	buffer_gl0_inv
	s_cbranch_scc1 .LBB43_252
; %bb.244:                              ;   in Loop: Header=BB43_6 Depth=1
	s_add_i32 s17, s10, s53
	s_mov_b32 s27, 0
	s_mul_hi_u32 s25, s17, s60
                                        ; implicit-def: $vgpr5_vgpr6
	s_delay_alu instid0(SALU_CYCLE_1) | instskip(NEXT) | instid1(SALU_CYCLE_1)
	s_mul_i32 s25, s25, s42
	s_sub_i32 s25, s17, s25
	s_delay_alu instid0(SALU_CYCLE_1) | instskip(SKIP_2) | instid1(SALU_CYCLE_1)
	s_sub_i32 s26, s25, s42
	s_cmp_ge_u32 s25, s42
	s_cselect_b32 s25, s26, s25
	s_sub_i32 s26, s25, s42
	s_cmp_ge_u32 s25, s42
	s_cselect_b32 s25, s26, s25
	s_delay_alu instid0(SALU_CYCLE_1)
	s_sub_i32 s25, s17, s25
	s_mov_b32 s17, exec_lo
	v_cmpx_gt_u32_e64 s25, v0
	s_cbranch_execz .LBB43_254
; %bb.245:                              ;   in Loop: Header=BB43_6 Depth=1
	v_dual_mov_b32 v7, v30 :: v_dual_mov_b32 v8, v0
                                        ; implicit-def: $sgpr26
	s_set_inst_prefetch_distance 0x1
	s_branch .LBB43_247
	.p2align	6
.LBB43_246:                             ;   in Loop: Header=BB43_247 Depth=2
	s_or_b32 exec_lo, exec_lo, s28
	s_waitcnt lgkmcnt(0)
	s_barrier
	buffer_gl0_inv
	ds_load_b128 v[3:6], v15 offset:3072
	v_add_nc_u32_e32 v8, s42, v8
	v_add_nc_u32_e32 v7, s64, v7
	s_waitcnt lgkmcnt(0)
	s_barrier
	buffer_gl0_inv
	v_cmp_le_u32_e32 vcc_lo, s25, v8
	v_readfirstlane_b32 s29, v4
	v_readfirstlane_b32 s28, v3
	s_delay_alu instid0(VALU_DEP_1) | instskip(SKIP_1) | instid1(SALU_CYCLE_1)
	s_cmp_lg_u64 s[28:29], 0
	s_cselect_b32 s28, -1, 0
	s_or_b32 s29, vcc_lo, s28
	s_delay_alu instid0(SALU_CYCLE_1) | instskip(NEXT) | instid1(SALU_CYCLE_1)
	s_and_b32 s29, exec_lo, s29
	s_or_b32 s27, s29, s27
	s_and_not1_b32 s26, s26, exec_lo
	s_and_b32 s28, s28, exec_lo
	s_delay_alu instid0(SALU_CYCLE_1)
	s_or_b32 s26, s26, s28
	s_and_not1_b32 exec_lo, exec_lo, s27
	s_cbranch_execz .LBB43_253
.LBB43_247:                             ;   Parent Loop BB43_6 Depth=1
                                        ; =>  This Inner Loop Header: Depth=2
	v_mov_b32_e32 v3, 0
	v_mov_b32_e32 v4, 0
	v_cmp_gt_u32_e32 vcc_lo, s10, v8
	s_and_saveexec_b32 s28, vcc_lo
	s_cbranch_execz .LBB43_249
; %bb.248:                              ;   in Loop: Header=BB43_247 Depth=2
	ds_load_b64 v[3:4], v7
.LBB43_249:                             ;   in Loop: Header=BB43_247 Depth=2
	s_or_b32 exec_lo, exec_lo, s28
	s_and_saveexec_b32 s28, vcc_lo
	s_cbranch_execz .LBB43_246
; %bb.250:                              ;   in Loop: Header=BB43_247 Depth=2
	s_waitcnt lgkmcnt(0)
	v_xor_b32_e32 v2, 0x80000000, v4
	v_and_b32_e32 v5, v3, v19
	s_delay_alu instid0(VALU_DEP_2) | instskip(NEXT) | instid1(VALU_DEP_1)
	v_and_b32_e32 v6, v2, v20
	v_cmp_eq_u64_e32 vcc_lo, v[5:6], v[21:22]
	s_and_b32 exec_lo, exec_lo, vcc_lo
	s_cbranch_execz .LBB43_246
; %bb.251:                              ;   in Loop: Header=BB43_247 Depth=2
	v_mov_b32_e32 v2, v15
	ds_store_b128 v15, v[1:4] offset:3072
	s_branch .LBB43_246
.LBB43_252:                             ;   in Loop: Header=BB43_6 Depth=1
	s_mov_b32 s25, -1
	s_mov_b32 s27, 0
                                        ; implicit-def: $sgpr26
                                        ; implicit-def: $vgpr5_vgpr6
	s_mov_b32 s17, s25
	s_cbranch_execnz .LBB43_255
	s_branch .LBB43_265
.LBB43_253:                             ;   in Loop: Header=BB43_6 Depth=1
	s_set_inst_prefetch_distance 0x2
	s_or_b32 exec_lo, exec_lo, s27
	s_delay_alu instid0(SALU_CYCLE_1)
	s_and_b32 s27, s26, exec_lo
.LBB43_254:                             ;   in Loop: Header=BB43_6 Depth=1
	s_or_b32 exec_lo, exec_lo, s17
	s_mov_b32 s25, 0
	s_mov_b32 s26, -1
	s_mov_b32 s17, s25
	s_branch .LBB43_265
.LBB43_255:                             ;   in Loop: Header=BB43_6 Depth=1
	s_mov_b32 s27, 0
                                        ; implicit-def: $vgpr5_vgpr6
	s_and_saveexec_b32 s17, s9
	s_cbranch_execz .LBB43_264
; %bb.256:                              ;   in Loop: Header=BB43_6 Depth=1
	v_dual_mov_b32 v14, v13 :: v_dual_mov_b32 v7, v0
	s_mov_b32 s26, 0
                                        ; implicit-def: $sgpr25
	s_set_inst_prefetch_distance 0x1
	s_branch .LBB43_258
	.p2align	6
.LBB43_257:                             ;   in Loop: Header=BB43_258 Depth=2
	s_or_b32 exec_lo, exec_lo, s10
	s_waitcnt vmcnt(0) lgkmcnt(0)
	s_barrier
	buffer_gl0_inv
	ds_load_b128 v[3:6], v15 offset:3072
	v_add_nc_u32_e32 v7, s42, v7
	v_add_nc_u32_e32 v14, s44, v14
	s_waitcnt lgkmcnt(0)
	s_barrier
	buffer_gl0_inv
	v_cmp_le_u32_e32 vcc_lo, s61, v7
	v_readfirstlane_b32 s29, v4
	v_readfirstlane_b32 s28, v3
	s_delay_alu instid0(VALU_DEP_1) | instskip(SKIP_1) | instid1(SALU_CYCLE_1)
	s_cmp_lg_u64 s[28:29], 0
	s_cselect_b32 s10, -1, 0
	s_or_b32 s27, vcc_lo, s10
	s_delay_alu instid0(SALU_CYCLE_1) | instskip(NEXT) | instid1(SALU_CYCLE_1)
	s_and_b32 s27, exec_lo, s27
	s_or_b32 s26, s27, s26
	s_and_not1_b32 s25, s25, exec_lo
	s_and_b32 s10, s10, exec_lo
	s_delay_alu instid0(SALU_CYCLE_1)
	s_or_b32 s25, s25, s10
	s_and_not1_b32 exec_lo, exec_lo, s26
	s_cbranch_execz .LBB43_263
.LBB43_258:                             ;   Parent Loop BB43_6 Depth=1
                                        ; =>  This Inner Loop Header: Depth=2
	v_mov_b32_e32 v3, 0
	v_mov_b32_e32 v4, 0
	v_cmp_gt_u32_e32 vcc_lo, s36, v7
	s_and_saveexec_b32 s27, vcc_lo
	s_cbranch_execz .LBB43_260
; %bb.259:                              ;   in Loop: Header=BB43_258 Depth=2
	v_lshlrev_b64 v[2:3], 3, v[14:15]
	s_delay_alu instid0(VALU_DEP_1) | instskip(NEXT) | instid1(VALU_DEP_1)
	v_add_co_u32 v2, s10, s31, v2
	v_add_co_ci_u32_e64 v3, s10, s33, v3, s10
	global_load_b64 v[3:4], v[2:3], off
.LBB43_260:                             ;   in Loop: Header=BB43_258 Depth=2
	s_or_b32 exec_lo, exec_lo, s27
	s_and_saveexec_b32 s10, vcc_lo
	s_cbranch_execz .LBB43_257
; %bb.261:                              ;   in Loop: Header=BB43_258 Depth=2
	s_waitcnt vmcnt(0)
	v_xor_b32_e32 v2, 0x80000000, v4
	v_and_b32_e32 v5, v3, v19
	s_delay_alu instid0(VALU_DEP_2) | instskip(NEXT) | instid1(VALU_DEP_1)
	v_and_b32_e32 v6, v2, v20
	v_cmp_eq_u64_e32 vcc_lo, v[5:6], v[21:22]
	s_and_b32 exec_lo, exec_lo, vcc_lo
	s_cbranch_execz .LBB43_257
; %bb.262:                              ;   in Loop: Header=BB43_258 Depth=2
	v_mov_b32_e32 v2, v15
	ds_store_b128 v15, v[1:4] offset:3072
	s_branch .LBB43_257
.LBB43_263:                             ;   in Loop: Header=BB43_6 Depth=1
	s_set_inst_prefetch_distance 0x2
	s_or_b32 exec_lo, exec_lo, s26
	s_delay_alu instid0(SALU_CYCLE_1)
	s_and_b32 s27, s25, exec_lo
.LBB43_264:                             ;   in Loop: Header=BB43_6 Depth=1
	s_or_b32 exec_lo, exec_lo, s17
	s_mov_b32 s26, 0
	s_mov_b32 s25, -1
	s_mov_b32 s17, 0
.LBB43_265:                             ;   in Loop: Header=BB43_6 Depth=1
	s_or_not1_b32 s10, s27, exec_lo
.LBB43_266:                             ;   in Loop: Header=BB43_6 Depth=1
	s_or_b32 exec_lo, exec_lo, s23
                                        ; implicit-def: $vgpr2
                                        ; implicit-def: $vgpr41
                                        ; implicit-def: $vgpr23_vgpr24
                                        ; implicit-def: $vgpr25_vgpr26
                                        ; implicit-def: $vgpr9_vgpr10
	s_and_saveexec_b32 s23, s10
	s_cbranch_execz .LBB43_401
; %bb.267:                              ;   in Loop: Header=BB43_6 Depth=1
	v_dual_mov_b32 v41, 1 :: v_dual_mov_b32 v2, 1
	s_xor_b32 s24, s24, -1
	s_mov_b32 s77, 0
	s_and_saveexec_b32 s10, s24
	s_cbranch_execz .LBB43_277
; %bb.268:                              ;   in Loop: Header=BB43_6 Depth=1
	s_mov_b32 s27, exec_lo
                                        ; implicit-def: $sgpr28
                                        ; implicit-def: $sgpr24
	v_cmpx_ge_u32_e64 s21, v40
	s_xor_b32 s27, exec_lo, s27
	s_cbranch_execz .LBB43_274
; %bb.269:                              ;   in Loop: Header=BB43_6 Depth=1
	ds_load_b32 v2, v15 offset:4096
	s_waitcnt lgkmcnt(0)
	v_cmp_ne_u32_e32 vcc_lo, 0, v2
	s_cbranch_vccnz .LBB43_273
; %bb.270:                              ;   in Loop: Header=BB43_6 Depth=1
	s_and_saveexec_b32 s24, s5
	s_cbranch_execz .LBB43_272
; %bb.271:                              ;   in Loop: Header=BB43_6 Depth=1
	v_mov_b32_e32 v2, s21
	ds_store_b32 v15, v2 offset:4100
.LBB43_272:                             ;   in Loop: Header=BB43_6 Depth=1
	s_or_b32 exec_lo, exec_lo, s24
	s_waitcnt lgkmcnt(0)
	s_barrier
	buffer_gl0_inv
.LBB43_273:                             ;   in Loop: Header=BB43_6 Depth=1
	v_or_b32_e32 v22, s13, v22
	v_or_b32_e32 v21, s12, v21
	;; [unrolled: 1-line block ×4, first 2 shown]
	s_mov_b32 s24, 0
	s_mov_b32 s28, 5
.LBB43_274:                             ;   in Loop: Header=BB43_6 Depth=1
	s_or_saveexec_b32 s27, s27
	v_mov_b32_e32 v2, s28
	s_xor_b32 exec_lo, exec_lo, s27
; %bb.275:                              ;   in Loop: Header=BB43_6 Depth=1
	v_subrev_nc_u32_e32 v40, s21, v40
	v_mov_b32_e32 v2, 0
	s_or_b32 s24, s24, exec_lo
; %bb.276:                              ;   in Loop: Header=BB43_6 Depth=1
	s_or_b32 exec_lo, exec_lo, s27
	s_delay_alu instid0(VALU_DEP_2)
	v_mov_b32_e32 v41, v40
	s_and_b32 s77, s24, exec_lo
.LBB43_277:                             ;   in Loop: Header=BB43_6 Depth=1
	s_or_b32 exec_lo, exec_lo, s10
	s_mov_b32 s28, -1
                                        ; implicit-def: $sgpr24
                                        ; implicit-def: $sgpr27
                                        ; implicit-def: $sgpr29
	s_and_saveexec_b32 s10, s77
	s_delay_alu instid0(SALU_CYCLE_1)
	s_xor_b32 s21, exec_lo, s10
	s_cbranch_execz .LBB43_398
; %bb.278:                              ;   in Loop: Header=BB43_6 Depth=1
	v_cmp_eq_u32_e32 vcc_lo, 1, v41
	s_cmp_eq_u32 s20, 1
                                        ; implicit-def: $sgpr24
                                        ; implicit-def: $sgpr27
                                        ; implicit-def: $sgpr28
	s_cselect_b32 s10, -1, 0
	s_delay_alu instid0(SALU_CYCLE_1)
	s_and_b32 s77, s10, vcc_lo
	s_mov_b32 s10, -1
	s_and_saveexec_b32 s29, s77
	s_cbranch_execz .LBB43_304
; %bb.279:                              ;   in Loop: Header=BB43_6 Depth=1
	ds_load_b32 v2, v15 offset:4096
	s_waitcnt lgkmcnt(0)
	s_barrier
	buffer_gl0_inv
	v_readfirstlane_b32 s10, v2
	s_and_saveexec_b32 s24, s6
	s_cbranch_execz .LBB43_281
; %bb.280:                              ;   in Loop: Header=BB43_6 Depth=1
	v_mov_b32_e32 v14, v15
	ds_store_b64 v32, v[14:15]
.LBB43_281:                             ;   in Loop: Header=BB43_6 Depth=1
	s_or_b32 exec_lo, exec_lo, s24
	v_and_b32_e32 v2, s15, v22
	v_and_b32_e32 v3, s14, v21
	s_lshl_b64 s[78:79], 2, s19
	v_or_b32_e32 v20, s13, v20
	v_or_b32_e32 v19, s12, v19
	;; [unrolled: 1-line block ×4, first 2 shown]
	s_cmp_eq_u32 s10, 0
	s_waitcnt lgkmcnt(0)
	s_barrier
	buffer_gl0_inv
	s_cbranch_scc1 .LBB43_290
; %bb.282:                              ;   in Loop: Header=BB43_6 Depth=1
	s_add_i32 s24, s10, s53
	s_mov_b32 s78, 0
	s_mul_hi_u32 s27, s24, s60
                                        ; implicit-def: $vgpr5_vgpr6
	s_delay_alu instid0(SALU_CYCLE_1) | instskip(NEXT) | instid1(SALU_CYCLE_1)
	s_mul_i32 s27, s27, s42
	s_sub_i32 s27, s24, s27
	s_delay_alu instid0(SALU_CYCLE_1) | instskip(SKIP_2) | instid1(SALU_CYCLE_1)
	s_sub_i32 s28, s27, s42
	s_cmp_ge_u32 s27, s42
	s_cselect_b32 s27, s28, s27
	s_sub_i32 s28, s27, s42
	s_cmp_ge_u32 s27, s42
	s_cselect_b32 s27, s28, s27
	s_delay_alu instid0(SALU_CYCLE_1)
	s_sub_i32 s27, s24, s27
	s_mov_b32 s24, exec_lo
	v_cmpx_gt_u32_e64 s27, v0
	s_cbranch_execz .LBB43_292
; %bb.283:                              ;   in Loop: Header=BB43_6 Depth=1
	v_dual_mov_b32 v7, v30 :: v_dual_mov_b32 v8, v0
                                        ; implicit-def: $sgpr28
	s_set_inst_prefetch_distance 0x1
	s_branch .LBB43_285
	.p2align	6
.LBB43_284:                             ;   in Loop: Header=BB43_285 Depth=2
	s_or_b32 exec_lo, exec_lo, s79
	s_waitcnt lgkmcnt(0)
	s_barrier
	buffer_gl0_inv
	ds_load_b128 v[3:6], v15 offset:3072
	v_add_nc_u32_e32 v8, s42, v8
	v_add_nc_u32_e32 v7, s64, v7
	s_waitcnt lgkmcnt(0)
	s_barrier
	buffer_gl0_inv
	v_cmp_le_u32_e32 vcc_lo, s27, v8
	v_readfirstlane_b32 s81, v4
	v_readfirstlane_b32 s80, v3
	s_delay_alu instid0(VALU_DEP_1) | instskip(SKIP_1) | instid1(SALU_CYCLE_1)
	s_cmp_lg_u64 s[80:81], 0
	s_cselect_b32 s79, -1, 0
	s_or_b32 s80, vcc_lo, s79
	s_delay_alu instid0(SALU_CYCLE_1) | instskip(NEXT) | instid1(SALU_CYCLE_1)
	s_and_b32 s80, exec_lo, s80
	s_or_b32 s78, s80, s78
	s_and_not1_b32 s28, s28, exec_lo
	s_and_b32 s79, s79, exec_lo
	s_delay_alu instid0(SALU_CYCLE_1)
	s_or_b32 s28, s28, s79
	s_and_not1_b32 exec_lo, exec_lo, s78
	s_cbranch_execz .LBB43_291
.LBB43_285:                             ;   Parent Loop BB43_6 Depth=1
                                        ; =>  This Inner Loop Header: Depth=2
	v_mov_b32_e32 v3, 0
	v_mov_b32_e32 v4, 0
	v_cmp_gt_u32_e32 vcc_lo, s10, v8
	s_and_saveexec_b32 s79, vcc_lo
	s_cbranch_execz .LBB43_287
; %bb.286:                              ;   in Loop: Header=BB43_285 Depth=2
	ds_load_b64 v[3:4], v7
.LBB43_287:                             ;   in Loop: Header=BB43_285 Depth=2
	s_or_b32 exec_lo, exec_lo, s79
	s_and_saveexec_b32 s79, vcc_lo
	s_cbranch_execz .LBB43_284
; %bb.288:                              ;   in Loop: Header=BB43_285 Depth=2
	s_waitcnt lgkmcnt(0)
	v_xor_b32_e32 v2, 0x80000000, v4
	v_and_b32_e32 v5, v3, v19
	s_delay_alu instid0(VALU_DEP_2) | instskip(NEXT) | instid1(VALU_DEP_1)
	v_and_b32_e32 v6, v2, v20
	v_cmp_eq_u64_e32 vcc_lo, v[5:6], v[21:22]
	s_and_b32 exec_lo, exec_lo, vcc_lo
	s_cbranch_execz .LBB43_284
; %bb.289:                              ;   in Loop: Header=BB43_285 Depth=2
	v_mov_b32_e32 v2, v15
	ds_store_b128 v15, v[1:4] offset:3072
	s_branch .LBB43_284
.LBB43_290:                             ;   in Loop: Header=BB43_6 Depth=1
	s_mov_b32 s24, -1
	s_mov_b32 s78, 0
                                        ; implicit-def: $sgpr27
                                        ; implicit-def: $vgpr5_vgpr6
	s_mov_b32 s28, s24
	s_cbranch_execnz .LBB43_293
	s_branch .LBB43_303
.LBB43_291:                             ;   in Loop: Header=BB43_6 Depth=1
	s_set_inst_prefetch_distance 0x2
	s_or_b32 exec_lo, exec_lo, s78
	s_delay_alu instid0(SALU_CYCLE_1)
	s_and_b32 s78, s28, exec_lo
.LBB43_292:                             ;   in Loop: Header=BB43_6 Depth=1
	s_or_b32 exec_lo, exec_lo, s24
	s_mov_b32 s24, 0
	s_mov_b32 s27, -1
	s_mov_b32 s28, s24
	s_branch .LBB43_303
.LBB43_293:                             ;   in Loop: Header=BB43_6 Depth=1
	s_mov_b32 s78, 0
                                        ; implicit-def: $vgpr5_vgpr6
	s_and_saveexec_b32 s24, s9
	s_cbranch_execz .LBB43_302
; %bb.294:                              ;   in Loop: Header=BB43_6 Depth=1
	v_dual_mov_b32 v14, v13 :: v_dual_mov_b32 v7, v0
	s_mov_b32 s28, 0
                                        ; implicit-def: $sgpr27
	s_set_inst_prefetch_distance 0x1
	s_branch .LBB43_296
	.p2align	6
.LBB43_295:                             ;   in Loop: Header=BB43_296 Depth=2
	s_or_b32 exec_lo, exec_lo, s10
	s_waitcnt vmcnt(0) lgkmcnt(0)
	s_barrier
	buffer_gl0_inv
	ds_load_b128 v[3:6], v15 offset:3072
	v_add_nc_u32_e32 v7, s42, v7
	v_add_nc_u32_e32 v14, s44, v14
	s_waitcnt lgkmcnt(0)
	s_barrier
	buffer_gl0_inv
	v_cmp_le_u32_e32 vcc_lo, s61, v7
	v_readfirstlane_b32 s79, v4
	v_readfirstlane_b32 s78, v3
	s_delay_alu instid0(VALU_DEP_1) | instskip(SKIP_1) | instid1(SALU_CYCLE_1)
	s_cmp_lg_u64 s[78:79], 0
	s_cselect_b32 s10, -1, 0
	s_or_b32 s78, vcc_lo, s10
	s_delay_alu instid0(SALU_CYCLE_1) | instskip(NEXT) | instid1(SALU_CYCLE_1)
	s_and_b32 s78, exec_lo, s78
	s_or_b32 s28, s78, s28
	s_and_not1_b32 s27, s27, exec_lo
	s_and_b32 s10, s10, exec_lo
	s_delay_alu instid0(SALU_CYCLE_1)
	s_or_b32 s27, s27, s10
	s_and_not1_b32 exec_lo, exec_lo, s28
	s_cbranch_execz .LBB43_301
.LBB43_296:                             ;   Parent Loop BB43_6 Depth=1
                                        ; =>  This Inner Loop Header: Depth=2
	v_mov_b32_e32 v3, 0
	v_mov_b32_e32 v4, 0
	v_cmp_gt_u32_e32 vcc_lo, s36, v7
	s_and_saveexec_b32 s78, vcc_lo
	s_cbranch_execz .LBB43_298
; %bb.297:                              ;   in Loop: Header=BB43_296 Depth=2
	v_lshlrev_b64 v[2:3], 3, v[14:15]
	s_delay_alu instid0(VALU_DEP_1) | instskip(NEXT) | instid1(VALU_DEP_1)
	v_add_co_u32 v2, s10, s31, v2
	v_add_co_ci_u32_e64 v3, s10, s33, v3, s10
	global_load_b64 v[3:4], v[2:3], off
.LBB43_298:                             ;   in Loop: Header=BB43_296 Depth=2
	s_or_b32 exec_lo, exec_lo, s78
	s_and_saveexec_b32 s10, vcc_lo
	s_cbranch_execz .LBB43_295
; %bb.299:                              ;   in Loop: Header=BB43_296 Depth=2
	s_waitcnt vmcnt(0)
	v_xor_b32_e32 v2, 0x80000000, v4
	v_and_b32_e32 v5, v3, v19
	s_delay_alu instid0(VALU_DEP_2) | instskip(NEXT) | instid1(VALU_DEP_1)
	v_and_b32_e32 v6, v2, v20
	v_cmp_eq_u64_e32 vcc_lo, v[5:6], v[21:22]
	s_and_b32 exec_lo, exec_lo, vcc_lo
	s_cbranch_execz .LBB43_295
; %bb.300:                              ;   in Loop: Header=BB43_296 Depth=2
	v_mov_b32_e32 v2, v15
	ds_store_b128 v15, v[1:4] offset:3072
	s_branch .LBB43_295
.LBB43_301:                             ;   in Loop: Header=BB43_6 Depth=1
	s_set_inst_prefetch_distance 0x2
	s_or_b32 exec_lo, exec_lo, s28
	s_delay_alu instid0(SALU_CYCLE_1)
	s_and_b32 s78, s27, exec_lo
.LBB43_302:                             ;   in Loop: Header=BB43_6 Depth=1
	s_or_b32 exec_lo, exec_lo, s24
	s_mov_b32 s27, 0
	s_mov_b32 s24, -1
	s_mov_b32 s28, 0
.LBB43_303:                             ;   in Loop: Header=BB43_6 Depth=1
	s_or_not1_b32 s10, s78, exec_lo
.LBB43_304:                             ;   in Loop: Header=BB43_6 Depth=1
	s_or_b32 exec_lo, exec_lo, s29
	s_mov_b32 s78, 0
                                        ; implicit-def: $vgpr2
	s_and_saveexec_b32 s29, s10
	s_cbranch_execz .LBB43_397
; %bb.305:                              ;   in Loop: Header=BB43_6 Depth=1
	v_dual_mov_b32 v7, 1 :: v_dual_mov_b32 v2, 1
	s_xor_b32 s77, s77, -1
	s_mov_b32 s79, 0
	s_and_saveexec_b32 s10, s77
	s_cbranch_execz .LBB43_315
; %bb.306:                              ;   in Loop: Header=BB43_6 Depth=1
	s_mov_b32 s78, exec_lo
                                        ; implicit-def: $sgpr79
                                        ; implicit-def: $sgpr77
	v_cmpx_ge_u32_e64 s20, v41
	s_xor_b32 s78, exec_lo, s78
	s_cbranch_execz .LBB43_312
; %bb.307:                              ;   in Loop: Header=BB43_6 Depth=1
	ds_load_b32 v2, v15 offset:4096
	s_waitcnt lgkmcnt(0)
	v_cmp_ne_u32_e32 vcc_lo, 0, v2
	s_cbranch_vccnz .LBB43_311
; %bb.308:                              ;   in Loop: Header=BB43_6 Depth=1
	s_and_saveexec_b32 s77, s5
	s_cbranch_execz .LBB43_310
; %bb.309:                              ;   in Loop: Header=BB43_6 Depth=1
	v_mov_b32_e32 v2, s20
	ds_store_b32 v15, v2 offset:4100
.LBB43_310:                             ;   in Loop: Header=BB43_6 Depth=1
	s_or_b32 exec_lo, exec_lo, s77
	s_waitcnt lgkmcnt(0)
	s_barrier
	buffer_gl0_inv
.LBB43_311:                             ;   in Loop: Header=BB43_6 Depth=1
	v_and_b32_e32 v2, s15, v22
	v_and_b32_e32 v3, s14, v21
	s_lshl_b64 s[80:81], 2, s19
	v_or_b32_e32 v20, s13, v20
	v_or_b32_e32 v19, s12, v19
	;; [unrolled: 1-line block ×4, first 2 shown]
	s_mov_b32 s77, 0
	s_mov_b32 s79, 5
.LBB43_312:                             ;   in Loop: Header=BB43_6 Depth=1
	s_or_saveexec_b32 s78, s78
	v_mov_b32_e32 v2, s79
	s_xor_b32 exec_lo, exec_lo, s78
; %bb.313:                              ;   in Loop: Header=BB43_6 Depth=1
	v_subrev_nc_u32_e32 v41, s20, v41
	v_mov_b32_e32 v2, 0
	s_or_b32 s77, s77, exec_lo
; %bb.314:                              ;   in Loop: Header=BB43_6 Depth=1
	s_or_b32 exec_lo, exec_lo, s78
	s_delay_alu instid0(VALU_DEP_2)
	v_mov_b32_e32 v7, v41
	s_and_b32 s79, s77, exec_lo
.LBB43_315:                             ;   in Loop: Header=BB43_6 Depth=1
	s_or_b32 exec_lo, exec_lo, s10
	s_mov_b32 s10, -1
                                        ; implicit-def: $sgpr77
                                        ; implicit-def: $sgpr78
                                        ; implicit-def: $sgpr80
	s_and_saveexec_b32 s20, s79
	s_cbranch_execz .LBB43_396
; %bb.316:                              ;   in Loop: Header=BB43_6 Depth=1
	v_cmp_eq_u32_e32 vcc_lo, 1, v7
	s_cmp_eq_u32 s18, 1
                                        ; implicit-def: $sgpr77
                                        ; implicit-def: $sgpr78
                                        ; implicit-def: $sgpr79
	s_cselect_b32 s10, -1, 0
	s_delay_alu instid0(SALU_CYCLE_1)
	s_and_b32 s81, s10, vcc_lo
	s_mov_b32 s10, -1
	s_and_saveexec_b32 s80, s81
	s_cbranch_execz .LBB43_342
; %bb.317:                              ;   in Loop: Header=BB43_6 Depth=1
	ds_load_b32 v2, v15 offset:4096
	s_waitcnt lgkmcnt(0)
	s_barrier
	buffer_gl0_inv
	v_readfirstlane_b32 s10, v2
	s_and_saveexec_b32 s77, s6
	s_cbranch_execz .LBB43_319
; %bb.318:                              ;   in Loop: Header=BB43_6 Depth=1
	v_mov_b32_e32 v14, v15
	ds_store_b64 v32, v[14:15]
.LBB43_319:                             ;   in Loop: Header=BB43_6 Depth=1
	s_or_b32 exec_lo, exec_lo, s77
	v_and_b32_e32 v2, s15, v22
	v_and_b32_e32 v3, s14, v21
	s_lshl_b64 s[78:79], 1, s19
	v_or_b32_e32 v20, s13, v20
	v_or_b32_e32 v19, s12, v19
	;; [unrolled: 1-line block ×4, first 2 shown]
	s_cmp_eq_u32 s10, 0
	s_waitcnt lgkmcnt(0)
	s_barrier
	buffer_gl0_inv
	s_cbranch_scc1 .LBB43_328
; %bb.320:                              ;   in Loop: Header=BB43_6 Depth=1
	s_add_i32 s77, s10, s53
	s_mov_b32 s82, 0
	s_mul_hi_u32 s78, s77, s60
                                        ; implicit-def: $vgpr5_vgpr6
	s_delay_alu instid0(SALU_CYCLE_1) | instskip(NEXT) | instid1(SALU_CYCLE_1)
	s_mul_i32 s78, s78, s42
	s_sub_i32 s78, s77, s78
	s_delay_alu instid0(SALU_CYCLE_1) | instskip(SKIP_2) | instid1(SALU_CYCLE_1)
	s_sub_i32 s79, s78, s42
	s_cmp_ge_u32 s78, s42
	s_cselect_b32 s78, s79, s78
	s_sub_i32 s79, s78, s42
	s_cmp_ge_u32 s78, s42
	s_cselect_b32 s78, s79, s78
	s_delay_alu instid0(SALU_CYCLE_1)
	s_sub_i32 s78, s77, s78
	s_mov_b32 s77, exec_lo
	v_cmpx_gt_u32_e64 s78, v0
	s_cbranch_execz .LBB43_330
; %bb.321:                              ;   in Loop: Header=BB43_6 Depth=1
	v_dual_mov_b32 v8, v30 :: v_dual_mov_b32 v9, v0
                                        ; implicit-def: $sgpr79
	s_set_inst_prefetch_distance 0x1
	s_branch .LBB43_323
	.p2align	6
.LBB43_322:                             ;   in Loop: Header=BB43_323 Depth=2
	s_or_b32 exec_lo, exec_lo, s83
	s_waitcnt lgkmcnt(0)
	s_barrier
	buffer_gl0_inv
	ds_load_b128 v[3:6], v15 offset:3072
	v_add_nc_u32_e32 v9, s42, v9
	v_add_nc_u32_e32 v8, s64, v8
	s_waitcnt lgkmcnt(0)
	s_barrier
	buffer_gl0_inv
	v_cmp_le_u32_e32 vcc_lo, s78, v9
	v_readfirstlane_b32 s85, v4
	v_readfirstlane_b32 s84, v3
	s_delay_alu instid0(VALU_DEP_1) | instskip(SKIP_1) | instid1(SALU_CYCLE_1)
	s_cmp_lg_u64 s[84:85], 0
	s_cselect_b32 s83, -1, 0
	s_or_b32 s84, vcc_lo, s83
	s_delay_alu instid0(SALU_CYCLE_1) | instskip(NEXT) | instid1(SALU_CYCLE_1)
	s_and_b32 s84, exec_lo, s84
	s_or_b32 s82, s84, s82
	s_and_not1_b32 s79, s79, exec_lo
	s_and_b32 s83, s83, exec_lo
	s_delay_alu instid0(SALU_CYCLE_1)
	s_or_b32 s79, s79, s83
	s_and_not1_b32 exec_lo, exec_lo, s82
	s_cbranch_execz .LBB43_329
.LBB43_323:                             ;   Parent Loop BB43_6 Depth=1
                                        ; =>  This Inner Loop Header: Depth=2
	v_mov_b32_e32 v3, 0
	v_mov_b32_e32 v4, 0
	v_cmp_gt_u32_e32 vcc_lo, s10, v9
	s_and_saveexec_b32 s83, vcc_lo
	s_cbranch_execz .LBB43_325
; %bb.324:                              ;   in Loop: Header=BB43_323 Depth=2
	ds_load_b64 v[3:4], v8
.LBB43_325:                             ;   in Loop: Header=BB43_323 Depth=2
	s_or_b32 exec_lo, exec_lo, s83
	s_and_saveexec_b32 s83, vcc_lo
	s_cbranch_execz .LBB43_322
; %bb.326:                              ;   in Loop: Header=BB43_323 Depth=2
	s_waitcnt lgkmcnt(0)
	v_xor_b32_e32 v2, 0x80000000, v4
	v_and_b32_e32 v5, v3, v19
	s_delay_alu instid0(VALU_DEP_2) | instskip(NEXT) | instid1(VALU_DEP_1)
	v_and_b32_e32 v6, v2, v20
	v_cmp_eq_u64_e32 vcc_lo, v[5:6], v[21:22]
	s_and_b32 exec_lo, exec_lo, vcc_lo
	s_cbranch_execz .LBB43_322
; %bb.327:                              ;   in Loop: Header=BB43_323 Depth=2
	v_mov_b32_e32 v2, v15
	ds_store_b128 v15, v[1:4] offset:3072
	s_branch .LBB43_322
.LBB43_328:                             ;   in Loop: Header=BB43_6 Depth=1
	s_mov_b32 s77, -1
	s_mov_b32 s82, 0
                                        ; implicit-def: $sgpr78
                                        ; implicit-def: $vgpr5_vgpr6
	s_mov_b32 s79, s77
	s_cbranch_execnz .LBB43_331
	s_branch .LBB43_341
.LBB43_329:                             ;   in Loop: Header=BB43_6 Depth=1
	s_set_inst_prefetch_distance 0x2
	s_or_b32 exec_lo, exec_lo, s82
	s_delay_alu instid0(SALU_CYCLE_1)
	s_and_b32 s82, s79, exec_lo
.LBB43_330:                             ;   in Loop: Header=BB43_6 Depth=1
	s_or_b32 exec_lo, exec_lo, s77
	s_mov_b32 s77, 0
	s_mov_b32 s78, -1
	s_mov_b32 s79, s77
	s_branch .LBB43_341
.LBB43_331:                             ;   in Loop: Header=BB43_6 Depth=1
	s_mov_b32 s82, 0
                                        ; implicit-def: $vgpr5_vgpr6
	s_and_saveexec_b32 s77, s9
	s_cbranch_execz .LBB43_340
; %bb.332:                              ;   in Loop: Header=BB43_6 Depth=1
	v_mov_b32_e32 v14, v13
	v_mov_b32_e32 v8, v0
	s_mov_b32 s79, 0
                                        ; implicit-def: $sgpr78
	s_set_inst_prefetch_distance 0x1
	s_branch .LBB43_334
	.p2align	6
.LBB43_333:                             ;   in Loop: Header=BB43_334 Depth=2
	s_or_b32 exec_lo, exec_lo, s10
	s_waitcnt vmcnt(0) lgkmcnt(0)
	s_barrier
	buffer_gl0_inv
	ds_load_b128 v[3:6], v15 offset:3072
	v_add_nc_u32_e32 v8, s42, v8
	v_add_nc_u32_e32 v14, s44, v14
	s_waitcnt lgkmcnt(0)
	s_barrier
	buffer_gl0_inv
	v_cmp_le_u32_e32 vcc_lo, s61, v8
	v_readfirstlane_b32 s83, v4
	v_readfirstlane_b32 s82, v3
	s_delay_alu instid0(VALU_DEP_1) | instskip(SKIP_1) | instid1(SALU_CYCLE_1)
	s_cmp_lg_u64 s[82:83], 0
	s_cselect_b32 s10, -1, 0
	s_or_b32 s82, vcc_lo, s10
	s_delay_alu instid0(SALU_CYCLE_1) | instskip(NEXT) | instid1(SALU_CYCLE_1)
	s_and_b32 s82, exec_lo, s82
	s_or_b32 s79, s82, s79
	s_and_not1_b32 s78, s78, exec_lo
	s_and_b32 s10, s10, exec_lo
	s_delay_alu instid0(SALU_CYCLE_1)
	s_or_b32 s78, s78, s10
	s_and_not1_b32 exec_lo, exec_lo, s79
	s_cbranch_execz .LBB43_339
.LBB43_334:                             ;   Parent Loop BB43_6 Depth=1
                                        ; =>  This Inner Loop Header: Depth=2
	v_mov_b32_e32 v3, 0
	v_mov_b32_e32 v4, 0
	v_cmp_gt_u32_e32 vcc_lo, s36, v8
	s_and_saveexec_b32 s82, vcc_lo
	s_cbranch_execz .LBB43_336
; %bb.335:                              ;   in Loop: Header=BB43_334 Depth=2
	v_lshlrev_b64 v[2:3], 3, v[14:15]
	s_delay_alu instid0(VALU_DEP_1) | instskip(NEXT) | instid1(VALU_DEP_1)
	v_add_co_u32 v2, s10, s31, v2
	v_add_co_ci_u32_e64 v3, s10, s33, v3, s10
	global_load_b64 v[3:4], v[2:3], off
.LBB43_336:                             ;   in Loop: Header=BB43_334 Depth=2
	s_or_b32 exec_lo, exec_lo, s82
	s_and_saveexec_b32 s10, vcc_lo
	s_cbranch_execz .LBB43_333
; %bb.337:                              ;   in Loop: Header=BB43_334 Depth=2
	s_waitcnt vmcnt(0)
	v_xor_b32_e32 v2, 0x80000000, v4
	v_and_b32_e32 v5, v3, v19
	s_delay_alu instid0(VALU_DEP_2) | instskip(NEXT) | instid1(VALU_DEP_1)
	v_and_b32_e32 v6, v2, v20
	v_cmp_eq_u64_e32 vcc_lo, v[5:6], v[21:22]
	s_and_b32 exec_lo, exec_lo, vcc_lo
	s_cbranch_execz .LBB43_333
; %bb.338:                              ;   in Loop: Header=BB43_334 Depth=2
	v_mov_b32_e32 v2, v15
	ds_store_b128 v15, v[1:4] offset:3072
	s_branch .LBB43_333
.LBB43_339:                             ;   in Loop: Header=BB43_6 Depth=1
	s_set_inst_prefetch_distance 0x2
	s_or_b32 exec_lo, exec_lo, s79
	s_delay_alu instid0(SALU_CYCLE_1)
	s_and_b32 s82, s78, exec_lo
.LBB43_340:                             ;   in Loop: Header=BB43_6 Depth=1
	s_or_b32 exec_lo, exec_lo, s77
	s_mov_b32 s78, 0
	s_mov_b32 s77, -1
	s_mov_b32 s79, 0
.LBB43_341:                             ;   in Loop: Header=BB43_6 Depth=1
	s_or_not1_b32 s10, s82, exec_lo
.LBB43_342:                             ;   in Loop: Header=BB43_6 Depth=1
	s_or_b32 exec_lo, exec_lo, s80
	s_mov_b32 s82, 0
                                        ; implicit-def: $vgpr2
	s_and_saveexec_b32 s80, s10
	s_cbranch_execz .LBB43_395
; %bb.343:                              ;   in Loop: Header=BB43_6 Depth=1
	v_mov_b32_e32 v8, 1
	v_mov_b32_e32 v2, 1
	s_xor_b32 s82, s81, -1
	s_mov_b32 s81, 0
	s_and_saveexec_b32 s10, s82
	s_cbranch_execz .LBB43_353
; %bb.344:                              ;   in Loop: Header=BB43_6 Depth=1
	s_mov_b32 s82, exec_lo
                                        ; implicit-def: $sgpr83
                                        ; implicit-def: $sgpr81
	v_cmpx_ge_u32_e64 s18, v7
	s_xor_b32 s82, exec_lo, s82
	s_cbranch_execz .LBB43_350
; %bb.345:                              ;   in Loop: Header=BB43_6 Depth=1
	ds_load_b32 v2, v15 offset:4096
	s_waitcnt lgkmcnt(0)
	v_cmp_ne_u32_e32 vcc_lo, 0, v2
	s_cbranch_vccnz .LBB43_349
; %bb.346:                              ;   in Loop: Header=BB43_6 Depth=1
	s_and_saveexec_b32 s81, s5
	s_cbranch_execz .LBB43_348
; %bb.347:                              ;   in Loop: Header=BB43_6 Depth=1
	v_mov_b32_e32 v2, s18
	ds_store_b32 v15, v2 offset:4100
.LBB43_348:                             ;   in Loop: Header=BB43_6 Depth=1
	s_or_b32 exec_lo, exec_lo, s81
	s_waitcnt lgkmcnt(0)
	s_barrier
	buffer_gl0_inv
.LBB43_349:                             ;   in Loop: Header=BB43_6 Depth=1
	v_and_b32_e32 v2, s15, v22
	v_and_b32_e32 v3, s14, v21
	s_lshl_b64 s[84:85], 1, s19
	v_or_b32_e32 v20, s13, v20
	v_or_b32_e32 v19, s12, v19
	;; [unrolled: 1-line block ×4, first 2 shown]
	s_mov_b32 s81, 0
	s_mov_b32 s83, 5
.LBB43_350:                             ;   in Loop: Header=BB43_6 Depth=1
	s_or_saveexec_b32 s19, s82
	v_mov_b32_e32 v2, s83
	s_xor_b32 exec_lo, exec_lo, s19
; %bb.351:                              ;   in Loop: Header=BB43_6 Depth=1
	v_subrev_nc_u32_e32 v7, s18, v7
	v_mov_b32_e32 v2, 0
	s_or_b32 s81, s81, exec_lo
; %bb.352:                              ;   in Loop: Header=BB43_6 Depth=1
	s_or_b32 exec_lo, exec_lo, s19
	s_delay_alu instid0(VALU_DEP_2)
	v_mov_b32_e32 v8, v7
	s_and_b32 s81, s81, exec_lo
.LBB43_353:                             ;   in Loop: Header=BB43_6 Depth=1
	s_or_b32 exec_lo, exec_lo, s10
	s_mov_b32 s19, -1
                                        ; implicit-def: $sgpr10
                                        ; implicit-def: $sgpr82
                                        ; implicit-def: $sgpr83
	s_and_saveexec_b32 s18, s81
	s_cbranch_execz .LBB43_394
; %bb.354:                              ;   in Loop: Header=BB43_6 Depth=1
	v_cmp_eq_u32_e32 vcc_lo, 1, v8
	s_cmp_eq_u32 s16, 1
	s_mov_b32 s84, -1
	s_cselect_b32 s10, -1, 0
                                        ; implicit-def: $sgpr82
                                        ; implicit-def: $sgpr83
	s_delay_alu instid0(SALU_CYCLE_1) | instskip(NEXT) | instid1(SALU_CYCLE_1)
	s_and_b32 s19, s10, vcc_lo
                                        ; implicit-def: $sgpr10
	s_and_saveexec_b32 s81, s19
	s_cbranch_execz .LBB43_381
; %bb.355:                              ;   in Loop: Header=BB43_6 Depth=1
	ds_load_b32 v2, v15 offset:4096
	s_waitcnt lgkmcnt(0)
	s_barrier
	buffer_gl0_inv
	v_readfirstlane_b32 s10, v2
	s_and_saveexec_b32 s82, s6
	s_cbranch_execz .LBB43_357
; %bb.356:                              ;   in Loop: Header=BB43_6 Depth=1
	v_mov_b32_e32 v14, v15
	ds_store_b64 v32, v[14:15]
.LBB43_357:                             ;   in Loop: Header=BB43_6 Depth=1
	s_or_b32 exec_lo, exec_lo, s82
	v_and_b32_e32 v22, s15, v22
	v_and_b32_e32 v21, s14, v21
	v_or_b32_e32 v20, s13, v20
	v_or_b32_e32 v19, s12, v19
	s_cmp_eq_u32 s10, 0
	s_waitcnt lgkmcnt(0)
	s_barrier
	buffer_gl0_inv
	s_cbranch_scc1 .LBB43_366
; %bb.358:                              ;   in Loop: Header=BB43_6 Depth=1
	s_add_i32 s82, s10, s53
                                        ; implicit-def: $vgpr5_vgpr6
	s_delay_alu instid0(SALU_CYCLE_1) | instskip(NEXT) | instid1(SALU_CYCLE_1)
	s_mul_hi_u32 s83, s82, s60
	s_mul_i32 s83, s83, s42
	s_delay_alu instid0(SALU_CYCLE_1) | instskip(NEXT) | instid1(SALU_CYCLE_1)
	s_sub_i32 s83, s82, s83
	s_sub_i32 s84, s83, s42
	s_cmp_ge_u32 s83, s42
	s_cselect_b32 s83, s84, s83
	s_delay_alu instid0(SALU_CYCLE_1)
	s_sub_i32 s84, s83, s42
	s_cmp_ge_u32 s83, s42
	s_cselect_b32 s83, s84, s83
	s_mov_b32 s84, 0
	s_sub_i32 s83, s82, s83
	s_mov_b32 s82, exec_lo
	v_cmpx_gt_u32_e64 s83, v0
	s_cbranch_execz .LBB43_368
; %bb.359:                              ;   in Loop: Header=BB43_6 Depth=1
	v_mov_b32_e32 v7, v30
	v_mov_b32_e32 v9, v0
	s_mov_b32 s85, 0
                                        ; implicit-def: $sgpr84
	s_set_inst_prefetch_distance 0x1
	s_branch .LBB43_361
	.p2align	6
.LBB43_360:                             ;   in Loop: Header=BB43_361 Depth=2
	s_or_b32 exec_lo, exec_lo, s86
	s_waitcnt lgkmcnt(0)
	s_barrier
	buffer_gl0_inv
	ds_load_b128 v[3:6], v15 offset:3072
	v_add_nc_u32_e32 v9, s42, v9
	v_add_nc_u32_e32 v7, s64, v7
	s_waitcnt lgkmcnt(0)
	s_barrier
	buffer_gl0_inv
	v_cmp_le_u32_e32 vcc_lo, s83, v9
	v_readfirstlane_b32 s87, v4
	v_readfirstlane_b32 s86, v3
	s_delay_alu instid0(VALU_DEP_1) | instskip(SKIP_1) | instid1(SALU_CYCLE_1)
	s_cmp_lg_u64 s[86:87], 0
	s_cselect_b32 s86, -1, 0
	s_or_b32 s87, vcc_lo, s86
	s_delay_alu instid0(SALU_CYCLE_1) | instskip(NEXT) | instid1(SALU_CYCLE_1)
	s_and_b32 s87, exec_lo, s87
	s_or_b32 s85, s87, s85
	s_and_not1_b32 s84, s84, exec_lo
	s_and_b32 s86, s86, exec_lo
	s_delay_alu instid0(SALU_CYCLE_1)
	s_or_b32 s84, s84, s86
	s_and_not1_b32 exec_lo, exec_lo, s85
	s_cbranch_execz .LBB43_367
.LBB43_361:                             ;   Parent Loop BB43_6 Depth=1
                                        ; =>  This Inner Loop Header: Depth=2
	v_mov_b32_e32 v3, 0
	v_mov_b32_e32 v4, 0
	v_cmp_gt_u32_e32 vcc_lo, s10, v9
	s_and_saveexec_b32 s86, vcc_lo
	s_cbranch_execz .LBB43_363
; %bb.362:                              ;   in Loop: Header=BB43_361 Depth=2
	ds_load_b64 v[3:4], v7
.LBB43_363:                             ;   in Loop: Header=BB43_361 Depth=2
	s_or_b32 exec_lo, exec_lo, s86
	s_and_saveexec_b32 s86, vcc_lo
	s_cbranch_execz .LBB43_360
; %bb.364:                              ;   in Loop: Header=BB43_361 Depth=2
	s_waitcnt lgkmcnt(0)
	v_xor_b32_e32 v2, 0x80000000, v4
	v_and_b32_e32 v5, v3, v19
	s_delay_alu instid0(VALU_DEP_2) | instskip(NEXT) | instid1(VALU_DEP_1)
	v_and_b32_e32 v6, v2, v20
	v_cmp_eq_u64_e32 vcc_lo, v[5:6], v[21:22]
	s_and_b32 exec_lo, exec_lo, vcc_lo
	s_cbranch_execz .LBB43_360
; %bb.365:                              ;   in Loop: Header=BB43_361 Depth=2
	v_mov_b32_e32 v2, v15
	ds_store_b128 v15, v[1:4] offset:3072
	s_branch .LBB43_360
.LBB43_366:                             ;   in Loop: Header=BB43_6 Depth=1
	s_mov_b32 s10, -1
	s_mov_b32 s84, 0
                                        ; implicit-def: $sgpr82
                                        ; implicit-def: $vgpr5_vgpr6
	s_branch .LBB43_369
.LBB43_367:                             ;   in Loop: Header=BB43_6 Depth=1
	s_set_inst_prefetch_distance 0x2
	s_or_b32 exec_lo, exec_lo, s85
	s_delay_alu instid0(SALU_CYCLE_1)
	s_and_b32 s84, s84, exec_lo
.LBB43_368:                             ;   in Loop: Header=BB43_6 Depth=1
	s_or_b32 exec_lo, exec_lo, s82
	s_mov_b32 s10, 0
	s_mov_b32 s82, -1
.LBB43_369:                             ;   in Loop: Header=BB43_6 Depth=1
	s_and_b32 vcc_lo, exec_lo, s10
	s_mov_b32 s83, s10
	s_cbranch_vccz .LBB43_380
; %bb.370:                              ;   in Loop: Header=BB43_6 Depth=1
	s_mov_b32 s84, 0
                                        ; implicit-def: $vgpr5_vgpr6
	s_and_saveexec_b32 s82, s9
	s_cbranch_execz .LBB43_379
; %bb.371:                              ;   in Loop: Header=BB43_6 Depth=1
	v_dual_mov_b32 v14, v13 :: v_dual_mov_b32 v7, v0
                                        ; implicit-def: $sgpr83
	s_set_inst_prefetch_distance 0x1
	s_branch .LBB43_373
	.p2align	6
.LBB43_372:                             ;   in Loop: Header=BB43_373 Depth=2
	s_or_b32 exec_lo, exec_lo, s10
	s_waitcnt vmcnt(0) lgkmcnt(0)
	s_barrier
	buffer_gl0_inv
	ds_load_b128 v[3:6], v15 offset:3072
	v_add_nc_u32_e32 v7, s42, v7
	v_add_nc_u32_e32 v14, s44, v14
	s_waitcnt lgkmcnt(0)
	s_barrier
	buffer_gl0_inv
	v_cmp_le_u32_e32 vcc_lo, s61, v7
	v_readfirstlane_b32 s87, v4
	v_readfirstlane_b32 s86, v3
	s_delay_alu instid0(VALU_DEP_1) | instskip(SKIP_1) | instid1(SALU_CYCLE_1)
	s_cmp_lg_u64 s[86:87], 0
	s_cselect_b32 s10, -1, 0
	s_or_b32 s85, vcc_lo, s10
	s_delay_alu instid0(SALU_CYCLE_1) | instskip(NEXT) | instid1(SALU_CYCLE_1)
	s_and_b32 s85, exec_lo, s85
	s_or_b32 s84, s85, s84
	s_and_not1_b32 s83, s83, exec_lo
	s_and_b32 s10, s10, exec_lo
	s_delay_alu instid0(SALU_CYCLE_1)
	s_or_b32 s83, s83, s10
	s_and_not1_b32 exec_lo, exec_lo, s84
	s_cbranch_execz .LBB43_378
.LBB43_373:                             ;   Parent Loop BB43_6 Depth=1
                                        ; =>  This Inner Loop Header: Depth=2
	v_mov_b32_e32 v3, 0
	v_mov_b32_e32 v4, 0
	v_cmp_gt_u32_e32 vcc_lo, s36, v7
	s_and_saveexec_b32 s85, vcc_lo
	s_cbranch_execz .LBB43_375
; %bb.374:                              ;   in Loop: Header=BB43_373 Depth=2
	v_lshlrev_b64 v[2:3], 3, v[14:15]
	s_delay_alu instid0(VALU_DEP_1) | instskip(NEXT) | instid1(VALU_DEP_1)
	v_add_co_u32 v2, s10, s31, v2
	v_add_co_ci_u32_e64 v3, s10, s33, v3, s10
	global_load_b64 v[3:4], v[2:3], off
.LBB43_375:                             ;   in Loop: Header=BB43_373 Depth=2
	s_or_b32 exec_lo, exec_lo, s85
	s_and_saveexec_b32 s10, vcc_lo
	s_cbranch_execz .LBB43_372
; %bb.376:                              ;   in Loop: Header=BB43_373 Depth=2
	s_waitcnt vmcnt(0)
	v_xor_b32_e32 v2, 0x80000000, v4
	v_and_b32_e32 v5, v3, v19
	s_delay_alu instid0(VALU_DEP_2) | instskip(NEXT) | instid1(VALU_DEP_1)
	v_and_b32_e32 v6, v2, v20
	v_cmp_eq_u64_e32 vcc_lo, v[5:6], v[21:22]
	s_and_b32 exec_lo, exec_lo, vcc_lo
	s_cbranch_execz .LBB43_372
; %bb.377:                              ;   in Loop: Header=BB43_373 Depth=2
	v_mov_b32_e32 v2, v15
	ds_store_b128 v15, v[1:4] offset:3072
	s_branch .LBB43_372
.LBB43_378:                             ;   in Loop: Header=BB43_6 Depth=1
	s_set_inst_prefetch_distance 0x2
	s_or_b32 exec_lo, exec_lo, s84
	s_delay_alu instid0(SALU_CYCLE_1)
	s_and_b32 s84, s83, exec_lo
.LBB43_379:                             ;   in Loop: Header=BB43_6 Depth=1
	s_or_b32 exec_lo, exec_lo, s82
	s_mov_b32 s82, 0
	s_mov_b32 s10, -1
	s_mov_b32 s83, 0
.LBB43_380:                             ;   in Loop: Header=BB43_6 Depth=1
	s_or_not1_b32 s84, s84, exec_lo
.LBB43_381:                             ;   in Loop: Header=BB43_6 Depth=1
	s_or_b32 exec_lo, exec_lo, s81
	s_mov_b32 s85, 0
                                        ; implicit-def: $vgpr2
                                        ; implicit-def: $vgpr3
	s_and_saveexec_b32 s81, s84
	s_cbranch_execz .LBB43_393
; %bb.382:                              ;   in Loop: Header=BB43_6 Depth=1
	v_dual_mov_b32 v2, 1 :: v_dual_mov_b32 v3, 1
	s_xor_b32 s84, s19, -1
	s_delay_alu instid0(SALU_CYCLE_1)
	s_and_saveexec_b32 s19, s84
	s_cbranch_execz .LBB43_392
; %bb.383:                              ;   in Loop: Header=BB43_6 Depth=1
	s_mov_b32 s84, exec_lo
                                        ; implicit-def: $sgpr85
	v_cmpx_ge_u32_e64 s16, v8
	s_xor_b32 s84, exec_lo, s84
	s_cbranch_execz .LBB43_389
; %bb.384:                              ;   in Loop: Header=BB43_6 Depth=1
	ds_load_b32 v2, v15 offset:4096
	s_waitcnt lgkmcnt(0)
	v_cmp_ne_u32_e32 vcc_lo, 0, v2
	s_cbranch_vccnz .LBB43_388
; %bb.385:                              ;   in Loop: Header=BB43_6 Depth=1
	s_and_saveexec_b32 s85, s5
	s_cbranch_execz .LBB43_387
; %bb.386:                              ;   in Loop: Header=BB43_6 Depth=1
	v_mov_b32_e32 v2, s16
	ds_store_b32 v15, v2 offset:4100
.LBB43_387:                             ;   in Loop: Header=BB43_6 Depth=1
	s_or_b32 exec_lo, exec_lo, s85
	s_waitcnt lgkmcnt(0)
	s_barrier
	buffer_gl0_inv
.LBB43_388:                             ;   in Loop: Header=BB43_6 Depth=1
	v_and_b32_e32 v22, s15, v22
	v_and_b32_e32 v21, s14, v21
	v_or_b32_e32 v20, s13, v20
	v_or_b32_e32 v19, s12, v19
	s_mov_b32 s85, 5
.LBB43_389:                             ;   in Loop: Header=BB43_6 Depth=1
	s_or_saveexec_b32 s12, s84
	v_mov_b32_e32 v2, s85
	s_xor_b32 exec_lo, exec_lo, s12
; %bb.390:                              ;   in Loop: Header=BB43_6 Depth=1
	v_subrev_nc_u32_e32 v8, s16, v8
	v_mov_b32_e32 v2, 5
; %bb.391:                              ;   in Loop: Header=BB43_6 Depth=1
	s_or_b32 exec_lo, exec_lo, s12
	s_delay_alu instid0(VALU_DEP_2)
	v_mov_b32_e32 v3, v8
.LBB43_392:                             ;   in Loop: Header=BB43_6 Depth=1
	s_or_b32 exec_lo, exec_lo, s19
	s_delay_alu instid0(SALU_CYCLE_1)
	s_mov_b32 s85, exec_lo
.LBB43_393:                             ;   in Loop: Header=BB43_6 Depth=1
	s_or_b32 exec_lo, exec_lo, s81
	s_delay_alu instid0(VALU_DEP_1)
	v_mov_b32_e32 v8, v3
	s_or_not1_b32 s19, s85, exec_lo
.LBB43_394:                             ;   in Loop: Header=BB43_6 Depth=1
	s_or_b32 exec_lo, exec_lo, s18
	s_delay_alu instid0(SALU_CYCLE_1)
	s_and_not1_b32 s12, s77, exec_lo
	s_and_b32 s10, s10, exec_lo
	s_and_not1_b32 s13, s79, exec_lo
	s_or_b32 s77, s12, s10
	s_and_not1_b32 s10, s78, exec_lo
	s_and_b32 s12, s82, exec_lo
	s_and_b32 s14, s83, exec_lo
	v_mov_b32_e32 v7, v8
	s_or_b32 s78, s10, s12
	s_or_b32 s79, s13, s14
	s_and_b32 s82, s19, exec_lo
.LBB43_395:                             ;   in Loop: Header=BB43_6 Depth=1
	s_or_b32 exec_lo, exec_lo, s80
	s_delay_alu instid0(SALU_CYCLE_1)
	s_and_b32 s80, s77, exec_lo
	s_and_b32 s78, s78, exec_lo
	;; [unrolled: 1-line block ×3, first 2 shown]
	s_or_not1_b32 s10, s82, exec_lo
.LBB43_396:                             ;   in Loop: Header=BB43_6 Depth=1
	s_or_b32 exec_lo, exec_lo, s20
	s_delay_alu instid0(SALU_CYCLE_1)
	s_and_not1_b32 s12, s24, exec_lo
	s_and_b32 s13, s80, exec_lo
	s_and_not1_b32 s14, s28, exec_lo
	s_or_b32 s24, s12, s13
	s_and_not1_b32 s12, s27, exec_lo
	s_and_b32 s13, s78, exec_lo
	s_and_b32 s15, s77, exec_lo
	v_mov_b32_e32 v41, v7
	s_or_b32 s27, s12, s13
	s_or_b32 s28, s14, s15
	s_and_b32 s78, s10, exec_lo
.LBB43_397:                             ;   in Loop: Header=BB43_6 Depth=1
	s_or_b32 exec_lo, exec_lo, s29
	s_delay_alu instid0(SALU_CYCLE_1)
	s_and_b32 s29, s24, exec_lo
	s_and_b32 s27, s27, exec_lo
	;; [unrolled: 1-line block ×3, first 2 shown]
	s_or_not1_b32 s28, s78, exec_lo
.LBB43_398:                             ;   in Loop: Header=BB43_6 Depth=1
	s_or_b32 exec_lo, exec_lo, s21
	s_mov_b32 s10, s22
	s_mov_b32 s12, s11
	s_and_saveexec_b32 s13, s28
; %bb.399:                              ;   in Loop: Header=BB43_6 Depth=1
	v_cmp_eq_u32_e32 vcc_lo, 5, v2
	v_cmp_ne_u32_e64 s10, 5, v2
	s_and_not1_b32 s12, s11, exec_lo
	s_and_not1_b32 s14, s22, exec_lo
	;; [unrolled: 1-line block ×3, first 2 shown]
	s_and_b32 s15, vcc_lo, exec_lo
	s_and_b32 s10, s10, exec_lo
	s_and_not1_b32 s27, s27, exec_lo
	s_and_not1_b32 s24, s24, exec_lo
	s_or_b32 s12, s12, s10
	s_or_b32 s10, s14, s15
; %bb.400:                              ;   in Loop: Header=BB43_6 Depth=1
	s_or_b32 exec_lo, exec_lo, s13
	s_delay_alu instid0(SALU_CYCLE_1)
	s_and_not1_b32 s13, s25, exec_lo
	s_and_b32 s14, s29, exec_lo
	v_dual_mov_b32 v24, v22 :: v_dual_mov_b32 v23, v21
	s_or_b32 s25, s13, s14
	s_and_not1_b32 s13, s26, exec_lo
	s_and_b32 s14, s27, exec_lo
	v_dual_mov_b32 v26, v20 :: v_dual_mov_b32 v25, v19
	v_dual_mov_b32 v10, v6 :: v_dual_mov_b32 v9, v5
	s_and_not1_b32 s15, s17, exec_lo
	s_and_b32 s16, s24, exec_lo
	s_or_b32 s26, s13, s14
	s_and_not1_b32 s11, s11, exec_lo
	s_and_b32 s12, s12, exec_lo
	s_and_not1_b32 s13, s22, exec_lo
	s_and_b32 s10, s10, exec_lo
	s_or_b32 s17, s15, s16
	s_or_b32 s11, s11, s12
	;; [unrolled: 1-line block ×3, first 2 shown]
.LBB43_401:                             ;   in Loop: Header=BB43_6 Depth=1
	s_or_b32 exec_lo, exec_lo, s23
	s_mov_b32 s24, s17
	s_mov_b32 s23, s17
	s_and_saveexec_b32 s10, s22
.LBB43_402:                             ;   in Loop: Header=BB43_6 Depth=1
	v_mov_b32_e32 v2, 0
	s_and_not1_b32 s17, s17, exec_lo
	s_and_not1_b32 s25, s25, exec_lo
	;; [unrolled: 1-line block ×5, first 2 shown]
	s_or_b32 s11, s11, exec_lo
.LBB43_403:                             ;   in Loop: Header=BB43_6 Depth=1
	s_or_b32 exec_lo, exec_lo, s10
	s_delay_alu instid0(SALU_CYCLE_1)
	s_and_not1_b32 s10, s76, exec_lo
	s_and_b32 s13, s17, exec_lo
	s_and_not1_b32 s14, s73, exec_lo
	s_or_b32 s76, s10, s13
	s_and_not1_b32 s10, s75, exec_lo
	s_and_b32 s13, s25, exec_lo
	s_and_b32 s15, s26, exec_lo
	s_or_b32 s75, s10, s13
	s_or_b32 s73, s14, s15
	s_and_not1_b32 s10, s74, exec_lo
	s_and_b32 s13, s24, exec_lo
	s_and_not1_b32 s14, s72, exec_lo
	s_and_b32 s15, s23, exec_lo
	s_mov_b32 s12, -1
	s_or_b32 s74, s10, s13
	s_or_b32 s72, s14, s15
                                        ; implicit-def: $vgpr19_vgpr20
                                        ; implicit-def: $vgpr21_vgpr22
                                        ; implicit-def: $vgpr40
                                        ; implicit-def: $vgpr5_vgpr6
	s_and_saveexec_b32 s10, s11
	s_delay_alu instid0(SALU_CYCLE_1)
	s_xor_b32 s10, exec_lo, s10
	s_cbranch_execz .LBB43_5
; %bb.404:                              ;   in Loop: Header=BB43_6 Depth=1
	s_mov_b32 s11, -1
	s_mov_b32 s13, exec_lo
	v_cmpx_eq_u32_e32 0, v2
	s_cbranch_execz .LBB43_4
; %bb.405:                              ;   in Loop: Header=BB43_6 Depth=1
	s_xor_b32 s66, s66, 1
	s_add_i32 s14, s71, -2
	s_cmp_eq_u32 s71, 0
	s_mov_b32 s71, s14
	s_cselect_b32 s11, -1, 0
	s_xor_b32 s12, exec_lo, -1
	s_or_not1_b32 s11, s11, exec_lo
	s_branch .LBB43_4
.LBB43_406:
	s_or_b32 exec_lo, exec_lo, s43
	s_xor_b32 s9, s70, -1
	s_xor_b32 s12, s68, -1
	;; [unrolled: 1-line block ×5, first 2 shown]
	s_mov_b32 s7, 0
	s_and_saveexec_b32 s8, s6
	s_delay_alu instid0(SALU_CYCLE_1)
	s_xor_b32 s6, exec_lo, s8
	s_cbranch_execz .LBB43_463
; %bb.407:
	s_mov_b32 s8, 0
	s_and_saveexec_b32 s7, s11
	s_delay_alu instid0(SALU_CYCLE_1)
	s_xor_b32 s7, exec_lo, s7
	s_cbranch_execz .LBB43_461
; %bb.408:
	;; [unrolled: 6-line block ×3, first 2 shown]
	s_and_saveexec_b32 s12, s9
	s_delay_alu instid0(SALU_CYCLE_1)
	s_xor_b32 s9, exec_lo, s12
	s_cbranch_execz .LBB43_457
; %bb.410:
	s_and_saveexec_b32 s11, s10
	s_delay_alu instid0(SALU_CYCLE_1)
	s_xor_b32 s10, exec_lo, s11
; %bb.411:
	v_xor_b32_e32 v24, 0x80000000, v24
	s_delay_alu instid0(VALU_DEP_1)
	v_dual_mov_b32 v9, v23 :: v_dual_mov_b32 v10, v24
; %bb.412:
	s_or_b32 exec_lo, exec_lo, s10
	s_and_saveexec_b32 s10, s5
	s_cbranch_execz .LBB43_414
; %bb.413:
	v_mov_b32_e32 v1, 0
	ds_store_b32 v1, v1 offset:4108
.LBB43_414:
	s_or_b32 exec_lo, exec_lo, s10
	v_mov_b32_e32 v7, 0
	v_mov_b32_e32 v8, 0
	s_waitcnt lgkmcnt(0)
	s_barrier
	buffer_gl0_inv
	s_and_saveexec_b32 s5, s4
	s_cbranch_execz .LBB43_416
; %bb.415:
	global_load_b64 v[7:8], v[11:12], off
.LBB43_416:
	s_or_b32 exec_lo, exec_lo, s5
	s_clause 0x1
	s_load_b32 s5, s[0:1], 0x1c8
	s_load_b32 s10, s[0:1], 0x2a8
	v_add_nc_u32_e32 v1, s42, v0
	s_mul_i32 s0, s47, s45
	s_mov_b32 s1, 0
	s_add_i32 s11, s36, 31
	s_lshl_b64 s[12:13], s[0:1], 3
	v_mul_lo_u32 v2, s30, v1
	s_and_not1_b32 s11, s11, 31
	s_mul_i32 s14, s46, s45
	s_mov_b32 s15, s1
	s_add_u32 s12, s40, s12
	s_addc_u32 s13, s41, s13
	s_lshl_b64 s[14:15], s[14:15], 3
	s_mov_b32 s0, -1
	s_add_u32 s14, s34, s14
	s_addc_u32 s15, s35, s15
	s_mov_b32 s16, 0
	s_mov_b32 s17, exec_lo
	v_cmpx_gt_u32_e64 s11, v0
	s_cbranch_execz .LBB43_432
; %bb.417:
	v_mul_lo_u32 v5, s30, v1
	v_xor_b32_e32 v4, 0x80000000, v10
	v_dual_mov_b32 v3, v9 :: v_dual_mov_b32 v6, 0
	v_mov_b32_e32 v15, v0
                                        ; implicit-def: $sgpr18
                                        ; implicit-def: $vgpr17
	s_branch .LBB43_419
.LBB43_418:                             ;   in Loop: Header=BB43_419 Depth=1
	s_or_b32 exec_lo, exec_lo, s19
	s_xor_b32 s19, s21, -1
	s_and_b32 s0, exec_lo, s0
	v_dual_mov_b32 v7, v13 :: v_dual_mov_b32 v8, v14
	s_or_b32 s16, s0, s16
	v_mov_b32_e32 v15, v1
	s_and_not1_b32 s0, s18, exec_lo
	s_and_b32 s18, s19, exec_lo
	s_delay_alu instid0(SALU_CYCLE_1)
	s_or_b32 s18, s0, s18
	s_and_not1_b32 exec_lo, exec_lo, s16
	s_cbranch_execz .LBB43_431
.LBB43_419:                             ; =>This Inner Loop Header: Depth=1
	v_mov_b32_e32 v13, 0
	s_delay_alu instid0(VALU_DEP_2) | instskip(SKIP_1) | instid1(VALU_DEP_1)
	v_dual_mov_b32 v14, 0 :: v_dual_add_nc_u32 v1, s42, v15
	s_mov_b32 s0, exec_lo
	v_cmpx_gt_u32_e64 s36, v1
	s_cbranch_execz .LBB43_421
; %bb.420:                              ;   in Loop: Header=BB43_419 Depth=1
	v_lshlrev_b64 v[13:14], 3, v[5:6]
	s_delay_alu instid0(VALU_DEP_1) | instskip(NEXT) | instid1(VALU_DEP_2)
	v_add_co_u32 v13, vcc_lo, s31, v13
	v_add_co_ci_u32_e32 v14, vcc_lo, s33, v14, vcc_lo
	global_load_b64 v[13:14], v[13:14], off
.LBB43_421:                             ;   in Loop: Header=BB43_419 Depth=1
	s_or_b32 exec_lo, exec_lo, s0
	s_waitcnt vmcnt(0)
	v_xor_b32_e32 v19, 0x80000000, v8
	v_mov_b32_e32 v18, v7
	s_delay_alu instid0(VALU_DEP_1) | instskip(SKIP_4) | instid1(VALU_DEP_2)
	v_cmp_gt_u64_e32 vcc_lo, v[18:19], v[3:4]
	v_cndmask_b32_e64 v16, 0, 1, vcc_lo
	v_cmp_lt_u64_e32 vcc_lo, v[18:19], v[3:4]
	v_cndmask_b32_e64 v18, 0, 1, vcc_lo
	v_cmp_gt_u32_e32 vcc_lo, s36, v15
	v_cndmask_b32_e64 v16, v18, v16, s3
	s_delay_alu instid0(VALU_DEP_1) | instskip(NEXT) | instid1(VALU_DEP_1)
	v_and_b32_e32 v16, 1, v16
	v_cmp_eq_u32_e64 s0, 1, v16
	s_delay_alu instid0(VALU_DEP_1) | instskip(NEXT) | instid1(SALU_CYCLE_1)
	s_and_b32 s20, vcc_lo, s0
	v_cndmask_b32_e64 v16, 0, 1, s20
	s_delay_alu instid0(VALU_DEP_1) | instskip(SKIP_2) | instid1(SALU_CYCLE_1)
	v_cmp_ne_u32_e32 vcc_lo, 0, v16
	s_cmp_lg_u32 vcc_lo, 0
	s_cselect_b32 s0, -1, 0
	s_and_b32 s0, s2, s0
	s_delay_alu instid0(SALU_CYCLE_1)
	s_and_saveexec_b32 s19, s0
	s_cbranch_execz .LBB43_425
; %bb.422:                              ;   in Loop: Header=BB43_419 Depth=1
	s_mov_b32 s23, exec_lo
	s_bcnt1_i32_b32 s21, vcc_lo
	v_mbcnt_lo_u32_b32 v16, s23, 0
	s_mov_b32 s22, exec_lo
                                        ; implicit-def: $vgpr17
	s_delay_alu instid0(VALU_DEP_1)
	v_cmpx_eq_u32_e32 0, v16
	s_cbranch_execz .LBB43_424
; %bb.423:                              ;   in Loop: Header=BB43_419 Depth=1
	s_bcnt1_i32_b32 s0, s23
	s_delay_alu instid0(SALU_CYCLE_1)
	s_mul_i32 s0, s21, s0
	s_waitcnt lgkmcnt(0)
	v_mov_b32_e32 v17, s0
	ds_add_rtn_u32 v17, v6, v17 offset:4108
.LBB43_424:                             ;   in Loop: Header=BB43_419 Depth=1
	s_or_b32 exec_lo, exec_lo, s22
	s_waitcnt lgkmcnt(0)
	v_readfirstlane_b32 s0, v17
	s_delay_alu instid0(VALU_DEP_1)
	v_mad_u32_u24 v17, s21, v16, s0
.LBB43_425:                             ;   in Loop: Header=BB43_419 Depth=1
	s_or_b32 exec_lo, exec_lo, s19
	s_waitcnt lgkmcnt(0)
	ds_bpermute_b32 v17, v6, v17
	s_mov_b32 s0, -1
	s_mov_b32 s22, -1
                                        ; implicit-def: $sgpr21
	s_and_saveexec_b32 s19, s20
	s_cbranch_execz .LBB43_429
; %bb.426:                              ;   in Loop: Header=BB43_419 Depth=1
	v_and_b32_e32 v16, vcc_lo, v27
	s_mov_b32 s20, 0
	s_mov_b32 s21, exec_lo
	s_waitcnt lgkmcnt(0)
	s_delay_alu instid0(VALU_DEP_1) | instskip(NEXT) | instid1(VALU_DEP_1)
	v_bcnt_u32_b32 v16, v16, v17
	v_cmpx_gt_u32_e64 s37, v16
	s_cbranch_execz .LBB43_428
; %bb.427:                              ;   in Loop: Header=BB43_419 Depth=1
	v_mul_lo_u32 v18, v16, s5
	v_mov_b32_e32 v19, v6
	v_mul_lo_u32 v20, v16, s10
	v_mov_b32_e32 v21, v6
	v_mov_b32_e32 v16, v6
	s_mov_b32 s20, exec_lo
	v_lshlrev_b64 v[18:19], 3, v[18:19]
	s_delay_alu instid0(VALU_DEP_3) | instskip(NEXT) | instid1(VALU_DEP_2)
	v_lshlrev_b64 v[20:21], 3, v[20:21]
	v_add_co_u32 v18, vcc_lo, s12, v18
	s_delay_alu instid0(VALU_DEP_3) | instskip(NEXT) | instid1(VALU_DEP_3)
	v_add_co_ci_u32_e32 v19, vcc_lo, s13, v19, vcc_lo
	v_add_co_u32 v20, vcc_lo, s14, v20
	s_delay_alu instid0(VALU_DEP_4)
	v_add_co_ci_u32_e32 v21, vcc_lo, s15, v21, vcc_lo
	global_store_b64 v[18:19], v[7:8], off
	global_store_b64 v[20:21], v[15:16], off
.LBB43_428:                             ;   in Loop: Header=BB43_419 Depth=1
	s_or_b32 exec_lo, exec_lo, s21
	s_mov_b32 s21, -1
	s_or_not1_b32 s22, s20, exec_lo
.LBB43_429:                             ;   in Loop: Header=BB43_419 Depth=1
	s_or_b32 exec_lo, exec_lo, s19
	s_and_saveexec_b32 s19, s22
	s_cbranch_execz .LBB43_418
; %bb.430:                              ;   in Loop: Header=BB43_419 Depth=1
	v_cmp_le_u32_e32 vcc_lo, s11, v1
	v_add_nc_u32_e32 v5, s44, v5
	s_and_not1_b32 s21, s21, exec_lo
	s_or_not1_b32 s0, vcc_lo, exec_lo
	s_branch .LBB43_418
.LBB43_431:
	s_or_b32 exec_lo, exec_lo, s16
	s_delay_alu instid0(SALU_CYCLE_1)
	s_mov_b32 s16, exec_lo
	s_or_not1_b32 s0, s18, exec_lo
.LBB43_432:
	s_or_b32 exec_lo, exec_lo, s17
	s_and_saveexec_b32 s3, s0
	s_cbranch_execz .LBB43_455
; %bb.433:
	v_mov_b32_e32 v4, 0
	v_mov_b32_e32 v5, 0
	s_waitcnt vmcnt(0) lgkmcnt(0)
	s_waitcnt_vscnt null, 0x0
	s_barrier
	buffer_gl0_inv
	s_and_saveexec_b32 s0, s4
	s_cbranch_execz .LBB43_435
; %bb.434:
	global_load_b64 v[4:5], v[11:12], off
.LBB43_435:
	s_or_b32 exec_lo, exec_lo, s0
	v_mov_b32_e32 v3, 0
	s_mov_b32 s4, 0
                                        ; implicit-def: $sgpr1
                                        ; implicit-def: $sgpr17
                                        ; implicit-def: $sgpr18
                                        ; implicit-def: $vgpr8
	s_branch .LBB43_438
.LBB43_436:                             ;   in Loop: Header=BB43_438 Depth=1
	s_or_b32 exec_lo, exec_lo, s21
	v_mov_b32_e32 v0, v11
	s_and_not1_b32 s18, s18, exec_lo
	s_and_b32 s20, s23, exec_lo
	s_and_not1_b32 s17, s17, exec_lo
	s_and_b32 s0, s0, exec_lo
	s_or_b32 s18, s18, s20
	s_or_b32 s17, s17, s0
.LBB43_437:                             ;   in Loop: Header=BB43_438 Depth=1
	s_or_b32 exec_lo, exec_lo, s19
	s_xor_b32 s0, s18, -1
	s_and_b32 s19, exec_lo, s17
	s_delay_alu instid0(SALU_CYCLE_1) | instskip(SKIP_2) | instid1(SALU_CYCLE_1)
	s_or_b32 s4, s19, s4
	s_and_not1_b32 s1, s1, exec_lo
	s_and_b32 s0, s0, exec_lo
	s_or_b32 s1, s1, s0
	s_and_not1_b32 exec_lo, exec_lo, s4
	s_cbranch_execz .LBB43_453
.LBB43_438:                             ; =>This Inner Loop Header: Depth=1
	s_or_b32 s18, s18, exec_lo
	s_or_b32 s17, s17, exec_lo
	s_mov_b32 s19, exec_lo
	v_cmpx_gt_u32_e64 s11, v0
	s_cbranch_execz .LBB43_437
; %bb.439:                              ;   in Loop: Header=BB43_438 Depth=1
	v_dual_mov_b32 v6, 0 :: v_dual_add_nc_u32 v11, s42, v0
	v_mov_b32_e32 v7, 0
	s_mov_b32 s0, exec_lo
	s_delay_alu instid0(VALU_DEP_2)
	v_cmpx_gt_u32_e64 s36, v11
	s_cbranch_execz .LBB43_441
; %bb.440:                              ;   in Loop: Header=BB43_438 Depth=1
	v_lshlrev_b64 v[6:7], 3, v[2:3]
	s_delay_alu instid0(VALU_DEP_1) | instskip(NEXT) | instid1(VALU_DEP_2)
	v_add_co_u32 v6, vcc_lo, s31, v6
	v_add_co_ci_u32_e32 v7, vcc_lo, s33, v7, vcc_lo
	global_load_b64 v[6:7], v[6:7], off
.LBB43_441:                             ;   in Loop: Header=BB43_438 Depth=1
	s_or_b32 exec_lo, exec_lo, s0
	s_waitcnt vmcnt(0)
	v_cmp_eq_u64_e32 vcc_lo, v[4:5], v[9:10]
	v_cmp_gt_u32_e64 s0, s36, v0
	s_delay_alu instid0(VALU_DEP_1) | instskip(NEXT) | instid1(SALU_CYCLE_1)
	s_and_b32 s21, s0, vcc_lo
	v_cndmask_b32_e64 v1, 0, 1, s21
	s_delay_alu instid0(VALU_DEP_1) | instskip(SKIP_2) | instid1(SALU_CYCLE_1)
	v_cmp_ne_u32_e32 vcc_lo, 0, v1
	s_cmp_lg_u32 vcc_lo, 0
	s_cselect_b32 s0, -1, 0
	s_and_b32 s0, s2, s0
	s_delay_alu instid0(SALU_CYCLE_1)
	s_and_saveexec_b32 s20, s0
	s_cbranch_execz .LBB43_445
; %bb.442:                              ;   in Loop: Header=BB43_438 Depth=1
	s_mov_b32 s24, exec_lo
	s_bcnt1_i32_b32 s22, vcc_lo
	v_mbcnt_lo_u32_b32 v1, s24, 0
	s_mov_b32 s23, exec_lo
                                        ; implicit-def: $vgpr8
	s_delay_alu instid0(VALU_DEP_1)
	v_cmpx_eq_u32_e32 0, v1
	s_cbranch_execz .LBB43_444
; %bb.443:                              ;   in Loop: Header=BB43_438 Depth=1
	s_bcnt1_i32_b32 s0, s24
	s_delay_alu instid0(SALU_CYCLE_1) | instskip(NEXT) | instid1(SALU_CYCLE_1)
	s_mul_i32 s0, s22, s0
	v_mov_b32_e32 v8, s0
	ds_add_rtn_u32 v8, v3, v8 offset:4108
.LBB43_444:                             ;   in Loop: Header=BB43_438 Depth=1
	s_or_b32 exec_lo, exec_lo, s23
	s_waitcnt lgkmcnt(0)
	v_readfirstlane_b32 s0, v8
	s_delay_alu instid0(VALU_DEP_1)
	v_mad_u32_u24 v8, s22, v1, s0
.LBB43_445:                             ;   in Loop: Header=BB43_438 Depth=1
	s_or_b32 exec_lo, exec_lo, s20
	ds_bpermute_b32 v8, v3, v8
	s_cmp_eq_u32 vcc_lo, 0
	s_mov_b32 s22, -1
	s_cselect_b32 s20, -1, 0
	s_mov_b32 s23, -1
	s_waitcnt lgkmcnt(0)
	v_cmp_gt_u32_e64 s0, s37, v8
	s_delay_alu instid0(VALU_DEP_1) | instskip(SKIP_4) | instid1(SALU_CYCLE_1)
	s_or_b32 s20, s20, s0
	s_mov_b32 s0, -1
	v_cndmask_b32_e64 v5, v5, v7, s20
	v_cndmask_b32_e64 v4, v4, v6, s20
	s_and_b32 s24, s21, s20
	s_and_saveexec_b32 s21, s24
	s_cbranch_execz .LBB43_451
; %bb.446:                              ;   in Loop: Header=BB43_438 Depth=1
	v_and_b32_e32 v1, vcc_lo, v27
	v_sub_nc_u32_e32 v4, s37, v8
	s_mov_b32 s24, -1
	s_mov_b32 s23, exec_lo
	s_delay_alu instid0(VALU_DEP_2) | instskip(NEXT) | instid1(VALU_DEP_1)
	v_bcnt_u32_b32 v1, v1, 0
	v_cmp_le_u32_e64 s22, v4, v1
	v_cmpx_gt_u32_e64 v4, v1
	s_cbranch_execz .LBB43_450
; %bb.447:                              ;   in Loop: Header=BB43_438 Depth=1
	v_add_nc_u32_e32 v1, v8, v1
	s_delay_alu instid0(VALU_DEP_3) | instskip(SKIP_1) | instid1(VALU_DEP_1)
	s_mov_b32 s25, s22
	s_mov_b32 s24, exec_lo
	v_cmpx_gt_u32_e64 s37, v1
	s_cbranch_execz .LBB43_449
; %bb.448:                              ;   in Loop: Header=BB43_438 Depth=1
	v_mul_lo_u32 v4, v1, s5
	v_mov_b32_e32 v5, v3
	v_mul_lo_u32 v12, v1, s10
	v_mov_b32_e32 v13, v3
	v_mov_b32_e32 v1, v3
	s_or_b32 s25, s22, exec_lo
	v_lshlrev_b64 v[4:5], 3, v[4:5]
	s_delay_alu instid0(VALU_DEP_3) | instskip(NEXT) | instid1(VALU_DEP_2)
	v_lshlrev_b64 v[12:13], 3, v[12:13]
	v_add_co_u32 v4, vcc_lo, s12, v4
	s_delay_alu instid0(VALU_DEP_3) | instskip(NEXT) | instid1(VALU_DEP_3)
	v_add_co_ci_u32_e32 v5, vcc_lo, s13, v5, vcc_lo
	v_add_co_u32 v12, vcc_lo, s14, v12
	s_delay_alu instid0(VALU_DEP_4)
	v_add_co_ci_u32_e32 v13, vcc_lo, s15, v13, vcc_lo
	global_store_b64 v[4:5], v[9:10], off
	global_store_b64 v[12:13], v[0:1], off
.LBB43_449:                             ;   in Loop: Header=BB43_438 Depth=1
	s_or_b32 exec_lo, exec_lo, s24
	s_delay_alu instid0(SALU_CYCLE_1)
	s_and_not1_b32 s22, s22, exec_lo
	s_and_b32 s25, s25, exec_lo
	s_xor_b32 s24, exec_lo, -1
	s_or_b32 s22, s22, s25
.LBB43_450:                             ;   in Loop: Header=BB43_438 Depth=1
	s_or_b32 exec_lo, exec_lo, s23
	v_dual_mov_b32 v4, v6 :: v_dual_mov_b32 v5, v7
	s_or_not1_b32 s23, s24, exec_lo
	s_or_b32 s20, s20, exec_lo
	s_or_not1_b32 s22, s22, exec_lo
.LBB43_451:                             ;   in Loop: Header=BB43_438 Depth=1
	s_or_b32 exec_lo, exec_lo, s21
	s_and_saveexec_b32 s21, s22
	s_cbranch_execz .LBB43_436
; %bb.452:                              ;   in Loop: Header=BB43_438 Depth=1
	v_add_nc_u32_e32 v2, s44, v2
	s_xor_b32 s0, s20, -1
	s_or_b32 s23, s23, exec_lo
	s_or_not1_b32 s0, s0, exec_lo
	s_branch .LBB43_436
.LBB43_453:
	s_or_b32 exec_lo, exec_lo, s4
	s_mov_b32 s0, 0
	s_and_saveexec_b32 s2, s1
	s_delay_alu instid0(SALU_CYCLE_1)
	s_xor_b32 s1, exec_lo, s2
	s_cbranch_execnz .LBB43_485
.LBB43_454:
	s_or_b32 exec_lo, exec_lo, s1
	s_delay_alu instid0(SALU_CYCLE_1)
	s_and_b32 s1, s0, exec_lo
	s_and_not1_b32 s16, s16, exec_lo
.LBB43_455:
	s_or_b32 exec_lo, exec_lo, s3
	s_and_saveexec_b32 s0, s16
	s_delay_alu instid0(SALU_CYCLE_1)
	s_xor_b32 s0, exec_lo, s0
	s_cbranch_execnz .LBB43_481
.LBB43_456:
	s_or_b32 exec_lo, exec_lo, s0
	s_delay_alu instid0(SALU_CYCLE_1)
	s_and_b32 s11, s1, exec_lo
.LBB43_457:
	s_and_not1_saveexec_b32 s0, s9
	s_cbranch_execnz .LBB43_477
.LBB43_458:
	s_or_b32 exec_lo, exec_lo, s0
	s_delay_alu instid0(SALU_CYCLE_1)
	s_and_b32 s11, s11, exec_lo
.LBB43_459:
	s_and_not1_saveexec_b32 s0, s8
	s_cbranch_execnz .LBB43_473
.LBB43_460:
	s_or_b32 exec_lo, exec_lo, s0
	s_delay_alu instid0(SALU_CYCLE_1)
	s_and_b32 s8, s11, exec_lo
.LBB43_461:
	s_and_not1_saveexec_b32 s0, s7
	s_cbranch_execnz .LBB43_469
.LBB43_462:
	s_or_b32 exec_lo, exec_lo, s0
	s_delay_alu instid0(SALU_CYCLE_1)
	s_and_b32 s7, s8, exec_lo
.LBB43_463:
	s_and_not1_saveexec_b32 s0, s6
	s_cbranch_execnz .LBB43_467
; %bb.464:
	s_or_b32 exec_lo, exec_lo, s0
	s_and_saveexec_b32 s0, s7
.LBB43_465:
	; divergent unreachable
.LBB43_466:
	s_nop 0
	s_sendmsg sendmsg(MSG_DEALLOC_VGPRS)
	s_endpgm
.LBB43_467:
	s_cbranch_execnz .LBB43_471
; %bb.468:
	s_or_b32 s7, s7, exec_lo
	s_or_b32 exec_lo, exec_lo, s0
	s_and_saveexec_b32 s0, s7
	s_cbranch_execnz .LBB43_465
	s_branch .LBB43_466
.LBB43_469:
	s_cbranch_execnz .LBB43_475
; %bb.470:
	s_or_b32 s8, s8, exec_lo
	s_branch .LBB43_462
.LBB43_471:
	s_trap 2
	s_sendmsg_rtn_b32 s0, sendmsg(MSG_RTN_GET_DOORBELL)
	s_mov_b32 ttmp2, m0
	s_waitcnt lgkmcnt(0)
	s_and_b32 s0, s0, 0x3ff
	s_delay_alu instid0(SALU_CYCLE_1) | instskip(NEXT) | instid1(SALU_CYCLE_1)
	s_bitset1_b32 s0, 10
	s_mov_b32 m0, s0
	s_sendmsg sendmsg(MSG_INTERRUPT)
	s_mov_b32 m0, ttmp2
.LBB43_472:                             ; =>This Inner Loop Header: Depth=1
	s_sethalt 5
	s_branch .LBB43_472
.LBB43_473:
	s_cbranch_execnz .LBB43_479
; %bb.474:
	s_or_b32 s11, s11, exec_lo
	s_branch .LBB43_460
.LBB43_475:
	s_trap 2
	s_sendmsg_rtn_b32 s0, sendmsg(MSG_RTN_GET_DOORBELL)
	s_mov_b32 ttmp2, m0
	s_waitcnt lgkmcnt(0)
	s_and_b32 s0, s0, 0x3ff
	s_delay_alu instid0(SALU_CYCLE_1) | instskip(NEXT) | instid1(SALU_CYCLE_1)
	s_bitset1_b32 s0, 10
	s_mov_b32 m0, s0
	s_sendmsg sendmsg(MSG_INTERRUPT)
	s_mov_b32 m0, ttmp2
.LBB43_476:                             ; =>This Inner Loop Header: Depth=1
	s_sethalt 5
	s_branch .LBB43_476
.LBB43_477:
	s_cbranch_execnz .LBB43_483
; %bb.478:
	s_or_b32 s11, s11, exec_lo
	s_branch .LBB43_458
.LBB43_479:
	s_trap 2
	s_sendmsg_rtn_b32 s0, sendmsg(MSG_RTN_GET_DOORBELL)
	s_mov_b32 ttmp2, m0
	s_waitcnt lgkmcnt(0)
	s_and_b32 s0, s0, 0x3ff
	s_delay_alu instid0(SALU_CYCLE_1) | instskip(NEXT) | instid1(SALU_CYCLE_1)
	s_bitset1_b32 s0, 10
	s_mov_b32 m0, s0
	s_sendmsg sendmsg(MSG_INTERRUPT)
	s_mov_b32 m0, ttmp2
.LBB43_480:                             ; =>This Inner Loop Header: Depth=1
	s_sethalt 5
	s_branch .LBB43_480
.LBB43_481:
	s_cbranch_execnz .LBB43_487
; %bb.482:
	s_or_b32 s1, s1, exec_lo
	s_branch .LBB43_456
.LBB43_483:
	s_trap 2
	s_sendmsg_rtn_b32 s0, sendmsg(MSG_RTN_GET_DOORBELL)
	s_mov_b32 ttmp2, m0
	s_waitcnt lgkmcnt(0)
	s_and_b32 s0, s0, 0x3ff
	s_delay_alu instid0(SALU_CYCLE_1) | instskip(NEXT) | instid1(SALU_CYCLE_1)
	s_bitset1_b32 s0, 10
	s_mov_b32 m0, s0
	s_sendmsg sendmsg(MSG_INTERRUPT)
	s_mov_b32 m0, ttmp2
.LBB43_484:                             ; =>This Inner Loop Header: Depth=1
	s_sethalt 5
	s_branch .LBB43_484
.LBB43_485:
	s_cbranch_execnz .LBB43_489
; %bb.486:
	s_mov_b32 s0, exec_lo
	s_branch .LBB43_454
.LBB43_487:
	s_trap 2
	s_sendmsg_rtn_b32 s0, sendmsg(MSG_RTN_GET_DOORBELL)
	s_mov_b32 ttmp2, m0
	s_waitcnt lgkmcnt(0)
	s_and_b32 s0, s0, 0x3ff
	s_delay_alu instid0(SALU_CYCLE_1) | instskip(NEXT) | instid1(SALU_CYCLE_1)
	s_bitset1_b32 s0, 10
	s_mov_b32 m0, s0
	s_sendmsg sendmsg(MSG_INTERRUPT)
	s_mov_b32 m0, ttmp2
.LBB43_488:                             ; =>This Inner Loop Header: Depth=1
	s_sethalt 5
	s_branch .LBB43_488
.LBB43_489:
	s_trap 2
	s_sendmsg_rtn_b32 s0, sendmsg(MSG_RTN_GET_DOORBELL)
	s_mov_b32 ttmp2, m0
	s_waitcnt lgkmcnt(0)
	s_and_b32 s0, s0, 0x3ff
	s_delay_alu instid0(SALU_CYCLE_1) | instskip(NEXT) | instid1(SALU_CYCLE_1)
	s_bitset1_b32 s0, 10
	s_mov_b32 m0, s0
	s_sendmsg sendmsg(MSG_INTERRUPT)
	s_mov_b32 m0, ttmp2
.LBB43_490:                             ; =>This Inner Loop Header: Depth=1
	s_sethalt 5
	s_branch .LBB43_490
	.section	.rodata,"a",@progbits
	.p2align	6, 0x0
	.amdhsa_kernel _ZN2at6native6sbtopk10gatherTopKIljLi1ELb0EEEvNS_4cuda6detail10TensorInfoIKT_T0_EES8_S8_bS8_S8_NS5_IS6_S8_EES8_NS5_IlS8_EES8_PS6_
		.amdhsa_group_segment_fixed_size 4112
		.amdhsa_private_segment_fixed_size 0
		.amdhsa_kernarg_size 952
		.amdhsa_user_sgpr_count 13
		.amdhsa_user_sgpr_dispatch_ptr 0
		.amdhsa_user_sgpr_queue_ptr 0
		.amdhsa_user_sgpr_kernarg_segment_ptr 1
		.amdhsa_user_sgpr_dispatch_id 0
		.amdhsa_user_sgpr_private_segment_size 0
		.amdhsa_wavefront_size32 1
		.amdhsa_uses_dynamic_stack 0
		.amdhsa_enable_private_segment 0
		.amdhsa_system_sgpr_workgroup_id_x 1
		.amdhsa_system_sgpr_workgroup_id_y 1
		.amdhsa_system_sgpr_workgroup_id_z 1
		.amdhsa_system_sgpr_workgroup_info 0
		.amdhsa_system_vgpr_workitem_id 0
		.amdhsa_next_free_vgpr 55
		.amdhsa_next_free_sgpr 92
		.amdhsa_reserve_vcc 1
		.amdhsa_float_round_mode_32 0
		.amdhsa_float_round_mode_16_64 0
		.amdhsa_float_denorm_mode_32 3
		.amdhsa_float_denorm_mode_16_64 3
		.amdhsa_dx10_clamp 1
		.amdhsa_ieee_mode 1
		.amdhsa_fp16_overflow 0
		.amdhsa_workgroup_processor_mode 1
		.amdhsa_memory_ordered 1
		.amdhsa_forward_progress 0
		.amdhsa_shared_vgpr_count 0
		.amdhsa_exception_fp_ieee_invalid_op 0
		.amdhsa_exception_fp_denorm_src 0
		.amdhsa_exception_fp_ieee_div_zero 0
		.amdhsa_exception_fp_ieee_overflow 0
		.amdhsa_exception_fp_ieee_underflow 0
		.amdhsa_exception_fp_ieee_inexact 0
		.amdhsa_exception_int_div_zero 0
	.end_amdhsa_kernel
	.section	.text._ZN2at6native6sbtopk10gatherTopKIljLi1ELb0EEEvNS_4cuda6detail10TensorInfoIKT_T0_EES8_S8_bS8_S8_NS5_IS6_S8_EES8_NS5_IlS8_EES8_PS6_,"axG",@progbits,_ZN2at6native6sbtopk10gatherTopKIljLi1ELb0EEEvNS_4cuda6detail10TensorInfoIKT_T0_EES8_S8_bS8_S8_NS5_IS6_S8_EES8_NS5_IlS8_EES8_PS6_,comdat
.Lfunc_end43:
	.size	_ZN2at6native6sbtopk10gatherTopKIljLi1ELb0EEEvNS_4cuda6detail10TensorInfoIKT_T0_EES8_S8_bS8_S8_NS5_IS6_S8_EES8_NS5_IlS8_EES8_PS6_, .Lfunc_end43-_ZN2at6native6sbtopk10gatherTopKIljLi1ELb0EEEvNS_4cuda6detail10TensorInfoIKT_T0_EES8_S8_bS8_S8_NS5_IS6_S8_EES8_NS5_IlS8_EES8_PS6_
                                        ; -- End function
	.section	.AMDGPU.csdata,"",@progbits
; Kernel info:
; codeLenInByte = 15864
; NumSgprs: 94
; NumVgprs: 55
; ScratchSize: 0
; MemoryBound: 0
; FloatMode: 240
; IeeeMode: 1
; LDSByteSize: 4112 bytes/workgroup (compile time only)
; SGPRBlocks: 11
; VGPRBlocks: 6
; NumSGPRsForWavesPerEU: 94
; NumVGPRsForWavesPerEU: 55
; Occupancy: 16
; WaveLimiterHint : 1
; COMPUTE_PGM_RSRC2:SCRATCH_EN: 0
; COMPUTE_PGM_RSRC2:USER_SGPR: 13
; COMPUTE_PGM_RSRC2:TRAP_HANDLER: 0
; COMPUTE_PGM_RSRC2:TGID_X_EN: 1
; COMPUTE_PGM_RSRC2:TGID_Y_EN: 1
; COMPUTE_PGM_RSRC2:TGID_Z_EN: 1
; COMPUTE_PGM_RSRC2:TIDIG_COMP_CNT: 0
	.section	.text._ZN2at6native6mbtopk23computeBlockDigitCountsIljmLi2EEEvNS_4cuda6detail10TensorInfoIKT_T0_EEjPjjS8_iijT1_PSB_Ps,"axG",@progbits,_ZN2at6native6mbtopk23computeBlockDigitCountsIljmLi2EEEvNS_4cuda6detail10TensorInfoIKT_T0_EEjPjjS8_iijT1_PSB_Ps,comdat
	.protected	_ZN2at6native6mbtopk23computeBlockDigitCountsIljmLi2EEEvNS_4cuda6detail10TensorInfoIKT_T0_EEjPjjS8_iijT1_PSB_Ps ; -- Begin function _ZN2at6native6mbtopk23computeBlockDigitCountsIljmLi2EEEvNS_4cuda6detail10TensorInfoIKT_T0_EEjPjjS8_iijT1_PSB_Ps
	.globl	_ZN2at6native6mbtopk23computeBlockDigitCountsIljmLi2EEEvNS_4cuda6detail10TensorInfoIKT_T0_EEjPjjS8_iijT1_PSB_Ps
	.p2align	8
	.type	_ZN2at6native6mbtopk23computeBlockDigitCountsIljmLi2EEEvNS_4cuda6detail10TensorInfoIKT_T0_EEjPjjS8_iijT1_PSB_Ps,@function
_ZN2at6native6mbtopk23computeBlockDigitCountsIljmLi2EEEvNS_4cuda6detail10TensorInfoIKT_T0_EEjPjjS8_iijT1_PSB_Ps: ; @_ZN2at6native6mbtopk23computeBlockDigitCountsIljmLi2EEEvNS_4cuda6detail10TensorInfoIKT_T0_EEjPjjS8_iijT1_PSB_Ps
; %bb.0:
	s_clause 0x2
	s_load_b32 s16, s[0:1], 0xf8
	s_load_b128 s[8:11], s[0:1], 0xe8
	s_load_b64 s[2:3], s[0:1], 0x118
	s_waitcnt lgkmcnt(0)
	v_cvt_f32_u32_e32 v1, s16
	s_sub_i32 s5, 0, s16
	s_mul_i32 s3, s3, s15
	s_delay_alu instid0(SALU_CYCLE_1) | instskip(NEXT) | instid1(VALU_DEP_1)
	s_add_i32 s3, s3, s14
	v_rcp_iflag_f32_e32 v1, v1
	s_mul_i32 s14, s3, s2
	s_delay_alu instid0(SALU_CYCLE_1) | instskip(SKIP_3) | instid1(VALU_DEP_1)
	s_add_i32 s14, s14, s13
	s_mov_b32 s13, 0
	s_waitcnt_depctr 0xfff
	v_mul_f32_e32 v1, 0x4f7ffffe, v1
	v_cvt_u32_f32_e32 v1, v1
	s_delay_alu instid0(VALU_DEP_1) | instskip(NEXT) | instid1(VALU_DEP_1)
	v_readfirstlane_b32 s4, v1
	s_mul_i32 s5, s5, s4
	s_delay_alu instid0(SALU_CYCLE_1) | instskip(NEXT) | instid1(SALU_CYCLE_1)
	s_mul_hi_u32 s2, s4, s5
	s_add_i32 s4, s4, s2
	s_delay_alu instid0(SALU_CYCLE_1) | instskip(NEXT) | instid1(SALU_CYCLE_1)
	s_mul_hi_u32 s2, s14, s4
	s_mul_i32 s3, s2, s16
	s_add_i32 s4, s2, 1
	s_sub_i32 s3, s14, s3
	s_delay_alu instid0(SALU_CYCLE_1)
	s_sub_i32 s5, s3, s16
	s_cmp_ge_u32 s3, s16
	s_cselect_b32 s2, s4, s2
	s_cselect_b32 s3, s5, s3
	s_add_i32 s4, s2, 1
	s_cmp_ge_u32 s3, s16
	s_cselect_b32 s12, s4, s2
	s_delay_alu instid0(SALU_CYCLE_1)
	s_cmp_ge_u32 s12, s8
	s_cbranch_scc1 .LBB44_29
; %bb.1:
	s_clause 0x2
	s_load_b32 s17, s[0:1], 0xc
	s_load_b128 s[4:7], s[0:1], 0x100
	s_load_b64 s[2:3], s[0:1], 0x110
	s_lshl_b64 s[20:21], s[12:13], 3
	v_cmp_gt_u32_e32 vcc_lo, 0x100, v0
	v_lshlrev_b32_e32 v5, 2, v0
	s_waitcnt lgkmcnt(0)
	s_add_u32 s6, s6, s20
	v_cvt_f32_u32_e32 v1, s17
	s_addc_u32 s7, s7, s21
	s_delay_alu instid0(VALU_DEP_1) | instskip(SKIP_2) | instid1(VALU_DEP_1)
	v_rcp_iflag_f32_e32 v1, v1
	s_waitcnt_depctr 0xfff
	v_mul_f32_e32 v1, 0x4f7ffffe, v1
	v_cvt_u32_f32_e32 v1, v1
	s_delay_alu instid0(VALU_DEP_1)
	v_readfirstlane_b32 s18, v1
	s_and_saveexec_b32 s8, vcc_lo
	s_cbranch_execz .LBB44_3
; %bb.2:
	v_mov_b32_e32 v1, 0
	ds_store_b32 v5, v1
.LBB44_3:
	s_or_b32 exec_lo, exec_lo, s8
	s_load_b32 s8, s[0:1], 0xd8
	s_mul_i32 s13, s12, s16
	s_waitcnt lgkmcnt(0)
	s_sub_i32 s13, s14, s13
	s_barrier
	s_mul_i32 s15, s11, s13
	s_add_i32 s13, s13, 1
	s_lshl_b32 s15, s15, 8
	buffer_gl0_inv
	s_sub_i32 s19, s8, s15
	s_delay_alu instid0(SALU_CYCLE_1) | instskip(SKIP_4) | instid1(VALU_DEP_1)
	s_add_u32 s19, s19, 0xff
	s_addc_u32 s20, 0, 0
	s_cmp_lt_u32 s13, s16
	v_alignbit_b32 v1, s20, s19, 8
	s_mov_b32 s13, 0
	v_readfirstlane_b32 s19, v1
	s_delay_alu instid0(VALU_DEP_1) | instskip(NEXT) | instid1(SALU_CYCLE_1)
	s_cselect_b32 s16, s11, s19
	s_cmp_lt_i32 s16, 1
	s_cbranch_scc1 .LBB44_25
; %bb.4:
	s_sub_i32 s11, 0, s17
	s_load_b64 s[6:7], s[6:7], 0x0
	s_mul_i32 s11, s11, s18
	s_load_b64 s[20:21], s[0:1], 0x0
	s_mul_hi_u32 s11, s18, s11
	s_delay_alu instid0(SALU_CYCLE_1) | instskip(SKIP_2) | instid1(SALU_CYCLE_1)
	s_add_i32 s11, s18, s11
	s_load_b64 s[18:19], s[0:1], 0x6c
	s_mul_hi_u32 s11, s12, s11
	s_mul_i32 s22, s11, s17
	s_add_i32 s1, s11, 1
	s_sub_i32 s0, s12, s22
	s_delay_alu instid0(SALU_CYCLE_1)
	s_sub_i32 s22, s0, s17
	s_cmp_ge_u32 s0, s17
	s_cselect_b32 s1, s1, s11
	s_cselect_b32 s0, s22, s0
	s_add_i32 s11, s1, 1
	s_cmp_ge_u32 s0, s17
	s_cselect_b32 s0, s11, s1
	s_delay_alu instid0(SALU_CYCLE_1) | instskip(NEXT) | instid1(SALU_CYCLE_1)
	s_mul_i32 s1, s0, s17
	s_sub_i32 s1, s12, s1
	s_waitcnt lgkmcnt(0)
	s_mul_i32 s0, s0, s18
	s_mul_i32 s1, s1, s19
	s_delay_alu instid0(SALU_CYCLE_1) | instskip(NEXT) | instid1(SALU_CYCLE_1)
	s_add_i32 s12, s0, s1
	s_lshl_b64 s[18:19], s[12:13], 3
	s_delay_alu instid0(SALU_CYCLE_1)
	s_add_u32 s1, s20, s18
	s_addc_u32 s11, s21, s19
	s_and_b32 s10, s10, 0xff
	s_cmp_lt_u32 s16, 4
	s_cbranch_scc1 .LBB44_19
; %bb.5:
	v_add_nc_u32_e32 v1, s15, v0
	s_and_b32 s13, s16, 0x7ffffffc
	s_lshl_b32 s12, s9, 10
	s_mov_b32 s17, 0
	s_mov_b32 s18, 0
	v_dual_mov_b32 v11, 1 :: v_dual_add_nc_u32 v2, 0x200, v1
	s_delay_alu instid0(VALU_DEP_1) | instskip(SKIP_4) | instid1(VALU_DEP_3)
	v_mul_lo_u32 v8, s9, v2
	v_mov_b32_e32 v2, 0
	v_add_nc_u32_e32 v6, 0x300, v1
	v_add_nc_u32_e32 v3, 0x100, v1
	v_mul_lo_u32 v10, s9, v1
	v_mul_lo_u32 v7, s9, v6
	s_delay_alu instid0(VALU_DEP_3)
	v_mul_lo_u32 v9, s9, v3
	s_branch .LBB44_7
.LBB44_6:                               ;   in Loop: Header=BB44_7 Depth=1
	s_or_b32 exec_lo, exec_lo, s19
	v_add_nc_u32_e32 v6, 0x400, v6
	s_add_i32 s18, s18, 4
	s_add_i32 s17, s17, s12
	s_cmp_eq_u32 s13, s18
	s_cbranch_scc1 .LBB44_19
.LBB44_7:                               ; =>This Inner Loop Header: Depth=1
	v_add_nc_u32_e32 v1, 0xfffffd00, v6
	s_mov_b32 s19, exec_lo
	s_delay_alu instid0(VALU_DEP_1)
	v_cmpx_gt_u32_e64 s8, v1
	s_cbranch_execz .LBB44_10
; %bb.8:                                ;   in Loop: Header=BB44_7 Depth=1
	v_add_nc_u32_e32 v1, s17, v10
	s_delay_alu instid0(VALU_DEP_1) | instskip(NEXT) | instid1(VALU_DEP_1)
	v_lshlrev_b64 v[3:4], 3, v[1:2]
	v_add_co_u32 v3, s0, s1, v3
	s_delay_alu instid0(VALU_DEP_1) | instskip(SKIP_4) | instid1(VALU_DEP_2)
	v_add_co_ci_u32_e64 v4, s0, s11, v4, s0
	global_load_b64 v[3:4], v[3:4], off
	s_waitcnt vmcnt(0)
	v_xor_b32_e32 v4, 0x80000000, v4
	v_xor_b32_e32 v12, s6, v3
	;; [unrolled: 1-line block ×3, first 2 shown]
	s_delay_alu instid0(VALU_DEP_2) | instskip(NEXT) | instid1(VALU_DEP_2)
	v_and_b32_e32 v12, s4, v12
	v_and_b32_e32 v13, s5, v1
	s_delay_alu instid0(VALU_DEP_1) | instskip(NEXT) | instid1(VALU_DEP_1)
	v_cmp_eq_u64_e64 s0, 0, v[12:13]
	s_and_b32 exec_lo, exec_lo, s0
	s_cbranch_execz .LBB44_10
; %bb.9:                                ;   in Loop: Header=BB44_7 Depth=1
	v_lshrrev_b64 v[3:4], s10, v[3:4]
	s_delay_alu instid0(VALU_DEP_1) | instskip(NEXT) | instid1(VALU_DEP_1)
	v_and_b32_e32 v1, 0xff, v3
	v_lshlrev_b32_e32 v1, 2, v1
	ds_add_u32 v1, v11
.LBB44_10:                              ;   in Loop: Header=BB44_7 Depth=1
	s_or_b32 exec_lo, exec_lo, s19
	v_add_nc_u32_e32 v1, 0xfffffe00, v6
	s_mov_b32 s19, exec_lo
	s_delay_alu instid0(VALU_DEP_1)
	v_cmpx_gt_u32_e64 s8, v1
	s_cbranch_execz .LBB44_13
; %bb.11:                               ;   in Loop: Header=BB44_7 Depth=1
	v_add_nc_u32_e32 v1, s17, v9
	s_delay_alu instid0(VALU_DEP_1) | instskip(NEXT) | instid1(VALU_DEP_1)
	v_lshlrev_b64 v[3:4], 3, v[1:2]
	v_add_co_u32 v3, s0, s1, v3
	s_delay_alu instid0(VALU_DEP_1) | instskip(SKIP_4) | instid1(VALU_DEP_2)
	v_add_co_ci_u32_e64 v4, s0, s11, v4, s0
	global_load_b64 v[3:4], v[3:4], off
	s_waitcnt vmcnt(0)
	v_xor_b32_e32 v4, 0x80000000, v4
	v_xor_b32_e32 v12, s6, v3
	;; [unrolled: 1-line block ×3, first 2 shown]
	s_delay_alu instid0(VALU_DEP_2) | instskip(NEXT) | instid1(VALU_DEP_2)
	v_and_b32_e32 v12, s4, v12
	v_and_b32_e32 v13, s5, v1
	s_delay_alu instid0(VALU_DEP_1) | instskip(NEXT) | instid1(VALU_DEP_1)
	v_cmp_eq_u64_e64 s0, 0, v[12:13]
	s_and_b32 exec_lo, exec_lo, s0
	s_cbranch_execz .LBB44_13
; %bb.12:                               ;   in Loop: Header=BB44_7 Depth=1
	v_lshrrev_b64 v[3:4], s10, v[3:4]
	s_delay_alu instid0(VALU_DEP_1) | instskip(NEXT) | instid1(VALU_DEP_1)
	v_and_b32_e32 v1, 0xff, v3
	v_lshlrev_b32_e32 v1, 2, v1
	ds_add_u32 v1, v11
.LBB44_13:                              ;   in Loop: Header=BB44_7 Depth=1
	s_or_b32 exec_lo, exec_lo, s19
	v_add_nc_u32_e32 v1, 0xffffff00, v6
	s_mov_b32 s19, exec_lo
	s_delay_alu instid0(VALU_DEP_1)
	v_cmpx_gt_u32_e64 s8, v1
	s_cbranch_execz .LBB44_16
; %bb.14:                               ;   in Loop: Header=BB44_7 Depth=1
	v_add_nc_u32_e32 v1, s17, v8
	s_delay_alu instid0(VALU_DEP_1) | instskip(NEXT) | instid1(VALU_DEP_1)
	v_lshlrev_b64 v[3:4], 3, v[1:2]
	v_add_co_u32 v3, s0, s1, v3
	s_delay_alu instid0(VALU_DEP_1) | instskip(SKIP_4) | instid1(VALU_DEP_2)
	v_add_co_ci_u32_e64 v4, s0, s11, v4, s0
	global_load_b64 v[3:4], v[3:4], off
	s_waitcnt vmcnt(0)
	v_xor_b32_e32 v4, 0x80000000, v4
	v_xor_b32_e32 v12, s6, v3
	;; [unrolled: 1-line block ×3, first 2 shown]
	s_delay_alu instid0(VALU_DEP_2) | instskip(NEXT) | instid1(VALU_DEP_2)
	v_and_b32_e32 v12, s4, v12
	v_and_b32_e32 v13, s5, v1
	s_delay_alu instid0(VALU_DEP_1) | instskip(NEXT) | instid1(VALU_DEP_1)
	v_cmp_eq_u64_e64 s0, 0, v[12:13]
	s_and_b32 exec_lo, exec_lo, s0
	s_cbranch_execz .LBB44_16
; %bb.15:                               ;   in Loop: Header=BB44_7 Depth=1
	v_lshrrev_b64 v[3:4], s10, v[3:4]
	s_delay_alu instid0(VALU_DEP_1) | instskip(NEXT) | instid1(VALU_DEP_1)
	v_and_b32_e32 v1, 0xff, v3
	v_lshlrev_b32_e32 v1, 2, v1
	ds_add_u32 v1, v11
.LBB44_16:                              ;   in Loop: Header=BB44_7 Depth=1
	s_or_b32 exec_lo, exec_lo, s19
	s_delay_alu instid0(SALU_CYCLE_1)
	s_mov_b32 s19, exec_lo
	v_cmpx_gt_u32_e64 s8, v6
	s_cbranch_execz .LBB44_6
; %bb.17:                               ;   in Loop: Header=BB44_7 Depth=1
	v_add_nc_u32_e32 v1, s17, v7
	s_delay_alu instid0(VALU_DEP_1) | instskip(NEXT) | instid1(VALU_DEP_1)
	v_lshlrev_b64 v[3:4], 3, v[1:2]
	v_add_co_u32 v3, s0, s1, v3
	s_delay_alu instid0(VALU_DEP_1) | instskip(SKIP_4) | instid1(VALU_DEP_2)
	v_add_co_ci_u32_e64 v4, s0, s11, v4, s0
	global_load_b64 v[3:4], v[3:4], off
	s_waitcnt vmcnt(0)
	v_xor_b32_e32 v4, 0x80000000, v4
	v_xor_b32_e32 v12, s6, v3
	;; [unrolled: 1-line block ×3, first 2 shown]
	s_delay_alu instid0(VALU_DEP_2) | instskip(NEXT) | instid1(VALU_DEP_2)
	v_and_b32_e32 v12, s4, v12
	v_and_b32_e32 v13, s5, v1
	s_delay_alu instid0(VALU_DEP_1) | instskip(NEXT) | instid1(VALU_DEP_1)
	v_cmp_eq_u64_e64 s0, 0, v[12:13]
	s_and_b32 exec_lo, exec_lo, s0
	s_cbranch_execz .LBB44_6
; %bb.18:                               ;   in Loop: Header=BB44_7 Depth=1
	v_lshrrev_b64 v[3:4], s10, v[3:4]
	s_delay_alu instid0(VALU_DEP_1) | instskip(NEXT) | instid1(VALU_DEP_1)
	v_and_b32_e32 v1, 0xff, v3
	v_lshlrev_b32_e32 v1, 2, v1
	ds_add_u32 v1, v11
	s_branch .LBB44_6
.LBB44_19:
	s_and_b32 s12, s16, 3
	s_delay_alu instid0(SALU_CYCLE_1)
	s_cmp_eq_u32 s12, 0
	s_cbranch_scc1 .LBB44_25
; %bb.20:
	s_lshl_b32 s0, s13, 8
	v_dual_mov_b32 v2, 0 :: v_dual_mov_b32 v7, 1
	v_add3_u32 v6, s0, s15, v0
	s_delay_alu instid0(VALU_DEP_1)
	v_mul_lo_u32 v1, s9, v6
	s_lshl_b32 s9, s9, 8
	s_set_inst_prefetch_distance 0x1
	s_branch .LBB44_22
	.p2align	6
.LBB44_21:                              ;   in Loop: Header=BB44_22 Depth=1
	s_or_b32 exec_lo, exec_lo, s13
	v_add_nc_u32_e32 v1, s9, v1
	v_add_nc_u32_e32 v6, 0x100, v6
	s_add_i32 s12, s12, -1
	s_delay_alu instid0(SALU_CYCLE_1)
	s_cmp_lg_u32 s12, 0
	s_cbranch_scc0 .LBB44_25
.LBB44_22:                              ; =>This Inner Loop Header: Depth=1
	s_mov_b32 s13, exec_lo
	v_cmpx_gt_u32_e64 s8, v6
	s_cbranch_execz .LBB44_21
; %bb.23:                               ;   in Loop: Header=BB44_22 Depth=1
	s_delay_alu instid0(VALU_DEP_2) | instskip(NEXT) | instid1(VALU_DEP_1)
	v_lshlrev_b64 v[3:4], 3, v[1:2]
	v_add_co_u32 v3, s0, s1, v3
	s_delay_alu instid0(VALU_DEP_1) | instskip(SKIP_4) | instid1(VALU_DEP_2)
	v_add_co_ci_u32_e64 v4, s0, s11, v4, s0
	global_load_b64 v[3:4], v[3:4], off
	s_waitcnt vmcnt(0)
	v_xor_b32_e32 v4, 0x80000000, v4
	v_xor_b32_e32 v10, s6, v3
	;; [unrolled: 1-line block ×3, first 2 shown]
	s_delay_alu instid0(VALU_DEP_1) | instskip(NEXT) | instid1(VALU_DEP_3)
	v_and_b32_e32 v9, s5, v8
	v_and_b32_e32 v8, s4, v10
	s_delay_alu instid0(VALU_DEP_1) | instskip(NEXT) | instid1(VALU_DEP_1)
	v_cmp_eq_u64_e64 s0, 0, v[8:9]
	s_and_b32 exec_lo, exec_lo, s0
	s_cbranch_execz .LBB44_21
; %bb.24:                               ;   in Loop: Header=BB44_22 Depth=1
	v_lshrrev_b64 v[3:4], s10, v[3:4]
	s_delay_alu instid0(VALU_DEP_1) | instskip(NEXT) | instid1(VALU_DEP_1)
	v_and_b32_e32 v3, 0xff, v3
	v_lshlrev_b32_e32 v3, 2, v3
	ds_add_u32 v3, v7
	s_branch .LBB44_21
.LBB44_25:
	s_set_inst_prefetch_distance 0x2
	v_mov_b32_e32 v1, 0
	s_waitcnt lgkmcnt(0)
	s_barrier
	buffer_gl0_inv
	s_and_saveexec_b32 s0, vcc_lo
	s_cbranch_execz .LBB44_27
; %bb.26:
	ds_load_b32 v1, v5
.LBB44_27:
	s_or_b32 exec_lo, exec_lo, s0
	s_and_saveexec_b32 s0, vcc_lo
	s_cbranch_execz .LBB44_29
; %bb.28:
	v_lshl_or_b32 v2, s14, 8, v0
	v_mov_b32_e32 v3, 0
	s_delay_alu instid0(VALU_DEP_1) | instskip(NEXT) | instid1(VALU_DEP_1)
	v_lshlrev_b64 v[2:3], 1, v[2:3]
	v_add_co_u32 v2, vcc_lo, s2, v2
	s_delay_alu instid0(VALU_DEP_2)
	v_add_co_ci_u32_e32 v3, vcc_lo, s3, v3, vcc_lo
	s_waitcnt lgkmcnt(0)
	global_store_b16 v[2:3], v1, off
.LBB44_29:
	s_nop 0
	s_sendmsg sendmsg(MSG_DEALLOC_VGPRS)
	s_endpgm
	.section	.rodata,"a",@progbits
	.p2align	6, 0x0
	.amdhsa_kernel _ZN2at6native6mbtopk23computeBlockDigitCountsIljmLi2EEEvNS_4cuda6detail10TensorInfoIKT_T0_EEjPjjS8_iijT1_PSB_Ps
		.amdhsa_group_segment_fixed_size 1024
		.amdhsa_private_segment_fixed_size 0
		.amdhsa_kernarg_size 536
		.amdhsa_user_sgpr_count 13
		.amdhsa_user_sgpr_dispatch_ptr 0
		.amdhsa_user_sgpr_queue_ptr 0
		.amdhsa_user_sgpr_kernarg_segment_ptr 1
		.amdhsa_user_sgpr_dispatch_id 0
		.amdhsa_user_sgpr_private_segment_size 0
		.amdhsa_wavefront_size32 1
		.amdhsa_uses_dynamic_stack 0
		.amdhsa_enable_private_segment 0
		.amdhsa_system_sgpr_workgroup_id_x 1
		.amdhsa_system_sgpr_workgroup_id_y 1
		.amdhsa_system_sgpr_workgroup_id_z 1
		.amdhsa_system_sgpr_workgroup_info 0
		.amdhsa_system_vgpr_workitem_id 0
		.amdhsa_next_free_vgpr 14
		.amdhsa_next_free_sgpr 23
		.amdhsa_reserve_vcc 1
		.amdhsa_float_round_mode_32 0
		.amdhsa_float_round_mode_16_64 0
		.amdhsa_float_denorm_mode_32 3
		.amdhsa_float_denorm_mode_16_64 3
		.amdhsa_dx10_clamp 1
		.amdhsa_ieee_mode 1
		.amdhsa_fp16_overflow 0
		.amdhsa_workgroup_processor_mode 1
		.amdhsa_memory_ordered 1
		.amdhsa_forward_progress 0
		.amdhsa_shared_vgpr_count 0
		.amdhsa_exception_fp_ieee_invalid_op 0
		.amdhsa_exception_fp_denorm_src 0
		.amdhsa_exception_fp_ieee_div_zero 0
		.amdhsa_exception_fp_ieee_overflow 0
		.amdhsa_exception_fp_ieee_underflow 0
		.amdhsa_exception_fp_ieee_inexact 0
		.amdhsa_exception_int_div_zero 0
	.end_amdhsa_kernel
	.section	.text._ZN2at6native6mbtopk23computeBlockDigitCountsIljmLi2EEEvNS_4cuda6detail10TensorInfoIKT_T0_EEjPjjS8_iijT1_PSB_Ps,"axG",@progbits,_ZN2at6native6mbtopk23computeBlockDigitCountsIljmLi2EEEvNS_4cuda6detail10TensorInfoIKT_T0_EEjPjjS8_iijT1_PSB_Ps,comdat
.Lfunc_end44:
	.size	_ZN2at6native6mbtopk23computeBlockDigitCountsIljmLi2EEEvNS_4cuda6detail10TensorInfoIKT_T0_EEjPjjS8_iijT1_PSB_Ps, .Lfunc_end44-_ZN2at6native6mbtopk23computeBlockDigitCountsIljmLi2EEEvNS_4cuda6detail10TensorInfoIKT_T0_EEjPjjS8_iijT1_PSB_Ps
                                        ; -- End function
	.section	.AMDGPU.csdata,"",@progbits
; Kernel info:
; codeLenInByte = 1660
; NumSgprs: 25
; NumVgprs: 14
; ScratchSize: 0
; MemoryBound: 0
; FloatMode: 240
; IeeeMode: 1
; LDSByteSize: 1024 bytes/workgroup (compile time only)
; SGPRBlocks: 3
; VGPRBlocks: 1
; NumSGPRsForWavesPerEU: 25
; NumVGPRsForWavesPerEU: 14
; Occupancy: 16
; WaveLimiterHint : 1
; COMPUTE_PGM_RSRC2:SCRATCH_EN: 0
; COMPUTE_PGM_RSRC2:USER_SGPR: 13
; COMPUTE_PGM_RSRC2:TRAP_HANDLER: 0
; COMPUTE_PGM_RSRC2:TGID_X_EN: 1
; COMPUTE_PGM_RSRC2:TGID_Y_EN: 1
; COMPUTE_PGM_RSRC2:TGID_Z_EN: 1
; COMPUTE_PGM_RSRC2:TIDIG_COMP_CNT: 0
	.section	.text._ZN2at6native6mbtopk10gatherTopKIljLi2EEEvNS_4cuda6detail10TensorInfoIKT_T0_EES8_S8_bjS8_NS5_IS6_S8_EES8_NS5_IlS8_EES8_jjPS6_PjSD_j,"axG",@progbits,_ZN2at6native6mbtopk10gatherTopKIljLi2EEEvNS_4cuda6detail10TensorInfoIKT_T0_EES8_S8_bjS8_NS5_IS6_S8_EES8_NS5_IlS8_EES8_jjPS6_PjSD_j,comdat
	.protected	_ZN2at6native6mbtopk10gatherTopKIljLi2EEEvNS_4cuda6detail10TensorInfoIKT_T0_EES8_S8_bjS8_NS5_IS6_S8_EES8_NS5_IlS8_EES8_jjPS6_PjSD_j ; -- Begin function _ZN2at6native6mbtopk10gatherTopKIljLi2EEEvNS_4cuda6detail10TensorInfoIKT_T0_EES8_S8_bjS8_NS5_IS6_S8_EES8_NS5_IlS8_EES8_jjPS6_PjSD_j
	.globl	_ZN2at6native6mbtopk10gatherTopKIljLi2EEEvNS_4cuda6detail10TensorInfoIKT_T0_EES8_S8_bjS8_NS5_IS6_S8_EES8_NS5_IlS8_EES8_jjPS6_PjSD_j
	.p2align	8
	.type	_ZN2at6native6mbtopk10gatherTopKIljLi2EEEvNS_4cuda6detail10TensorInfoIKT_T0_EES8_S8_bjS8_NS5_IS6_S8_EES8_NS5_IlS8_EES8_jjPS6_PjSD_j,@function
_ZN2at6native6mbtopk10gatherTopKIljLi2EEEvNS_4cuda6detail10TensorInfoIKT_T0_EES8_S8_bjS8_NS5_IS6_S8_EES8_NS5_IlS8_EES8_jjPS6_PjSD_j: ; @_ZN2at6native6mbtopk10gatherTopKIljLi2EEEvNS_4cuda6detail10TensorInfoIKT_T0_EES8_S8_bjS8_NS5_IS6_S8_EES8_NS5_IlS8_EES8_jjPS6_PjSD_j
; %bb.0:
	s_clause 0x1
	s_load_b64 s[2:3], s[0:1], 0x2d8
	s_load_b32 s4, s[0:1], 0x2d0
	s_waitcnt lgkmcnt(0)
	s_mul_i32 s3, s3, s15
	s_delay_alu instid0(SALU_CYCLE_1) | instskip(NEXT) | instid1(SALU_CYCLE_1)
	s_add_i32 s3, s3, s14
	s_mul_i32 s2, s3, s2
	s_delay_alu instid0(SALU_CYCLE_1) | instskip(NEXT) | instid1(SALU_CYCLE_1)
	s_add_i32 s2, s2, s13
	s_cmp_ge_u32 s2, s4
	s_cbranch_scc1 .LBB45_40
; %bb.1:
	s_clause 0x3
	s_load_b256 s[4:11], s[0:1], 0x2a8
	s_load_b32 s39, s[0:1], 0xc
	s_load_b32 s38, s[0:1], 0xfc
	;; [unrolled: 1-line block ×3, first 2 shown]
	s_mov_b32 s25, 0
	s_clause 0x4
	s_load_b64 s[20:21], s[0:1], 0xf0
	s_load_b64 s[30:31], s[0:1], 0x6c
	;; [unrolled: 1-line block ×5, first 2 shown]
	s_waitcnt lgkmcnt(0)
	v_cvt_f32_u32_e32 v1, s6
	v_cvt_f32_u32_e32 v2, s39
	;; [unrolled: 1-line block ×4, first 2 shown]
	s_sub_i32 s7, 0, s6
	v_rcp_iflag_f32_e32 v1, v1
	v_rcp_iflag_f32_e32 v2, v2
	v_rcp_iflag_f32_e32 v3, v3
	v_rcp_iflag_f32_e32 v4, v4
	v_mul_f32_e32 v1, 0x4f7ffffe, v1
	s_delay_alu instid0(VALU_DEP_1) | instskip(NEXT) | instid1(VALU_DEP_1)
	v_cvt_u32_f32_e32 v1, v1
	v_readfirstlane_b32 s3, v1
	s_waitcnt_depctr 0xfff
	v_dual_mul_f32 v1, 0x4f7ffffe, v2 :: v_dual_mul_f32 v2, 0x4f7ffffe, v3
	v_mul_f32_e32 v3, 0x4f7ffffe, v4
	s_mul_i32 s7, s7, s3
	s_delay_alu instid0(VALU_DEP_2)
	v_cvt_u32_f32_e32 v1, v1
	s_mul_hi_u32 s7, s3, s7
	v_cvt_u32_f32_e32 v2, v2
	s_add_i32 s3, s3, s7
	v_cvt_u32_f32_e32 v3, v3
	s_mul_hi_u32 s3, s2, s3
	v_readfirstlane_b32 s13, v1
	s_mul_i32 s7, s3, s6
	s_add_i32 s12, s3, 1
	s_sub_i32 s7, s2, s7
	v_readfirstlane_b32 s16, v2
	s_sub_i32 s14, s7, s6
	s_cmp_ge_u32 s7, s6
	v_readfirstlane_b32 s17, v3
	s_cselect_b32 s3, s12, s3
	s_cselect_b32 s7, s14, s7
	s_add_i32 s12, s3, 1
	s_cmp_ge_u32 s7, s6
	s_cselect_b32 s24, s12, s3
	s_sub_i32 s3, 0, s39
	s_sub_i32 s7, 0, s38
	;; [unrolled: 1-line block ×3, first 2 shown]
	s_mul_i32 s12, s24, s6
	s_mul_i32 s3, s3, s13
	;; [unrolled: 1-line block ×4, first 2 shown]
	s_sub_i32 s7, s2, s12
	s_mul_hi_u32 s2, s13, s3
	s_mul_hi_u32 s3, s16, s28
	;; [unrolled: 1-line block ×3, first 2 shown]
	s_lshl_b64 s[14:15], s[24:25], 3
	s_add_i32 s13, s13, s2
	s_add_i32 s34, s16, s3
	s_add_i32 s35, s17, s28
	s_add_u32 s2, s8, s14
	s_addc_u32 s3, s9, s15
	s_load_b64 s[28:29], s[0:1], 0x23c
	s_load_b64 s[16:17], s[2:3], 0x0
	v_cmp_ne_u32_e64 s2, 0, v0
	v_cmp_eq_u32_e64 s3, 0, v0
	s_mul_hi_u32 s42, s24, s13
	s_mul_hi_u32 s41, s24, s34
	;; [unrolled: 1-line block ×3, first 2 shown]
	s_delay_alu instid0(VALU_DEP_1)
	s_and_saveexec_b32 s43, s3
	s_cbranch_execz .LBB45_17
; %bb.2:
	s_load_b64 s[8:9], s[0:1], 0x2c8
	s_mov_b32 s13, s25
	s_delay_alu instid0(SALU_CYCLE_1) | instskip(NEXT) | instid1(SALU_CYCLE_1)
	s_lshl_b64 s[34:35], s[12:13], 2
	s_add_u32 s12, s10, s34
	s_addc_u32 s13, s11, s35
	s_waitcnt lgkmcnt(0)
	s_add_u32 s14, s8, s34
	s_addc_u32 s15, s9, s35
	s_cmp_lt_u32 s6, 4
	s_cbranch_scc1 .LBB45_14
; %bb.3:
	s_mov_b32 s44, s25
	s_mov_b32 s45, s25
	;; [unrolled: 1-line block ×3, first 2 shown]
.LBB45_4:                               ; =>This Inner Loop Header: Depth=1
	s_add_u32 s12, s10, s34
	s_addc_u32 s13, s11, s35
	s_add_u32 s36, s8, s34
	s_load_b128 s[12:15], s[12:13], 0x0
	s_addc_u32 s37, s9, s35
	s_cmp_ge_u32 s46, s7
	s_cbranch_scc0 .LBB45_11
; %bb.5:                                ;   in Loop: Header=BB45_4 Depth=1
	s_add_i32 s47, s46, 1
	s_delay_alu instid0(SALU_CYCLE_1)
	s_cmp_ge_u32 s47, s7
	s_cbranch_scc0 .LBB45_12
.LBB45_6:                               ;   in Loop: Header=BB45_4 Depth=1
	s_add_i32 s47, s47, 1
	s_delay_alu instid0(SALU_CYCLE_1)
	s_cmp_ge_u32 s47, s7
	s_cbranch_scc0 .LBB45_13
.LBB45_7:                               ;   in Loop: Header=BB45_4 Depth=1
	s_add_i32 s47, s47, 1
	s_delay_alu instid0(SALU_CYCLE_1)
	s_cmp_ge_u32 s47, s7
	s_cbranch_scc1 .LBB45_9
.LBB45_8:                               ;   in Loop: Header=BB45_4 Depth=1
	s_load_b32 s36, s[36:37], 0xc
	s_waitcnt lgkmcnt(0)
	s_add_i32 s25, s25, s15
	s_add_i32 s44, s36, s44
.LBB45_9:                               ;   in Loop: Header=BB45_4 Depth=1
	s_waitcnt lgkmcnt(0)
	s_add_i32 s12, s12, s45
	s_delay_alu instid0(SALU_CYCLE_1) | instskip(NEXT) | instid1(SALU_CYCLE_1)
	s_add_i32 s12, s12, s13
	s_add_i32 s12, s12, s14
	s_delay_alu instid0(SALU_CYCLE_1)
	s_add_i32 s45, s12, s15
	s_add_u32 s10, s10, 16
	s_addc_u32 s11, s11, 0
	s_add_u32 s8, s8, 16
	s_addc_u32 s9, s9, 0
	s_add_i32 s37, s47, 4
	s_add_u32 s14, s8, s34
	s_addc_u32 s15, s9, s35
	s_add_u32 s12, s10, s34
	s_addc_u32 s13, s11, s35
	s_add_i32 s36, s47, 1
	s_cmp_ge_u32 s37, s6
	s_cbranch_scc1 .LBB45_15
; %bb.10:                               ;   in Loop: Header=BB45_4 Depth=1
	s_mov_b32 s46, s36
	s_branch .LBB45_4
.LBB45_11:                              ;   in Loop: Header=BB45_4 Depth=1
	s_load_b32 s47, s[36:37], 0x0
	s_waitcnt lgkmcnt(0)
	s_add_i32 s25, s12, s25
	s_add_i32 s44, s47, s44
	;; [unrolled: 1-line block ×3, first 2 shown]
	s_delay_alu instid0(SALU_CYCLE_1)
	s_cmp_ge_u32 s47, s7
	s_cbranch_scc1 .LBB45_6
.LBB45_12:                              ;   in Loop: Header=BB45_4 Depth=1
	s_load_b32 s48, s[36:37], 0x4
	s_waitcnt lgkmcnt(0)
	s_add_i32 s25, s25, s13
	s_add_i32 s44, s48, s44
	s_add_i32 s47, s47, 1
	s_delay_alu instid0(SALU_CYCLE_1)
	s_cmp_ge_u32 s47, s7
	s_cbranch_scc1 .LBB45_7
.LBB45_13:                              ;   in Loop: Header=BB45_4 Depth=1
	s_load_b32 s48, s[36:37], 0x8
	s_waitcnt lgkmcnt(0)
	s_add_i32 s25, s25, s14
	s_add_i32 s44, s48, s44
	;; [unrolled: 1-line block ×3, first 2 shown]
	s_delay_alu instid0(SALU_CYCLE_1)
	s_cmp_ge_u32 s47, s7
	s_cbranch_scc0 .LBB45_8
	s_branch .LBB45_9
.LBB45_14:
	s_mov_b32 s44, 0
	s_mov_b32 s45, 0
	;; [unrolled: 1-line block ×3, first 2 shown]
	s_delay_alu instid0(SALU_CYCLE_1)
	s_cmp_ge_u32 s8, s6
	s_cbranch_scc0 .LBB45_38
	s_branch .LBB45_16
.LBB45_15:
	s_add_i32 s8, s46, 4
	s_delay_alu instid0(SALU_CYCLE_1)
	s_cmp_ge_u32 s8, s6
	s_cbranch_scc0 .LBB45_38
.LBB45_16:
	v_dual_mov_b32 v1, s44 :: v_dual_mov_b32 v2, s45
	v_dual_mov_b32 v3, s25 :: v_dual_mov_b32 v4, 0
	ds_store_b96 v4, v[1:3] offset:1056
.LBB45_17:
	s_or_b32 exec_lo, exec_lo, s43
	s_load_b128 s[8:11], s[0:1], 0xd8
	s_waitcnt lgkmcnt(0)
	s_mul_i32 s11, s5, s7
	s_add_i32 s7, s7, 1
	s_lshl_b32 s25, s11, 8
	s_barrier
	buffer_gl0_inv
	s_sub_i32 s11, s8, s25
	s_delay_alu instid0(SALU_CYCLE_1) | instskip(SKIP_4) | instid1(VALU_DEP_1)
	s_add_u32 s11, s11, 0xff
	s_addc_u32 s12, 0, 0
	s_cmp_lt_u32 s7, s6
	v_alignbit_b32 v1, s12, s11, 8
	s_mov_b32 s7, 0
	v_readfirstlane_b32 s11, v1
	s_delay_alu instid0(VALU_DEP_1) | instskip(NEXT) | instid1(SALU_CYCLE_1)
	s_cselect_b32 s5, s5, s11
	s_cmp_eq_u32 s5, 0
	s_cbranch_scc1 .LBB45_40
; %bb.18:
	s_mul_i32 s6, s42, s39
	s_add_i32 s11, s42, 1
	s_sub_i32 s6, s24, s6
	v_dual_mov_b32 v5, 0 :: v_dual_add_nc_u32 v6, -1, v0
	s_sub_i32 s12, s6, s39
	s_cmp_ge_u32 s6, s39
	v_lshrrev_b32_e32 v4, 5, v0
	s_cselect_b32 s11, s11, s42
	s_cselect_b32 s6, s12, s6
	s_add_i32 s12, s11, 1
	s_cmp_ge_u32 s6, s39
	s_mul_i32 s6, s41, s38
	s_cselect_b32 s11, s12, s11
	s_sub_i32 s12, s24, s6
	s_mul_i32 s6, s11, s39
	s_mul_i32 s11, s11, s30
	s_sub_i32 s6, s24, s6
	s_add_i32 s13, s41, 1
	s_mul_i32 s6, s6, s31
	s_sub_i32 s14, s12, s38
	s_add_i32 s6, s11, s6
	s_cmp_ge_u32 s12, s38
	ds_load_b96 v[1:3], v5 offset:1056
	s_cselect_b32 s11, s13, s41
	s_cselect_b32 s12, s14, s12
	s_add_i32 s13, s11, 1
	s_cmp_ge_u32 s12, s38
	s_mul_i32 s12, s40, s33
	s_cselect_b32 s11, s13, s11
	s_sub_i32 s12, s24, s12
	s_mul_i32 s13, s11, s38
	s_mul_i32 s11, s11, s26
	s_sub_i32 s13, s24, s13
	s_add_i32 s15, s40, 1
	s_mul_i32 s13, s13, s27
	s_sub_i32 s26, s12, s33
	s_add_i32 s14, s11, s13
	s_cmp_ge_u32 s12, s33
	v_add_lshl_u32 v9, v4, v0, 2
	s_cselect_b32 s11, s15, s40
	s_cselect_b32 s12, s26, s12
	s_add_i32 s13, s11, 1
	s_cmp_ge_u32 s12, s33
	s_mov_b32 s15, s7
	s_cselect_b32 s11, s13, s11
	s_waitcnt lgkmcnt(0)
	v_add_nc_u32_e32 v8, v1, v2
	s_mul_i32 s12, s11, s33
	s_mul_i32 s11, s11, s28
	s_sub_i32 s12, s24, s12
	v_lshlrev_b32_e32 v2, 3, v0
	s_mul_i32 s24, s12, s29
	s_lshl_b64 s[12:13], s[6:7], 3
	s_add_i32 s6, s11, s24
	s_add_u32 s11, s22, s12
	s_addc_u32 s12, s23, s13
	s_lshl_b64 s[14:15], s[14:15], 3
	v_lshrrev_b32_e32 v4, 2, v0
	s_add_u32 s13, s20, s14
	s_load_b32 s20, s[0:1], 0xe8
	s_addc_u32 s14, s21, s15
	s_lshl_b64 s[6:7], s[6:7], 3
	v_add_nc_u32_e32 v1, s25, v0
	s_add_u32 s15, s18, s6
	s_addc_u32 s18, s19, s7
	s_xor_b32 s7, s17, 0x80000000
	s_bitcmp1_b32 s10, 0
	s_load_b32 s10, s[0:1], 0x1c8
	v_lshrrev_b32_e32 v7, 5, v6
	v_mbcnt_lo_u32_b32 v10, -1, 0
	v_cmp_gt_u32_e64 s0, 32, v0
	v_add_lshl_u32 v0, v4, v2, 2
	s_mov_b32 s6, s16
	v_add_lshl_u32 v11, v7, v6, 2
	v_and_b32_e32 v12, 15, v10
	v_bfe_i32 v13, v10, 4, 1
	v_add_nc_u32_e32 v14, -1, v10
	s_cselect_b32 s1, -1, 0
                                        ; implicit-def: $vgpr6_vgpr7
	s_waitcnt lgkmcnt(0)
	v_mul_lo_u32 v4, s20, v1
	s_lshl_b32 s19, s20, 8
	s_branch .LBB45_21
.LBB45_19:                              ;   in Loop: Header=BB45_21 Depth=1
	s_or_b32 exec_lo, exec_lo, s20
	v_add_nc_u32_e32 v8, v17, v8
.LBB45_20:                              ;   in Loop: Header=BB45_21 Depth=1
	v_add_nc_u32_e32 v3, v16, v3
	v_add_nc_u32_e32 v4, s19, v4
	;; [unrolled: 1-line block ×3, first 2 shown]
	s_add_i32 s5, s5, -1
	s_delay_alu instid0(SALU_CYCLE_1)
	s_cmp_lg_u32 s5, 0
	s_cbranch_scc0 .LBB45_40
.LBB45_21:                              ; =>This Inner Loop Header: Depth=1
	v_dual_mov_b32 v2, 0 :: v_dual_mov_b32 v15, 0
	s_mov_b32 s20, exec_lo
	v_cmpx_gt_u32_e64 s8, v1
	s_cbranch_execz .LBB45_23
; %bb.22:                               ;   in Loop: Header=BB45_21 Depth=1
	s_delay_alu instid0(VALU_DEP_3) | instskip(NEXT) | instid1(VALU_DEP_1)
	v_lshlrev_b64 v[6:7], 3, v[4:5]
	v_add_co_u32 v6, vcc_lo, s11, v6
	s_delay_alu instid0(VALU_DEP_2) | instskip(SKIP_4) | instid1(VALU_DEP_1)
	v_add_co_ci_u32_e32 v7, vcc_lo, s12, v7, vcc_lo
	global_load_b64 v[6:7], v[6:7], off
	s_waitcnt vmcnt(0)
	v_xor_b32_e32 v16, 0x80000000, v7
	v_mov_b32_e32 v15, v6
	v_cmp_lt_u64_e32 vcc_lo, s[6:7], v[15:16]
	v_cndmask_b32_e64 v2, 0, 1, vcc_lo
	v_cmp_gt_u64_e32 vcc_lo, s[6:7], v[15:16]
	v_cndmask_b32_e64 v15, 0, 1, vcc_lo
	v_cmp_eq_u64_e32 vcc_lo, s[16:17], v[6:7]
	s_delay_alu instid0(VALU_DEP_2) | instskip(SKIP_1) | instid1(VALU_DEP_2)
	v_cndmask_b32_e64 v2, v15, v2, s1
	v_cndmask_b32_e64 v15, 0, 1, vcc_lo
	v_and_b32_e32 v2, 1, v2
.LBB45_23:                              ;   in Loop: Header=BB45_21 Depth=1
	s_or_b32 exec_lo, exec_lo, s20
	ds_store_b32 v9, v2
	s_waitcnt lgkmcnt(0)
	s_waitcnt_vscnt null, 0x0
	s_barrier
	buffer_gl0_inv
	s_and_saveexec_b32 s20, s0
	s_cbranch_execz .LBB45_25
; %bb.24:                               ;   in Loop: Header=BB45_21 Depth=1
	ds_load_2addr_b32 v[16:17], v0 offset1:1
	ds_load_2addr_b32 v[18:19], v0 offset0:2 offset1:3
	ds_load_2addr_b32 v[20:21], v0 offset0:4 offset1:5
	;; [unrolled: 1-line block ×3, first 2 shown]
	v_cmp_ne_u32_e32 vcc_lo, 0, v12
	; wave barrier
	s_waitcnt lgkmcnt(3)
	v_add_nc_u32_e32 v17, v17, v16
	s_waitcnt lgkmcnt(2)
	s_delay_alu instid0(VALU_DEP_1) | instskip(SKIP_1) | instid1(VALU_DEP_1)
	v_add3_u32 v17, v17, v18, v19
	s_waitcnt lgkmcnt(1)
	v_add3_u32 v17, v17, v20, v21
	s_waitcnt lgkmcnt(0)
	s_delay_alu instid0(VALU_DEP_1) | instskip(NEXT) | instid1(VALU_DEP_1)
	v_add3_u32 v17, v17, v22, v23
	v_mov_b32_dpp v18, v17 row_shr:1 row_mask:0xf bank_mask:0xf
	s_delay_alu instid0(VALU_DEP_1) | instskip(SKIP_1) | instid1(VALU_DEP_2)
	v_cndmask_b32_e32 v18, 0, v18, vcc_lo
	v_cmp_lt_u32_e32 vcc_lo, 1, v12
	v_add_nc_u32_e32 v17, v18, v17
	s_delay_alu instid0(VALU_DEP_1) | instskip(NEXT) | instid1(VALU_DEP_1)
	v_mov_b32_dpp v18, v17 row_shr:2 row_mask:0xf bank_mask:0xf
	v_cndmask_b32_e32 v18, 0, v18, vcc_lo
	v_cmp_lt_u32_e32 vcc_lo, 3, v12
	s_delay_alu instid0(VALU_DEP_2) | instskip(NEXT) | instid1(VALU_DEP_1)
	v_add_nc_u32_e32 v17, v17, v18
	v_mov_b32_dpp v18, v17 row_shr:4 row_mask:0xf bank_mask:0xf
	s_delay_alu instid0(VALU_DEP_1) | instskip(SKIP_1) | instid1(VALU_DEP_2)
	v_cndmask_b32_e32 v18, 0, v18, vcc_lo
	v_cmp_lt_u32_e32 vcc_lo, 7, v12
	v_add_nc_u32_e32 v17, v17, v18
	s_delay_alu instid0(VALU_DEP_1) | instskip(NEXT) | instid1(VALU_DEP_1)
	v_mov_b32_dpp v18, v17 row_shr:8 row_mask:0xf bank_mask:0xf
	v_cndmask_b32_e32 v18, 0, v18, vcc_lo
	v_cmp_gt_i32_e32 vcc_lo, 0, v14
	s_delay_alu instid0(VALU_DEP_2)
	v_add_nc_u32_e32 v17, v17, v18
	v_cndmask_b32_e32 v19, v14, v10, vcc_lo
	ds_swizzle_b32 v18, v17 offset:swizzle(BROADCAST,32,15)
	v_lshlrev_b32_e32 v19, 2, v19
	s_waitcnt lgkmcnt(0)
	v_and_b32_e32 v18, v13, v18
	s_delay_alu instid0(VALU_DEP_1) | instskip(SKIP_3) | instid1(VALU_DEP_1)
	v_add_nc_u32_e32 v17, v17, v18
	ds_bpermute_b32 v17, v19, v17
	s_waitcnt lgkmcnt(0)
	v_add_nc_u32_e32 v16, v17, v16
	v_cndmask_b32_e64 v22, v16, v2, s3
	ds_store_b32 v0, v22
	; wave barrier
	ds_load_2addr_b32 v[16:17], v0 offset0:1 offset1:2
	ds_load_2addr_b32 v[18:19], v0 offset0:3 offset1:4
	;; [unrolled: 1-line block ×3, first 2 shown]
	ds_load_b32 v23, v0 offset:28
	s_waitcnt lgkmcnt(3)
	v_add_nc_u32_e32 v16, v16, v22
	s_delay_alu instid0(VALU_DEP_1) | instskip(SKIP_1) | instid1(VALU_DEP_1)
	v_add_nc_u32_e32 v17, v17, v16
	s_waitcnt lgkmcnt(2)
	v_add_nc_u32_e32 v18, v18, v17
	s_delay_alu instid0(VALU_DEP_1) | instskip(SKIP_1) | instid1(VALU_DEP_1)
	v_add_nc_u32_e32 v19, v19, v18
	;; [unrolled: 4-line block ×3, first 2 shown]
	s_waitcnt lgkmcnt(0)
	v_add_nc_u32_e32 v22, v23, v21
	ds_store_2addr_b32 v0, v16, v17 offset0:1 offset1:2
	ds_store_2addr_b32 v0, v18, v19 offset0:3 offset1:4
	;; [unrolled: 1-line block ×3, first 2 shown]
	ds_store_b32 v0, v22 offset:28
.LBB45_25:                              ;   in Loop: Header=BB45_21 Depth=1
	s_or_b32 exec_lo, exec_lo, s20
	v_mov_b32_e32 v17, 0
	s_waitcnt lgkmcnt(0)
	s_barrier
	buffer_gl0_inv
	s_and_saveexec_b32 s20, s2
	s_cbranch_execz .LBB45_27
; %bb.26:                               ;   in Loop: Header=BB45_21 Depth=1
	ds_load_b32 v17, v11
.LBB45_27:                              ;   in Loop: Header=BB45_21 Depth=1
	s_or_b32 exec_lo, exec_lo, s20
	ds_load_b32 v16, v5 offset:1048
	s_mov_b32 s20, exec_lo
	s_waitcnt lgkmcnt(0)
	s_barrier
	buffer_gl0_inv
	v_cmpx_ne_u32_e32 0, v2
	s_cbranch_execz .LBB45_29
; %bb.28:                               ;   in Loop: Header=BB45_21 Depth=1
	v_add_nc_u32_e32 v2, v17, v3
	v_mov_b32_e32 v18, v5
	v_mov_b32_e32 v20, v5
	s_delay_alu instid0(VALU_DEP_3) | instskip(SKIP_2) | instid1(VALU_DEP_3)
	v_mul_lo_u32 v17, v2, s10
	v_mul_lo_u32 v19, v2, s4
	v_mov_b32_e32 v2, v5
	v_lshlrev_b64 v[17:18], 3, v[17:18]
	s_delay_alu instid0(VALU_DEP_3) | instskip(NEXT) | instid1(VALU_DEP_2)
	v_lshlrev_b64 v[19:20], 3, v[19:20]
	v_add_co_u32 v17, vcc_lo, s13, v17
	s_delay_alu instid0(VALU_DEP_3) | instskip(NEXT) | instid1(VALU_DEP_3)
	v_add_co_ci_u32_e32 v18, vcc_lo, s14, v18, vcc_lo
	v_add_co_u32 v19, vcc_lo, s15, v19
	s_delay_alu instid0(VALU_DEP_4)
	v_add_co_ci_u32_e32 v20, vcc_lo, s18, v20, vcc_lo
	global_store_b64 v[17:18], v[6:7], off
	global_store_b64 v[19:20], v[1:2], off
.LBB45_29:                              ;   in Loop: Header=BB45_21 Depth=1
	s_or_b32 exec_lo, exec_lo, s20
	v_cmp_le_u32_e32 vcc_lo, s9, v8
	s_cbranch_vccnz .LBB45_20
; %bb.30:                               ;   in Loop: Header=BB45_21 Depth=1
	ds_store_b32 v9, v15
	s_waitcnt lgkmcnt(0)
	s_waitcnt_vscnt null, 0x0
	s_barrier
	buffer_gl0_inv
	s_and_saveexec_b32 s20, s0
	s_cbranch_execz .LBB45_32
; %bb.31:                               ;   in Loop: Header=BB45_21 Depth=1
	ds_load_2addr_b32 v[17:18], v0 offset1:1
	ds_load_2addr_b32 v[19:20], v0 offset0:2 offset1:3
	ds_load_2addr_b32 v[21:22], v0 offset0:4 offset1:5
	;; [unrolled: 1-line block ×3, first 2 shown]
	v_cmp_ne_u32_e32 vcc_lo, 0, v12
	; wave barrier
	s_waitcnt lgkmcnt(3)
	v_add_nc_u32_e32 v2, v18, v17
	s_waitcnt lgkmcnt(2)
	s_delay_alu instid0(VALU_DEP_1) | instskip(SKIP_1) | instid1(VALU_DEP_1)
	v_add3_u32 v2, v2, v19, v20
	s_waitcnt lgkmcnt(1)
	v_add3_u32 v2, v2, v21, v22
	s_waitcnt lgkmcnt(0)
	s_delay_alu instid0(VALU_DEP_1) | instskip(NEXT) | instid1(VALU_DEP_1)
	v_add3_u32 v2, v2, v23, v24
	v_mov_b32_dpp v18, v2 row_shr:1 row_mask:0xf bank_mask:0xf
	s_delay_alu instid0(VALU_DEP_1) | instskip(SKIP_1) | instid1(VALU_DEP_2)
	v_cndmask_b32_e32 v18, 0, v18, vcc_lo
	v_cmp_lt_u32_e32 vcc_lo, 1, v12
	v_add_nc_u32_e32 v2, v18, v2
	s_delay_alu instid0(VALU_DEP_1) | instskip(NEXT) | instid1(VALU_DEP_1)
	v_mov_b32_dpp v18, v2 row_shr:2 row_mask:0xf bank_mask:0xf
	v_cndmask_b32_e32 v18, 0, v18, vcc_lo
	v_cmp_lt_u32_e32 vcc_lo, 3, v12
	s_delay_alu instid0(VALU_DEP_2) | instskip(NEXT) | instid1(VALU_DEP_1)
	v_add_nc_u32_e32 v2, v2, v18
	v_mov_b32_dpp v18, v2 row_shr:4 row_mask:0xf bank_mask:0xf
	s_delay_alu instid0(VALU_DEP_1) | instskip(SKIP_1) | instid1(VALU_DEP_2)
	v_cndmask_b32_e32 v18, 0, v18, vcc_lo
	v_cmp_lt_u32_e32 vcc_lo, 7, v12
	v_add_nc_u32_e32 v2, v2, v18
	s_delay_alu instid0(VALU_DEP_1) | instskip(NEXT) | instid1(VALU_DEP_1)
	v_mov_b32_dpp v18, v2 row_shr:8 row_mask:0xf bank_mask:0xf
	v_cndmask_b32_e32 v18, 0, v18, vcc_lo
	v_cmp_gt_i32_e32 vcc_lo, 0, v14
	s_delay_alu instid0(VALU_DEP_2)
	v_add_nc_u32_e32 v2, v2, v18
	v_cndmask_b32_e32 v19, v14, v10, vcc_lo
	ds_swizzle_b32 v18, v2 offset:swizzle(BROADCAST,32,15)
	v_lshlrev_b32_e32 v19, 2, v19
	s_waitcnt lgkmcnt(0)
	v_and_b32_e32 v18, v13, v18
	s_delay_alu instid0(VALU_DEP_1) | instskip(SKIP_3) | instid1(VALU_DEP_1)
	v_add_nc_u32_e32 v2, v2, v18
	ds_bpermute_b32 v2, v19, v2
	s_waitcnt lgkmcnt(0)
	v_add_nc_u32_e32 v2, v2, v17
	v_cndmask_b32_e64 v2, v2, v15, s3
	ds_store_b32 v0, v2
	; wave barrier
	ds_load_2addr_b32 v[17:18], v0 offset0:1 offset1:2
	ds_load_2addr_b32 v[19:20], v0 offset0:3 offset1:4
	;; [unrolled: 1-line block ×3, first 2 shown]
	ds_load_b32 v23, v0 offset:28
	s_waitcnt lgkmcnt(3)
	v_add_nc_u32_e32 v2, v17, v2
	s_delay_alu instid0(VALU_DEP_1) | instskip(SKIP_1) | instid1(VALU_DEP_1)
	v_add_nc_u32_e32 v17, v18, v2
	s_waitcnt lgkmcnt(2)
	v_add_nc_u32_e32 v18, v19, v17
	s_delay_alu instid0(VALU_DEP_1) | instskip(SKIP_1) | instid1(VALU_DEP_1)
	v_add_nc_u32_e32 v19, v20, v18
	;; [unrolled: 4-line block ×3, first 2 shown]
	s_waitcnt lgkmcnt(0)
	v_add_nc_u32_e32 v22, v23, v21
	ds_store_2addr_b32 v0, v2, v17 offset0:1 offset1:2
	ds_store_2addr_b32 v0, v18, v19 offset0:3 offset1:4
	;; [unrolled: 1-line block ×3, first 2 shown]
	ds_store_b32 v0, v22 offset:28
.LBB45_32:                              ;   in Loop: Header=BB45_21 Depth=1
	s_or_b32 exec_lo, exec_lo, s20
	v_mov_b32_e32 v2, 0
	s_waitcnt lgkmcnt(0)
	s_barrier
	buffer_gl0_inv
	s_and_saveexec_b32 s20, s2
	s_cbranch_execz .LBB45_34
; %bb.33:                               ;   in Loop: Header=BB45_21 Depth=1
	ds_load_b32 v2, v11
.LBB45_34:                              ;   in Loop: Header=BB45_21 Depth=1
	s_or_b32 exec_lo, exec_lo, s20
	ds_load_b32 v17, v5 offset:1048
	s_mov_b32 s20, exec_lo
	s_waitcnt lgkmcnt(0)
	s_barrier
	buffer_gl0_inv
	v_cmpx_ne_u32_e32 0, v15
	s_cbranch_execz .LBB45_19
; %bb.35:                               ;   in Loop: Header=BB45_21 Depth=1
	v_add_nc_u32_e32 v2, v2, v8
	s_delay_alu instid0(VALU_DEP_1)
	v_cmp_gt_u32_e32 vcc_lo, s9, v2
	s_and_b32 exec_lo, exec_lo, vcc_lo
	s_cbranch_execz .LBB45_19
; %bb.36:                               ;   in Loop: Header=BB45_21 Depth=1
	v_mul_lo_u32 v18, v2, s10
	v_mov_b32_e32 v19, v5
	v_mul_lo_u32 v20, v2, s4
	v_mov_b32_e32 v21, v5
	v_mov_b32_e32 v2, v5
	s_delay_alu instid0(VALU_DEP_4) | instskip(NEXT) | instid1(VALU_DEP_3)
	v_lshlrev_b64 v[18:19], 3, v[18:19]
	v_lshlrev_b64 v[20:21], 3, v[20:21]
	s_delay_alu instid0(VALU_DEP_2) | instskip(NEXT) | instid1(VALU_DEP_3)
	v_add_co_u32 v18, vcc_lo, s13, v18
	v_add_co_ci_u32_e32 v19, vcc_lo, s14, v19, vcc_lo
	s_delay_alu instid0(VALU_DEP_3) | instskip(NEXT) | instid1(VALU_DEP_4)
	v_add_co_u32 v20, vcc_lo, s15, v20
	v_add_co_ci_u32_e32 v21, vcc_lo, s18, v21, vcc_lo
	global_store_b64 v[18:19], v[6:7], off
	global_store_b64 v[20:21], v[1:2], off
	s_branch .LBB45_19
	.p2align	6
.LBB45_37:                              ;   in Loop: Header=BB45_38 Depth=1
	s_add_u32 s12, s12, 4
	s_addc_u32 s13, s13, 0
	s_waitcnt lgkmcnt(0)
	s_add_i32 s45, s9, s45
	s_add_u32 s14, s14, 4
	s_addc_u32 s15, s15, 0
	s_add_i32 s8, s8, 1
	s_delay_alu instid0(SALU_CYCLE_1)
	s_cmp_lt_u32 s8, s6
	s_cbranch_scc0 .LBB45_16
.LBB45_38:                              ; =>This Inner Loop Header: Depth=1
	s_load_b32 s9, s[12:13], 0x0
	s_cmp_ge_u32 s8, s7
	s_cbranch_scc1 .LBB45_37
; %bb.39:                               ;   in Loop: Header=BB45_38 Depth=1
	s_load_b32 s10, s[14:15], 0x0
	s_waitcnt lgkmcnt(0)
	s_add_i32 s25, s9, s25
	s_add_i32 s44, s10, s44
	s_branch .LBB45_37
.LBB45_40:
	s_nop 0
	s_sendmsg sendmsg(MSG_DEALLOC_VGPRS)
	s_endpgm
	.section	.rodata,"a",@progbits
	.p2align	6, 0x0
	.amdhsa_kernel _ZN2at6native6mbtopk10gatherTopKIljLi2EEEvNS_4cuda6detail10TensorInfoIKT_T0_EES8_S8_bjS8_NS5_IS6_S8_EES8_NS5_IlS8_EES8_jjPS6_PjSD_j
		.amdhsa_group_segment_fixed_size 1068
		.amdhsa_private_segment_fixed_size 0
		.amdhsa_kernarg_size 984
		.amdhsa_user_sgpr_count 13
		.amdhsa_user_sgpr_dispatch_ptr 0
		.amdhsa_user_sgpr_queue_ptr 0
		.amdhsa_user_sgpr_kernarg_segment_ptr 1
		.amdhsa_user_sgpr_dispatch_id 0
		.amdhsa_user_sgpr_private_segment_size 0
		.amdhsa_wavefront_size32 1
		.amdhsa_uses_dynamic_stack 0
		.amdhsa_enable_private_segment 0
		.amdhsa_system_sgpr_workgroup_id_x 1
		.amdhsa_system_sgpr_workgroup_id_y 1
		.amdhsa_system_sgpr_workgroup_id_z 1
		.amdhsa_system_sgpr_workgroup_info 0
		.amdhsa_system_vgpr_workitem_id 0
		.amdhsa_next_free_vgpr 25
		.amdhsa_next_free_sgpr 49
		.amdhsa_reserve_vcc 1
		.amdhsa_float_round_mode_32 0
		.amdhsa_float_round_mode_16_64 0
		.amdhsa_float_denorm_mode_32 3
		.amdhsa_float_denorm_mode_16_64 3
		.amdhsa_dx10_clamp 1
		.amdhsa_ieee_mode 1
		.amdhsa_fp16_overflow 0
		.amdhsa_workgroup_processor_mode 1
		.amdhsa_memory_ordered 1
		.amdhsa_forward_progress 0
		.amdhsa_shared_vgpr_count 0
		.amdhsa_exception_fp_ieee_invalid_op 0
		.amdhsa_exception_fp_denorm_src 0
		.amdhsa_exception_fp_ieee_div_zero 0
		.amdhsa_exception_fp_ieee_overflow 0
		.amdhsa_exception_fp_ieee_underflow 0
		.amdhsa_exception_fp_ieee_inexact 0
		.amdhsa_exception_int_div_zero 0
	.end_amdhsa_kernel
	.section	.text._ZN2at6native6mbtopk10gatherTopKIljLi2EEEvNS_4cuda6detail10TensorInfoIKT_T0_EES8_S8_bjS8_NS5_IS6_S8_EES8_NS5_IlS8_EES8_jjPS6_PjSD_j,"axG",@progbits,_ZN2at6native6mbtopk10gatherTopKIljLi2EEEvNS_4cuda6detail10TensorInfoIKT_T0_EES8_S8_bjS8_NS5_IS6_S8_EES8_NS5_IlS8_EES8_jjPS6_PjSD_j,comdat
.Lfunc_end45:
	.size	_ZN2at6native6mbtopk10gatherTopKIljLi2EEEvNS_4cuda6detail10TensorInfoIKT_T0_EES8_S8_bjS8_NS5_IS6_S8_EES8_NS5_IlS8_EES8_jjPS6_PjSD_j, .Lfunc_end45-_ZN2at6native6mbtopk10gatherTopKIljLi2EEEvNS_4cuda6detail10TensorInfoIKT_T0_EES8_S8_bjS8_NS5_IS6_S8_EES8_NS5_IlS8_EES8_jjPS6_PjSD_j
                                        ; -- End function
	.section	.AMDGPU.csdata,"",@progbits
; Kernel info:
; codeLenInByte = 2812
; NumSgprs: 51
; NumVgprs: 25
; ScratchSize: 0
; MemoryBound: 0
; FloatMode: 240
; IeeeMode: 1
; LDSByteSize: 1068 bytes/workgroup (compile time only)
; SGPRBlocks: 6
; VGPRBlocks: 3
; NumSGPRsForWavesPerEU: 51
; NumVGPRsForWavesPerEU: 25
; Occupancy: 16
; WaveLimiterHint : 1
; COMPUTE_PGM_RSRC2:SCRATCH_EN: 0
; COMPUTE_PGM_RSRC2:USER_SGPR: 13
; COMPUTE_PGM_RSRC2:TRAP_HANDLER: 0
; COMPUTE_PGM_RSRC2:TGID_X_EN: 1
; COMPUTE_PGM_RSRC2:TGID_Y_EN: 1
; COMPUTE_PGM_RSRC2:TGID_Z_EN: 1
; COMPUTE_PGM_RSRC2:TIDIG_COMP_CNT: 0
	.section	.text._ZN2at6native6sbtopk10gatherTopKIljLi2ELb0EEEvNS_4cuda6detail10TensorInfoIKT_T0_EES8_S8_bS8_S8_NS5_IS6_S8_EES8_NS5_IlS8_EES8_PS6_,"axG",@progbits,_ZN2at6native6sbtopk10gatherTopKIljLi2ELb0EEEvNS_4cuda6detail10TensorInfoIKT_T0_EES8_S8_bS8_S8_NS5_IS6_S8_EES8_NS5_IlS8_EES8_PS6_,comdat
	.protected	_ZN2at6native6sbtopk10gatherTopKIljLi2ELb0EEEvNS_4cuda6detail10TensorInfoIKT_T0_EES8_S8_bS8_S8_NS5_IS6_S8_EES8_NS5_IlS8_EES8_PS6_ ; -- Begin function _ZN2at6native6sbtopk10gatherTopKIljLi2ELb0EEEvNS_4cuda6detail10TensorInfoIKT_T0_EES8_S8_bS8_S8_NS5_IS6_S8_EES8_NS5_IlS8_EES8_PS6_
	.globl	_ZN2at6native6sbtopk10gatherTopKIljLi2ELb0EEEvNS_4cuda6detail10TensorInfoIKT_T0_EES8_S8_bS8_S8_NS5_IS6_S8_EES8_NS5_IlS8_EES8_PS6_
	.p2align	8
	.type	_ZN2at6native6sbtopk10gatherTopKIljLi2ELb0EEEvNS_4cuda6detail10TensorInfoIKT_T0_EES8_S8_bS8_S8_NS5_IS6_S8_EES8_NS5_IlS8_EES8_PS6_,@function
_ZN2at6native6sbtopk10gatherTopKIljLi2ELb0EEEvNS_4cuda6detail10TensorInfoIKT_T0_EES8_S8_bS8_S8_NS5_IS6_S8_EES8_NS5_IlS8_EES8_PS6_: ; @_ZN2at6native6sbtopk10gatherTopKIljLi2ELb0EEEvNS_4cuda6detail10TensorInfoIKT_T0_EES8_S8_bS8_S8_NS5_IS6_S8_EES8_NS5_IlS8_EES8_PS6_
; %bb.0:
	s_clause 0x1
	s_load_b64 s[4:5], s[0:1], 0x2b8
	s_load_b128 s[36:39], s[0:1], 0xd8
	s_add_u32 s6, s0, 0x2b8
	s_addc_u32 s7, s1, 0
	s_waitcnt lgkmcnt(0)
	s_mul_i32 s2, s5, s15
	s_delay_alu instid0(SALU_CYCLE_1) | instskip(NEXT) | instid1(SALU_CYCLE_1)
	s_add_i32 s2, s2, s14
	s_mul_i32 s49, s2, s4
	s_delay_alu instid0(SALU_CYCLE_1) | instskip(NEXT) | instid1(SALU_CYCLE_1)
	s_add_i32 s49, s49, s13
	s_cmp_ge_u32 s49, s39
	s_cbranch_scc1 .LBB46_466
; %bb.1:
	s_clause 0x9
	s_load_b32 s10, s[0:1], 0xc
	s_load_b32 s51, s[0:1], 0xfc
	;; [unrolled: 1-line block ×3, first 2 shown]
	s_load_b64 s[30:31], s[0:1], 0xf0
	s_load_b64 s[42:43], s[0:1], 0x23c
	;; [unrolled: 1-line block ×4, first 2 shown]
	s_load_b32 s34, s[0:1], 0xe8
	s_load_b64 s[2:3], s[0:1], 0x6c
	s_load_b64 s[8:9], s[0:1], 0x0
	v_cmp_eq_u32_e64 s5, 0, v0
	s_mov_b32 s47, 0
	s_waitcnt lgkmcnt(0)
	v_cvt_f32_u32_e32 v1, s10
	v_cvt_f32_u32_e32 v2, s51
	;; [unrolled: 1-line block ×3, first 2 shown]
	s_sub_i32 s11, 0, s10
	s_sub_i32 s16, 0, s51
	v_rcp_iflag_f32_e32 v1, v1
	v_rcp_iflag_f32_e32 v2, v2
	;; [unrolled: 1-line block ×3, first 2 shown]
	s_sub_i32 s17, 0, s50
	s_waitcnt_depctr 0xfff
	v_dual_mul_f32 v1, 0x4f7ffffe, v1 :: v_dual_mul_f32 v2, 0x4f7ffffe, v2
	v_mul_f32_e32 v3, 0x4f7ffffe, v3
	s_delay_alu instid0(VALU_DEP_2) | instskip(NEXT) | instid1(VALU_DEP_3)
	v_cvt_u32_f32_e32 v1, v1
	v_cvt_u32_f32_e32 v2, v2
	s_delay_alu instid0(VALU_DEP_3) | instskip(NEXT) | instid1(VALU_DEP_3)
	v_cvt_u32_f32_e32 v3, v3
	v_readfirstlane_b32 s12, v1
	s_delay_alu instid0(VALU_DEP_3) | instskip(NEXT) | instid1(VALU_DEP_3)
	v_readfirstlane_b32 s14, v2
	v_readfirstlane_b32 s15, v3
	s_delay_alu instid0(VALU_DEP_3) | instskip(NEXT) | instid1(VALU_DEP_2)
	s_mul_i32 s11, s11, s12
	s_mul_i32 s16, s16, s14
	s_delay_alu instid0(VALU_DEP_1)
	s_mul_i32 s17, s17, s15
	s_mul_hi_u32 s11, s12, s11
	s_mul_hi_u32 s16, s14, s16
	;; [unrolled: 1-line block ×3, first 2 shown]
	s_add_i32 s12, s12, s11
	s_add_i32 s14, s14, s16
	;; [unrolled: 1-line block ×3, first 2 shown]
	s_mul_hi_u32 s11, s49, s12
	s_mul_hi_u32 s53, s49, s14
	;; [unrolled: 1-line block ×3, first 2 shown]
	s_and_saveexec_b32 s12, s5
	s_cbranch_execz .LBB46_3
; %bb.2:
	v_dual_mov_b32 v1, 0 :: v_dual_mov_b32 v2, s36
	s_delay_alu instid0(VALU_DEP_1)
	v_mov_b32_e32 v3, v1
	ds_store_b96 v1, v[1:3] offset:4096
.LBB46_3:
	s_or_b32 exec_lo, exec_lo, s12
	s_mul_i32 s12, s11, s10
	s_add_i32 s14, s11, 1
	s_sub_i32 s12, s49, s12
	s_waitcnt lgkmcnt(0)
	s_sub_i32 s15, s12, s10
	s_cmp_ge_u32 s12, s10
	s_barrier
	s_cselect_b32 s11, s14, s11
	s_cselect_b32 s12, s15, s12
	buffer_gl0_inv
	s_load_b32 s15, s[6:7], 0xc
	s_add_i32 s14, s11, 1
	s_cmp_ge_u32 s12, s10
	v_mbcnt_lo_u32_b32 v28, -1, 0
	s_cselect_b32 s11, s14, s11
	v_cmp_gt_u32_e32 vcc_lo, 32, v0
	s_mul_i32 s10, s11, s10
	s_mul_i32 s2, s11, s2
	s_sub_i32 s10, s49, s10
	v_dual_mov_b32 v14, 0 :: v_dual_lshlrev_b32 v29, 2, v0
	s_mul_i32 s10, s10, s3
	v_mul_lo_u32 v15, v0, s34
	s_add_i32 s46, s2, s10
	v_cmp_gt_i32_e64 s2, 4, v28
	s_lshl_b64 s[10:11], s[46:47], 3
	v_lshrrev_b32_e32 v3, 3, v0
	s_add_u32 s33, s8, s10
	s_addc_u32 s35, s9, s11
	s_bitcmp1_b32 s38, 0
	v_lshlrev_b32_e32 v32, 3, v0
	s_cselect_b32 s3, -1, 0
	s_waitcnt lgkmcnt(0)
	s_and_b32 s46, s15, 0xffff
	s_bfe_u32 s8, s15, 0xb0005
	s_lshl_b32 s55, s46, 2
	s_and_b32 s54, vcc_lo, s2
	v_cvt_f32_u32_e32 v1, s55
	s_xor_b32 s56, s3, -1
	s_cmpk_gt_u32 s36, 0x180
	v_cvt_f32_u32_e32 v2, s46
	s_cselect_b32 s57, -1, 0
	v_rcp_iflag_f32_e32 v1, v1
	s_cmp_gt_u32 s46, 31
	v_dual_mov_b32 v5, 0 :: v_dual_and_b32 v30, 0x7c, v3
	s_cselect_b32 s58, -1, 0
	s_add_i32 s59, s46, -1
	v_mov_b32_e32 v16, v14
	s_add_i32 s9, s59, s36
	s_cmp_lt_u32 s13, s4
	v_or_b32_e32 v3, 3, v29
	s_waitcnt_depctr 0xfff
	v_mul_f32_e32 v1, 0x4f7ffffe, v1
	s_cselect_b32 s2, 12, 18
	v_mad_u64_u32 v[18:19], null, s34, v29, s[34:35]
	s_add_u32 s38, s6, s2
	s_delay_alu instid0(VALU_DEP_2)
	v_cvt_u32_f32_e32 v1, v1
	s_addc_u32 s39, s7, 0
	s_add_i32 s2, s8, -1
	s_bfe_u32 s60, s46, 0x30005
	s_cmp_gt_u32 s2, 6
	v_readfirstlane_b32 s2, v1
	s_cselect_b32 s61, -1, 0
	s_and_b32 s62, s8, 0x7f8
	s_cmp_lg_u32 s60, 0
	v_rcp_iflag_f32_e32 v1, v2
	s_cselect_b32 s63, -1, 0
	s_sub_i32 s6, 0, s55
	v_mul_lo_u32 v35, s34, v3
	s_mul_i32 s6, s6, s2
	v_cmp_gt_u32_e64 s4, s36, v0
	s_mul_hi_u32 s6, s2, s6
	v_lshl_or_b32 v39, v28, 2, 0xc00
	s_add_i32 s64, s2, s6
	v_cmp_eq_u32_e64 s2, 0, v28
	s_mul_hi_u32 s6, s36, s64
	v_mov_b32_e32 v40, s37
	s_mul_i32 s6, s6, s55
	s_mul_i32 s48, s34, s46
	s_sub_i32 s6, s36, s6
	s_mov_b32 s77, 62
	s_sub_i32 s7, s6, s55
	s_cmp_ge_u32 s6, s55
	s_mov_b32 s72, 0
	s_cselect_b32 s6, s7, s6
                                        ; implicit-def: $sgpr71
                                        ; implicit-def: $sgpr75
                                        ; implicit-def: $sgpr74
                                        ; implicit-def: $sgpr76
                                        ; implicit-def: $sgpr73
                                        ; implicit-def: $sgpr78
                                        ; implicit-def: $sgpr80
                                        ; implicit-def: $sgpr79
                                        ; implicit-def: $sgpr81
                                        ; implicit-def: $sgpr82
	v_mov_b32_e32 v6, 0
	s_sub_i32 s7, s6, s55
	s_cmp_ge_u32 s6, s55
	v_lshlrev_b32_e32 v36, 2, v15
	s_cselect_b32 s10, s7, s6
	s_sub_i32 s6, 0, s46
	s_sub_i32 s65, s36, s10
	s_delay_alu instid0(SALU_CYCLE_1) | instskip(SKIP_3) | instid1(VALU_DEP_4)
	v_dual_mul_f32 v4, 0x4f7ffffe, v1 :: v_dual_add_nc_u32 v31, s65, v0
	v_lshlrev_b64 v[1:2], 3, v[15:16]
	v_lshlrev_b32_e32 v38, 5, v0
	v_mov_b32_e32 v22, v6
	v_cvt_u32_f32_e32 v4, v4
	v_mul_lo_u32 v13, v31, s34
	v_dual_mov_b32 v20, v6 :: v_dual_mov_b32 v19, v5
	v_add_co_u32 v11, vcc_lo, s33, v1
	s_delay_alu instid0(VALU_DEP_4) | instskip(SKIP_3) | instid1(VALU_DEP_4)
	v_readfirstlane_b32 s8, v4
	v_add_co_ci_u32_e32 v12, vcc_lo, s35, v2, vcc_lo
	v_lshlrev_b64 v[1:2], v28, -1
	v_mov_b32_e32 v21, v5
	s_mul_i32 s6, s6, s8
	s_delay_alu instid0(SALU_CYCLE_1) | instskip(NEXT) | instid1(VALU_DEP_2)
	s_mul_hi_u32 s6, s8, s6
	v_not_b32_e32 v27, v1
	v_lshlrev_b64 v[1:2], 3, v[13:14]
	s_add_i32 s66, s8, s6
	s_delay_alu instid0(SALU_CYCLE_1) | instskip(NEXT) | instid1(SALU_CYCLE_1)
	s_mul_hi_u32 s6, s9, s66
	s_mul_i32 s7, s6, s46
	s_delay_alu instid0(VALU_DEP_1)
	v_add_co_u32 v16, vcc_lo, s33, v1
	v_add3_u32 v1, s46, s36, v0
	s_sub_i32 s7, s9, s7
	v_add_co_ci_u32_e32 v17, vcc_lo, s35, v2, vcc_lo
	s_sub_i32 s8, s7, s46
	s_cmp_ge_u32 s7, s46
	v_subrev_nc_u32_e32 v1, s10, v1
	s_cselect_b32 s8, s8, s7
	v_or_b32_e32 v2, 2, v29
	s_sub_i32 s11, s8, s46
	s_cmp_ge_u32 s8, s46
	v_mul_lo_u32 v37, s34, v1
	v_mov_b32_e32 v1, 1
	v_add_nc_u32_e32 v33, 0xc00, v32
	s_cselect_b32 s11, s11, s8
	v_mul_lo_u32 v34, s34, v2
	s_sub_i32 s67, s9, s11
	v_cmp_gt_u32_e64 s6, 2, v0
	v_cmp_gt_u32_e64 s7, s65, v29
	;; [unrolled: 1-line block ×4, first 2 shown]
	s_lshl_b32 s68, s48, 2
	s_lshl_b32 s69, s46, 5
	s_lshl_b32 s70, s46, 3
	s_branch .LBB46_6
.LBB46_4:                               ;   in Loop: Header=BB46_6 Depth=1
	s_or_b32 exec_lo, exec_lo, s13
	v_dual_mov_b32 v19, v25 :: v_dual_mov_b32 v20, v26
	v_dual_mov_b32 v21, v23 :: v_dual_mov_b32 v22, v24
	v_mov_b32_e32 v40, v41
	v_dual_mov_b32 v5, v9 :: v_dual_mov_b32 v6, v10
	s_and_not1_b32 s13, s82, exec_lo
	s_and_b32 s12, s12, exec_lo
	s_and_not1_b32 s81, s81, exec_lo
	s_or_b32 s82, s13, s12
	s_and_not1_b32 s79, s79, exec_lo
	s_and_not1_b32 s80, s80, exec_lo
	;; [unrolled: 1-line block ×3, first 2 shown]
	s_or_not1_b32 s12, s11, exec_lo
.LBB46_5:                               ;   in Loop: Header=BB46_6 Depth=1
	s_or_b32 exec_lo, exec_lo, s10
	s_delay_alu instid0(SALU_CYCLE_1) | instskip(NEXT) | instid1(SALU_CYCLE_1)
	s_and_b32 s10, exec_lo, s12
	s_or_b32 s47, s10, s47
	s_and_not1_b32 s10, s73, exec_lo
	s_and_b32 s11, s82, exec_lo
	s_and_not1_b32 s12, s76, exec_lo
	s_or_b32 s73, s10, s11
	s_and_b32 s10, s81, exec_lo
	s_and_not1_b32 s11, s74, exec_lo
	s_and_b32 s13, s79, exec_lo
	s_or_b32 s76, s12, s10
	s_or_b32 s74, s11, s13
	s_and_not1_b32 s10, s75, exec_lo
	s_and_b32 s11, s80, exec_lo
	s_and_not1_b32 s12, s71, exec_lo
	s_and_b32 s13, s78, exec_lo
	s_or_b32 s75, s10, s11
	s_or_b32 s71, s12, s13
	s_and_not1_b32 exec_lo, exec_lo, s47
	s_cbranch_execz .LBB46_406
.LBB46_6:                               ; =>This Loop Header: Depth=1
                                        ;     Child Loop BB46_14 Depth 2
                                        ;     Child Loop BB46_29 Depth 2
	;; [unrolled: 1-line block ×24, first 2 shown]
	ds_load_b64 v[2:3], v14 offset:4096
	s_waitcnt lgkmcnt(0)
	v_readfirstlane_b32 s83, v2
	s_delay_alu instid0(VALU_DEP_1)
	s_cmp_lg_u32 s83, 0
	s_cbranch_scc1 .LBB46_36
; %bb.7:                                ;   in Loop: Header=BB46_6 Depth=1
	s_and_b32 vcc_lo, exec_lo, s57
	s_cbranch_vccz .LBB46_22
; %bb.8:                                ;   in Loop: Header=BB46_6 Depth=1
	v_cmp_gt_u32_e32 vcc_lo, 0x181, v3
	s_mov_b32 s83, 0
	s_mov_b32 s10, 0
	s_cbranch_vccz .LBB46_23
; %bb.9:                                ;   in Loop: Header=BB46_6 Depth=1
	v_mov_b32_e32 v2, 0
	v_mov_b32_e32 v3, 0
	s_and_saveexec_b32 s10, s4
	s_cbranch_execz .LBB46_11
; %bb.10:                               ;   in Loop: Header=BB46_6 Depth=1
	global_load_b64 v[2:3], v[11:12], off
.LBB46_11:                              ;   in Loop: Header=BB46_6 Depth=1
	s_or_b32 exec_lo, exec_lo, s10
	s_and_saveexec_b32 s12, s4
	s_cbranch_execz .LBB46_87
; %bb.12:                               ;   in Loop: Header=BB46_6 Depth=1
	global_load_u16 v4, v14, s[38:39]
	v_mov_b32_e32 v10, v0
	s_mov_b32 s13, 0
	s_waitcnt vmcnt(0)
	v_add_nc_u32_e32 v7, v0, v4
	v_mul_lo_u32 v9, s34, v4
	s_delay_alu instid0(VALU_DEP_2)
	v_mul_lo_u32 v13, s34, v7
	s_branch .LBB46_14
.LBB46_13:                              ;   in Loop: Header=BB46_14 Depth=2
	s_or_b32 exec_lo, exec_lo, s11
	s_waitcnt vmcnt(0)
	v_dual_mov_b32 v2, v7 :: v_dual_add_nc_u32 v13, v13, v9
	v_mov_b32_e32 v3, v8
	s_and_not1_b32 exec_lo, exec_lo, s13
	s_cbranch_execz .LBB46_87
.LBB46_14:                              ;   Parent Loop BB46_6 Depth=1
                                        ; =>  This Inner Loop Header: Depth=2
	v_dual_mov_b32 v7, 0 :: v_dual_add_nc_u32 v10, v10, v4
	v_mov_b32_e32 v8, 0
	s_mov_b32 s11, exec_lo
	s_delay_alu instid0(VALU_DEP_2)
	v_cmp_le_u32_e32 vcc_lo, s36, v10
	v_cmpx_gt_u32_e64 s36, v10
	s_cbranch_execz .LBB46_16
; %bb.15:                               ;   in Loop: Header=BB46_14 Depth=2
	v_lshlrev_b64 v[7:8], 3, v[13:14]
	s_delay_alu instid0(VALU_DEP_1) | instskip(NEXT) | instid1(VALU_DEP_1)
	v_add_co_u32 v7, s10, s33, v7
	v_add_co_ci_u32_e64 v8, s10, s35, v8, s10
	global_load_b64 v[7:8], v[7:8], off
.LBB46_16:                              ;   in Loop: Header=BB46_14 Depth=2
	s_or_b32 exec_lo, exec_lo, s11
	s_waitcnt lgkmcnt(0)
	v_xor_b32_e32 v23, 0x80000000, v3
	s_delay_alu instid0(VALU_DEP_1) | instskip(SKIP_1) | instid1(VALU_DEP_1)
	v_and_b32_e32 v24, v23, v20
	v_and_b32_e32 v23, v2, v19
	v_cmp_eq_u64_e64 s10, v[23:24], v[21:22]
	v_mov_b32_e32 v23, 0
	s_delay_alu instid0(VALU_DEP_2) | instskip(SKIP_1) | instid1(SALU_CYCLE_1)
	s_cmp_lg_u32 s10, 0
	s_cselect_b32 s11, -1, 0
	s_and_b32 s11, s2, s11
	s_delay_alu instid0(SALU_CYCLE_1)
	s_and_saveexec_b32 s14, s11
	s_cbranch_execz .LBB46_20
; %bb.17:                               ;   in Loop: Header=BB46_14 Depth=2
	s_mov_b32 s17, exec_lo
	s_bcnt1_i32_b32 s15, s10
	v_mbcnt_lo_u32_b32 v23, s17, 0
	s_mov_b32 s16, exec_lo
                                        ; implicit-def: $vgpr24
	s_delay_alu instid0(VALU_DEP_1)
	v_cmpx_eq_u32_e32 0, v23
	s_cbranch_execz .LBB46_19
; %bb.18:                               ;   in Loop: Header=BB46_14 Depth=2
	s_bcnt1_i32_b32 s11, s17
	s_delay_alu instid0(SALU_CYCLE_1) | instskip(NEXT) | instid1(SALU_CYCLE_1)
	s_mul_i32 s11, s15, s11
	v_mov_b32_e32 v24, s11
	ds_add_rtn_u32 v24, v14, v24 offset:4104
.LBB46_19:                              ;   in Loop: Header=BB46_14 Depth=2
	s_or_b32 exec_lo, exec_lo, s16
	s_waitcnt lgkmcnt(0)
	v_readfirstlane_b32 s11, v24
	s_delay_alu instid0(VALU_DEP_1)
	v_mad_u32_u24 v23, s15, v23, s11
.LBB46_20:                              ;   in Loop: Header=BB46_14 Depth=2
	s_or_b32 exec_lo, exec_lo, s14
	ds_bpermute_b32 v23, v14, v23
	s_and_b32 s11, exec_lo, vcc_lo
	s_delay_alu instid0(SALU_CYCLE_1)
	s_or_b32 s13, s11, s13
	s_and_saveexec_b32 s11, s10
	s_cbranch_execz .LBB46_13
; %bb.21:                               ;   in Loop: Header=BB46_14 Depth=2
	v_and_b32_e32 v24, s10, v27
	s_delay_alu instid0(VALU_DEP_1) | instskip(NEXT) | instid1(VALU_DEP_1)
	v_bcnt_u32_b32 v24, v24, 0
	v_lshlrev_b32_e32 v24, 3, v24
	s_waitcnt lgkmcnt(0)
	s_delay_alu instid0(VALU_DEP_1)
	v_lshl_add_u32 v23, v23, 3, v24
	ds_store_b64 v23, v[2:3]
	s_branch .LBB46_13
.LBB46_22:                              ;   in Loop: Header=BB46_6 Depth=1
	s_mov_b32 s83, -1
	s_mov_b32 s10, 0
.LBB46_23:                              ;   in Loop: Header=BB46_6 Depth=1
	s_and_b32 vcc_lo, exec_lo, s83
	s_cbranch_vccz .LBB46_34
.LBB46_24:                              ;   in Loop: Header=BB46_6 Depth=1
	v_mov_b32_e32 v2, 0
	v_mov_b32_e32 v3, 0
	s_and_saveexec_b32 s10, s4
	s_cbranch_execz .LBB46_26
; %bb.25:                               ;   in Loop: Header=BB46_6 Depth=1
	global_load_b64 v[2:3], v[11:12], off
.LBB46_26:                              ;   in Loop: Header=BB46_6 Depth=1
	s_or_b32 exec_lo, exec_lo, s10
	s_and_saveexec_b32 s11, s4
	s_cbranch_execz .LBB46_31
; %bb.27:                               ;   in Loop: Header=BB46_6 Depth=1
	global_load_u16 v4, v14, s[38:39]
	v_mov_b32_e32 v24, v0
	s_mov_b32 s12, 0
	v_mov_b32_e32 v23, v32
	s_waitcnt vmcnt(0)
	v_add_nc_u32_e32 v7, v0, v4
	v_mul_lo_u32 v9, s34, v4
	v_lshlrev_b32_e32 v10, 3, v4
	s_delay_alu instid0(VALU_DEP_3)
	v_mul_lo_u32 v13, s34, v7
	s_set_inst_prefetch_distance 0x1
	s_branch .LBB46_29
	.p2align	6
.LBB46_28:                              ;   in Loop: Header=BB46_29 Depth=2
	s_or_b32 exec_lo, exec_lo, s13
	ds_store_b64 v23, v[2:3]
	s_waitcnt vmcnt(0)
	v_dual_mov_b32 v2, v7 :: v_dual_add_nc_u32 v13, v13, v9
	v_add_nc_u32_e32 v23, v23, v10
	v_mov_b32_e32 v3, v8
	s_and_b32 s10, exec_lo, vcc_lo
	s_delay_alu instid0(SALU_CYCLE_1) | instskip(NEXT) | instid1(SALU_CYCLE_1)
	s_or_b32 s12, s10, s12
	s_and_not1_b32 exec_lo, exec_lo, s12
	s_cbranch_execz .LBB46_31
.LBB46_29:                              ;   Parent Loop BB46_6 Depth=1
                                        ; =>  This Inner Loop Header: Depth=2
	v_dual_mov_b32 v7, 0 :: v_dual_add_nc_u32 v24, v24, v4
	v_mov_b32_e32 v8, 0
	s_mov_b32 s13, exec_lo
	s_delay_alu instid0(VALU_DEP_2)
	v_cmp_le_u32_e32 vcc_lo, s36, v24
	v_cmpx_gt_u32_e64 s36, v24
	s_cbranch_execz .LBB46_28
; %bb.30:                               ;   in Loop: Header=BB46_29 Depth=2
	v_lshlrev_b64 v[7:8], 3, v[13:14]
	s_delay_alu instid0(VALU_DEP_1) | instskip(NEXT) | instid1(VALU_DEP_1)
	v_add_co_u32 v7, s10, s33, v7
	v_add_co_ci_u32_e64 v8, s10, s35, v8, s10
	global_load_b64 v[7:8], v[7:8], off
	s_branch .LBB46_28
.LBB46_31:                              ;   in Loop: Header=BB46_6 Depth=1
	s_set_inst_prefetch_distance 0x2
	s_or_b32 exec_lo, exec_lo, s11
	s_waitcnt vmcnt(0) lgkmcnt(0)
	s_barrier
	buffer_gl0_inv
	s_and_saveexec_b32 s10, s5
	s_cbranch_execz .LBB46_33
; %bb.32:                               ;   in Loop: Header=BB46_6 Depth=1
	v_mov_b32_e32 v2, s36
	ds_store_b32 v14, v2 offset:4096
.LBB46_33:                              ;   in Loop: Header=BB46_6 Depth=1
	s_or_b32 exec_lo, exec_lo, s10
	s_mov_b32 s10, -1
	s_waitcnt lgkmcnt(0)
	s_barrier
                                        ; implicit-def: $sgpr83
.LBB46_34:                              ;   in Loop: Header=BB46_6 Depth=1
	s_and_b32 vcc_lo, exec_lo, s10
	s_cbranch_vccz .LBB46_36
; %bb.35:                               ;   in Loop: Header=BB46_6 Depth=1
	buffer_gl0_inv
	ds_load_b32 v2, v14 offset:4096
	s_waitcnt lgkmcnt(0)
	v_readfirstlane_b32 s83, v2
.LBB46_36:                              ;   in Loop: Header=BB46_6 Depth=1
	s_delay_alu instid0(VALU_DEP_1)
	s_cmp_lt_i32 s83, 1
	s_cbranch_scc0 .LBB46_48
; %bb.37:                               ;   in Loop: Header=BB46_6 Depth=1
	v_dual_mov_b32 v7, 0 :: v_dual_mov_b32 v8, 0
	v_dual_mov_b32 v9, 0 :: v_dual_mov_b32 v10, 0
	s_mov_b32 s25, 0
	s_and_saveexec_b32 s24, s7
	s_cbranch_execz .LBB46_41
; %bb.38:                               ;   in Loop: Header=BB46_6 Depth=1
	v_mov_b32_e32 v2, v29
	s_and_b32 s26, s77, 0xfe
	s_mov_b32 s27, 0
	s_mov_b32 s28, 0
	;; [unrolled: 1-line block ×5, first 2 shown]
.LBB46_39:                              ;   Parent Loop BB46_6 Depth=1
                                        ; =>  This Inner Loop Header: Depth=2
	v_dual_mov_b32 v26, v14 :: v_dual_add_nc_u32 v13, s27, v36
	v_mov_b32_e32 v42, v14
	v_mov_b32_e32 v44, v14
	s_delay_alu instid0(VALU_DEP_3) | instskip(SKIP_1) | instid1(VALU_DEP_1)
	v_lshlrev_b64 v[3:4], 3, v[13:14]
	v_add_nc_u32_e32 v13, s27, v18
	v_lshlrev_b64 v[7:8], 3, v[13:14]
	v_add_nc_u32_e32 v13, s27, v34
	s_delay_alu instid0(VALU_DEP_4) | instskip(SKIP_1) | instid1(VALU_DEP_3)
	v_add_co_u32 v3, vcc_lo, s33, v3
	v_add_co_ci_u32_e32 v4, vcc_lo, s35, v4, vcc_lo
	v_lshlrev_b64 v[9:10], 3, v[13:14]
	v_add_nc_u32_e32 v13, s27, v35
	v_add_co_u32 v7, vcc_lo, s33, v7
	global_load_b64 v[3:4], v[3:4], off
	v_add_co_ci_u32_e32 v8, vcc_lo, s35, v8, vcc_lo
	v_add_co_u32 v9, vcc_lo, s33, v9
	v_lshlrev_b64 v[23:24], 3, v[13:14]
	v_add_co_ci_u32_e32 v10, vcc_lo, s35, v10, vcc_lo
	s_clause 0x1
	global_load_b64 v[7:8], v[7:8], off
	global_load_b64 v[9:10], v[9:10], off
	v_add_co_u32 v23, vcc_lo, s33, v23
	v_add_co_ci_u32_e32 v24, vcc_lo, s35, v24, vcc_lo
	s_add_i32 s27, s27, s68
	global_load_b64 v[23:24], v[23:24], off
	s_waitcnt vmcnt(3)
	v_xor_b32_e32 v4, 0x80000000, v4
	v_and_b32_e32 v45, v3, v19
	s_delay_alu instid0(VALU_DEP_2)
	v_and_b32_e32 v46, v4, v20
	v_lshrrev_b64 v[3:4], s26, v[3:4]
	s_waitcnt vmcnt(2)
	v_xor_b32_e32 v8, 0x80000000, v8
	v_and_b32_e32 v47, v7, v19
	s_waitcnt vmcnt(1)
	v_xor_b32_e32 v10, 0x80000000, v10
	v_and_b32_e32 v13, 3, v3
	v_cmp_eq_u64_e64 s10, v[45:46], v[21:22]
	v_and_b32_e32 v48, v8, v20
	v_lshrrev_b64 v[7:8], s26, v[7:8]
	v_and_b32_e32 v45, v9, v19
	v_cmp_eq_u64_e64 s12, 0, v[13:14]
	s_waitcnt vmcnt(0)
	v_xor_b32_e32 v24, 0x80000000, v24
	v_lshrrev_b64 v[8:9], s26, v[9:10]
	v_cmp_eq_u64_e64 s13, 1, v[13:14]
	v_and_b32_e32 v25, 3, v7
	v_cmp_eq_u64_e64 s14, 2, v[13:14]
	v_and_b32_e32 v46, v10, v20
	v_lshrrev_b64 v[9:10], s26, v[23:24]
	s_and_b32 s12, s10, s12
	v_cmp_eq_u64_e64 s11, v[47:48], v[21:22]
	v_cmp_eq_u64_e64 s15, 3, v[13:14]
	v_and_b32_e32 v41, 3, v8
	v_cmp_eq_u64_e64 s17, 0, v[25:26]
	v_cndmask_b32_e64 v7, 0, 1, s12
	s_and_b32 s12, s10, s13
	v_cmp_eq_u64_e64 s18, 1, v[25:26]
	v_cmp_eq_u64_e64 s19, 2, v[25:26]
	;; [unrolled: 1-line block ×3, first 2 shown]
	v_and_b32_e32 v3, v23, v19
	v_and_b32_e32 v4, v24, v20
	v_cndmask_b32_e64 v8, 0, 1, s12
	s_and_b32 s12, s10, s14
	v_cmp_eq_u64_e64 s16, v[45:46], v[21:22]
	v_cndmask_b32_e64 v10, 0, 1, s12
	v_and_b32_e32 v43, 3, v9
	v_cmp_eq_u64_e64 s12, 0, v[41:42]
	s_and_b32 s10, s10, s15
	s_and_b32 s17, s11, s17
	v_cndmask_b32_e64 v13, 0, 1, s10
	v_cmp_eq_u64_e64 s10, v[3:4], v[21:22]
	v_cmp_eq_u64_e64 s13, 1, v[41:42]
	v_cmp_ne_u32_e64 s21, 0, v7
	v_cndmask_b32_e64 v3, 0, 1, s17
	s_and_b32 s18, s11, s18
	s_and_b32 s19, s11, s19
	;; [unrolled: 1-line block ×3, first 2 shown]
	v_cmp_eq_u64_e64 s14, 2, v[41:42]
	v_cmp_eq_u64_e64 s15, 3, v[41:42]
	v_cmp_ne_u32_e64 s17, 0, v8
	v_cndmask_b32_e64 v8, 0, 1, s11
	v_cmp_eq_u64_e64 s11, 0, v[43:44]
	v_cndmask_b32_e64 v4, 0, 1, s18
	v_cndmask_b32_e64 v7, 0, 1, s19
	s_and_b32 s12, s16, s12
	s_bcnt1_i32_b32 s86, s21
	v_cmp_ne_u32_e64 s21, 0, v3
	v_cndmask_b32_e64 v3, 0, 1, s12
	v_cmp_ne_u32_e64 s19, 0, v13
	s_and_b32 s13, s16, s13
	v_cmp_eq_u64_e64 s20, 1, v[43:44]
	v_cmp_eq_u64_e64 s22, 2, v[43:44]
	v_cmp_eq_u64_e64 s23, 3, v[43:44]
	v_cmp_ne_u32_e64 s12, 0, v4
	v_cndmask_b32_e64 v4, 0, 1, s13
	v_cmp_ne_u32_e64 s13, 0, v7
	s_and_b32 s14, s16, s14
	s_and_b32 s15, s16, s15
	;; [unrolled: 1-line block ×3, first 2 shown]
	v_cndmask_b32_e64 v7, 0, 1, s14
	v_cmp_ne_u32_e64 s14, 0, v8
	v_cndmask_b32_e64 v8, 0, 1, s15
	v_cmp_ne_u32_e64 s15, 0, v3
	v_cndmask_b32_e64 v3, 0, 1, s11
	v_cmp_ne_u32_e64 s18, 0, v10
	s_bcnt1_i32_b32 s19, s19
	v_cmp_ne_u32_e64 s11, 0, v4
	s_add_i32 s19, s19, s28
	s_bcnt1_i32_b32 s28, s12
	s_and_b32 s12, s10, s20
	s_bcnt1_i32_b32 s20, s13
	s_and_b32 s13, s10, s22
	s_and_b32 s10, s10, s23
	v_cndmask_b32_e64 v4, 0, 1, s12
	v_cmp_ne_u32_e64 s12, 0, v7
	v_cndmask_b32_e64 v7, 0, 1, s13
	v_cmp_ne_u32_e64 s13, 0, v8
	;; [unrolled: 2-line block ×3, first 2 shown]
	s_bcnt1_i32_b32 s18, s18
	s_add_i32 s16, s86, s85
	s_bcnt1_i32_b32 s21, s21
	s_add_i32 s18, s18, s29
	;; [unrolled: 2-line block ×3, first 2 shown]
	s_bcnt1_i32_b32 s15, s15
	s_bcnt1_i32_b32 s17, s17
	s_add_i32 s18, s18, s20
	s_add_i32 s14, s19, s14
	s_bcnt1_i32_b32 s19, s11
	v_cmp_ne_u32_e64 s11, 0, v4
	s_bcnt1_i32_b32 s20, s12
	v_cmp_ne_u32_e64 s12, 0, v7
	s_bcnt1_i32_b32 s21, s13
	v_cmp_ne_u32_e64 s13, 0, v8
	s_add_i32 s15, s16, s15
	s_bcnt1_i32_b32 s10, s10
	s_add_i32 s17, s17, s84
	s_add_i32 s85, s15, s10
	s_delay_alu instid0(SALU_CYCLE_1)
	v_dual_mov_b32 v7, s85 :: v_dual_add_nc_u32 v2, s55, v2
	s_add_i32 s17, s17, s28
	s_add_i32 s14, s14, s21
	;; [unrolled: 1-line block ×4, first 2 shown]
	s_bcnt1_i32_b32 s11, s11
	s_bcnt1_i32_b32 s12, s12
	;; [unrolled: 1-line block ×3, first 2 shown]
	v_cmp_le_u32_e32 vcc_lo, s65, v2
	s_add_i32 s84, s16, s11
	s_add_i32 s29, s17, s12
	;; [unrolled: 1-line block ×3, first 2 shown]
	v_dual_mov_b32 v8, s84 :: v_dual_mov_b32 v9, s29
	v_mov_b32_e32 v10, s28
	s_or_b32 s25, vcc_lo, s25
	s_delay_alu instid0(SALU_CYCLE_1)
	s_and_not1_b32 exec_lo, exec_lo, s25
	s_cbranch_execnz .LBB46_39
; %bb.40:                               ;   in Loop: Header=BB46_6 Depth=1
	s_or_b32 exec_lo, exec_lo, s25
.LBB46_41:                              ;   in Loop: Header=BB46_6 Depth=1
	s_delay_alu instid0(SALU_CYCLE_1)
	s_or_b32 exec_lo, exec_lo, s24
	v_mov_b32_e32 v23, 0
	v_mov_b32_e32 v24, 0
	s_and_saveexec_b32 s10, s8
	s_cbranch_execz .LBB46_43
; %bb.42:                               ;   in Loop: Header=BB46_6 Depth=1
	global_load_b64 v[23:24], v[16:17], off
.LBB46_43:                              ;   in Loop: Header=BB46_6 Depth=1
	s_or_b32 exec_lo, exec_lo, s10
	s_and_saveexec_b32 s14, s8
	s_cbranch_execz .LBB46_50
; %bb.44:                               ;   in Loop: Header=BB46_6 Depth=1
	v_dual_mov_b32 v2, v37 :: v_dual_mov_b32 v25, v31
	s_and_b32 s16, s77, 0xfe
	s_mov_b32 s15, 0
	s_branch .LBB46_46
.LBB46_45:                              ;   in Loop: Header=BB46_46 Depth=2
	s_or_b32 exec_lo, exec_lo, s11
	s_waitcnt vmcnt(0)
	v_xor_b32_e32 v24, 0x80000000, v24
	s_and_b32 s12, exec_lo, vcc_lo
	v_add_nc_u32_e32 v2, s48, v2
	s_or_b32 s15, s12, s15
	s_delay_alu instid0(VALU_DEP_2) | instskip(SKIP_2) | instid1(VALU_DEP_3)
	v_lshrrev_b64 v[41:42], s16, v[23:24]
	v_and_b32_e32 v23, v23, v19
	v_and_b32_e32 v24, v24, v20
	;; [unrolled: 1-line block ×3, first 2 shown]
	s_delay_alu instid0(VALU_DEP_2) | instskip(NEXT) | instid1(VALU_DEP_2)
	v_cmp_eq_u64_e64 s10, v[23:24], v[21:22]
	v_cmp_eq_u64_e64 s11, 0, v[13:14]
	v_cmp_eq_u64_e32 vcc_lo, 1, v[13:14]
	v_cmp_eq_u64_e64 s12, 2, v[13:14]
	v_cmp_eq_u64_e64 s13, 3, v[13:14]
	s_delay_alu instid0(VALU_DEP_4) | instskip(NEXT) | instid1(SALU_CYCLE_1)
	s_and_b32 s11, s10, s11
	v_cndmask_b32_e64 v13, 0, 1, s11
	s_and_b32 s11, s10, vcc_lo
	s_delay_alu instid0(SALU_CYCLE_1)
	v_cndmask_b32_e64 v23, 0, 1, s11
	s_and_b32 s11, s10, s12
	s_and_b32 s10, s10, s13
	v_cndmask_b32_e64 v24, 0, 1, s11
	v_cndmask_b32_e64 v26, 0, 1, s10
	v_cmp_ne_u32_e32 vcc_lo, 0, v13
	v_cmp_ne_u32_e64 s10, 0, v23
	s_delay_alu instid0(VALU_DEP_4)
	v_cmp_ne_u32_e64 s11, 0, v24
	v_mov_b32_e32 v24, v4
	v_cmp_ne_u32_e64 s12, 0, v26
	s_bcnt1_i32_b32 s13, vcc_lo
	s_bcnt1_i32_b32 s10, s10
	s_bcnt1_i32_b32 s11, s11
	v_add_nc_u32_e32 v7, s13, v7
	s_bcnt1_i32_b32 s12, s12
	v_add_nc_u32_e32 v8, s10, v8
	v_add_nc_u32_e32 v9, s11, v9
	v_dual_mov_b32 v23, v3 :: v_dual_add_nc_u32 v10, s12, v10
	s_and_not1_b32 exec_lo, exec_lo, s15
	s_cbranch_execz .LBB46_49
.LBB46_46:                              ;   Parent Loop BB46_6 Depth=1
                                        ; =>  This Inner Loop Header: Depth=2
	s_delay_alu instid0(VALU_DEP_1) | instskip(SKIP_3) | instid1(VALU_DEP_3)
	v_add_nc_u32_e32 v25, s46, v25
	v_mov_b32_e32 v3, 0
	v_mov_b32_e32 v4, 0
	s_mov_b32 s11, exec_lo
	v_cmp_le_u32_e32 vcc_lo, s36, v25
	v_cmpx_gt_u32_e64 s36, v25
	s_cbranch_execz .LBB46_45
; %bb.47:                               ;   in Loop: Header=BB46_46 Depth=2
	v_mov_b32_e32 v3, v14
	s_delay_alu instid0(VALU_DEP_1) | instskip(NEXT) | instid1(VALU_DEP_1)
	v_lshlrev_b64 v[3:4], 3, v[2:3]
	v_add_co_u32 v3, s10, s33, v3
	s_delay_alu instid0(VALU_DEP_1)
	v_add_co_ci_u32_e64 v4, s10, s35, v4, s10
	global_load_b64 v[3:4], v[3:4], off
	s_branch .LBB46_45
.LBB46_48:                              ;   in Loop: Header=BB46_6 Depth=1
                                        ; implicit-def: $vgpr10
	s_cbranch_execnz .LBB46_51
	s_branch .LBB46_60
.LBB46_49:                              ;   in Loop: Header=BB46_6 Depth=1
	s_or_b32 exec_lo, exec_lo, s15
.LBB46_50:                              ;   in Loop: Header=BB46_6 Depth=1
	s_delay_alu instid0(SALU_CYCLE_1)
	s_or_b32 exec_lo, exec_lo, s14
	s_branch .LBB46_60
.LBB46_51:                              ;   in Loop: Header=BB46_6 Depth=1
	s_mul_hi_u32 s10, s83, s64
	v_dual_mov_b32 v7, 0 :: v_dual_mov_b32 v8, 0
	s_mul_i32 s10, s10, s55
	v_dual_mov_b32 v9, 0 :: v_dual_mov_b32 v10, 0
	s_sub_i32 s10, s83, s10
	s_mov_b32 s86, 0
	s_sub_i32 s11, s10, s55
	s_cmp_ge_u32 s10, s55
	s_mov_b32 s85, exec_lo
	s_cselect_b32 s10, s11, s10
	s_delay_alu instid0(SALU_CYCLE_1) | instskip(SKIP_2) | instid1(SALU_CYCLE_1)
	s_sub_i32 s11, s10, s55
	s_cmp_ge_u32 s10, s55
	s_cselect_b32 s10, s11, s10
	s_sub_i32 s84, s83, s10
	s_delay_alu instid0(SALU_CYCLE_1)
	v_cmpx_gt_u32_e64 s84, v29
	s_cbranch_execz .LBB46_55
; %bb.52:                               ;   in Loop: Header=BB46_6 Depth=1
	v_dual_mov_b32 v2, v38 :: v_dual_mov_b32 v3, v29
	s_and_b32 s87, s77, 0xfe
	s_mov_b32 s88, 0
	s_mov_b32 s89, 0
	;; [unrolled: 1-line block ×4, first 2 shown]
.LBB46_53:                              ;   Parent Loop BB46_6 Depth=1
                                        ; =>  This Inner Loop Header: Depth=2
	ds_load_b128 v[7:10], v2
	s_waitcnt vmcnt(0)
	ds_load_b128 v[23:26], v2 offset:16
	v_mov_b32_e32 v44, v14
	v_dual_mov_b32 v46, v14 :: v_dual_add_nc_u32 v3, s55, v3
	v_mov_b32_e32 v42, v14
	s_delay_alu instid0(VALU_DEP_2)
	v_cmp_le_u32_e32 vcc_lo, s84, v3
	s_waitcnt lgkmcnt(1)
	v_xor_b32_e32 v8, 0x80000000, v8
	v_xor_b32_e32 v10, 0x80000000, v10
	s_waitcnt lgkmcnt(0)
	v_xor_b32_e32 v24, 0x80000000, v24
	v_and_b32_e32 v47, v7, v19
	v_xor_b32_e32 v26, 0x80000000, v26
	v_and_b32_e32 v48, v8, v20
	v_lshrrev_b64 v[7:8], s87, v[7:8]
	v_and_b32_e32 v49, v9, v19
	v_lshrrev_b64 v[8:9], s87, v[9:10]
	;; [unrolled: 2-line block ×3, first 2 shown]
	v_and_b32_e32 v51, v23, v19
	v_and_b32_e32 v52, v24, v20
	v_lshrrev_b64 v[23:24], s87, v[25:26]
	v_and_b32_e32 v13, 3, v7
	v_and_b32_e32 v41, 3, v8
	;; [unrolled: 1-line block ×3, first 2 shown]
	v_cmp_eq_u64_e64 s10, v[47:48], v[21:22]
	v_and_b32_e32 v53, v25, v19
	v_cmp_eq_u64_e64 s14, 0, v[13:14]
	v_and_b32_e32 v54, v26, v20
	v_and_b32_e32 v45, 3, v23
	v_cmp_eq_u64_e64 s11, v[49:50], v[21:22]
	v_cmp_eq_u64_e64 s15, 0, v[41:42]
	;; [unrolled: 1-line block ×6, first 2 shown]
	s_and_b32 s14, s10, s14
	v_cmp_eq_u64_e64 s18, 1, v[13:14]
	v_cndmask_b32_e64 v4, 0, 1, s14
	s_and_b32 s14, s11, s15
	v_cmp_eq_u64_e64 s19, 1, v[41:42]
	v_cndmask_b32_e64 v7, 0, 1, s14
	;; [unrolled: 3-line block ×4, first 2 shown]
	s_and_b32 s14, s10, s18
	v_cmp_eq_u64_e64 s22, 2, v[13:14]
	v_cmp_eq_u64_e64 s26, 3, v[13:14]
	v_cndmask_b32_e64 v10, 0, 1, s14
	s_and_b32 s14, s11, s19
	v_cmp_eq_u64_e64 s23, 2, v[41:42]
	v_cmp_eq_u64_e64 s27, 3, v[41:42]
	v_cndmask_b32_e64 v13, 0, 1, s14
	;; [unrolled: 4-line block ×4, first 2 shown]
	s_and_b32 s14, s10, s22
	s_and_b32 s10, s10, s26
	v_cndmask_b32_e64 v25, 0, 1, s14
	s_and_b32 s14, s11, s23
	v_cndmask_b32_e64 v43, 0, 1, s10
	;; [unrolled: 2-line block ×7, first 2 shown]
	v_cndmask_b32_e64 v46, 0, 1, s10
	v_cmp_ne_u32_e64 s10, 0, v4
	v_cmp_ne_u32_e64 s14, 0, v10
	;; [unrolled: 1-line block ×12, first 2 shown]
	s_bcnt1_i32_b32 s10, s10
	s_bcnt1_i32_b32 s14, s14
	;; [unrolled: 1-line block ×4, first 2 shown]
	v_cmp_ne_u32_e64 s13, 0, v9
	v_cmp_ne_u32_e64 s17, 0, v24
	;; [unrolled: 1-line block ×4, first 2 shown]
	s_bcnt1_i32_b32 s11, s11
	s_bcnt1_i32_b32 s15, s15
	s_bcnt1_i32_b32 s19, s19
	s_bcnt1_i32_b32 s23, s23
	s_add_i32 s10, s10, s91
	s_add_i32 s14, s14, s90
	s_add_i32 s18, s18, s89
	s_add_i32 s22, s22, s88
	s_bcnt1_i32_b32 s12, s12
	s_bcnt1_i32_b32 s16, s16
	s_bcnt1_i32_b32 s20, s20
	s_bcnt1_i32_b32 s24, s24
	s_add_i32 s10, s10, s11
	s_add_i32 s11, s14, s15
	s_add_i32 s14, s18, s19
	s_add_i32 s15, s22, s23
	;; [unrolled: 8-line block ×3, first 2 shown]
	s_add_i32 s91, s10, s13
	s_add_i32 s90, s11, s17
	;; [unrolled: 1-line block ×4, first 2 shown]
	v_dual_mov_b32 v7, s91 :: v_dual_add_nc_u32 v2, s69, v2
	v_dual_mov_b32 v8, s90 :: v_dual_mov_b32 v9, s89
	v_mov_b32_e32 v10, s88
	s_or_b32 s86, vcc_lo, s86
	s_delay_alu instid0(SALU_CYCLE_1)
	s_and_not1_b32 exec_lo, exec_lo, s86
	s_cbranch_execnz .LBB46_53
; %bb.54:                               ;   in Loop: Header=BB46_6 Depth=1
	s_or_b32 exec_lo, exec_lo, s86
.LBB46_55:                              ;   in Loop: Header=BB46_6 Depth=1
	s_delay_alu instid0(SALU_CYCLE_1) | instskip(SKIP_2) | instid1(VALU_DEP_1)
	s_or_b32 exec_lo, exec_lo, s85
	v_add_nc_u32_e32 v2, s84, v0
	s_mov_b32 s15, exec_lo
	v_cmpx_gt_u32_e64 s83, v2
	s_cbranch_execz .LBB46_59
; %bb.56:                               ;   in Loop: Header=BB46_6 Depth=1
	v_lshlrev_b32_e32 v3, 3, v2
	s_and_b32 s17, s77, 0xfe
	s_mov_b32 s16, 0
.LBB46_57:                              ;   Parent Loop BB46_6 Depth=1
                                        ; =>  This Inner Loop Header: Depth=2
	s_waitcnt vmcnt(0)
	ds_load_b64 v[23:24], v3
	v_add_nc_u32_e32 v2, s46, v2
	v_add_nc_u32_e32 v3, s70, v3
	s_delay_alu instid0(VALU_DEP_2) | instskip(SKIP_3) | instid1(VALU_DEP_2)
	v_cmp_le_u32_e32 vcc_lo, s83, v2
	s_waitcnt lgkmcnt(0)
	v_xor_b32_e32 v24, 0x80000000, v24
	v_and_b32_e32 v25, v23, v19
	v_and_b32_e32 v26, v24, v20
	v_lshrrev_b64 v[23:24], s17, v[23:24]
	s_delay_alu instid0(VALU_DEP_2) | instskip(NEXT) | instid1(VALU_DEP_2)
	v_cmp_eq_u64_e64 s10, v[25:26], v[21:22]
	v_and_b32_e32 v13, 3, v23
	s_delay_alu instid0(VALU_DEP_1) | instskip(SKIP_3) | instid1(VALU_DEP_4)
	v_cmp_eq_u64_e64 s11, 0, v[13:14]
	v_cmp_eq_u64_e64 s12, 1, v[13:14]
	;; [unrolled: 1-line block ×4, first 2 shown]
	s_and_b32 s11, s10, s11
	s_delay_alu instid0(SALU_CYCLE_1) | instskip(NEXT) | instid1(VALU_DEP_4)
	v_cndmask_b32_e64 v4, 0, 1, s11
	s_and_b32 s11, s10, s12
	s_delay_alu instid0(SALU_CYCLE_1)
	v_cndmask_b32_e64 v13, 0, 1, s11
	s_and_b32 s11, s10, s13
	s_and_b32 s10, s10, s14
	v_cndmask_b32_e64 v23, 0, 1, s11
	v_cndmask_b32_e64 v24, 0, 1, s10
	v_cmp_ne_u32_e64 s10, 0, v4
	v_cmp_ne_u32_e64 s11, 0, v13
	s_delay_alu instid0(VALU_DEP_4) | instskip(NEXT) | instid1(VALU_DEP_4)
	v_cmp_ne_u32_e64 s12, 0, v23
	v_cmp_ne_u32_e64 s13, 0, v24
	s_delay_alu instid0(VALU_DEP_4) | instskip(NEXT) | instid1(VALU_DEP_3)
	s_bcnt1_i32_b32 s10, s10
	s_bcnt1_i32_b32 s11, s11
	v_add_nc_u32_e32 v7, s10, v7
	s_bcnt1_i32_b32 s12, s12
	s_bcnt1_i32_b32 s13, s13
	v_add_nc_u32_e32 v8, s11, v8
	v_add_nc_u32_e32 v9, s12, v9
	v_add_nc_u32_e32 v10, s13, v10
	s_or_b32 s16, vcc_lo, s16
	s_delay_alu instid0(SALU_CYCLE_1)
	s_and_not1_b32 exec_lo, exec_lo, s16
	s_cbranch_execnz .LBB46_57
; %bb.58:                               ;   in Loop: Header=BB46_6 Depth=1
	s_or_b32 exec_lo, exec_lo, s16
.LBB46_59:                              ;   in Loop: Header=BB46_6 Depth=1
	s_delay_alu instid0(SALU_CYCLE_1)
	s_or_b32 exec_lo, exec_lo, s15
.LBB46_60:                              ;   in Loop: Header=BB46_6 Depth=1
	s_lshl_b32 s10, s72, 7
	s_and_saveexec_b32 s11, s2
	s_cbranch_execz .LBB46_62
; %bb.61:                               ;   in Loop: Header=BB46_6 Depth=1
	v_or_b32_e32 v2, s10, v30
	s_delay_alu instid0(VALU_DEP_1)
	v_lshlrev_b32_e32 v2, 2, v2
	ds_store_b128 v2, v[7:10] offset:3072
.LBB46_62:                              ;   in Loop: Header=BB46_6 Depth=1
	s_or_b32 exec_lo, exec_lo, s11
	s_waitcnt vmcnt(0) lgkmcnt(0)
	s_barrier
	buffer_gl0_inv
	s_and_saveexec_b32 s11, s54
	s_cbranch_execz .LBB46_72
; %bb.63:                               ;   in Loop: Header=BB46_6 Depth=1
	v_mov_b32_e32 v2, 0
	s_and_not1_b32 vcc_lo, exec_lo, s58
	s_cbranch_vccnz .LBB46_71
; %bb.64:                               ;   in Loop: Header=BB46_6 Depth=1
	v_mov_b32_e32 v2, 0
	s_and_not1_b32 vcc_lo, exec_lo, s61
	s_mov_b32 s12, 0
	s_cbranch_vccnz .LBB46_68
; %bb.65:                               ;   in Loop: Header=BB46_6 Depth=1
	v_lshl_add_u32 v3, s72, 9, v39
	v_mov_b32_e32 v2, 0
	.p2align	6
.LBB46_66:                              ;   Parent Loop BB46_6 Depth=1
                                        ; =>  This Inner Loop Header: Depth=2
	ds_load_2addr_b32 v[7:8], v3 offset1:4
	ds_load_2addr_b32 v[9:10], v3 offset0:8 offset1:12
	ds_load_2addr_b32 v[23:24], v3 offset0:16 offset1:20
	;; [unrolled: 1-line block ×3, first 2 shown]
	v_add_nc_u32_e32 v3, 0x80, v3
	s_add_i32 s12, s12, 8
	s_delay_alu instid0(SALU_CYCLE_1) | instskip(SKIP_3) | instid1(VALU_DEP_1)
	s_cmp_eq_u32 s62, s12
	s_waitcnt lgkmcnt(3)
	v_add3_u32 v2, v7, v2, v8
	s_waitcnt lgkmcnt(2)
	v_add3_u32 v2, v9, v2, v10
	s_waitcnt lgkmcnt(1)
	s_delay_alu instid0(VALU_DEP_1) | instskip(SKIP_1) | instid1(VALU_DEP_1)
	v_add3_u32 v2, v23, v2, v24
	s_waitcnt lgkmcnt(0)
	v_add3_u32 v2, v25, v2, v26
	s_cbranch_scc0 .LBB46_66
; %bb.67:                               ;   in Loop: Header=BB46_6 Depth=1
	s_mov_b32 s12, s62
.LBB46_68:                              ;   in Loop: Header=BB46_6 Depth=1
	s_and_not1_b32 vcc_lo, exec_lo, s63
	s_cbranch_vccnz .LBB46_71
; %bb.69:                               ;   in Loop: Header=BB46_6 Depth=1
	s_lshl_b32 s13, s72, 9
	s_lshl_b32 s12, s12, 4
	s_delay_alu instid0(SALU_CYCLE_1)
	v_add3_u32 v3, s13, s12, v39
	s_mov_b32 s12, s60
.LBB46_70:                              ;   Parent Loop BB46_6 Depth=1
                                        ; =>  This Inner Loop Header: Depth=2
	ds_load_b32 v4, v3
	v_add_nc_u32_e32 v3, 16, v3
	s_add_i32 s12, s12, -1
	s_delay_alu instid0(SALU_CYCLE_1)
	s_cmp_lg_u32 s12, 0
	s_waitcnt lgkmcnt(0)
	v_add_nc_u32_e32 v2, v4, v2
	s_cbranch_scc1 .LBB46_70
.LBB46_71:                              ;   in Loop: Header=BB46_6 Depth=1
	v_add_lshl_u32 v3, s10, v28, 2
	ds_store_b32 v3, v2 offset:3072
.LBB46_72:                              ;   in Loop: Header=BB46_6 Depth=1
	s_or_b32 exec_lo, exec_lo, s11
	s_lshl_b32 s10, s10, 2
	s_waitcnt lgkmcnt(0)
	v_mov_b32_e32 v2, s10
	s_barrier
	buffer_gl0_inv
	s_and_b32 s19, s77, 0xfe
	v_cmp_eq_u32_e64 s10, 1, v40
	ds_load_b128 v[7:10], v2 offset:3072
	s_lshl_b64 s[12:13], 3, s19
	s_mov_b32 s22, 0
	s_and_not1_b32 vcc_lo, exec_lo, s56
	s_not_b64 s[14:15], s[12:13]
	s_waitcnt lgkmcnt(0)
	v_readfirstlane_b32 s16, v7
	v_readfirstlane_b32 s18, v8
	;; [unrolled: 1-line block ×4, first 2 shown]
	s_cbranch_vccnz .LBB46_85
; %bb.73:                               ;   in Loop: Header=BB46_6 Depth=1
	s_cmp_eq_u32 s16, 1
	v_dual_mov_b32 v24, v22 :: v_dual_mov_b32 v23, v21
	v_dual_mov_b32 v26, v20 :: v_dual_mov_b32 v25, v19
	;; [unrolled: 1-line block ×3, first 2 shown]
	s_cselect_b32 s11, -1, 0
	s_mov_b32 s28, -1
	s_and_b32 s27, s11, s10
                                        ; implicit-def: $sgpr17
                                        ; implicit-def: $sgpr24
                                        ; implicit-def: $sgpr23
	s_delay_alu instid0(SALU_CYCLE_1)
	s_and_saveexec_b32 s22, s27
	s_cbranch_execz .LBB46_104
; %bb.74:                               ;   in Loop: Header=BB46_6 Depth=1
	ds_load_b32 v2, v14 offset:4096
	s_waitcnt lgkmcnt(0)
	s_barrier
	buffer_gl0_inv
	v_readfirstlane_b32 s11, v2
	s_and_saveexec_b32 s17, s6
	s_cbranch_execz .LBB46_76
; %bb.75:                               ;   in Loop: Header=BB46_6 Depth=1
	v_mov_b32_e32 v13, v14
	ds_store_b64 v33, v[13:14]
.LBB46_76:                              ;   in Loop: Header=BB46_6 Depth=1
	s_or_b32 exec_lo, exec_lo, s17
	v_and_b32_e32 v24, s15, v22
	v_and_b32_e32 v23, s14, v21
	v_or_b32_e32 v26, s13, v20
	v_or_b32_e32 v25, s12, v19
	s_cmp_eq_u32 s11, 0
	s_waitcnt lgkmcnt(0)
	s_barrier
	buffer_gl0_inv
	s_cbranch_scc1 .LBB46_90
; %bb.77:                               ;   in Loop: Header=BB46_6 Depth=1
	s_add_i32 s17, s11, s59
	s_mov_b32 s25, 0
	s_mul_hi_u32 s23, s17, s66
                                        ; implicit-def: $vgpr9_vgpr10
	s_delay_alu instid0(SALU_CYCLE_1) | instskip(NEXT) | instid1(SALU_CYCLE_1)
	s_mul_i32 s23, s23, s46
	s_sub_i32 s23, s17, s23
	s_delay_alu instid0(SALU_CYCLE_1) | instskip(SKIP_2) | instid1(SALU_CYCLE_1)
	s_sub_i32 s24, s23, s46
	s_cmp_ge_u32 s23, s46
	s_cselect_b32 s23, s24, s23
	s_sub_i32 s24, s23, s46
	s_cmp_ge_u32 s23, s46
	s_cselect_b32 s23, s24, s23
	s_delay_alu instid0(SALU_CYCLE_1)
	s_sub_i32 s23, s17, s23
	s_mov_b32 s17, exec_lo
	v_cmpx_gt_u32_e64 s23, v0
	s_cbranch_execz .LBB46_92
; %bb.78:                               ;   in Loop: Header=BB46_6 Depth=1
	v_mov_b32_e32 v13, v32
	v_mov_b32_e32 v41, v0
                                        ; implicit-def: $sgpr24
	s_set_inst_prefetch_distance 0x1
	s_branch .LBB46_80
	.p2align	6
.LBB46_79:                              ;   in Loop: Header=BB46_80 Depth=2
	s_or_b32 exec_lo, exec_lo, s26
	s_waitcnt lgkmcnt(0)
	s_barrier
	buffer_gl0_inv
	ds_load_b128 v[7:10], v14 offset:3072
	v_add_nc_u32_e32 v41, s46, v41
	v_add_nc_u32_e32 v13, s70, v13
	s_waitcnt lgkmcnt(0)
	s_barrier
	buffer_gl0_inv
	v_cmp_le_u32_e32 vcc_lo, s23, v41
	v_readfirstlane_b32 s29, v8
	v_readfirstlane_b32 s28, v7
	s_delay_alu instid0(VALU_DEP_1) | instskip(SKIP_1) | instid1(SALU_CYCLE_1)
	s_cmp_lg_u64 s[28:29], 0
	s_cselect_b32 s26, -1, 0
	s_or_b32 s28, vcc_lo, s26
	s_delay_alu instid0(SALU_CYCLE_1) | instskip(NEXT) | instid1(SALU_CYCLE_1)
	s_and_b32 s28, exec_lo, s28
	s_or_b32 s25, s28, s25
	s_and_not1_b32 s24, s24, exec_lo
	s_and_b32 s26, s26, exec_lo
	s_delay_alu instid0(SALU_CYCLE_1)
	s_or_b32 s24, s24, s26
	s_and_not1_b32 exec_lo, exec_lo, s25
	s_cbranch_execz .LBB46_91
.LBB46_80:                              ;   Parent Loop BB46_6 Depth=1
                                        ; =>  This Inner Loop Header: Depth=2
	v_mov_b32_e32 v3, 0
	v_mov_b32_e32 v4, 0
	v_cmp_gt_u32_e32 vcc_lo, s11, v41
	s_and_saveexec_b32 s26, vcc_lo
	s_cbranch_execz .LBB46_82
; %bb.81:                               ;   in Loop: Header=BB46_80 Depth=2
	ds_load_b64 v[3:4], v13
.LBB46_82:                              ;   in Loop: Header=BB46_80 Depth=2
	s_or_b32 exec_lo, exec_lo, s26
	s_and_saveexec_b32 s26, vcc_lo
	s_cbranch_execz .LBB46_79
; %bb.83:                               ;   in Loop: Header=BB46_80 Depth=2
	s_waitcnt lgkmcnt(0)
	v_xor_b32_e32 v2, 0x80000000, v4
	v_and_b32_e32 v7, v3, v25
	s_delay_alu instid0(VALU_DEP_2) | instskip(NEXT) | instid1(VALU_DEP_1)
	v_and_b32_e32 v8, v2, v26
	v_cmp_eq_u64_e32 vcc_lo, v[7:8], v[23:24]
	s_and_b32 exec_lo, exec_lo, vcc_lo
	s_cbranch_execz .LBB46_79
; %bb.84:                               ;   in Loop: Header=BB46_80 Depth=2
	v_mov_b32_e32 v2, v14
	ds_store_b128 v14, v[1:4] offset:3072
	s_branch .LBB46_79
.LBB46_85:                              ;   in Loop: Header=BB46_6 Depth=1
	s_mov_b32 s11, 0
                                        ; implicit-def: $sgpr23
                                        ; implicit-def: $sgpr24
                                        ; implicit-def: $sgpr17
                                        ; implicit-def: $vgpr2
                                        ; implicit-def: $vgpr41
                                        ; implicit-def: $vgpr23_vgpr24
                                        ; implicit-def: $vgpr25_vgpr26
                                        ; implicit-def: $vgpr9_vgpr10
	s_cbranch_execnz .LBB46_240
.LBB46_86:                              ;   in Loop: Header=BB46_6 Depth=1
	s_mov_b32 s25, s17
	s_mov_b32 s26, s17
	s_and_saveexec_b32 s10, s22
	s_cbranch_execnz .LBB46_402
	s_branch .LBB46_403
.LBB46_87:                              ;   in Loop: Header=BB46_6 Depth=1
	s_or_b32 exec_lo, exec_lo, s12
	s_waitcnt vmcnt(0) lgkmcnt(0)
	s_barrier
	buffer_gl0_inv
	s_and_saveexec_b32 s10, s5
	s_cbranch_execz .LBB46_89
; %bb.88:                               ;   in Loop: Header=BB46_6 Depth=1
	ds_load_b32 v2, v14 offset:4104
	s_waitcnt lgkmcnt(0)
	ds_store_b32 v14, v2 offset:4096
.LBB46_89:                              ;   in Loop: Header=BB46_6 Depth=1
	s_or_b32 exec_lo, exec_lo, s10
	s_waitcnt lgkmcnt(0)
	s_mov_b32 s10, -1
	s_barrier
	s_and_b32 vcc_lo, exec_lo, s83
	s_cbranch_vccnz .LBB46_24
	s_branch .LBB46_34
.LBB46_90:                              ;   in Loop: Header=BB46_6 Depth=1
	s_mov_b32 s17, -1
	s_mov_b32 s25, 0
                                        ; implicit-def: $sgpr23
                                        ; implicit-def: $vgpr9_vgpr10
	s_mov_b32 s24, s17
	s_cbranch_execnz .LBB46_93
	s_branch .LBB46_103
.LBB46_91:                              ;   in Loop: Header=BB46_6 Depth=1
	s_set_inst_prefetch_distance 0x2
	s_or_b32 exec_lo, exec_lo, s25
	s_delay_alu instid0(SALU_CYCLE_1)
	s_and_b32 s25, s24, exec_lo
.LBB46_92:                              ;   in Loop: Header=BB46_6 Depth=1
	s_or_b32 exec_lo, exec_lo, s17
	s_mov_b32 s23, -1
	s_mov_b32 s17, 0
	s_delay_alu instid0(SALU_CYCLE_1)
	s_mov_b32 s24, s17
	s_branch .LBB46_103
.LBB46_93:                              ;   in Loop: Header=BB46_6 Depth=1
	s_mov_b32 s25, 0
                                        ; implicit-def: $vgpr9_vgpr10
	s_and_saveexec_b32 s17, s9
	s_cbranch_execz .LBB46_102
; %bb.94:                               ;   in Loop: Header=BB46_6 Depth=1
	v_mov_b32_e32 v13, v15
	v_mov_b32_e32 v41, v0
	s_mov_b32 s24, 0
                                        ; implicit-def: $sgpr23
	s_set_inst_prefetch_distance 0x1
	s_branch .LBB46_96
	.p2align	6
.LBB46_95:                              ;   in Loop: Header=BB46_96 Depth=2
	s_or_b32 exec_lo, exec_lo, s11
	s_waitcnt vmcnt(0) lgkmcnt(0)
	s_barrier
	buffer_gl0_inv
	ds_load_b128 v[7:10], v14 offset:3072
	v_add_nc_u32_e32 v41, s46, v41
	v_add_nc_u32_e32 v13, s48, v13
	s_waitcnt lgkmcnt(0)
	s_barrier
	buffer_gl0_inv
	v_cmp_le_u32_e32 vcc_lo, s67, v41
	v_readfirstlane_b32 s29, v8
	v_readfirstlane_b32 s28, v7
	s_delay_alu instid0(VALU_DEP_1) | instskip(SKIP_1) | instid1(SALU_CYCLE_1)
	s_cmp_lg_u64 s[28:29], 0
	s_cselect_b32 s11, -1, 0
	s_or_b32 s25, vcc_lo, s11
	s_delay_alu instid0(SALU_CYCLE_1) | instskip(NEXT) | instid1(SALU_CYCLE_1)
	s_and_b32 s25, exec_lo, s25
	s_or_b32 s24, s25, s24
	s_and_not1_b32 s23, s23, exec_lo
	s_and_b32 s11, s11, exec_lo
	s_delay_alu instid0(SALU_CYCLE_1)
	s_or_b32 s23, s23, s11
	s_and_not1_b32 exec_lo, exec_lo, s24
	s_cbranch_execz .LBB46_101
.LBB46_96:                              ;   Parent Loop BB46_6 Depth=1
                                        ; =>  This Inner Loop Header: Depth=2
	v_mov_b32_e32 v3, 0
	v_mov_b32_e32 v4, 0
	v_cmp_gt_u32_e32 vcc_lo, s36, v41
	s_and_saveexec_b32 s25, vcc_lo
	s_cbranch_execz .LBB46_98
; %bb.97:                               ;   in Loop: Header=BB46_96 Depth=2
	v_lshlrev_b64 v[2:3], 3, v[13:14]
	s_delay_alu instid0(VALU_DEP_1) | instskip(NEXT) | instid1(VALU_DEP_1)
	v_add_co_u32 v2, s11, s33, v2
	v_add_co_ci_u32_e64 v3, s11, s35, v3, s11
	global_load_b64 v[3:4], v[2:3], off
.LBB46_98:                              ;   in Loop: Header=BB46_96 Depth=2
	s_or_b32 exec_lo, exec_lo, s25
	s_and_saveexec_b32 s11, vcc_lo
	s_cbranch_execz .LBB46_95
; %bb.99:                               ;   in Loop: Header=BB46_96 Depth=2
	s_waitcnt vmcnt(0)
	v_xor_b32_e32 v2, 0x80000000, v4
	v_and_b32_e32 v7, v3, v25
	s_delay_alu instid0(VALU_DEP_2) | instskip(NEXT) | instid1(VALU_DEP_1)
	v_and_b32_e32 v8, v2, v26
	v_cmp_eq_u64_e32 vcc_lo, v[7:8], v[23:24]
	s_and_b32 exec_lo, exec_lo, vcc_lo
	s_cbranch_execz .LBB46_95
; %bb.100:                              ;   in Loop: Header=BB46_96 Depth=2
	v_mov_b32_e32 v2, v14
	ds_store_b128 v14, v[1:4] offset:3072
	s_branch .LBB46_95
.LBB46_101:                             ;   in Loop: Header=BB46_6 Depth=1
	s_set_inst_prefetch_distance 0x2
	s_or_b32 exec_lo, exec_lo, s24
	s_delay_alu instid0(SALU_CYCLE_1)
	s_and_b32 s25, s23, exec_lo
.LBB46_102:                             ;   in Loop: Header=BB46_6 Depth=1
	s_or_b32 exec_lo, exec_lo, s17
	s_mov_b32 s24, -1
	s_mov_b32 s17, 0
	s_mov_b32 s23, 0
.LBB46_103:                             ;   in Loop: Header=BB46_6 Depth=1
	s_or_not1_b32 s28, s25, exec_lo
.LBB46_104:                             ;   in Loop: Header=BB46_6 Depth=1
	s_or_b32 exec_lo, exec_lo, s22
	s_mov_b32 s25, 0
	s_mov_b32 s22, 0
	;; [unrolled: 1-line block ×3, first 2 shown]
                                        ; implicit-def: $vgpr2
                                        ; implicit-def: $vgpr41
	s_and_saveexec_b32 s26, s28
	s_cbranch_execz .LBB46_239
; %bb.105:                              ;   in Loop: Header=BB46_6 Depth=1
	v_dual_mov_b32 v41, 1 :: v_dual_mov_b32 v2, 1
	s_xor_b32 s27, s27, -1
	s_delay_alu instid0(SALU_CYCLE_1)
	s_and_saveexec_b32 s11, s27
	s_cbranch_execz .LBB46_115
; %bb.106:                              ;   in Loop: Header=BB46_6 Depth=1
	s_mov_b32 s27, exec_lo
                                        ; implicit-def: $sgpr28
                                        ; implicit-def: $sgpr22
	v_cmpx_ge_u32_e64 s16, v40
	s_xor_b32 s27, exec_lo, s27
	s_cbranch_execz .LBB46_112
; %bb.107:                              ;   in Loop: Header=BB46_6 Depth=1
	ds_load_b32 v2, v14 offset:4096
	s_waitcnt lgkmcnt(0)
	v_cmp_ne_u32_e32 vcc_lo, 0, v2
	s_cbranch_vccnz .LBB46_111
; %bb.108:                              ;   in Loop: Header=BB46_6 Depth=1
	s_and_saveexec_b32 s22, s5
	s_cbranch_execz .LBB46_110
; %bb.109:                              ;   in Loop: Header=BB46_6 Depth=1
	v_mov_b32_e32 v2, s16
	ds_store_b32 v14, v2 offset:4100
.LBB46_110:                             ;   in Loop: Header=BB46_6 Depth=1
	s_or_b32 exec_lo, exec_lo, s22
	s_waitcnt lgkmcnt(0)
	s_barrier
	buffer_gl0_inv
.LBB46_111:                             ;   in Loop: Header=BB46_6 Depth=1
	v_and_b32_e32 v24, s15, v24
	v_and_b32_e32 v23, s14, v23
	v_or_b32_e32 v26, s13, v26
	v_or_b32_e32 v25, s12, v25
	s_mov_b32 s22, 0
	s_mov_b32 s28, 8
.LBB46_112:                             ;   in Loop: Header=BB46_6 Depth=1
	s_or_saveexec_b32 s27, s27
	v_dual_mov_b32 v2, s28 :: v_dual_mov_b32 v41, v40
	s_xor_b32 exec_lo, exec_lo, s27
; %bb.113:                              ;   in Loop: Header=BB46_6 Depth=1
	v_subrev_nc_u32_e32 v41, s16, v40
	v_mov_b32_e32 v2, 0
	s_or_b32 s22, s22, exec_lo
; %bb.114:                              ;   in Loop: Header=BB46_6 Depth=1
	s_or_b32 exec_lo, exec_lo, s27
	s_delay_alu instid0(SALU_CYCLE_1)
	s_and_b32 s22, s22, exec_lo
.LBB46_115:                             ;   in Loop: Header=BB46_6 Depth=1
	s_or_b32 exec_lo, exec_lo, s11
	s_mov_b32 s11, -1
                                        ; implicit-def: $sgpr27
                                        ; implicit-def: $sgpr29
                                        ; implicit-def: $sgpr83
	s_and_saveexec_b32 s28, s22
	s_delay_alu instid0(SALU_CYCLE_1)
	s_xor_b32 s22, exec_lo, s28
	s_cbranch_execz .LBB46_236
; %bb.116:                              ;   in Loop: Header=BB46_6 Depth=1
	v_cmp_eq_u32_e32 vcc_lo, 1, v41
	s_cmp_eq_u32 s18, 1
                                        ; implicit-def: $sgpr27
                                        ; implicit-def: $sgpr29
                                        ; implicit-def: $sgpr28
	s_cselect_b32 s11, -1, 0
	s_delay_alu instid0(SALU_CYCLE_1)
	s_and_b32 s84, s11, vcc_lo
	s_mov_b32 s11, -1
	s_and_saveexec_b32 s83, s84
	s_cbranch_execz .LBB46_142
; %bb.117:                              ;   in Loop: Header=BB46_6 Depth=1
	ds_load_b32 v2, v14 offset:4096
	s_waitcnt lgkmcnt(0)
	s_barrier
	buffer_gl0_inv
	v_readfirstlane_b32 s11, v2
	s_and_saveexec_b32 s27, s6
	s_cbranch_execz .LBB46_119
; %bb.118:                              ;   in Loop: Header=BB46_6 Depth=1
	v_mov_b32_e32 v13, v14
	ds_store_b64 v33, v[13:14]
.LBB46_119:                             ;   in Loop: Header=BB46_6 Depth=1
	s_or_b32 exec_lo, exec_lo, s27
	v_and_b32_e32 v2, s15, v24
	v_and_b32_e32 v3, s14, v23
	s_lshl_b64 s[28:29], 1, s19
	v_or_b32_e32 v26, s13, v26
	v_or_b32_e32 v25, s12, v25
	;; [unrolled: 1-line block ×4, first 2 shown]
	s_cmp_eq_u32 s11, 0
	s_waitcnt lgkmcnt(0)
	s_barrier
	buffer_gl0_inv
	s_cbranch_scc1 .LBB46_128
; %bb.120:                              ;   in Loop: Header=BB46_6 Depth=1
	s_add_i32 s27, s11, s59
	s_mov_b32 s85, 0
	s_mul_hi_u32 s28, s27, s66
                                        ; implicit-def: $vgpr9_vgpr10
	s_delay_alu instid0(SALU_CYCLE_1) | instskip(NEXT) | instid1(SALU_CYCLE_1)
	s_mul_i32 s28, s28, s46
	s_sub_i32 s28, s27, s28
	s_delay_alu instid0(SALU_CYCLE_1) | instskip(SKIP_2) | instid1(SALU_CYCLE_1)
	s_sub_i32 s29, s28, s46
	s_cmp_ge_u32 s28, s46
	s_cselect_b32 s28, s29, s28
	s_sub_i32 s29, s28, s46
	s_cmp_ge_u32 s28, s46
	s_cselect_b32 s28, s29, s28
	s_delay_alu instid0(SALU_CYCLE_1)
	s_sub_i32 s28, s27, s28
	s_mov_b32 s27, exec_lo
	v_cmpx_gt_u32_e64 s28, v0
	s_cbranch_execz .LBB46_130
; %bb.121:                              ;   in Loop: Header=BB46_6 Depth=1
	v_mov_b32_e32 v13, v32
	v_mov_b32_e32 v42, v0
                                        ; implicit-def: $sgpr29
	s_set_inst_prefetch_distance 0x1
	s_branch .LBB46_123
	.p2align	6
.LBB46_122:                             ;   in Loop: Header=BB46_123 Depth=2
	s_or_b32 exec_lo, exec_lo, s86
	s_waitcnt lgkmcnt(0)
	s_barrier
	buffer_gl0_inv
	ds_load_b128 v[7:10], v14 offset:3072
	v_add_nc_u32_e32 v42, s46, v42
	v_add_nc_u32_e32 v13, s70, v13
	s_waitcnt lgkmcnt(0)
	s_barrier
	buffer_gl0_inv
	v_cmp_le_u32_e32 vcc_lo, s28, v42
	v_readfirstlane_b32 s87, v8
	v_readfirstlane_b32 s86, v7
	s_delay_alu instid0(VALU_DEP_1) | instskip(SKIP_1) | instid1(SALU_CYCLE_1)
	s_cmp_lg_u64 s[86:87], 0
	s_cselect_b32 s86, -1, 0
	s_or_b32 s87, vcc_lo, s86
	s_delay_alu instid0(SALU_CYCLE_1) | instskip(NEXT) | instid1(SALU_CYCLE_1)
	s_and_b32 s87, exec_lo, s87
	s_or_b32 s85, s87, s85
	s_and_not1_b32 s29, s29, exec_lo
	s_and_b32 s86, s86, exec_lo
	s_delay_alu instid0(SALU_CYCLE_1)
	s_or_b32 s29, s29, s86
	s_and_not1_b32 exec_lo, exec_lo, s85
	s_cbranch_execz .LBB46_129
.LBB46_123:                             ;   Parent Loop BB46_6 Depth=1
                                        ; =>  This Inner Loop Header: Depth=2
	v_mov_b32_e32 v3, 0
	v_mov_b32_e32 v4, 0
	v_cmp_gt_u32_e32 vcc_lo, s11, v42
	s_and_saveexec_b32 s86, vcc_lo
	s_cbranch_execz .LBB46_125
; %bb.124:                              ;   in Loop: Header=BB46_123 Depth=2
	ds_load_b64 v[3:4], v13
.LBB46_125:                             ;   in Loop: Header=BB46_123 Depth=2
	s_or_b32 exec_lo, exec_lo, s86
	s_and_saveexec_b32 s86, vcc_lo
	s_cbranch_execz .LBB46_122
; %bb.126:                              ;   in Loop: Header=BB46_123 Depth=2
	s_waitcnt lgkmcnt(0)
	v_xor_b32_e32 v2, 0x80000000, v4
	v_and_b32_e32 v7, v3, v25
	s_delay_alu instid0(VALU_DEP_2) | instskip(NEXT) | instid1(VALU_DEP_1)
	v_and_b32_e32 v8, v2, v26
	v_cmp_eq_u64_e32 vcc_lo, v[7:8], v[23:24]
	s_and_b32 exec_lo, exec_lo, vcc_lo
	s_cbranch_execz .LBB46_122
; %bb.127:                              ;   in Loop: Header=BB46_123 Depth=2
	v_mov_b32_e32 v2, v14
	ds_store_b128 v14, v[1:4] offset:3072
	s_branch .LBB46_122
.LBB46_128:                             ;   in Loop: Header=BB46_6 Depth=1
	s_mov_b32 s27, -1
	s_mov_b32 s85, 0
                                        ; implicit-def: $sgpr28
                                        ; implicit-def: $vgpr9_vgpr10
	s_mov_b32 s29, s27
	s_cbranch_execnz .LBB46_131
	s_branch .LBB46_141
.LBB46_129:                             ;   in Loop: Header=BB46_6 Depth=1
	s_set_inst_prefetch_distance 0x2
	s_or_b32 exec_lo, exec_lo, s85
	s_delay_alu instid0(SALU_CYCLE_1)
	s_and_b32 s85, s29, exec_lo
.LBB46_130:                             ;   in Loop: Header=BB46_6 Depth=1
	s_or_b32 exec_lo, exec_lo, s27
	s_mov_b32 s28, -1
	s_mov_b32 s27, 0
	s_delay_alu instid0(SALU_CYCLE_1)
	s_mov_b32 s29, s27
	s_branch .LBB46_141
.LBB46_131:                             ;   in Loop: Header=BB46_6 Depth=1
	s_mov_b32 s85, 0
                                        ; implicit-def: $vgpr9_vgpr10
	s_and_saveexec_b32 s27, s9
	s_cbranch_execz .LBB46_140
; %bb.132:                              ;   in Loop: Header=BB46_6 Depth=1
	v_dual_mov_b32 v13, v15 :: v_dual_mov_b32 v42, v0
	s_mov_b32 s29, 0
                                        ; implicit-def: $sgpr28
	s_set_inst_prefetch_distance 0x1
	s_branch .LBB46_134
	.p2align	6
.LBB46_133:                             ;   in Loop: Header=BB46_134 Depth=2
	s_or_b32 exec_lo, exec_lo, s11
	s_waitcnt vmcnt(0) lgkmcnt(0)
	s_barrier
	buffer_gl0_inv
	ds_load_b128 v[7:10], v14 offset:3072
	v_add_nc_u32_e32 v42, s46, v42
	v_add_nc_u32_e32 v13, s48, v13
	s_waitcnt lgkmcnt(0)
	s_barrier
	buffer_gl0_inv
	v_cmp_le_u32_e32 vcc_lo, s67, v42
	v_readfirstlane_b32 s87, v8
	v_readfirstlane_b32 s86, v7
	s_delay_alu instid0(VALU_DEP_1) | instskip(SKIP_1) | instid1(SALU_CYCLE_1)
	s_cmp_lg_u64 s[86:87], 0
	s_cselect_b32 s11, -1, 0
	s_or_b32 s85, vcc_lo, s11
	s_delay_alu instid0(SALU_CYCLE_1) | instskip(NEXT) | instid1(SALU_CYCLE_1)
	s_and_b32 s85, exec_lo, s85
	s_or_b32 s29, s85, s29
	s_and_not1_b32 s28, s28, exec_lo
	s_and_b32 s11, s11, exec_lo
	s_delay_alu instid0(SALU_CYCLE_1)
	s_or_b32 s28, s28, s11
	s_and_not1_b32 exec_lo, exec_lo, s29
	s_cbranch_execz .LBB46_139
.LBB46_134:                             ;   Parent Loop BB46_6 Depth=1
                                        ; =>  This Inner Loop Header: Depth=2
	v_mov_b32_e32 v3, 0
	v_mov_b32_e32 v4, 0
	v_cmp_gt_u32_e32 vcc_lo, s36, v42
	s_and_saveexec_b32 s85, vcc_lo
	s_cbranch_execz .LBB46_136
; %bb.135:                              ;   in Loop: Header=BB46_134 Depth=2
	v_lshlrev_b64 v[2:3], 3, v[13:14]
	s_delay_alu instid0(VALU_DEP_1) | instskip(NEXT) | instid1(VALU_DEP_1)
	v_add_co_u32 v2, s11, s33, v2
	v_add_co_ci_u32_e64 v3, s11, s35, v3, s11
	global_load_b64 v[3:4], v[2:3], off
.LBB46_136:                             ;   in Loop: Header=BB46_134 Depth=2
	s_or_b32 exec_lo, exec_lo, s85
	s_and_saveexec_b32 s11, vcc_lo
	s_cbranch_execz .LBB46_133
; %bb.137:                              ;   in Loop: Header=BB46_134 Depth=2
	s_waitcnt vmcnt(0)
	v_xor_b32_e32 v2, 0x80000000, v4
	v_and_b32_e32 v7, v3, v25
	s_delay_alu instid0(VALU_DEP_2) | instskip(NEXT) | instid1(VALU_DEP_1)
	v_and_b32_e32 v8, v2, v26
	v_cmp_eq_u64_e32 vcc_lo, v[7:8], v[23:24]
	s_and_b32 exec_lo, exec_lo, vcc_lo
	s_cbranch_execz .LBB46_133
; %bb.138:                              ;   in Loop: Header=BB46_134 Depth=2
	v_mov_b32_e32 v2, v14
	ds_store_b128 v14, v[1:4] offset:3072
	s_branch .LBB46_133
.LBB46_139:                             ;   in Loop: Header=BB46_6 Depth=1
	s_set_inst_prefetch_distance 0x2
	s_or_b32 exec_lo, exec_lo, s29
	s_delay_alu instid0(SALU_CYCLE_1)
	s_and_b32 s85, s28, exec_lo
.LBB46_140:                             ;   in Loop: Header=BB46_6 Depth=1
	s_or_b32 exec_lo, exec_lo, s27
	s_mov_b32 s29, -1
	s_mov_b32 s27, 0
	s_mov_b32 s28, 0
.LBB46_141:                             ;   in Loop: Header=BB46_6 Depth=1
	s_or_not1_b32 s11, s85, exec_lo
.LBB46_142:                             ;   in Loop: Header=BB46_6 Depth=1
	s_or_b32 exec_lo, exec_lo, s83
	s_mov_b32 s85, 0
                                        ; implicit-def: $vgpr2
	s_and_saveexec_b32 s83, s11
	s_cbranch_execz .LBB46_235
; %bb.143:                              ;   in Loop: Header=BB46_6 Depth=1
	v_mov_b32_e32 v42, 1
	v_mov_b32_e32 v2, 1
	s_xor_b32 s84, s84, -1
	s_mov_b32 s86, 0
	s_and_saveexec_b32 s11, s84
	s_cbranch_execz .LBB46_153
; %bb.144:                              ;   in Loop: Header=BB46_6 Depth=1
	s_mov_b32 s85, exec_lo
                                        ; implicit-def: $sgpr86
                                        ; implicit-def: $sgpr84
	v_cmpx_ge_u32_e64 s18, v41
	s_xor_b32 s85, exec_lo, s85
	s_cbranch_execz .LBB46_150
; %bb.145:                              ;   in Loop: Header=BB46_6 Depth=1
	ds_load_b32 v2, v14 offset:4096
	s_waitcnt lgkmcnt(0)
	v_cmp_ne_u32_e32 vcc_lo, 0, v2
	s_cbranch_vccnz .LBB46_149
; %bb.146:                              ;   in Loop: Header=BB46_6 Depth=1
	s_and_saveexec_b32 s84, s5
	s_cbranch_execz .LBB46_148
; %bb.147:                              ;   in Loop: Header=BB46_6 Depth=1
	v_mov_b32_e32 v2, s18
	ds_store_b32 v14, v2 offset:4100
.LBB46_148:                             ;   in Loop: Header=BB46_6 Depth=1
	s_or_b32 exec_lo, exec_lo, s84
	s_waitcnt lgkmcnt(0)
	s_barrier
	buffer_gl0_inv
.LBB46_149:                             ;   in Loop: Header=BB46_6 Depth=1
	v_and_b32_e32 v2, s15, v24
	v_and_b32_e32 v3, s14, v23
	s_lshl_b64 s[86:87], 1, s19
	v_or_b32_e32 v26, s13, v26
	v_or_b32_e32 v25, s12, v25
	;; [unrolled: 1-line block ×4, first 2 shown]
	s_mov_b32 s84, 0
	s_mov_b32 s86, 8
.LBB46_150:                             ;   in Loop: Header=BB46_6 Depth=1
	s_or_saveexec_b32 s85, s85
	v_mov_b32_e32 v2, s86
	s_xor_b32 exec_lo, exec_lo, s85
; %bb.151:                              ;   in Loop: Header=BB46_6 Depth=1
	v_subrev_nc_u32_e32 v41, s18, v41
	v_mov_b32_e32 v2, 0
	s_or_b32 s84, s84, exec_lo
; %bb.152:                              ;   in Loop: Header=BB46_6 Depth=1
	s_or_b32 exec_lo, exec_lo, s85
	s_delay_alu instid0(VALU_DEP_2)
	v_mov_b32_e32 v42, v41
	s_and_b32 s86, s84, exec_lo
.LBB46_153:                             ;   in Loop: Header=BB46_6 Depth=1
	s_or_b32 exec_lo, exec_lo, s11
	s_mov_b32 s11, -1
                                        ; implicit-def: $sgpr85
                                        ; implicit-def: $sgpr87
                                        ; implicit-def: $sgpr88
	s_and_saveexec_b32 s84, s86
	s_cbranch_execz .LBB46_234
; %bb.154:                              ;   in Loop: Header=BB46_6 Depth=1
	v_cmp_eq_u32_e32 vcc_lo, 1, v42
	s_cmp_eq_u32 s20, 1
                                        ; implicit-def: $sgpr85
                                        ; implicit-def: $sgpr87
                                        ; implicit-def: $sgpr86
	s_cselect_b32 s11, -1, 0
	s_delay_alu instid0(SALU_CYCLE_1)
	s_and_b32 s89, s11, vcc_lo
	s_mov_b32 s11, -1
	s_and_saveexec_b32 s88, s89
	s_cbranch_execz .LBB46_180
; %bb.155:                              ;   in Loop: Header=BB46_6 Depth=1
	ds_load_b32 v2, v14 offset:4096
	s_waitcnt lgkmcnt(0)
	s_barrier
	buffer_gl0_inv
	v_readfirstlane_b32 s11, v2
	s_and_saveexec_b32 s85, s6
	s_cbranch_execz .LBB46_157
; %bb.156:                              ;   in Loop: Header=BB46_6 Depth=1
	v_mov_b32_e32 v13, v14
	ds_store_b64 v33, v[13:14]
.LBB46_157:                             ;   in Loop: Header=BB46_6 Depth=1
	s_or_b32 exec_lo, exec_lo, s85
	v_and_b32_e32 v2, s15, v24
	v_and_b32_e32 v3, s14, v23
	s_lshl_b64 s[86:87], 2, s19
	v_or_b32_e32 v26, s13, v26
	v_or_b32_e32 v25, s12, v25
	;; [unrolled: 1-line block ×4, first 2 shown]
	s_cmp_eq_u32 s11, 0
	s_waitcnt lgkmcnt(0)
	s_barrier
	buffer_gl0_inv
	s_cbranch_scc1 .LBB46_166
; %bb.158:                              ;   in Loop: Header=BB46_6 Depth=1
	s_add_i32 s85, s11, s59
	s_mov_b32 s90, 0
	s_mul_hi_u32 s86, s85, s66
                                        ; implicit-def: $vgpr9_vgpr10
	s_delay_alu instid0(SALU_CYCLE_1) | instskip(NEXT) | instid1(SALU_CYCLE_1)
	s_mul_i32 s86, s86, s46
	s_sub_i32 s86, s85, s86
	s_delay_alu instid0(SALU_CYCLE_1) | instskip(SKIP_2) | instid1(SALU_CYCLE_1)
	s_sub_i32 s87, s86, s46
	s_cmp_ge_u32 s86, s46
	s_cselect_b32 s86, s87, s86
	s_sub_i32 s87, s86, s46
	s_cmp_ge_u32 s86, s46
	s_cselect_b32 s86, s87, s86
	s_delay_alu instid0(SALU_CYCLE_1)
	s_sub_i32 s86, s85, s86
	s_mov_b32 s85, exec_lo
	v_cmpx_gt_u32_e64 s86, v0
	s_cbranch_execz .LBB46_168
; %bb.159:                              ;   in Loop: Header=BB46_6 Depth=1
	v_mov_b32_e32 v13, v32
	v_mov_b32_e32 v41, v0
                                        ; implicit-def: $sgpr87
	s_set_inst_prefetch_distance 0x1
	s_branch .LBB46_161
	.p2align	6
.LBB46_160:                             ;   in Loop: Header=BB46_161 Depth=2
	s_or_b32 exec_lo, exec_lo, s91
	s_waitcnt lgkmcnt(0)
	s_barrier
	buffer_gl0_inv
	ds_load_b128 v[7:10], v14 offset:3072
	v_add_nc_u32_e32 v41, s46, v41
	v_add_nc_u32_e32 v13, s70, v13
	s_waitcnt lgkmcnt(0)
	s_barrier
	buffer_gl0_inv
	v_cmp_le_u32_e32 vcc_lo, s86, v41
	v_readfirstlane_b32 s93, v8
	v_readfirstlane_b32 s92, v7
	s_delay_alu instid0(VALU_DEP_1) | instskip(SKIP_1) | instid1(SALU_CYCLE_1)
	s_cmp_lg_u64 s[92:93], 0
	s_cselect_b32 s91, -1, 0
	s_or_b32 s92, vcc_lo, s91
	s_delay_alu instid0(SALU_CYCLE_1) | instskip(NEXT) | instid1(SALU_CYCLE_1)
	s_and_b32 s92, exec_lo, s92
	s_or_b32 s90, s92, s90
	s_and_not1_b32 s87, s87, exec_lo
	s_and_b32 s91, s91, exec_lo
	s_delay_alu instid0(SALU_CYCLE_1)
	s_or_b32 s87, s87, s91
	s_and_not1_b32 exec_lo, exec_lo, s90
	s_cbranch_execz .LBB46_167
.LBB46_161:                             ;   Parent Loop BB46_6 Depth=1
                                        ; =>  This Inner Loop Header: Depth=2
	v_mov_b32_e32 v3, 0
	v_mov_b32_e32 v4, 0
	v_cmp_gt_u32_e32 vcc_lo, s11, v41
	s_and_saveexec_b32 s91, vcc_lo
	s_cbranch_execz .LBB46_163
; %bb.162:                              ;   in Loop: Header=BB46_161 Depth=2
	ds_load_b64 v[3:4], v13
.LBB46_163:                             ;   in Loop: Header=BB46_161 Depth=2
	s_or_b32 exec_lo, exec_lo, s91
	s_and_saveexec_b32 s91, vcc_lo
	s_cbranch_execz .LBB46_160
; %bb.164:                              ;   in Loop: Header=BB46_161 Depth=2
	s_waitcnt lgkmcnt(0)
	v_xor_b32_e32 v2, 0x80000000, v4
	v_and_b32_e32 v7, v3, v25
	s_delay_alu instid0(VALU_DEP_2) | instskip(NEXT) | instid1(VALU_DEP_1)
	v_and_b32_e32 v8, v2, v26
	v_cmp_eq_u64_e32 vcc_lo, v[7:8], v[23:24]
	s_and_b32 exec_lo, exec_lo, vcc_lo
	s_cbranch_execz .LBB46_160
; %bb.165:                              ;   in Loop: Header=BB46_161 Depth=2
	v_mov_b32_e32 v2, v14
	ds_store_b128 v14, v[1:4] offset:3072
	s_branch .LBB46_160
.LBB46_166:                             ;   in Loop: Header=BB46_6 Depth=1
	s_mov_b32 s85, -1
	s_mov_b32 s90, 0
                                        ; implicit-def: $sgpr86
                                        ; implicit-def: $vgpr9_vgpr10
	s_mov_b32 s87, s85
	s_cbranch_execnz .LBB46_169
	s_branch .LBB46_179
.LBB46_167:                             ;   in Loop: Header=BB46_6 Depth=1
	s_set_inst_prefetch_distance 0x2
	s_or_b32 exec_lo, exec_lo, s90
	s_delay_alu instid0(SALU_CYCLE_1)
	s_and_b32 s90, s87, exec_lo
.LBB46_168:                             ;   in Loop: Header=BB46_6 Depth=1
	s_or_b32 exec_lo, exec_lo, s85
	s_mov_b32 s86, -1
	s_mov_b32 s85, 0
	s_delay_alu instid0(SALU_CYCLE_1)
	s_mov_b32 s87, s85
	s_branch .LBB46_179
.LBB46_169:                             ;   in Loop: Header=BB46_6 Depth=1
	s_mov_b32 s90, 0
                                        ; implicit-def: $vgpr9_vgpr10
	s_and_saveexec_b32 s85, s9
	s_cbranch_execz .LBB46_178
; %bb.170:                              ;   in Loop: Header=BB46_6 Depth=1
	v_mov_b32_e32 v13, v15
	v_mov_b32_e32 v41, v0
	s_mov_b32 s87, 0
                                        ; implicit-def: $sgpr86
	s_set_inst_prefetch_distance 0x1
	s_branch .LBB46_172
	.p2align	6
.LBB46_171:                             ;   in Loop: Header=BB46_172 Depth=2
	s_or_b32 exec_lo, exec_lo, s11
	s_waitcnt vmcnt(0) lgkmcnt(0)
	s_barrier
	buffer_gl0_inv
	ds_load_b128 v[7:10], v14 offset:3072
	v_add_nc_u32_e32 v41, s46, v41
	v_add_nc_u32_e32 v13, s48, v13
	s_waitcnt lgkmcnt(0)
	s_barrier
	buffer_gl0_inv
	v_cmp_le_u32_e32 vcc_lo, s67, v41
	v_readfirstlane_b32 s91, v8
	v_readfirstlane_b32 s90, v7
	s_delay_alu instid0(VALU_DEP_1) | instskip(SKIP_1) | instid1(SALU_CYCLE_1)
	s_cmp_lg_u64 s[90:91], 0
	s_cselect_b32 s11, -1, 0
	s_or_b32 s90, vcc_lo, s11
	s_delay_alu instid0(SALU_CYCLE_1) | instskip(NEXT) | instid1(SALU_CYCLE_1)
	s_and_b32 s90, exec_lo, s90
	s_or_b32 s87, s90, s87
	s_and_not1_b32 s86, s86, exec_lo
	s_and_b32 s11, s11, exec_lo
	s_delay_alu instid0(SALU_CYCLE_1)
	s_or_b32 s86, s86, s11
	s_and_not1_b32 exec_lo, exec_lo, s87
	s_cbranch_execz .LBB46_177
.LBB46_172:                             ;   Parent Loop BB46_6 Depth=1
                                        ; =>  This Inner Loop Header: Depth=2
	v_mov_b32_e32 v3, 0
	v_mov_b32_e32 v4, 0
	v_cmp_gt_u32_e32 vcc_lo, s36, v41
	s_and_saveexec_b32 s90, vcc_lo
	s_cbranch_execz .LBB46_174
; %bb.173:                              ;   in Loop: Header=BB46_172 Depth=2
	v_lshlrev_b64 v[2:3], 3, v[13:14]
	s_delay_alu instid0(VALU_DEP_1) | instskip(NEXT) | instid1(VALU_DEP_1)
	v_add_co_u32 v2, s11, s33, v2
	v_add_co_ci_u32_e64 v3, s11, s35, v3, s11
	global_load_b64 v[3:4], v[2:3], off
.LBB46_174:                             ;   in Loop: Header=BB46_172 Depth=2
	s_or_b32 exec_lo, exec_lo, s90
	s_and_saveexec_b32 s11, vcc_lo
	s_cbranch_execz .LBB46_171
; %bb.175:                              ;   in Loop: Header=BB46_172 Depth=2
	s_waitcnt vmcnt(0)
	v_xor_b32_e32 v2, 0x80000000, v4
	v_and_b32_e32 v7, v3, v25
	s_delay_alu instid0(VALU_DEP_2) | instskip(NEXT) | instid1(VALU_DEP_1)
	v_and_b32_e32 v8, v2, v26
	v_cmp_eq_u64_e32 vcc_lo, v[7:8], v[23:24]
	s_and_b32 exec_lo, exec_lo, vcc_lo
	s_cbranch_execz .LBB46_171
; %bb.176:                              ;   in Loop: Header=BB46_172 Depth=2
	v_mov_b32_e32 v2, v14
	ds_store_b128 v14, v[1:4] offset:3072
	s_branch .LBB46_171
.LBB46_177:                             ;   in Loop: Header=BB46_6 Depth=1
	s_set_inst_prefetch_distance 0x2
	s_or_b32 exec_lo, exec_lo, s87
	s_delay_alu instid0(SALU_CYCLE_1)
	s_and_b32 s90, s86, exec_lo
.LBB46_178:                             ;   in Loop: Header=BB46_6 Depth=1
	s_or_b32 exec_lo, exec_lo, s85
	s_mov_b32 s87, -1
	s_mov_b32 s85, 0
	s_mov_b32 s86, 0
.LBB46_179:                             ;   in Loop: Header=BB46_6 Depth=1
	s_or_not1_b32 s11, s90, exec_lo
.LBB46_180:                             ;   in Loop: Header=BB46_6 Depth=1
	s_or_b32 exec_lo, exec_lo, s88
	s_mov_b32 s90, 0
                                        ; implicit-def: $vgpr2
	s_and_saveexec_b32 s88, s11
	s_cbranch_execz .LBB46_233
; %bb.181:                              ;   in Loop: Header=BB46_6 Depth=1
	v_dual_mov_b32 v41, 1 :: v_dual_mov_b32 v2, 1
	s_xor_b32 s89, s89, -1
	s_mov_b32 s91, 0
	s_and_saveexec_b32 s11, s89
	s_cbranch_execz .LBB46_191
; %bb.182:                              ;   in Loop: Header=BB46_6 Depth=1
	s_mov_b32 s90, exec_lo
                                        ; implicit-def: $sgpr91
                                        ; implicit-def: $sgpr89
	v_cmpx_ge_u32_e64 s20, v42
	s_xor_b32 s90, exec_lo, s90
	s_cbranch_execz .LBB46_188
; %bb.183:                              ;   in Loop: Header=BB46_6 Depth=1
	ds_load_b32 v2, v14 offset:4096
	s_waitcnt lgkmcnt(0)
	v_cmp_ne_u32_e32 vcc_lo, 0, v2
	s_cbranch_vccnz .LBB46_187
; %bb.184:                              ;   in Loop: Header=BB46_6 Depth=1
	s_and_saveexec_b32 s89, s5
	s_cbranch_execz .LBB46_186
; %bb.185:                              ;   in Loop: Header=BB46_6 Depth=1
	v_mov_b32_e32 v2, s20
	ds_store_b32 v14, v2 offset:4100
.LBB46_186:                             ;   in Loop: Header=BB46_6 Depth=1
	s_or_b32 exec_lo, exec_lo, s89
	s_waitcnt lgkmcnt(0)
	s_barrier
	buffer_gl0_inv
.LBB46_187:                             ;   in Loop: Header=BB46_6 Depth=1
	v_and_b32_e32 v2, s15, v24
	v_and_b32_e32 v3, s14, v23
	s_lshl_b64 s[92:93], 2, s19
	v_or_b32_e32 v26, s13, v26
	v_or_b32_e32 v25, s12, v25
	;; [unrolled: 1-line block ×4, first 2 shown]
	s_mov_b32 s89, 0
	s_mov_b32 s91, 8
.LBB46_188:                             ;   in Loop: Header=BB46_6 Depth=1
	s_or_saveexec_b32 s90, s90
	v_mov_b32_e32 v2, s91
	s_xor_b32 exec_lo, exec_lo, s90
; %bb.189:                              ;   in Loop: Header=BB46_6 Depth=1
	v_subrev_nc_u32_e32 v42, s20, v42
	v_mov_b32_e32 v2, 0
	s_or_b32 s89, s89, exec_lo
; %bb.190:                              ;   in Loop: Header=BB46_6 Depth=1
	s_or_b32 exec_lo, exec_lo, s90
	s_delay_alu instid0(VALU_DEP_2)
	v_mov_b32_e32 v41, v42
	s_and_b32 s91, s89, exec_lo
.LBB46_191:                             ;   in Loop: Header=BB46_6 Depth=1
	s_or_b32 exec_lo, exec_lo, s11
	s_mov_b32 s90, -1
                                        ; implicit-def: $sgpr11
                                        ; implicit-def: $sgpr93
                                        ; implicit-def: $sgpr92
	s_and_saveexec_b32 s89, s91
	s_cbranch_execz .LBB46_232
; %bb.192:                              ;   in Loop: Header=BB46_6 Depth=1
	v_cmp_eq_u32_e32 vcc_lo, 1, v41
	s_cmp_eq_u32 s21, 1
	s_mov_b32 s94, -1
	s_cselect_b32 s11, -1, 0
                                        ; implicit-def: $sgpr93
                                        ; implicit-def: $sgpr92
	s_delay_alu instid0(SALU_CYCLE_1) | instskip(NEXT) | instid1(SALU_CYCLE_1)
	s_and_b32 s90, s11, vcc_lo
                                        ; implicit-def: $sgpr11
	s_and_saveexec_b32 s91, s90
	s_cbranch_execz .LBB46_219
; %bb.193:                              ;   in Loop: Header=BB46_6 Depth=1
	ds_load_b32 v2, v14 offset:4096
	s_waitcnt lgkmcnt(0)
	s_barrier
	buffer_gl0_inv
	v_readfirstlane_b32 s11, v2
	s_and_saveexec_b32 s92, s6
	s_cbranch_execz .LBB46_195
; %bb.194:                              ;   in Loop: Header=BB46_6 Depth=1
	v_mov_b32_e32 v13, v14
	ds_store_b64 v33, v[13:14]
.LBB46_195:                             ;   in Loop: Header=BB46_6 Depth=1
	s_or_b32 exec_lo, exec_lo, s92
	v_or_b32_e32 v24, s13, v24
	v_or_b32_e32 v23, s12, v23
	;; [unrolled: 1-line block ×4, first 2 shown]
	s_cmp_eq_u32 s11, 0
	s_waitcnt lgkmcnt(0)
	s_barrier
	buffer_gl0_inv
	s_cbranch_scc1 .LBB46_204
; %bb.196:                              ;   in Loop: Header=BB46_6 Depth=1
	s_add_i32 s92, s11, s59
                                        ; implicit-def: $vgpr9_vgpr10
	s_delay_alu instid0(SALU_CYCLE_1) | instskip(NEXT) | instid1(SALU_CYCLE_1)
	s_mul_hi_u32 s93, s92, s66
	s_mul_i32 s93, s93, s46
	s_delay_alu instid0(SALU_CYCLE_1) | instskip(NEXT) | instid1(SALU_CYCLE_1)
	s_sub_i32 s93, s92, s93
	s_sub_i32 s94, s93, s46
	s_cmp_ge_u32 s93, s46
	s_cselect_b32 s93, s94, s93
	s_delay_alu instid0(SALU_CYCLE_1)
	s_sub_i32 s94, s93, s46
	s_cmp_ge_u32 s93, s46
	s_cselect_b32 s93, s94, s93
	s_mov_b32 s94, 0
	s_sub_i32 s93, s92, s93
	s_mov_b32 s92, exec_lo
	v_cmpx_gt_u32_e64 s93, v0
	s_cbranch_execz .LBB46_206
; %bb.197:                              ;   in Loop: Header=BB46_6 Depth=1
	v_mov_b32_e32 v13, v32
	v_mov_b32_e32 v42, v0
	s_mov_b32 s95, 0
                                        ; implicit-def: $sgpr94
	s_set_inst_prefetch_distance 0x1
	s_branch .LBB46_199
	.p2align	6
.LBB46_198:                             ;   in Loop: Header=BB46_199 Depth=2
	s_or_b32 exec_lo, exec_lo, s96
	s_waitcnt lgkmcnt(0)
	s_barrier
	buffer_gl0_inv
	ds_load_b128 v[7:10], v14 offset:3072
	v_add_nc_u32_e32 v42, s46, v42
	v_add_nc_u32_e32 v13, s70, v13
	s_waitcnt lgkmcnt(0)
	s_barrier
	buffer_gl0_inv
	v_cmp_le_u32_e32 vcc_lo, s93, v42
	v_readfirstlane_b32 s97, v8
	v_readfirstlane_b32 s96, v7
	s_delay_alu instid0(VALU_DEP_1) | instskip(SKIP_1) | instid1(SALU_CYCLE_1)
	s_cmp_lg_u64 s[96:97], 0
	s_cselect_b32 s96, -1, 0
	s_or_b32 s97, vcc_lo, s96
	s_delay_alu instid0(SALU_CYCLE_1) | instskip(NEXT) | instid1(SALU_CYCLE_1)
	s_and_b32 s97, exec_lo, s97
	s_or_b32 s95, s97, s95
	s_and_not1_b32 s94, s94, exec_lo
	s_and_b32 s96, s96, exec_lo
	s_delay_alu instid0(SALU_CYCLE_1)
	s_or_b32 s94, s94, s96
	s_and_not1_b32 exec_lo, exec_lo, s95
	s_cbranch_execz .LBB46_205
.LBB46_199:                             ;   Parent Loop BB46_6 Depth=1
                                        ; =>  This Inner Loop Header: Depth=2
	v_mov_b32_e32 v3, 0
	v_mov_b32_e32 v4, 0
	v_cmp_gt_u32_e32 vcc_lo, s11, v42
	s_and_saveexec_b32 s96, vcc_lo
	s_cbranch_execz .LBB46_201
; %bb.200:                              ;   in Loop: Header=BB46_199 Depth=2
	ds_load_b64 v[3:4], v13
.LBB46_201:                             ;   in Loop: Header=BB46_199 Depth=2
	s_or_b32 exec_lo, exec_lo, s96
	s_and_saveexec_b32 s96, vcc_lo
	s_cbranch_execz .LBB46_198
; %bb.202:                              ;   in Loop: Header=BB46_199 Depth=2
	s_waitcnt lgkmcnt(0)
	v_xor_b32_e32 v2, 0x80000000, v4
	v_and_b32_e32 v7, v3, v25
	s_delay_alu instid0(VALU_DEP_2) | instskip(NEXT) | instid1(VALU_DEP_1)
	v_and_b32_e32 v8, v2, v26
	v_cmp_eq_u64_e32 vcc_lo, v[7:8], v[23:24]
	s_and_b32 exec_lo, exec_lo, vcc_lo
	s_cbranch_execz .LBB46_198
; %bb.203:                              ;   in Loop: Header=BB46_199 Depth=2
	v_mov_b32_e32 v2, v14
	ds_store_b128 v14, v[1:4] offset:3072
	s_branch .LBB46_198
.LBB46_204:                             ;   in Loop: Header=BB46_6 Depth=1
	s_mov_b32 s11, -1
	s_mov_b32 s94, 0
                                        ; implicit-def: $sgpr92
                                        ; implicit-def: $vgpr9_vgpr10
	s_branch .LBB46_207
.LBB46_205:                             ;   in Loop: Header=BB46_6 Depth=1
	s_set_inst_prefetch_distance 0x2
	s_or_b32 exec_lo, exec_lo, s95
	s_delay_alu instid0(SALU_CYCLE_1)
	s_and_b32 s94, s94, exec_lo
.LBB46_206:                             ;   in Loop: Header=BB46_6 Depth=1
	s_or_b32 exec_lo, exec_lo, s92
	s_mov_b32 s92, -1
	s_mov_b32 s11, 0
.LBB46_207:                             ;   in Loop: Header=BB46_6 Depth=1
	s_delay_alu instid0(SALU_CYCLE_1)
	s_and_b32 vcc_lo, exec_lo, s11
	s_mov_b32 s93, s11
	s_cbranch_vccz .LBB46_218
; %bb.208:                              ;   in Loop: Header=BB46_6 Depth=1
	s_mov_b32 s94, 0
                                        ; implicit-def: $vgpr9_vgpr10
	s_and_saveexec_b32 s92, s9
	s_cbranch_execz .LBB46_217
; %bb.209:                              ;   in Loop: Header=BB46_6 Depth=1
	v_dual_mov_b32 v13, v15 :: v_dual_mov_b32 v42, v0
                                        ; implicit-def: $sgpr93
	s_set_inst_prefetch_distance 0x1
	s_branch .LBB46_211
	.p2align	6
.LBB46_210:                             ;   in Loop: Header=BB46_211 Depth=2
	s_or_b32 exec_lo, exec_lo, s11
	s_waitcnt vmcnt(0) lgkmcnt(0)
	s_barrier
	buffer_gl0_inv
	ds_load_b128 v[7:10], v14 offset:3072
	v_add_nc_u32_e32 v42, s46, v42
	v_add_nc_u32_e32 v13, s48, v13
	s_waitcnt lgkmcnt(0)
	s_barrier
	buffer_gl0_inv
	v_cmp_le_u32_e32 vcc_lo, s67, v42
	v_readfirstlane_b32 s97, v8
	v_readfirstlane_b32 s96, v7
	s_delay_alu instid0(VALU_DEP_1) | instskip(SKIP_1) | instid1(SALU_CYCLE_1)
	s_cmp_lg_u64 s[96:97], 0
	s_cselect_b32 s11, -1, 0
	s_or_b32 s95, vcc_lo, s11
	s_delay_alu instid0(SALU_CYCLE_1) | instskip(NEXT) | instid1(SALU_CYCLE_1)
	s_and_b32 s95, exec_lo, s95
	s_or_b32 s94, s95, s94
	s_and_not1_b32 s93, s93, exec_lo
	s_and_b32 s11, s11, exec_lo
	s_delay_alu instid0(SALU_CYCLE_1)
	s_or_b32 s93, s93, s11
	s_and_not1_b32 exec_lo, exec_lo, s94
	s_cbranch_execz .LBB46_216
.LBB46_211:                             ;   Parent Loop BB46_6 Depth=1
                                        ; =>  This Inner Loop Header: Depth=2
	v_mov_b32_e32 v3, 0
	v_mov_b32_e32 v4, 0
	v_cmp_gt_u32_e32 vcc_lo, s36, v42
	s_and_saveexec_b32 s95, vcc_lo
	s_cbranch_execz .LBB46_213
; %bb.212:                              ;   in Loop: Header=BB46_211 Depth=2
	v_lshlrev_b64 v[2:3], 3, v[13:14]
	s_delay_alu instid0(VALU_DEP_1) | instskip(NEXT) | instid1(VALU_DEP_1)
	v_add_co_u32 v2, s11, s33, v2
	v_add_co_ci_u32_e64 v3, s11, s35, v3, s11
	global_load_b64 v[3:4], v[2:3], off
.LBB46_213:                             ;   in Loop: Header=BB46_211 Depth=2
	s_or_b32 exec_lo, exec_lo, s95
	s_and_saveexec_b32 s11, vcc_lo
	s_cbranch_execz .LBB46_210
; %bb.214:                              ;   in Loop: Header=BB46_211 Depth=2
	s_waitcnt vmcnt(0)
	v_xor_b32_e32 v2, 0x80000000, v4
	v_and_b32_e32 v7, v3, v25
	s_delay_alu instid0(VALU_DEP_2) | instskip(NEXT) | instid1(VALU_DEP_1)
	v_and_b32_e32 v8, v2, v26
	v_cmp_eq_u64_e32 vcc_lo, v[7:8], v[23:24]
	s_and_b32 exec_lo, exec_lo, vcc_lo
	s_cbranch_execz .LBB46_210
; %bb.215:                              ;   in Loop: Header=BB46_211 Depth=2
	v_mov_b32_e32 v2, v14
	ds_store_b128 v14, v[1:4] offset:3072
	s_branch .LBB46_210
.LBB46_216:                             ;   in Loop: Header=BB46_6 Depth=1
	s_set_inst_prefetch_distance 0x2
	s_or_b32 exec_lo, exec_lo, s94
	s_delay_alu instid0(SALU_CYCLE_1)
	s_and_b32 s94, s93, exec_lo
.LBB46_217:                             ;   in Loop: Header=BB46_6 Depth=1
	s_or_b32 exec_lo, exec_lo, s92
	s_mov_b32 s93, -1
	s_mov_b32 s11, 0
	s_mov_b32 s92, 0
.LBB46_218:                             ;   in Loop: Header=BB46_6 Depth=1
	s_or_not1_b32 s94, s94, exec_lo
.LBB46_219:                             ;   in Loop: Header=BB46_6 Depth=1
	s_or_b32 exec_lo, exec_lo, s91
	s_mov_b32 s95, 0
                                        ; implicit-def: $vgpr2
                                        ; implicit-def: $vgpr3
	s_and_saveexec_b32 s91, s94
	s_cbranch_execz .LBB46_231
; %bb.220:                              ;   in Loop: Header=BB46_6 Depth=1
	v_dual_mov_b32 v2, 1 :: v_dual_mov_b32 v3, 1
	s_xor_b32 s94, s90, -1
	s_delay_alu instid0(SALU_CYCLE_1)
	s_and_saveexec_b32 s90, s94
	s_cbranch_execz .LBB46_230
; %bb.221:                              ;   in Loop: Header=BB46_6 Depth=1
	s_mov_b32 s94, exec_lo
                                        ; implicit-def: $sgpr95
	v_cmpx_ge_u32_e64 s21, v41
	s_xor_b32 s94, exec_lo, s94
	s_cbranch_execz .LBB46_227
; %bb.222:                              ;   in Loop: Header=BB46_6 Depth=1
	ds_load_b32 v2, v14 offset:4096
	s_waitcnt lgkmcnt(0)
	v_cmp_ne_u32_e32 vcc_lo, 0, v2
	s_cbranch_vccnz .LBB46_226
; %bb.223:                              ;   in Loop: Header=BB46_6 Depth=1
	s_and_saveexec_b32 s95, s5
	s_cbranch_execz .LBB46_225
; %bb.224:                              ;   in Loop: Header=BB46_6 Depth=1
	v_mov_b32_e32 v2, s21
	ds_store_b32 v14, v2 offset:4100
.LBB46_225:                             ;   in Loop: Header=BB46_6 Depth=1
	s_or_b32 exec_lo, exec_lo, s95
	s_waitcnt lgkmcnt(0)
	s_barrier
	buffer_gl0_inv
.LBB46_226:                             ;   in Loop: Header=BB46_6 Depth=1
	v_or_b32_e32 v24, s13, v24
	v_or_b32_e32 v23, s12, v23
	v_or_b32_e32 v26, s13, v26
	v_or_b32_e32 v25, s12, v25
	s_mov_b32 s95, 8
.LBB46_227:                             ;   in Loop: Header=BB46_6 Depth=1
	s_or_saveexec_b32 s94, s94
	v_mov_b32_e32 v2, s95
	s_xor_b32 exec_lo, exec_lo, s94
; %bb.228:                              ;   in Loop: Header=BB46_6 Depth=1
	v_subrev_nc_u32_e32 v41, s21, v41
	v_mov_b32_e32 v2, 8
; %bb.229:                              ;   in Loop: Header=BB46_6 Depth=1
	s_or_b32 exec_lo, exec_lo, s94
	s_delay_alu instid0(VALU_DEP_2)
	v_mov_b32_e32 v3, v41
.LBB46_230:                             ;   in Loop: Header=BB46_6 Depth=1
	s_or_b32 exec_lo, exec_lo, s90
	s_delay_alu instid0(SALU_CYCLE_1)
	s_mov_b32 s95, exec_lo
.LBB46_231:                             ;   in Loop: Header=BB46_6 Depth=1
	s_or_b32 exec_lo, exec_lo, s91
	s_delay_alu instid0(VALU_DEP_1)
	v_mov_b32_e32 v41, v3
	s_or_not1_b32 s90, s95, exec_lo
.LBB46_232:                             ;   in Loop: Header=BB46_6 Depth=1
	s_or_b32 exec_lo, exec_lo, s89
	s_delay_alu instid0(SALU_CYCLE_1)
	s_and_not1_b32 s85, s85, exec_lo
	s_and_b32 s11, s11, exec_lo
	v_mov_b32_e32 v42, v41
	s_or_b32 s85, s85, s11
	s_and_not1_b32 s11, s87, exec_lo
	s_and_b32 s87, s93, exec_lo
	s_and_not1_b32 s86, s86, exec_lo
	s_and_b32 s89, s92, exec_lo
	s_or_b32 s87, s11, s87
	s_or_b32 s86, s86, s89
	s_and_b32 s90, s90, exec_lo
.LBB46_233:                             ;   in Loop: Header=BB46_6 Depth=1
	s_or_b32 exec_lo, exec_lo, s88
	s_delay_alu instid0(SALU_CYCLE_1)
	s_and_b32 s88, s85, exec_lo
	s_and_b32 s87, s87, exec_lo
	;; [unrolled: 1-line block ×3, first 2 shown]
	s_or_not1_b32 s11, s90, exec_lo
.LBB46_234:                             ;   in Loop: Header=BB46_6 Depth=1
	s_or_b32 exec_lo, exec_lo, s84
	s_delay_alu instid0(SALU_CYCLE_1)
	s_and_not1_b32 s27, s27, exec_lo
	s_and_b32 s84, s88, exec_lo
	v_mov_b32_e32 v41, v42
	s_or_b32 s27, s27, s84
	s_and_not1_b32 s29, s29, exec_lo
	s_and_b32 s84, s87, exec_lo
	s_and_not1_b32 s28, s28, exec_lo
	s_and_b32 s85, s85, exec_lo
	s_or_b32 s29, s29, s84
	s_or_b32 s28, s28, s85
	s_and_b32 s85, s11, exec_lo
.LBB46_235:                             ;   in Loop: Header=BB46_6 Depth=1
	s_or_b32 exec_lo, exec_lo, s83
	s_delay_alu instid0(SALU_CYCLE_1)
	s_and_b32 s83, s27, exec_lo
	s_and_b32 s29, s29, exec_lo
	;; [unrolled: 1-line block ×3, first 2 shown]
	s_or_not1_b32 s11, s85, exec_lo
.LBB46_236:                             ;   in Loop: Header=BB46_6 Depth=1
	s_or_b32 exec_lo, exec_lo, s22
	s_mov_b32 s22, 0
	s_mov_b32 s28, 0
	s_and_saveexec_b32 s84, s11
	s_delay_alu instid0(SALU_CYCLE_1)
	s_xor_b32 s84, exec_lo, s84
; %bb.237:                              ;   in Loop: Header=BB46_6 Depth=1
	v_cmp_ne_u32_e32 vcc_lo, 8, v2
	v_cmp_eq_u32_e64 s11, 8, v2
	s_and_not1_b32 s83, s83, exec_lo
	s_and_not1_b32 s29, s29, exec_lo
	;; [unrolled: 1-line block ×3, first 2 shown]
	s_and_b32 s28, vcc_lo, exec_lo
	s_and_b32 s22, s11, exec_lo
; %bb.238:                              ;   in Loop: Header=BB46_6 Depth=1
	s_or_b32 exec_lo, exec_lo, s84
	s_delay_alu instid0(SALU_CYCLE_1)
	s_and_not1_b32 s11, s17, exec_lo
	s_and_b32 s17, s83, exec_lo
	s_and_not1_b32 s23, s23, exec_lo
	s_or_b32 s17, s11, s17
	s_and_not1_b32 s11, s24, exec_lo
	s_and_b32 s24, s29, exec_lo
	s_and_b32 s27, s27, exec_lo
	s_or_b32 s24, s11, s24
	s_or_b32 s23, s23, s27
	s_and_b32 s11, s28, exec_lo
	s_and_b32 s22, s22, exec_lo
.LBB46_239:                             ;   in Loop: Header=BB46_6 Depth=1
	s_or_b32 exec_lo, exec_lo, s26
	s_delay_alu instid0(SALU_CYCLE_1)
	s_and_b32 vcc_lo, exec_lo, s25
	s_cbranch_vccz .LBB46_86
.LBB46_240:                             ;   in Loop: Header=BB46_6 Depth=1
	s_delay_alu instid0(VALU_DEP_1) | instskip(SKIP_1) | instid1(SALU_CYCLE_1)
	s_cmp_eq_u32 s21, 1
                                        ; implicit-def: $sgpr25
                                        ; implicit-def: $sgpr26
	s_cselect_b32 s17, -1, 0
	s_and_b32 s24, s17, s10
	s_mov_b32 s10, -1
                                        ; implicit-def: $sgpr17
	s_and_saveexec_b32 s23, s24
	s_cbranch_execz .LBB46_266
; %bb.241:                              ;   in Loop: Header=BB46_6 Depth=1
	ds_load_b32 v2, v14 offset:4096
	s_waitcnt lgkmcnt(0)
	s_barrier
	buffer_gl0_inv
	v_readfirstlane_b32 s10, v2
	s_and_saveexec_b32 s17, s6
	s_cbranch_execz .LBB46_243
; %bb.242:                              ;   in Loop: Header=BB46_6 Depth=1
	v_mov_b32_e32 v13, v14
	ds_store_b64 v33, v[13:14]
.LBB46_243:                             ;   in Loop: Header=BB46_6 Depth=1
	s_or_b32 exec_lo, exec_lo, s17
	v_or_b32_e32 v22, s13, v22
	v_or_b32_e32 v21, s12, v21
	v_or_b32_e32 v20, s13, v20
	v_or_b32_e32 v19, s12, v19
	s_cmp_eq_u32 s10, 0
	s_waitcnt lgkmcnt(0)
	s_barrier
	buffer_gl0_inv
	s_cbranch_scc1 .LBB46_252
; %bb.244:                              ;   in Loop: Header=BB46_6 Depth=1
	s_add_i32 s17, s10, s59
	s_mov_b32 s27, 0
	s_mul_hi_u32 s25, s17, s66
                                        ; implicit-def: $vgpr5_vgpr6
	s_delay_alu instid0(SALU_CYCLE_1) | instskip(NEXT) | instid1(SALU_CYCLE_1)
	s_mul_i32 s25, s25, s46
	s_sub_i32 s25, s17, s25
	s_delay_alu instid0(SALU_CYCLE_1) | instskip(SKIP_2) | instid1(SALU_CYCLE_1)
	s_sub_i32 s26, s25, s46
	s_cmp_ge_u32 s25, s46
	s_cselect_b32 s25, s26, s25
	s_sub_i32 s26, s25, s46
	s_cmp_ge_u32 s25, s46
	s_cselect_b32 s25, s26, s25
	s_delay_alu instid0(SALU_CYCLE_1)
	s_sub_i32 s25, s17, s25
	s_mov_b32 s17, exec_lo
	v_cmpx_gt_u32_e64 s25, v0
	s_cbranch_execz .LBB46_254
; %bb.245:                              ;   in Loop: Header=BB46_6 Depth=1
	v_mov_b32_e32 v7, v32
	v_mov_b32_e32 v8, v0
                                        ; implicit-def: $sgpr26
	s_set_inst_prefetch_distance 0x1
	s_branch .LBB46_247
	.p2align	6
.LBB46_246:                             ;   in Loop: Header=BB46_247 Depth=2
	s_or_b32 exec_lo, exec_lo, s28
	s_waitcnt lgkmcnt(0)
	s_barrier
	buffer_gl0_inv
	ds_load_b128 v[3:6], v14 offset:3072
	v_add_nc_u32_e32 v8, s46, v8
	v_add_nc_u32_e32 v7, s70, v7
	s_waitcnt lgkmcnt(0)
	s_barrier
	buffer_gl0_inv
	v_cmp_le_u32_e32 vcc_lo, s25, v8
	v_readfirstlane_b32 s29, v4
	v_readfirstlane_b32 s28, v3
	s_delay_alu instid0(VALU_DEP_1) | instskip(SKIP_1) | instid1(SALU_CYCLE_1)
	s_cmp_lg_u64 s[28:29], 0
	s_cselect_b32 s28, -1, 0
	s_or_b32 s29, vcc_lo, s28
	s_delay_alu instid0(SALU_CYCLE_1) | instskip(NEXT) | instid1(SALU_CYCLE_1)
	s_and_b32 s29, exec_lo, s29
	s_or_b32 s27, s29, s27
	s_and_not1_b32 s26, s26, exec_lo
	s_and_b32 s28, s28, exec_lo
	s_delay_alu instid0(SALU_CYCLE_1)
	s_or_b32 s26, s26, s28
	s_and_not1_b32 exec_lo, exec_lo, s27
	s_cbranch_execz .LBB46_253
.LBB46_247:                             ;   Parent Loop BB46_6 Depth=1
                                        ; =>  This Inner Loop Header: Depth=2
	v_mov_b32_e32 v3, 0
	v_mov_b32_e32 v4, 0
	v_cmp_gt_u32_e32 vcc_lo, s10, v8
	s_and_saveexec_b32 s28, vcc_lo
	s_cbranch_execz .LBB46_249
; %bb.248:                              ;   in Loop: Header=BB46_247 Depth=2
	ds_load_b64 v[3:4], v7
.LBB46_249:                             ;   in Loop: Header=BB46_247 Depth=2
	s_or_b32 exec_lo, exec_lo, s28
	s_and_saveexec_b32 s28, vcc_lo
	s_cbranch_execz .LBB46_246
; %bb.250:                              ;   in Loop: Header=BB46_247 Depth=2
	s_waitcnt lgkmcnt(0)
	v_xor_b32_e32 v2, 0x80000000, v4
	v_and_b32_e32 v5, v3, v19
	s_delay_alu instid0(VALU_DEP_2) | instskip(NEXT) | instid1(VALU_DEP_1)
	v_and_b32_e32 v6, v2, v20
	v_cmp_eq_u64_e32 vcc_lo, v[5:6], v[21:22]
	s_and_b32 exec_lo, exec_lo, vcc_lo
	s_cbranch_execz .LBB46_246
; %bb.251:                              ;   in Loop: Header=BB46_247 Depth=2
	v_mov_b32_e32 v2, v14
	ds_store_b128 v14, v[1:4] offset:3072
	s_branch .LBB46_246
.LBB46_252:                             ;   in Loop: Header=BB46_6 Depth=1
	s_mov_b32 s25, -1
	s_mov_b32 s27, 0
                                        ; implicit-def: $sgpr26
                                        ; implicit-def: $vgpr5_vgpr6
	s_mov_b32 s17, s25
	s_cbranch_execnz .LBB46_255
	s_branch .LBB46_265
.LBB46_253:                             ;   in Loop: Header=BB46_6 Depth=1
	s_set_inst_prefetch_distance 0x2
	s_or_b32 exec_lo, exec_lo, s27
	s_delay_alu instid0(SALU_CYCLE_1)
	s_and_b32 s27, s26, exec_lo
.LBB46_254:                             ;   in Loop: Header=BB46_6 Depth=1
	s_or_b32 exec_lo, exec_lo, s17
	s_mov_b32 s25, 0
	s_mov_b32 s26, -1
	s_mov_b32 s17, s25
	s_branch .LBB46_265
.LBB46_255:                             ;   in Loop: Header=BB46_6 Depth=1
	s_mov_b32 s27, 0
                                        ; implicit-def: $vgpr5_vgpr6
	s_and_saveexec_b32 s17, s9
	s_cbranch_execz .LBB46_264
; %bb.256:                              ;   in Loop: Header=BB46_6 Depth=1
	v_mov_b32_e32 v13, v15
	v_mov_b32_e32 v7, v0
	s_mov_b32 s26, 0
                                        ; implicit-def: $sgpr25
	s_set_inst_prefetch_distance 0x1
	s_branch .LBB46_258
	.p2align	6
.LBB46_257:                             ;   in Loop: Header=BB46_258 Depth=2
	s_or_b32 exec_lo, exec_lo, s10
	s_waitcnt vmcnt(0) lgkmcnt(0)
	s_barrier
	buffer_gl0_inv
	ds_load_b128 v[3:6], v14 offset:3072
	v_add_nc_u32_e32 v7, s46, v7
	v_add_nc_u32_e32 v13, s48, v13
	s_waitcnt lgkmcnt(0)
	s_barrier
	buffer_gl0_inv
	v_cmp_le_u32_e32 vcc_lo, s67, v7
	v_readfirstlane_b32 s29, v4
	v_readfirstlane_b32 s28, v3
	s_delay_alu instid0(VALU_DEP_1) | instskip(SKIP_1) | instid1(SALU_CYCLE_1)
	s_cmp_lg_u64 s[28:29], 0
	s_cselect_b32 s10, -1, 0
	s_or_b32 s27, vcc_lo, s10
	s_delay_alu instid0(SALU_CYCLE_1) | instskip(NEXT) | instid1(SALU_CYCLE_1)
	s_and_b32 s27, exec_lo, s27
	s_or_b32 s26, s27, s26
	s_and_not1_b32 s25, s25, exec_lo
	s_and_b32 s10, s10, exec_lo
	s_delay_alu instid0(SALU_CYCLE_1)
	s_or_b32 s25, s25, s10
	s_and_not1_b32 exec_lo, exec_lo, s26
	s_cbranch_execz .LBB46_263
.LBB46_258:                             ;   Parent Loop BB46_6 Depth=1
                                        ; =>  This Inner Loop Header: Depth=2
	v_mov_b32_e32 v3, 0
	v_mov_b32_e32 v4, 0
	v_cmp_gt_u32_e32 vcc_lo, s36, v7
	s_and_saveexec_b32 s27, vcc_lo
	s_cbranch_execz .LBB46_260
; %bb.259:                              ;   in Loop: Header=BB46_258 Depth=2
	v_lshlrev_b64 v[2:3], 3, v[13:14]
	s_delay_alu instid0(VALU_DEP_1) | instskip(NEXT) | instid1(VALU_DEP_1)
	v_add_co_u32 v2, s10, s33, v2
	v_add_co_ci_u32_e64 v3, s10, s35, v3, s10
	global_load_b64 v[3:4], v[2:3], off
.LBB46_260:                             ;   in Loop: Header=BB46_258 Depth=2
	s_or_b32 exec_lo, exec_lo, s27
	s_and_saveexec_b32 s10, vcc_lo
	s_cbranch_execz .LBB46_257
; %bb.261:                              ;   in Loop: Header=BB46_258 Depth=2
	s_waitcnt vmcnt(0)
	v_xor_b32_e32 v2, 0x80000000, v4
	v_and_b32_e32 v5, v3, v19
	s_delay_alu instid0(VALU_DEP_2) | instskip(NEXT) | instid1(VALU_DEP_1)
	v_and_b32_e32 v6, v2, v20
	v_cmp_eq_u64_e32 vcc_lo, v[5:6], v[21:22]
	s_and_b32 exec_lo, exec_lo, vcc_lo
	s_cbranch_execz .LBB46_257
; %bb.262:                              ;   in Loop: Header=BB46_258 Depth=2
	v_mov_b32_e32 v2, v14
	ds_store_b128 v14, v[1:4] offset:3072
	s_branch .LBB46_257
.LBB46_263:                             ;   in Loop: Header=BB46_6 Depth=1
	s_set_inst_prefetch_distance 0x2
	s_or_b32 exec_lo, exec_lo, s26
	s_delay_alu instid0(SALU_CYCLE_1)
	s_and_b32 s27, s25, exec_lo
.LBB46_264:                             ;   in Loop: Header=BB46_6 Depth=1
	s_or_b32 exec_lo, exec_lo, s17
	s_mov_b32 s26, 0
	s_mov_b32 s25, -1
	s_mov_b32 s17, 0
.LBB46_265:                             ;   in Loop: Header=BB46_6 Depth=1
	s_or_not1_b32 s10, s27, exec_lo
.LBB46_266:                             ;   in Loop: Header=BB46_6 Depth=1
	s_or_b32 exec_lo, exec_lo, s23
                                        ; implicit-def: $vgpr2
                                        ; implicit-def: $vgpr41
                                        ; implicit-def: $vgpr23_vgpr24
                                        ; implicit-def: $vgpr25_vgpr26
                                        ; implicit-def: $vgpr9_vgpr10
	s_and_saveexec_b32 s23, s10
	s_cbranch_execz .LBB46_401
; %bb.267:                              ;   in Loop: Header=BB46_6 Depth=1
	v_dual_mov_b32 v41, 1 :: v_dual_mov_b32 v2, 1
	s_xor_b32 s24, s24, -1
	s_mov_b32 s83, 0
	s_and_saveexec_b32 s10, s24
	s_cbranch_execz .LBB46_277
; %bb.268:                              ;   in Loop: Header=BB46_6 Depth=1
	s_mov_b32 s27, exec_lo
                                        ; implicit-def: $sgpr28
                                        ; implicit-def: $sgpr24
	v_cmpx_ge_u32_e64 s21, v40
	s_xor_b32 s27, exec_lo, s27
	s_cbranch_execz .LBB46_274
; %bb.269:                              ;   in Loop: Header=BB46_6 Depth=1
	ds_load_b32 v2, v14 offset:4096
	s_waitcnt lgkmcnt(0)
	v_cmp_ne_u32_e32 vcc_lo, 0, v2
	s_cbranch_vccnz .LBB46_273
; %bb.270:                              ;   in Loop: Header=BB46_6 Depth=1
	s_and_saveexec_b32 s24, s5
	s_cbranch_execz .LBB46_272
; %bb.271:                              ;   in Loop: Header=BB46_6 Depth=1
	v_mov_b32_e32 v2, s21
	ds_store_b32 v14, v2 offset:4100
.LBB46_272:                             ;   in Loop: Header=BB46_6 Depth=1
	s_or_b32 exec_lo, exec_lo, s24
	s_waitcnt lgkmcnt(0)
	s_barrier
	buffer_gl0_inv
.LBB46_273:                             ;   in Loop: Header=BB46_6 Depth=1
	v_or_b32_e32 v22, s13, v22
	v_or_b32_e32 v21, s12, v21
	;; [unrolled: 1-line block ×4, first 2 shown]
	s_mov_b32 s24, 0
	s_mov_b32 s28, 5
.LBB46_274:                             ;   in Loop: Header=BB46_6 Depth=1
	s_or_saveexec_b32 s27, s27
	v_mov_b32_e32 v2, s28
	s_xor_b32 exec_lo, exec_lo, s27
; %bb.275:                              ;   in Loop: Header=BB46_6 Depth=1
	v_subrev_nc_u32_e32 v40, s21, v40
	v_mov_b32_e32 v2, 0
	s_or_b32 s24, s24, exec_lo
; %bb.276:                              ;   in Loop: Header=BB46_6 Depth=1
	s_or_b32 exec_lo, exec_lo, s27
	s_delay_alu instid0(VALU_DEP_2)
	v_mov_b32_e32 v41, v40
	s_and_b32 s83, s24, exec_lo
.LBB46_277:                             ;   in Loop: Header=BB46_6 Depth=1
	s_or_b32 exec_lo, exec_lo, s10
	s_mov_b32 s28, -1
                                        ; implicit-def: $sgpr24
                                        ; implicit-def: $sgpr27
                                        ; implicit-def: $sgpr29
	s_and_saveexec_b32 s10, s83
	s_delay_alu instid0(SALU_CYCLE_1)
	s_xor_b32 s21, exec_lo, s10
	s_cbranch_execz .LBB46_398
; %bb.278:                              ;   in Loop: Header=BB46_6 Depth=1
	v_cmp_eq_u32_e32 vcc_lo, 1, v41
	s_cmp_eq_u32 s20, 1
                                        ; implicit-def: $sgpr24
                                        ; implicit-def: $sgpr27
                                        ; implicit-def: $sgpr28
	s_cselect_b32 s10, -1, 0
	s_delay_alu instid0(SALU_CYCLE_1)
	s_and_b32 s83, s10, vcc_lo
	s_mov_b32 s10, -1
	s_and_saveexec_b32 s29, s83
	s_cbranch_execz .LBB46_304
; %bb.279:                              ;   in Loop: Header=BB46_6 Depth=1
	ds_load_b32 v2, v14 offset:4096
	s_waitcnt lgkmcnt(0)
	s_barrier
	buffer_gl0_inv
	v_readfirstlane_b32 s10, v2
	s_and_saveexec_b32 s24, s6
	s_cbranch_execz .LBB46_281
; %bb.280:                              ;   in Loop: Header=BB46_6 Depth=1
	v_mov_b32_e32 v13, v14
	ds_store_b64 v33, v[13:14]
.LBB46_281:                             ;   in Loop: Header=BB46_6 Depth=1
	s_or_b32 exec_lo, exec_lo, s24
	v_and_b32_e32 v2, s15, v22
	v_and_b32_e32 v3, s14, v21
	s_lshl_b64 s[84:85], 2, s19
	v_or_b32_e32 v20, s13, v20
	v_or_b32_e32 v19, s12, v19
	;; [unrolled: 1-line block ×4, first 2 shown]
	s_cmp_eq_u32 s10, 0
	s_waitcnt lgkmcnt(0)
	s_barrier
	buffer_gl0_inv
	s_cbranch_scc1 .LBB46_290
; %bb.282:                              ;   in Loop: Header=BB46_6 Depth=1
	s_add_i32 s24, s10, s59
	s_mov_b32 s84, 0
	s_mul_hi_u32 s27, s24, s66
                                        ; implicit-def: $vgpr5_vgpr6
	s_delay_alu instid0(SALU_CYCLE_1) | instskip(NEXT) | instid1(SALU_CYCLE_1)
	s_mul_i32 s27, s27, s46
	s_sub_i32 s27, s24, s27
	s_delay_alu instid0(SALU_CYCLE_1) | instskip(SKIP_2) | instid1(SALU_CYCLE_1)
	s_sub_i32 s28, s27, s46
	s_cmp_ge_u32 s27, s46
	s_cselect_b32 s27, s28, s27
	s_sub_i32 s28, s27, s46
	s_cmp_ge_u32 s27, s46
	s_cselect_b32 s27, s28, s27
	s_delay_alu instid0(SALU_CYCLE_1)
	s_sub_i32 s27, s24, s27
	s_mov_b32 s24, exec_lo
	v_cmpx_gt_u32_e64 s27, v0
	s_cbranch_execz .LBB46_292
; %bb.283:                              ;   in Loop: Header=BB46_6 Depth=1
	v_mov_b32_e32 v7, v32
	v_mov_b32_e32 v8, v0
                                        ; implicit-def: $sgpr28
	s_set_inst_prefetch_distance 0x1
	s_branch .LBB46_285
	.p2align	6
.LBB46_284:                             ;   in Loop: Header=BB46_285 Depth=2
	s_or_b32 exec_lo, exec_lo, s85
	s_waitcnt lgkmcnt(0)
	s_barrier
	buffer_gl0_inv
	ds_load_b128 v[3:6], v14 offset:3072
	v_add_nc_u32_e32 v8, s46, v8
	v_add_nc_u32_e32 v7, s70, v7
	s_waitcnt lgkmcnt(0)
	s_barrier
	buffer_gl0_inv
	v_cmp_le_u32_e32 vcc_lo, s27, v8
	v_readfirstlane_b32 s87, v4
	v_readfirstlane_b32 s86, v3
	s_delay_alu instid0(VALU_DEP_1) | instskip(SKIP_1) | instid1(SALU_CYCLE_1)
	s_cmp_lg_u64 s[86:87], 0
	s_cselect_b32 s85, -1, 0
	s_or_b32 s86, vcc_lo, s85
	s_delay_alu instid0(SALU_CYCLE_1) | instskip(NEXT) | instid1(SALU_CYCLE_1)
	s_and_b32 s86, exec_lo, s86
	s_or_b32 s84, s86, s84
	s_and_not1_b32 s28, s28, exec_lo
	s_and_b32 s85, s85, exec_lo
	s_delay_alu instid0(SALU_CYCLE_1)
	s_or_b32 s28, s28, s85
	s_and_not1_b32 exec_lo, exec_lo, s84
	s_cbranch_execz .LBB46_291
.LBB46_285:                             ;   Parent Loop BB46_6 Depth=1
                                        ; =>  This Inner Loop Header: Depth=2
	v_mov_b32_e32 v3, 0
	v_mov_b32_e32 v4, 0
	v_cmp_gt_u32_e32 vcc_lo, s10, v8
	s_and_saveexec_b32 s85, vcc_lo
	s_cbranch_execz .LBB46_287
; %bb.286:                              ;   in Loop: Header=BB46_285 Depth=2
	ds_load_b64 v[3:4], v7
.LBB46_287:                             ;   in Loop: Header=BB46_285 Depth=2
	s_or_b32 exec_lo, exec_lo, s85
	s_and_saveexec_b32 s85, vcc_lo
	s_cbranch_execz .LBB46_284
; %bb.288:                              ;   in Loop: Header=BB46_285 Depth=2
	s_waitcnt lgkmcnt(0)
	v_xor_b32_e32 v2, 0x80000000, v4
	v_and_b32_e32 v5, v3, v19
	s_delay_alu instid0(VALU_DEP_2) | instskip(NEXT) | instid1(VALU_DEP_1)
	v_and_b32_e32 v6, v2, v20
	v_cmp_eq_u64_e32 vcc_lo, v[5:6], v[21:22]
	s_and_b32 exec_lo, exec_lo, vcc_lo
	s_cbranch_execz .LBB46_284
; %bb.289:                              ;   in Loop: Header=BB46_285 Depth=2
	v_mov_b32_e32 v2, v14
	ds_store_b128 v14, v[1:4] offset:3072
	s_branch .LBB46_284
.LBB46_290:                             ;   in Loop: Header=BB46_6 Depth=1
	s_mov_b32 s24, -1
	s_mov_b32 s84, 0
                                        ; implicit-def: $sgpr27
                                        ; implicit-def: $vgpr5_vgpr6
	s_mov_b32 s28, s24
	s_cbranch_execnz .LBB46_293
	s_branch .LBB46_303
.LBB46_291:                             ;   in Loop: Header=BB46_6 Depth=1
	s_set_inst_prefetch_distance 0x2
	s_or_b32 exec_lo, exec_lo, s84
	s_delay_alu instid0(SALU_CYCLE_1)
	s_and_b32 s84, s28, exec_lo
.LBB46_292:                             ;   in Loop: Header=BB46_6 Depth=1
	s_or_b32 exec_lo, exec_lo, s24
	s_mov_b32 s24, 0
	s_mov_b32 s27, -1
	s_mov_b32 s28, s24
	s_branch .LBB46_303
.LBB46_293:                             ;   in Loop: Header=BB46_6 Depth=1
	s_mov_b32 s84, 0
                                        ; implicit-def: $vgpr5_vgpr6
	s_and_saveexec_b32 s24, s9
	s_cbranch_execz .LBB46_302
; %bb.294:                              ;   in Loop: Header=BB46_6 Depth=1
	v_mov_b32_e32 v13, v15
	v_mov_b32_e32 v7, v0
	s_mov_b32 s28, 0
                                        ; implicit-def: $sgpr27
	s_set_inst_prefetch_distance 0x1
	s_branch .LBB46_296
	.p2align	6
.LBB46_295:                             ;   in Loop: Header=BB46_296 Depth=2
	s_or_b32 exec_lo, exec_lo, s10
	s_waitcnt vmcnt(0) lgkmcnt(0)
	s_barrier
	buffer_gl0_inv
	ds_load_b128 v[3:6], v14 offset:3072
	v_add_nc_u32_e32 v7, s46, v7
	v_add_nc_u32_e32 v13, s48, v13
	s_waitcnt lgkmcnt(0)
	s_barrier
	buffer_gl0_inv
	v_cmp_le_u32_e32 vcc_lo, s67, v7
	v_readfirstlane_b32 s85, v4
	v_readfirstlane_b32 s84, v3
	s_delay_alu instid0(VALU_DEP_1) | instskip(SKIP_1) | instid1(SALU_CYCLE_1)
	s_cmp_lg_u64 s[84:85], 0
	s_cselect_b32 s10, -1, 0
	s_or_b32 s84, vcc_lo, s10
	s_delay_alu instid0(SALU_CYCLE_1) | instskip(NEXT) | instid1(SALU_CYCLE_1)
	s_and_b32 s84, exec_lo, s84
	s_or_b32 s28, s84, s28
	s_and_not1_b32 s27, s27, exec_lo
	s_and_b32 s10, s10, exec_lo
	s_delay_alu instid0(SALU_CYCLE_1)
	s_or_b32 s27, s27, s10
	s_and_not1_b32 exec_lo, exec_lo, s28
	s_cbranch_execz .LBB46_301
.LBB46_296:                             ;   Parent Loop BB46_6 Depth=1
                                        ; =>  This Inner Loop Header: Depth=2
	v_mov_b32_e32 v3, 0
	v_mov_b32_e32 v4, 0
	v_cmp_gt_u32_e32 vcc_lo, s36, v7
	s_and_saveexec_b32 s84, vcc_lo
	s_cbranch_execz .LBB46_298
; %bb.297:                              ;   in Loop: Header=BB46_296 Depth=2
	v_lshlrev_b64 v[2:3], 3, v[13:14]
	s_delay_alu instid0(VALU_DEP_1) | instskip(NEXT) | instid1(VALU_DEP_1)
	v_add_co_u32 v2, s10, s33, v2
	v_add_co_ci_u32_e64 v3, s10, s35, v3, s10
	global_load_b64 v[3:4], v[2:3], off
.LBB46_298:                             ;   in Loop: Header=BB46_296 Depth=2
	s_or_b32 exec_lo, exec_lo, s84
	s_and_saveexec_b32 s10, vcc_lo
	s_cbranch_execz .LBB46_295
; %bb.299:                              ;   in Loop: Header=BB46_296 Depth=2
	s_waitcnt vmcnt(0)
	v_xor_b32_e32 v2, 0x80000000, v4
	v_and_b32_e32 v5, v3, v19
	s_delay_alu instid0(VALU_DEP_2) | instskip(NEXT) | instid1(VALU_DEP_1)
	v_and_b32_e32 v6, v2, v20
	v_cmp_eq_u64_e32 vcc_lo, v[5:6], v[21:22]
	s_and_b32 exec_lo, exec_lo, vcc_lo
	s_cbranch_execz .LBB46_295
; %bb.300:                              ;   in Loop: Header=BB46_296 Depth=2
	v_mov_b32_e32 v2, v14
	ds_store_b128 v14, v[1:4] offset:3072
	s_branch .LBB46_295
.LBB46_301:                             ;   in Loop: Header=BB46_6 Depth=1
	s_set_inst_prefetch_distance 0x2
	s_or_b32 exec_lo, exec_lo, s28
	s_delay_alu instid0(SALU_CYCLE_1)
	s_and_b32 s84, s27, exec_lo
.LBB46_302:                             ;   in Loop: Header=BB46_6 Depth=1
	s_or_b32 exec_lo, exec_lo, s24
	s_mov_b32 s27, 0
	s_mov_b32 s24, -1
	s_mov_b32 s28, 0
.LBB46_303:                             ;   in Loop: Header=BB46_6 Depth=1
	s_or_not1_b32 s10, s84, exec_lo
.LBB46_304:                             ;   in Loop: Header=BB46_6 Depth=1
	s_or_b32 exec_lo, exec_lo, s29
	s_mov_b32 s84, 0
                                        ; implicit-def: $vgpr2
	s_and_saveexec_b32 s29, s10
	s_cbranch_execz .LBB46_397
; %bb.305:                              ;   in Loop: Header=BB46_6 Depth=1
	v_dual_mov_b32 v7, 1 :: v_dual_mov_b32 v2, 1
	s_xor_b32 s83, s83, -1
	s_mov_b32 s85, 0
	s_and_saveexec_b32 s10, s83
	s_cbranch_execz .LBB46_315
; %bb.306:                              ;   in Loop: Header=BB46_6 Depth=1
	s_mov_b32 s84, exec_lo
                                        ; implicit-def: $sgpr85
                                        ; implicit-def: $sgpr83
	v_cmpx_ge_u32_e64 s20, v41
	s_xor_b32 s84, exec_lo, s84
	s_cbranch_execz .LBB46_312
; %bb.307:                              ;   in Loop: Header=BB46_6 Depth=1
	ds_load_b32 v2, v14 offset:4096
	s_waitcnt lgkmcnt(0)
	v_cmp_ne_u32_e32 vcc_lo, 0, v2
	s_cbranch_vccnz .LBB46_311
; %bb.308:                              ;   in Loop: Header=BB46_6 Depth=1
	s_and_saveexec_b32 s83, s5
	s_cbranch_execz .LBB46_310
; %bb.309:                              ;   in Loop: Header=BB46_6 Depth=1
	v_mov_b32_e32 v2, s20
	ds_store_b32 v14, v2 offset:4100
.LBB46_310:                             ;   in Loop: Header=BB46_6 Depth=1
	s_or_b32 exec_lo, exec_lo, s83
	s_waitcnt lgkmcnt(0)
	s_barrier
	buffer_gl0_inv
.LBB46_311:                             ;   in Loop: Header=BB46_6 Depth=1
	v_and_b32_e32 v2, s15, v22
	v_and_b32_e32 v3, s14, v21
	s_lshl_b64 s[86:87], 2, s19
	v_or_b32_e32 v20, s13, v20
	v_or_b32_e32 v19, s12, v19
	;; [unrolled: 1-line block ×4, first 2 shown]
	s_mov_b32 s83, 0
	s_mov_b32 s85, 5
.LBB46_312:                             ;   in Loop: Header=BB46_6 Depth=1
	s_or_saveexec_b32 s84, s84
	v_mov_b32_e32 v2, s85
	s_xor_b32 exec_lo, exec_lo, s84
; %bb.313:                              ;   in Loop: Header=BB46_6 Depth=1
	v_subrev_nc_u32_e32 v41, s20, v41
	v_mov_b32_e32 v2, 0
	s_or_b32 s83, s83, exec_lo
; %bb.314:                              ;   in Loop: Header=BB46_6 Depth=1
	s_or_b32 exec_lo, exec_lo, s84
	s_delay_alu instid0(VALU_DEP_2)
	v_mov_b32_e32 v7, v41
	s_and_b32 s85, s83, exec_lo
.LBB46_315:                             ;   in Loop: Header=BB46_6 Depth=1
	s_or_b32 exec_lo, exec_lo, s10
	s_mov_b32 s10, -1
                                        ; implicit-def: $sgpr83
                                        ; implicit-def: $sgpr84
                                        ; implicit-def: $sgpr86
	s_and_saveexec_b32 s20, s85
	s_cbranch_execz .LBB46_396
; %bb.316:                              ;   in Loop: Header=BB46_6 Depth=1
	v_cmp_eq_u32_e32 vcc_lo, 1, v7
	s_cmp_eq_u32 s18, 1
                                        ; implicit-def: $sgpr83
                                        ; implicit-def: $sgpr84
                                        ; implicit-def: $sgpr85
	s_cselect_b32 s10, -1, 0
	s_delay_alu instid0(SALU_CYCLE_1)
	s_and_b32 s87, s10, vcc_lo
	s_mov_b32 s10, -1
	s_and_saveexec_b32 s86, s87
	s_cbranch_execz .LBB46_342
; %bb.317:                              ;   in Loop: Header=BB46_6 Depth=1
	ds_load_b32 v2, v14 offset:4096
	s_waitcnt lgkmcnt(0)
	s_barrier
	buffer_gl0_inv
	v_readfirstlane_b32 s10, v2
	s_and_saveexec_b32 s83, s6
	s_cbranch_execz .LBB46_319
; %bb.318:                              ;   in Loop: Header=BB46_6 Depth=1
	v_mov_b32_e32 v13, v14
	ds_store_b64 v33, v[13:14]
.LBB46_319:                             ;   in Loop: Header=BB46_6 Depth=1
	s_or_b32 exec_lo, exec_lo, s83
	v_and_b32_e32 v2, s15, v22
	v_and_b32_e32 v3, s14, v21
	s_lshl_b64 s[84:85], 1, s19
	v_or_b32_e32 v20, s13, v20
	v_or_b32_e32 v19, s12, v19
	;; [unrolled: 1-line block ×4, first 2 shown]
	s_cmp_eq_u32 s10, 0
	s_waitcnt lgkmcnt(0)
	s_barrier
	buffer_gl0_inv
	s_cbranch_scc1 .LBB46_328
; %bb.320:                              ;   in Loop: Header=BB46_6 Depth=1
	s_add_i32 s83, s10, s59
	s_mov_b32 s88, 0
	s_mul_hi_u32 s84, s83, s66
                                        ; implicit-def: $vgpr5_vgpr6
	s_delay_alu instid0(SALU_CYCLE_1) | instskip(NEXT) | instid1(SALU_CYCLE_1)
	s_mul_i32 s84, s84, s46
	s_sub_i32 s84, s83, s84
	s_delay_alu instid0(SALU_CYCLE_1) | instskip(SKIP_2) | instid1(SALU_CYCLE_1)
	s_sub_i32 s85, s84, s46
	s_cmp_ge_u32 s84, s46
	s_cselect_b32 s84, s85, s84
	s_sub_i32 s85, s84, s46
	s_cmp_ge_u32 s84, s46
	s_cselect_b32 s84, s85, s84
	s_delay_alu instid0(SALU_CYCLE_1)
	s_sub_i32 s84, s83, s84
	s_mov_b32 s83, exec_lo
	v_cmpx_gt_u32_e64 s84, v0
	s_cbranch_execz .LBB46_330
; %bb.321:                              ;   in Loop: Header=BB46_6 Depth=1
	v_mov_b32_e32 v8, v32
	v_mov_b32_e32 v9, v0
                                        ; implicit-def: $sgpr85
	s_set_inst_prefetch_distance 0x1
	s_branch .LBB46_323
	.p2align	6
.LBB46_322:                             ;   in Loop: Header=BB46_323 Depth=2
	s_or_b32 exec_lo, exec_lo, s89
	s_waitcnt lgkmcnt(0)
	s_barrier
	buffer_gl0_inv
	ds_load_b128 v[3:6], v14 offset:3072
	v_add_nc_u32_e32 v9, s46, v9
	v_add_nc_u32_e32 v8, s70, v8
	s_waitcnt lgkmcnt(0)
	s_barrier
	buffer_gl0_inv
	v_cmp_le_u32_e32 vcc_lo, s84, v9
	v_readfirstlane_b32 s91, v4
	v_readfirstlane_b32 s90, v3
	s_delay_alu instid0(VALU_DEP_1) | instskip(SKIP_1) | instid1(SALU_CYCLE_1)
	s_cmp_lg_u64 s[90:91], 0
	s_cselect_b32 s89, -1, 0
	s_or_b32 s90, vcc_lo, s89
	s_delay_alu instid0(SALU_CYCLE_1) | instskip(NEXT) | instid1(SALU_CYCLE_1)
	s_and_b32 s90, exec_lo, s90
	s_or_b32 s88, s90, s88
	s_and_not1_b32 s85, s85, exec_lo
	s_and_b32 s89, s89, exec_lo
	s_delay_alu instid0(SALU_CYCLE_1)
	s_or_b32 s85, s85, s89
	s_and_not1_b32 exec_lo, exec_lo, s88
	s_cbranch_execz .LBB46_329
.LBB46_323:                             ;   Parent Loop BB46_6 Depth=1
                                        ; =>  This Inner Loop Header: Depth=2
	v_mov_b32_e32 v3, 0
	v_mov_b32_e32 v4, 0
	v_cmp_gt_u32_e32 vcc_lo, s10, v9
	s_and_saveexec_b32 s89, vcc_lo
	s_cbranch_execz .LBB46_325
; %bb.324:                              ;   in Loop: Header=BB46_323 Depth=2
	ds_load_b64 v[3:4], v8
.LBB46_325:                             ;   in Loop: Header=BB46_323 Depth=2
	s_or_b32 exec_lo, exec_lo, s89
	s_and_saveexec_b32 s89, vcc_lo
	s_cbranch_execz .LBB46_322
; %bb.326:                              ;   in Loop: Header=BB46_323 Depth=2
	s_waitcnt lgkmcnt(0)
	v_xor_b32_e32 v2, 0x80000000, v4
	v_and_b32_e32 v5, v3, v19
	s_delay_alu instid0(VALU_DEP_2) | instskip(NEXT) | instid1(VALU_DEP_1)
	v_and_b32_e32 v6, v2, v20
	v_cmp_eq_u64_e32 vcc_lo, v[5:6], v[21:22]
	s_and_b32 exec_lo, exec_lo, vcc_lo
	s_cbranch_execz .LBB46_322
; %bb.327:                              ;   in Loop: Header=BB46_323 Depth=2
	v_mov_b32_e32 v2, v14
	ds_store_b128 v14, v[1:4] offset:3072
	s_branch .LBB46_322
.LBB46_328:                             ;   in Loop: Header=BB46_6 Depth=1
	s_mov_b32 s83, -1
	s_mov_b32 s88, 0
                                        ; implicit-def: $sgpr84
                                        ; implicit-def: $vgpr5_vgpr6
	s_mov_b32 s85, s83
	s_cbranch_execnz .LBB46_331
	s_branch .LBB46_341
.LBB46_329:                             ;   in Loop: Header=BB46_6 Depth=1
	s_set_inst_prefetch_distance 0x2
	s_or_b32 exec_lo, exec_lo, s88
	s_delay_alu instid0(SALU_CYCLE_1)
	s_and_b32 s88, s85, exec_lo
.LBB46_330:                             ;   in Loop: Header=BB46_6 Depth=1
	s_or_b32 exec_lo, exec_lo, s83
	s_mov_b32 s83, 0
	s_mov_b32 s84, -1
	s_mov_b32 s85, s83
	s_branch .LBB46_341
.LBB46_331:                             ;   in Loop: Header=BB46_6 Depth=1
	s_mov_b32 s88, 0
                                        ; implicit-def: $vgpr5_vgpr6
	s_and_saveexec_b32 s83, s9
	s_cbranch_execz .LBB46_340
; %bb.332:                              ;   in Loop: Header=BB46_6 Depth=1
	v_dual_mov_b32 v13, v15 :: v_dual_mov_b32 v8, v0
	s_mov_b32 s85, 0
                                        ; implicit-def: $sgpr84
	s_set_inst_prefetch_distance 0x1
	s_branch .LBB46_334
	.p2align	6
.LBB46_333:                             ;   in Loop: Header=BB46_334 Depth=2
	s_or_b32 exec_lo, exec_lo, s10
	s_waitcnt vmcnt(0) lgkmcnt(0)
	s_barrier
	buffer_gl0_inv
	ds_load_b128 v[3:6], v14 offset:3072
	v_add_nc_u32_e32 v8, s46, v8
	v_add_nc_u32_e32 v13, s48, v13
	s_waitcnt lgkmcnt(0)
	s_barrier
	buffer_gl0_inv
	v_cmp_le_u32_e32 vcc_lo, s67, v8
	v_readfirstlane_b32 s89, v4
	v_readfirstlane_b32 s88, v3
	s_delay_alu instid0(VALU_DEP_1) | instskip(SKIP_1) | instid1(SALU_CYCLE_1)
	s_cmp_lg_u64 s[88:89], 0
	s_cselect_b32 s10, -1, 0
	s_or_b32 s88, vcc_lo, s10
	s_delay_alu instid0(SALU_CYCLE_1) | instskip(NEXT) | instid1(SALU_CYCLE_1)
	s_and_b32 s88, exec_lo, s88
	s_or_b32 s85, s88, s85
	s_and_not1_b32 s84, s84, exec_lo
	s_and_b32 s10, s10, exec_lo
	s_delay_alu instid0(SALU_CYCLE_1)
	s_or_b32 s84, s84, s10
	s_and_not1_b32 exec_lo, exec_lo, s85
	s_cbranch_execz .LBB46_339
.LBB46_334:                             ;   Parent Loop BB46_6 Depth=1
                                        ; =>  This Inner Loop Header: Depth=2
	v_mov_b32_e32 v3, 0
	v_mov_b32_e32 v4, 0
	v_cmp_gt_u32_e32 vcc_lo, s36, v8
	s_and_saveexec_b32 s88, vcc_lo
	s_cbranch_execz .LBB46_336
; %bb.335:                              ;   in Loop: Header=BB46_334 Depth=2
	v_lshlrev_b64 v[2:3], 3, v[13:14]
	s_delay_alu instid0(VALU_DEP_1) | instskip(NEXT) | instid1(VALU_DEP_1)
	v_add_co_u32 v2, s10, s33, v2
	v_add_co_ci_u32_e64 v3, s10, s35, v3, s10
	global_load_b64 v[3:4], v[2:3], off
.LBB46_336:                             ;   in Loop: Header=BB46_334 Depth=2
	s_or_b32 exec_lo, exec_lo, s88
	s_and_saveexec_b32 s10, vcc_lo
	s_cbranch_execz .LBB46_333
; %bb.337:                              ;   in Loop: Header=BB46_334 Depth=2
	s_waitcnt vmcnt(0)
	v_xor_b32_e32 v2, 0x80000000, v4
	v_and_b32_e32 v5, v3, v19
	s_delay_alu instid0(VALU_DEP_2) | instskip(NEXT) | instid1(VALU_DEP_1)
	v_and_b32_e32 v6, v2, v20
	v_cmp_eq_u64_e32 vcc_lo, v[5:6], v[21:22]
	s_and_b32 exec_lo, exec_lo, vcc_lo
	s_cbranch_execz .LBB46_333
; %bb.338:                              ;   in Loop: Header=BB46_334 Depth=2
	v_mov_b32_e32 v2, v14
	ds_store_b128 v14, v[1:4] offset:3072
	s_branch .LBB46_333
.LBB46_339:                             ;   in Loop: Header=BB46_6 Depth=1
	s_set_inst_prefetch_distance 0x2
	s_or_b32 exec_lo, exec_lo, s85
	s_delay_alu instid0(SALU_CYCLE_1)
	s_and_b32 s88, s84, exec_lo
.LBB46_340:                             ;   in Loop: Header=BB46_6 Depth=1
	s_or_b32 exec_lo, exec_lo, s83
	s_mov_b32 s84, 0
	s_mov_b32 s83, -1
	s_mov_b32 s85, 0
.LBB46_341:                             ;   in Loop: Header=BB46_6 Depth=1
	s_or_not1_b32 s10, s88, exec_lo
.LBB46_342:                             ;   in Loop: Header=BB46_6 Depth=1
	s_or_b32 exec_lo, exec_lo, s86
	s_mov_b32 s88, 0
                                        ; implicit-def: $vgpr2
	s_and_saveexec_b32 s86, s10
	s_cbranch_execz .LBB46_395
; %bb.343:                              ;   in Loop: Header=BB46_6 Depth=1
	v_mov_b32_e32 v8, 1
	v_mov_b32_e32 v2, 1
	s_xor_b32 s88, s87, -1
	s_mov_b32 s87, 0
	s_and_saveexec_b32 s10, s88
	s_cbranch_execz .LBB46_353
; %bb.344:                              ;   in Loop: Header=BB46_6 Depth=1
	s_mov_b32 s88, exec_lo
                                        ; implicit-def: $sgpr89
                                        ; implicit-def: $sgpr87
	v_cmpx_ge_u32_e64 s18, v7
	s_xor_b32 s88, exec_lo, s88
	s_cbranch_execz .LBB46_350
; %bb.345:                              ;   in Loop: Header=BB46_6 Depth=1
	ds_load_b32 v2, v14 offset:4096
	s_waitcnt lgkmcnt(0)
	v_cmp_ne_u32_e32 vcc_lo, 0, v2
	s_cbranch_vccnz .LBB46_349
; %bb.346:                              ;   in Loop: Header=BB46_6 Depth=1
	s_and_saveexec_b32 s87, s5
	s_cbranch_execz .LBB46_348
; %bb.347:                              ;   in Loop: Header=BB46_6 Depth=1
	v_mov_b32_e32 v2, s18
	ds_store_b32 v14, v2 offset:4100
.LBB46_348:                             ;   in Loop: Header=BB46_6 Depth=1
	s_or_b32 exec_lo, exec_lo, s87
	s_waitcnt lgkmcnt(0)
	s_barrier
	buffer_gl0_inv
.LBB46_349:                             ;   in Loop: Header=BB46_6 Depth=1
	v_and_b32_e32 v2, s15, v22
	v_and_b32_e32 v3, s14, v21
	s_lshl_b64 s[90:91], 1, s19
	v_or_b32_e32 v20, s13, v20
	v_or_b32_e32 v19, s12, v19
	v_or_b32_e32 v22, s91, v2
	v_or_b32_e32 v21, s90, v3
	s_mov_b32 s87, 0
	s_mov_b32 s89, 5
.LBB46_350:                             ;   in Loop: Header=BB46_6 Depth=1
	s_or_saveexec_b32 s19, s88
	v_mov_b32_e32 v2, s89
	s_xor_b32 exec_lo, exec_lo, s19
; %bb.351:                              ;   in Loop: Header=BB46_6 Depth=1
	v_subrev_nc_u32_e32 v7, s18, v7
	v_mov_b32_e32 v2, 0
	s_or_b32 s87, s87, exec_lo
; %bb.352:                              ;   in Loop: Header=BB46_6 Depth=1
	s_or_b32 exec_lo, exec_lo, s19
	s_delay_alu instid0(VALU_DEP_2)
	v_mov_b32_e32 v8, v7
	s_and_b32 s87, s87, exec_lo
.LBB46_353:                             ;   in Loop: Header=BB46_6 Depth=1
	s_or_b32 exec_lo, exec_lo, s10
	s_mov_b32 s19, -1
                                        ; implicit-def: $sgpr10
                                        ; implicit-def: $sgpr88
                                        ; implicit-def: $sgpr89
	s_and_saveexec_b32 s18, s87
	s_cbranch_execz .LBB46_394
; %bb.354:                              ;   in Loop: Header=BB46_6 Depth=1
	v_cmp_eq_u32_e32 vcc_lo, 1, v8
	s_cmp_eq_u32 s16, 1
	s_mov_b32 s90, -1
	s_cselect_b32 s10, -1, 0
                                        ; implicit-def: $sgpr88
                                        ; implicit-def: $sgpr89
	s_delay_alu instid0(SALU_CYCLE_1) | instskip(NEXT) | instid1(SALU_CYCLE_1)
	s_and_b32 s19, s10, vcc_lo
                                        ; implicit-def: $sgpr10
	s_and_saveexec_b32 s87, s19
	s_cbranch_execz .LBB46_381
; %bb.355:                              ;   in Loop: Header=BB46_6 Depth=1
	ds_load_b32 v2, v14 offset:4096
	s_waitcnt lgkmcnt(0)
	s_barrier
	buffer_gl0_inv
	v_readfirstlane_b32 s10, v2
	s_and_saveexec_b32 s88, s6
	s_cbranch_execz .LBB46_357
; %bb.356:                              ;   in Loop: Header=BB46_6 Depth=1
	v_mov_b32_e32 v13, v14
	ds_store_b64 v33, v[13:14]
.LBB46_357:                             ;   in Loop: Header=BB46_6 Depth=1
	s_or_b32 exec_lo, exec_lo, s88
	v_and_b32_e32 v22, s15, v22
	v_and_b32_e32 v21, s14, v21
	v_or_b32_e32 v20, s13, v20
	v_or_b32_e32 v19, s12, v19
	s_cmp_eq_u32 s10, 0
	s_waitcnt lgkmcnt(0)
	s_barrier
	buffer_gl0_inv
	s_cbranch_scc1 .LBB46_366
; %bb.358:                              ;   in Loop: Header=BB46_6 Depth=1
	s_add_i32 s88, s10, s59
                                        ; implicit-def: $vgpr5_vgpr6
	s_delay_alu instid0(SALU_CYCLE_1) | instskip(NEXT) | instid1(SALU_CYCLE_1)
	s_mul_hi_u32 s89, s88, s66
	s_mul_i32 s89, s89, s46
	s_delay_alu instid0(SALU_CYCLE_1) | instskip(NEXT) | instid1(SALU_CYCLE_1)
	s_sub_i32 s89, s88, s89
	s_sub_i32 s90, s89, s46
	s_cmp_ge_u32 s89, s46
	s_cselect_b32 s89, s90, s89
	s_delay_alu instid0(SALU_CYCLE_1)
	s_sub_i32 s90, s89, s46
	s_cmp_ge_u32 s89, s46
	s_cselect_b32 s89, s90, s89
	s_mov_b32 s90, 0
	s_sub_i32 s89, s88, s89
	s_mov_b32 s88, exec_lo
	v_cmpx_gt_u32_e64 s89, v0
	s_cbranch_execz .LBB46_368
; %bb.359:                              ;   in Loop: Header=BB46_6 Depth=1
	v_mov_b32_e32 v7, v32
	v_mov_b32_e32 v9, v0
	s_mov_b32 s91, 0
                                        ; implicit-def: $sgpr90
	s_set_inst_prefetch_distance 0x1
	s_branch .LBB46_361
	.p2align	6
.LBB46_360:                             ;   in Loop: Header=BB46_361 Depth=2
	s_or_b32 exec_lo, exec_lo, s92
	s_waitcnt lgkmcnt(0)
	s_barrier
	buffer_gl0_inv
	ds_load_b128 v[3:6], v14 offset:3072
	v_add_nc_u32_e32 v9, s46, v9
	v_add_nc_u32_e32 v7, s70, v7
	s_waitcnt lgkmcnt(0)
	s_barrier
	buffer_gl0_inv
	v_cmp_le_u32_e32 vcc_lo, s89, v9
	v_readfirstlane_b32 s93, v4
	v_readfirstlane_b32 s92, v3
	s_delay_alu instid0(VALU_DEP_1) | instskip(SKIP_1) | instid1(SALU_CYCLE_1)
	s_cmp_lg_u64 s[92:93], 0
	s_cselect_b32 s92, -1, 0
	s_or_b32 s93, vcc_lo, s92
	s_delay_alu instid0(SALU_CYCLE_1) | instskip(NEXT) | instid1(SALU_CYCLE_1)
	s_and_b32 s93, exec_lo, s93
	s_or_b32 s91, s93, s91
	s_and_not1_b32 s90, s90, exec_lo
	s_and_b32 s92, s92, exec_lo
	s_delay_alu instid0(SALU_CYCLE_1)
	s_or_b32 s90, s90, s92
	s_and_not1_b32 exec_lo, exec_lo, s91
	s_cbranch_execz .LBB46_367
.LBB46_361:                             ;   Parent Loop BB46_6 Depth=1
                                        ; =>  This Inner Loop Header: Depth=2
	v_mov_b32_e32 v3, 0
	v_mov_b32_e32 v4, 0
	v_cmp_gt_u32_e32 vcc_lo, s10, v9
	s_and_saveexec_b32 s92, vcc_lo
	s_cbranch_execz .LBB46_363
; %bb.362:                              ;   in Loop: Header=BB46_361 Depth=2
	ds_load_b64 v[3:4], v7
.LBB46_363:                             ;   in Loop: Header=BB46_361 Depth=2
	s_or_b32 exec_lo, exec_lo, s92
	s_and_saveexec_b32 s92, vcc_lo
	s_cbranch_execz .LBB46_360
; %bb.364:                              ;   in Loop: Header=BB46_361 Depth=2
	s_waitcnt lgkmcnt(0)
	v_xor_b32_e32 v2, 0x80000000, v4
	v_and_b32_e32 v5, v3, v19
	s_delay_alu instid0(VALU_DEP_2) | instskip(NEXT) | instid1(VALU_DEP_1)
	v_and_b32_e32 v6, v2, v20
	v_cmp_eq_u64_e32 vcc_lo, v[5:6], v[21:22]
	s_and_b32 exec_lo, exec_lo, vcc_lo
	s_cbranch_execz .LBB46_360
; %bb.365:                              ;   in Loop: Header=BB46_361 Depth=2
	v_mov_b32_e32 v2, v14
	ds_store_b128 v14, v[1:4] offset:3072
	s_branch .LBB46_360
.LBB46_366:                             ;   in Loop: Header=BB46_6 Depth=1
	s_mov_b32 s10, -1
	s_mov_b32 s90, 0
                                        ; implicit-def: $sgpr88
                                        ; implicit-def: $vgpr5_vgpr6
	s_branch .LBB46_369
.LBB46_367:                             ;   in Loop: Header=BB46_6 Depth=1
	s_set_inst_prefetch_distance 0x2
	s_or_b32 exec_lo, exec_lo, s91
	s_delay_alu instid0(SALU_CYCLE_1)
	s_and_b32 s90, s90, exec_lo
.LBB46_368:                             ;   in Loop: Header=BB46_6 Depth=1
	s_or_b32 exec_lo, exec_lo, s88
	s_mov_b32 s10, 0
	s_mov_b32 s88, -1
.LBB46_369:                             ;   in Loop: Header=BB46_6 Depth=1
	s_and_b32 vcc_lo, exec_lo, s10
	s_mov_b32 s89, s10
	s_cbranch_vccz .LBB46_380
; %bb.370:                              ;   in Loop: Header=BB46_6 Depth=1
	s_mov_b32 s90, 0
                                        ; implicit-def: $vgpr5_vgpr6
	s_and_saveexec_b32 s88, s9
	s_cbranch_execz .LBB46_379
; %bb.371:                              ;   in Loop: Header=BB46_6 Depth=1
	v_mov_b32_e32 v13, v15
	v_mov_b32_e32 v7, v0
                                        ; implicit-def: $sgpr89
	s_set_inst_prefetch_distance 0x1
	s_branch .LBB46_373
	.p2align	6
.LBB46_372:                             ;   in Loop: Header=BB46_373 Depth=2
	s_or_b32 exec_lo, exec_lo, s10
	s_waitcnt vmcnt(0) lgkmcnt(0)
	s_barrier
	buffer_gl0_inv
	ds_load_b128 v[3:6], v14 offset:3072
	v_add_nc_u32_e32 v7, s46, v7
	v_add_nc_u32_e32 v13, s48, v13
	s_waitcnt lgkmcnt(0)
	s_barrier
	buffer_gl0_inv
	v_cmp_le_u32_e32 vcc_lo, s67, v7
	v_readfirstlane_b32 s93, v4
	v_readfirstlane_b32 s92, v3
	s_delay_alu instid0(VALU_DEP_1) | instskip(SKIP_1) | instid1(SALU_CYCLE_1)
	s_cmp_lg_u64 s[92:93], 0
	s_cselect_b32 s10, -1, 0
	s_or_b32 s91, vcc_lo, s10
	s_delay_alu instid0(SALU_CYCLE_1) | instskip(NEXT) | instid1(SALU_CYCLE_1)
	s_and_b32 s91, exec_lo, s91
	s_or_b32 s90, s91, s90
	s_and_not1_b32 s89, s89, exec_lo
	s_and_b32 s10, s10, exec_lo
	s_delay_alu instid0(SALU_CYCLE_1)
	s_or_b32 s89, s89, s10
	s_and_not1_b32 exec_lo, exec_lo, s90
	s_cbranch_execz .LBB46_378
.LBB46_373:                             ;   Parent Loop BB46_6 Depth=1
                                        ; =>  This Inner Loop Header: Depth=2
	v_mov_b32_e32 v3, 0
	v_mov_b32_e32 v4, 0
	v_cmp_gt_u32_e32 vcc_lo, s36, v7
	s_and_saveexec_b32 s91, vcc_lo
	s_cbranch_execz .LBB46_375
; %bb.374:                              ;   in Loop: Header=BB46_373 Depth=2
	v_lshlrev_b64 v[2:3], 3, v[13:14]
	s_delay_alu instid0(VALU_DEP_1) | instskip(NEXT) | instid1(VALU_DEP_1)
	v_add_co_u32 v2, s10, s33, v2
	v_add_co_ci_u32_e64 v3, s10, s35, v3, s10
	global_load_b64 v[3:4], v[2:3], off
.LBB46_375:                             ;   in Loop: Header=BB46_373 Depth=2
	s_or_b32 exec_lo, exec_lo, s91
	s_and_saveexec_b32 s10, vcc_lo
	s_cbranch_execz .LBB46_372
; %bb.376:                              ;   in Loop: Header=BB46_373 Depth=2
	s_waitcnt vmcnt(0)
	v_xor_b32_e32 v2, 0x80000000, v4
	v_and_b32_e32 v5, v3, v19
	s_delay_alu instid0(VALU_DEP_2) | instskip(NEXT) | instid1(VALU_DEP_1)
	v_and_b32_e32 v6, v2, v20
	v_cmp_eq_u64_e32 vcc_lo, v[5:6], v[21:22]
	s_and_b32 exec_lo, exec_lo, vcc_lo
	s_cbranch_execz .LBB46_372
; %bb.377:                              ;   in Loop: Header=BB46_373 Depth=2
	v_mov_b32_e32 v2, v14
	ds_store_b128 v14, v[1:4] offset:3072
	s_branch .LBB46_372
.LBB46_378:                             ;   in Loop: Header=BB46_6 Depth=1
	s_set_inst_prefetch_distance 0x2
	s_or_b32 exec_lo, exec_lo, s90
	s_delay_alu instid0(SALU_CYCLE_1)
	s_and_b32 s90, s89, exec_lo
.LBB46_379:                             ;   in Loop: Header=BB46_6 Depth=1
	s_or_b32 exec_lo, exec_lo, s88
	s_mov_b32 s88, 0
	s_mov_b32 s10, -1
	s_mov_b32 s89, 0
.LBB46_380:                             ;   in Loop: Header=BB46_6 Depth=1
	s_or_not1_b32 s90, s90, exec_lo
.LBB46_381:                             ;   in Loop: Header=BB46_6 Depth=1
	s_or_b32 exec_lo, exec_lo, s87
	s_mov_b32 s91, 0
                                        ; implicit-def: $vgpr2
                                        ; implicit-def: $vgpr3
	s_and_saveexec_b32 s87, s90
	s_cbranch_execz .LBB46_393
; %bb.382:                              ;   in Loop: Header=BB46_6 Depth=1
	v_dual_mov_b32 v2, 1 :: v_dual_mov_b32 v3, 1
	s_xor_b32 s90, s19, -1
	s_delay_alu instid0(SALU_CYCLE_1)
	s_and_saveexec_b32 s19, s90
	s_cbranch_execz .LBB46_392
; %bb.383:                              ;   in Loop: Header=BB46_6 Depth=1
	s_mov_b32 s90, exec_lo
                                        ; implicit-def: $sgpr91
	v_cmpx_ge_u32_e64 s16, v8
	s_xor_b32 s90, exec_lo, s90
	s_cbranch_execz .LBB46_389
; %bb.384:                              ;   in Loop: Header=BB46_6 Depth=1
	ds_load_b32 v2, v14 offset:4096
	s_waitcnt lgkmcnt(0)
	v_cmp_ne_u32_e32 vcc_lo, 0, v2
	s_cbranch_vccnz .LBB46_388
; %bb.385:                              ;   in Loop: Header=BB46_6 Depth=1
	s_and_saveexec_b32 s91, s5
	s_cbranch_execz .LBB46_387
; %bb.386:                              ;   in Loop: Header=BB46_6 Depth=1
	v_mov_b32_e32 v2, s16
	ds_store_b32 v14, v2 offset:4100
.LBB46_387:                             ;   in Loop: Header=BB46_6 Depth=1
	s_or_b32 exec_lo, exec_lo, s91
	s_waitcnt lgkmcnt(0)
	s_barrier
	buffer_gl0_inv
.LBB46_388:                             ;   in Loop: Header=BB46_6 Depth=1
	v_and_b32_e32 v22, s15, v22
	v_and_b32_e32 v21, s14, v21
	v_or_b32_e32 v20, s13, v20
	v_or_b32_e32 v19, s12, v19
	s_mov_b32 s91, 5
.LBB46_389:                             ;   in Loop: Header=BB46_6 Depth=1
	s_or_saveexec_b32 s12, s90
	v_mov_b32_e32 v2, s91
	s_xor_b32 exec_lo, exec_lo, s12
; %bb.390:                              ;   in Loop: Header=BB46_6 Depth=1
	v_subrev_nc_u32_e32 v8, s16, v8
	v_mov_b32_e32 v2, 5
; %bb.391:                              ;   in Loop: Header=BB46_6 Depth=1
	s_or_b32 exec_lo, exec_lo, s12
	s_delay_alu instid0(VALU_DEP_2)
	v_mov_b32_e32 v3, v8
.LBB46_392:                             ;   in Loop: Header=BB46_6 Depth=1
	s_or_b32 exec_lo, exec_lo, s19
	s_delay_alu instid0(SALU_CYCLE_1)
	s_mov_b32 s91, exec_lo
.LBB46_393:                             ;   in Loop: Header=BB46_6 Depth=1
	s_or_b32 exec_lo, exec_lo, s87
	s_delay_alu instid0(VALU_DEP_1)
	v_mov_b32_e32 v8, v3
	s_or_not1_b32 s19, s91, exec_lo
.LBB46_394:                             ;   in Loop: Header=BB46_6 Depth=1
	s_or_b32 exec_lo, exec_lo, s18
	s_delay_alu instid0(SALU_CYCLE_1)
	s_and_not1_b32 s12, s83, exec_lo
	s_and_b32 s10, s10, exec_lo
	s_and_not1_b32 s13, s85, exec_lo
	s_or_b32 s83, s12, s10
	s_and_not1_b32 s10, s84, exec_lo
	s_and_b32 s12, s88, exec_lo
	s_and_b32 s14, s89, exec_lo
	v_mov_b32_e32 v7, v8
	s_or_b32 s84, s10, s12
	s_or_b32 s85, s13, s14
	s_and_b32 s88, s19, exec_lo
.LBB46_395:                             ;   in Loop: Header=BB46_6 Depth=1
	s_or_b32 exec_lo, exec_lo, s86
	s_delay_alu instid0(SALU_CYCLE_1)
	s_and_b32 s86, s83, exec_lo
	s_and_b32 s84, s84, exec_lo
	;; [unrolled: 1-line block ×3, first 2 shown]
	s_or_not1_b32 s10, s88, exec_lo
.LBB46_396:                             ;   in Loop: Header=BB46_6 Depth=1
	s_or_b32 exec_lo, exec_lo, s20
	s_delay_alu instid0(SALU_CYCLE_1)
	s_and_not1_b32 s12, s24, exec_lo
	s_and_b32 s13, s86, exec_lo
	s_and_not1_b32 s14, s28, exec_lo
	s_or_b32 s24, s12, s13
	s_and_not1_b32 s12, s27, exec_lo
	s_and_b32 s13, s84, exec_lo
	s_and_b32 s15, s83, exec_lo
	v_mov_b32_e32 v41, v7
	s_or_b32 s27, s12, s13
	s_or_b32 s28, s14, s15
	s_and_b32 s84, s10, exec_lo
.LBB46_397:                             ;   in Loop: Header=BB46_6 Depth=1
	s_or_b32 exec_lo, exec_lo, s29
	s_delay_alu instid0(SALU_CYCLE_1)
	s_and_b32 s29, s24, exec_lo
	s_and_b32 s27, s27, exec_lo
	;; [unrolled: 1-line block ×3, first 2 shown]
	s_or_not1_b32 s28, s84, exec_lo
.LBB46_398:                             ;   in Loop: Header=BB46_6 Depth=1
	s_or_b32 exec_lo, exec_lo, s21
	s_mov_b32 s10, s22
	s_mov_b32 s12, s11
	s_and_saveexec_b32 s13, s28
; %bb.399:                              ;   in Loop: Header=BB46_6 Depth=1
	v_cmp_eq_u32_e32 vcc_lo, 5, v2
	v_cmp_ne_u32_e64 s10, 5, v2
	s_and_not1_b32 s12, s11, exec_lo
	s_and_not1_b32 s14, s22, exec_lo
	;; [unrolled: 1-line block ×3, first 2 shown]
	s_and_b32 s15, vcc_lo, exec_lo
	s_and_b32 s10, s10, exec_lo
	s_and_not1_b32 s27, s27, exec_lo
	s_and_not1_b32 s24, s24, exec_lo
	s_or_b32 s12, s12, s10
	s_or_b32 s10, s14, s15
; %bb.400:                              ;   in Loop: Header=BB46_6 Depth=1
	s_or_b32 exec_lo, exec_lo, s13
	s_delay_alu instid0(SALU_CYCLE_1)
	s_and_not1_b32 s13, s25, exec_lo
	s_and_b32 s14, s29, exec_lo
	v_dual_mov_b32 v24, v22 :: v_dual_mov_b32 v23, v21
	s_or_b32 s25, s13, s14
	s_and_not1_b32 s13, s26, exec_lo
	s_and_b32 s14, s27, exec_lo
	v_dual_mov_b32 v26, v20 :: v_dual_mov_b32 v25, v19
	v_dual_mov_b32 v10, v6 :: v_dual_mov_b32 v9, v5
	s_and_not1_b32 s15, s17, exec_lo
	s_and_b32 s16, s24, exec_lo
	s_or_b32 s26, s13, s14
	s_and_not1_b32 s11, s11, exec_lo
	s_and_b32 s12, s12, exec_lo
	s_and_not1_b32 s13, s22, exec_lo
	s_and_b32 s10, s10, exec_lo
	s_or_b32 s17, s15, s16
	s_or_b32 s11, s11, s12
	;; [unrolled: 1-line block ×3, first 2 shown]
.LBB46_401:                             ;   in Loop: Header=BB46_6 Depth=1
	s_or_b32 exec_lo, exec_lo, s23
	s_mov_b32 s24, s17
	s_mov_b32 s23, s17
	s_and_saveexec_b32 s10, s22
.LBB46_402:                             ;   in Loop: Header=BB46_6 Depth=1
	v_mov_b32_e32 v2, 0
	s_and_not1_b32 s17, s17, exec_lo
	s_and_not1_b32 s25, s25, exec_lo
	;; [unrolled: 1-line block ×5, first 2 shown]
	s_or_b32 s11, s11, exec_lo
.LBB46_403:                             ;   in Loop: Header=BB46_6 Depth=1
	s_or_b32 exec_lo, exec_lo, s10
	s_delay_alu instid0(SALU_CYCLE_1)
	s_and_not1_b32 s10, s82, exec_lo
	s_and_b32 s13, s17, exec_lo
	s_and_not1_b32 s14, s79, exec_lo
	s_or_b32 s82, s10, s13
	s_and_not1_b32 s10, s81, exec_lo
	s_and_b32 s13, s25, exec_lo
	s_and_b32 s15, s26, exec_lo
	s_or_b32 s81, s10, s13
	s_or_b32 s79, s14, s15
	s_and_not1_b32 s10, s80, exec_lo
	s_and_b32 s13, s24, exec_lo
	s_and_not1_b32 s14, s78, exec_lo
	s_and_b32 s15, s23, exec_lo
	s_mov_b32 s12, -1
	s_or_b32 s80, s10, s13
	s_or_b32 s78, s14, s15
                                        ; implicit-def: $vgpr19_vgpr20
                                        ; implicit-def: $vgpr21_vgpr22
                                        ; implicit-def: $vgpr40
                                        ; implicit-def: $vgpr5_vgpr6
	s_and_saveexec_b32 s10, s11
	s_delay_alu instid0(SALU_CYCLE_1)
	s_xor_b32 s10, exec_lo, s10
	s_cbranch_execz .LBB46_5
; %bb.404:                              ;   in Loop: Header=BB46_6 Depth=1
	s_mov_b32 s11, -1
	s_mov_b32 s13, exec_lo
	v_cmpx_eq_u32_e32 0, v2
	s_cbranch_execz .LBB46_4
; %bb.405:                              ;   in Loop: Header=BB46_6 Depth=1
	s_xor_b32 s72, s72, 1
	s_add_i32 s14, s77, -2
	s_cmp_eq_u32 s77, 0
	s_mov_b32 s77, s14
	s_cselect_b32 s11, -1, 0
	s_xor_b32 s12, exec_lo, -1
	s_or_not1_b32 s11, s11, exec_lo
	s_branch .LBB46_4
.LBB46_406:
	s_or_b32 exec_lo, exec_lo, s47
	s_xor_b32 s7, s76, -1
	s_xor_b32 s12, s74, -1
	;; [unrolled: 1-line block ×5, first 2 shown]
	s_mov_b32 s9, 0
	s_and_saveexec_b32 s10, s8
	s_delay_alu instid0(SALU_CYCLE_1)
	s_xor_b32 s8, exec_lo, s10
	s_cbranch_execz .LBB46_463
; %bb.407:
	s_mov_b32 s10, 0
	s_and_saveexec_b32 s9, s11
	s_delay_alu instid0(SALU_CYCLE_1)
	s_xor_b32 s9, exec_lo, s9
	s_cbranch_execz .LBB46_461
; %bb.408:
	;; [unrolled: 6-line block ×4, first 2 shown]
	s_and_saveexec_b32 s7, s6
	s_delay_alu instid0(SALU_CYCLE_1)
	s_xor_b32 s6, exec_lo, s7
; %bb.411:
	v_xor_b32_e32 v24, 0x80000000, v24
	s_delay_alu instid0(VALU_DEP_1)
	v_dual_mov_b32 v9, v23 :: v_dual_mov_b32 v10, v24
; %bb.412:
	s_or_b32 exec_lo, exec_lo, s6
	s_and_saveexec_b32 s6, s5
	s_cbranch_execz .LBB46_414
; %bb.413:
	v_mov_b32_e32 v1, 0
	ds_store_b32 v1, v1 offset:4108
.LBB46_414:
	s_or_b32 exec_lo, exec_lo, s6
	v_mov_b32_e32 v3, 0
	v_mov_b32_e32 v4, 0
	s_waitcnt lgkmcnt(0)
	s_barrier
	buffer_gl0_inv
	s_and_saveexec_b32 s5, s4
	s_cbranch_execz .LBB46_416
; %bb.415:
	global_load_b64 v[3:4], v[11:12], off
.LBB46_416:
	s_or_b32 exec_lo, exec_lo, s5
	s_mul_i32 s6, s53, s51
	s_add_i32 s5, s36, 31
	s_sub_i32 s6, s49, s6
	s_and_not1_b32 s5, s5, 31
	s_add_i32 s7, s53, 1
	s_sub_i32 s12, s6, s51
	s_cmp_ge_u32 s6, s51
	v_add_nc_u32_e32 v1, s46, v0
	s_cselect_b32 s7, s7, s53
	s_cselect_b32 s6, s12, s6
	s_add_i32 s12, s7, 1
	s_cmp_ge_u32 s6, s51
	s_mul_i32 s6, s52, s50
	s_cselect_b32 s7, s12, s7
	s_sub_i32 s12, s49, s6
	s_mul_i32 s6, s7, s51
	s_mul_i32 s7, s7, s44
	s_sub_i32 s6, s49, s6
	s_add_i32 s13, s52, 1
	s_mul_i32 s6, s6, s45
	s_sub_i32 s14, s12, s50
	s_add_i32 s6, s7, s6
	s_cmp_ge_u32 s12, s50
	v_mul_lo_u32 v2, s34, v1
	s_cselect_b32 s13, s13, s52
	s_cselect_b32 s7, s14, s12
	s_add_i32 s12, s13, 1
	s_cmp_ge_u32 s7, s50
	s_mov_b32 s7, 0
	s_cselect_b32 s13, s12, s13
	s_clause 0x1
	s_load_b32 s12, s[0:1], 0x1c8
	s_load_b32 s1, s[0:1], 0x2a8
	s_mul_i32 s0, s13, s50
	s_mul_i32 s13, s13, s42
	s_sub_i32 s0, s49, s0
	s_lshl_b64 s[14:15], s[6:7], 3
	s_mul_i32 s0, s0, s43
	s_mov_b32 s17, s7
	s_add_i32 s16, s13, s0
	s_add_u32 s6, s30, s14
	s_addc_u32 s13, s31, s15
	s_lshl_b64 s[14:15], s[16:17], 3
	s_mov_b32 s0, -1
	s_add_u32 s14, s40, s14
	s_addc_u32 s15, s41, s15
	s_mov_b32 s16, 0
	s_mov_b32 s17, exec_lo
	v_cmpx_gt_u32_e64 s5, v0
	s_cbranch_execz .LBB46_432
; %bb.417:
	v_mul_lo_u32 v7, s34, v1
	v_xor_b32_e32 v6, 0x80000000, v10
	v_dual_mov_b32 v5, v9 :: v_dual_mov_b32 v8, 0
	v_mov_b32_e32 v15, v0
                                        ; implicit-def: $sgpr18
                                        ; implicit-def: $vgpr17
	s_branch .LBB46_419
.LBB46_418:                             ;   in Loop: Header=BB46_419 Depth=1
	s_or_b32 exec_lo, exec_lo, s19
	s_xor_b32 s19, s21, -1
	s_and_b32 s0, exec_lo, s0
	v_dual_mov_b32 v3, v13 :: v_dual_mov_b32 v4, v14
	s_or_b32 s16, s0, s16
	v_mov_b32_e32 v15, v1
	s_and_not1_b32 s0, s18, exec_lo
	s_and_b32 s18, s19, exec_lo
	s_delay_alu instid0(SALU_CYCLE_1)
	s_or_b32 s18, s0, s18
	s_and_not1_b32 exec_lo, exec_lo, s16
	s_cbranch_execz .LBB46_431
.LBB46_419:                             ; =>This Inner Loop Header: Depth=1
	v_mov_b32_e32 v13, 0
	s_delay_alu instid0(VALU_DEP_2) | instskip(SKIP_1) | instid1(VALU_DEP_1)
	v_dual_mov_b32 v14, 0 :: v_dual_add_nc_u32 v1, s46, v15
	s_mov_b32 s0, exec_lo
	v_cmpx_gt_u32_e64 s36, v1
	s_cbranch_execz .LBB46_421
; %bb.420:                              ;   in Loop: Header=BB46_419 Depth=1
	v_lshlrev_b64 v[13:14], 3, v[7:8]
	s_delay_alu instid0(VALU_DEP_1) | instskip(NEXT) | instid1(VALU_DEP_2)
	v_add_co_u32 v13, vcc_lo, s33, v13
	v_add_co_ci_u32_e32 v14, vcc_lo, s35, v14, vcc_lo
	global_load_b64 v[13:14], v[13:14], off
.LBB46_421:                             ;   in Loop: Header=BB46_419 Depth=1
	s_or_b32 exec_lo, exec_lo, s0
	s_waitcnt vmcnt(0)
	v_xor_b32_e32 v19, 0x80000000, v4
	v_mov_b32_e32 v18, v3
	s_delay_alu instid0(VALU_DEP_1) | instskip(SKIP_4) | instid1(VALU_DEP_2)
	v_cmp_gt_u64_e32 vcc_lo, v[18:19], v[5:6]
	v_cndmask_b32_e64 v16, 0, 1, vcc_lo
	v_cmp_lt_u64_e32 vcc_lo, v[18:19], v[5:6]
	v_cndmask_b32_e64 v18, 0, 1, vcc_lo
	v_cmp_gt_u32_e32 vcc_lo, s36, v15
	v_cndmask_b32_e64 v16, v18, v16, s3
	s_delay_alu instid0(VALU_DEP_1) | instskip(NEXT) | instid1(VALU_DEP_1)
	v_and_b32_e32 v16, 1, v16
	v_cmp_eq_u32_e64 s0, 1, v16
	s_delay_alu instid0(VALU_DEP_1) | instskip(NEXT) | instid1(SALU_CYCLE_1)
	s_and_b32 s20, vcc_lo, s0
	v_cndmask_b32_e64 v16, 0, 1, s20
	s_delay_alu instid0(VALU_DEP_1) | instskip(SKIP_2) | instid1(SALU_CYCLE_1)
	v_cmp_ne_u32_e32 vcc_lo, 0, v16
	s_cmp_lg_u32 vcc_lo, 0
	s_cselect_b32 s0, -1, 0
	s_and_b32 s0, s2, s0
	s_delay_alu instid0(SALU_CYCLE_1)
	s_and_saveexec_b32 s19, s0
	s_cbranch_execz .LBB46_425
; %bb.422:                              ;   in Loop: Header=BB46_419 Depth=1
	s_mov_b32 s23, exec_lo
	s_bcnt1_i32_b32 s21, vcc_lo
	v_mbcnt_lo_u32_b32 v16, s23, 0
	s_mov_b32 s22, exec_lo
                                        ; implicit-def: $vgpr17
	s_delay_alu instid0(VALU_DEP_1)
	v_cmpx_eq_u32_e32 0, v16
	s_cbranch_execz .LBB46_424
; %bb.423:                              ;   in Loop: Header=BB46_419 Depth=1
	s_bcnt1_i32_b32 s0, s23
	s_delay_alu instid0(SALU_CYCLE_1)
	s_mul_i32 s0, s21, s0
	s_waitcnt lgkmcnt(0)
	v_mov_b32_e32 v17, s0
	ds_add_rtn_u32 v17, v8, v17 offset:4108
.LBB46_424:                             ;   in Loop: Header=BB46_419 Depth=1
	s_or_b32 exec_lo, exec_lo, s22
	s_waitcnt lgkmcnt(0)
	v_readfirstlane_b32 s0, v17
	s_delay_alu instid0(VALU_DEP_1)
	v_mad_u32_u24 v17, s21, v16, s0
.LBB46_425:                             ;   in Loop: Header=BB46_419 Depth=1
	s_or_b32 exec_lo, exec_lo, s19
	s_waitcnt lgkmcnt(0)
	ds_bpermute_b32 v17, v8, v17
	s_mov_b32 s0, -1
	s_mov_b32 s22, -1
                                        ; implicit-def: $sgpr21
	s_and_saveexec_b32 s19, s20
	s_cbranch_execz .LBB46_429
; %bb.426:                              ;   in Loop: Header=BB46_419 Depth=1
	v_and_b32_e32 v16, vcc_lo, v27
	s_mov_b32 s20, 0
	s_mov_b32 s21, exec_lo
	s_waitcnt lgkmcnt(0)
	s_delay_alu instid0(VALU_DEP_1) | instskip(NEXT) | instid1(VALU_DEP_1)
	v_bcnt_u32_b32 v16, v16, v17
	v_cmpx_gt_u32_e64 s37, v16
	s_cbranch_execz .LBB46_428
; %bb.427:                              ;   in Loop: Header=BB46_419 Depth=1
	v_mul_lo_u32 v18, v16, s12
	v_mov_b32_e32 v19, v8
	v_mul_lo_u32 v20, v16, s1
	v_mov_b32_e32 v21, v8
	v_mov_b32_e32 v16, v8
	s_mov_b32 s20, exec_lo
	v_lshlrev_b64 v[18:19], 3, v[18:19]
	s_delay_alu instid0(VALU_DEP_3) | instskip(NEXT) | instid1(VALU_DEP_2)
	v_lshlrev_b64 v[20:21], 3, v[20:21]
	v_add_co_u32 v18, vcc_lo, s6, v18
	s_delay_alu instid0(VALU_DEP_3) | instskip(NEXT) | instid1(VALU_DEP_3)
	v_add_co_ci_u32_e32 v19, vcc_lo, s13, v19, vcc_lo
	v_add_co_u32 v20, vcc_lo, s14, v20
	s_delay_alu instid0(VALU_DEP_4)
	v_add_co_ci_u32_e32 v21, vcc_lo, s15, v21, vcc_lo
	global_store_b64 v[18:19], v[3:4], off
	global_store_b64 v[20:21], v[15:16], off
.LBB46_428:                             ;   in Loop: Header=BB46_419 Depth=1
	s_or_b32 exec_lo, exec_lo, s21
	s_mov_b32 s21, -1
	s_or_not1_b32 s22, s20, exec_lo
.LBB46_429:                             ;   in Loop: Header=BB46_419 Depth=1
	s_or_b32 exec_lo, exec_lo, s19
	s_and_saveexec_b32 s19, s22
	s_cbranch_execz .LBB46_418
; %bb.430:                              ;   in Loop: Header=BB46_419 Depth=1
	v_cmp_le_u32_e32 vcc_lo, s5, v1
	v_add_nc_u32_e32 v7, s48, v7
	s_and_not1_b32 s21, s21, exec_lo
	s_or_not1_b32 s0, vcc_lo, exec_lo
	s_branch .LBB46_418
.LBB46_431:
	s_or_b32 exec_lo, exec_lo, s16
	s_delay_alu instid0(SALU_CYCLE_1)
	s_mov_b32 s16, exec_lo
	s_or_not1_b32 s0, s18, exec_lo
.LBB46_432:
	s_or_b32 exec_lo, exec_lo, s17
	s_and_saveexec_b32 s3, s0
	s_cbranch_execz .LBB46_455
; %bb.433:
	s_waitcnt vmcnt(0)
	v_mov_b32_e32 v4, 0
	v_mov_b32_e32 v5, 0
	s_waitcnt lgkmcnt(0)
	s_waitcnt_vscnt null, 0x0
	s_barrier
	buffer_gl0_inv
	s_and_saveexec_b32 s0, s4
	s_cbranch_execz .LBB46_435
; %bb.434:
	global_load_b64 v[4:5], v[11:12], off
.LBB46_435:
	s_or_b32 exec_lo, exec_lo, s0
	v_mov_b32_e32 v3, 0
	s_mov_b32 s7, 0
                                        ; implicit-def: $sgpr4
                                        ; implicit-def: $sgpr17
                                        ; implicit-def: $sgpr18
                                        ; implicit-def: $vgpr8
	s_branch .LBB46_438
.LBB46_436:                             ;   in Loop: Header=BB46_438 Depth=1
	s_or_b32 exec_lo, exec_lo, s21
	v_mov_b32_e32 v0, v11
	s_and_not1_b32 s18, s18, exec_lo
	s_and_b32 s20, s23, exec_lo
	s_and_not1_b32 s17, s17, exec_lo
	s_and_b32 s0, s0, exec_lo
	s_or_b32 s18, s18, s20
	s_or_b32 s17, s17, s0
.LBB46_437:                             ;   in Loop: Header=BB46_438 Depth=1
	s_or_b32 exec_lo, exec_lo, s19
	s_xor_b32 s0, s18, -1
	s_and_b32 s19, exec_lo, s17
	s_delay_alu instid0(SALU_CYCLE_1) | instskip(SKIP_2) | instid1(SALU_CYCLE_1)
	s_or_b32 s7, s19, s7
	s_and_not1_b32 s4, s4, exec_lo
	s_and_b32 s0, s0, exec_lo
	s_or_b32 s4, s4, s0
	s_and_not1_b32 exec_lo, exec_lo, s7
	s_cbranch_execz .LBB46_453
.LBB46_438:                             ; =>This Inner Loop Header: Depth=1
	s_or_b32 s18, s18, exec_lo
	s_or_b32 s17, s17, exec_lo
	s_mov_b32 s19, exec_lo
	v_cmpx_gt_u32_e64 s5, v0
	s_cbranch_execz .LBB46_437
; %bb.439:                              ;   in Loop: Header=BB46_438 Depth=1
	v_dual_mov_b32 v6, 0 :: v_dual_add_nc_u32 v11, s46, v0
	v_mov_b32_e32 v7, 0
	s_mov_b32 s0, exec_lo
	s_delay_alu instid0(VALU_DEP_2)
	v_cmpx_gt_u32_e64 s36, v11
	s_cbranch_execz .LBB46_441
; %bb.440:                              ;   in Loop: Header=BB46_438 Depth=1
	v_lshlrev_b64 v[6:7], 3, v[2:3]
	s_delay_alu instid0(VALU_DEP_1) | instskip(NEXT) | instid1(VALU_DEP_2)
	v_add_co_u32 v6, vcc_lo, s33, v6
	v_add_co_ci_u32_e32 v7, vcc_lo, s35, v7, vcc_lo
	global_load_b64 v[6:7], v[6:7], off
.LBB46_441:                             ;   in Loop: Header=BB46_438 Depth=1
	s_or_b32 exec_lo, exec_lo, s0
	s_waitcnt vmcnt(0)
	v_cmp_eq_u64_e32 vcc_lo, v[4:5], v[9:10]
	v_cmp_gt_u32_e64 s0, s36, v0
	s_delay_alu instid0(VALU_DEP_1) | instskip(NEXT) | instid1(SALU_CYCLE_1)
	s_and_b32 s21, s0, vcc_lo
	v_cndmask_b32_e64 v1, 0, 1, s21
	s_delay_alu instid0(VALU_DEP_1) | instskip(SKIP_2) | instid1(SALU_CYCLE_1)
	v_cmp_ne_u32_e32 vcc_lo, 0, v1
	s_cmp_lg_u32 vcc_lo, 0
	s_cselect_b32 s0, -1, 0
	s_and_b32 s0, s2, s0
	s_delay_alu instid0(SALU_CYCLE_1)
	s_and_saveexec_b32 s20, s0
	s_cbranch_execz .LBB46_445
; %bb.442:                              ;   in Loop: Header=BB46_438 Depth=1
	s_mov_b32 s24, exec_lo
	s_bcnt1_i32_b32 s22, vcc_lo
	v_mbcnt_lo_u32_b32 v1, s24, 0
	s_mov_b32 s23, exec_lo
                                        ; implicit-def: $vgpr8
	s_delay_alu instid0(VALU_DEP_1)
	v_cmpx_eq_u32_e32 0, v1
	s_cbranch_execz .LBB46_444
; %bb.443:                              ;   in Loop: Header=BB46_438 Depth=1
	s_bcnt1_i32_b32 s0, s24
	s_delay_alu instid0(SALU_CYCLE_1) | instskip(NEXT) | instid1(SALU_CYCLE_1)
	s_mul_i32 s0, s22, s0
	v_mov_b32_e32 v8, s0
	ds_add_rtn_u32 v8, v3, v8 offset:4108
.LBB46_444:                             ;   in Loop: Header=BB46_438 Depth=1
	s_or_b32 exec_lo, exec_lo, s23
	s_waitcnt lgkmcnt(0)
	v_readfirstlane_b32 s0, v8
	s_delay_alu instid0(VALU_DEP_1)
	v_mad_u32_u24 v8, s22, v1, s0
.LBB46_445:                             ;   in Loop: Header=BB46_438 Depth=1
	s_or_b32 exec_lo, exec_lo, s20
	ds_bpermute_b32 v8, v3, v8
	s_cmp_eq_u32 vcc_lo, 0
	s_mov_b32 s22, -1
	s_cselect_b32 s20, -1, 0
	s_mov_b32 s23, -1
	s_waitcnt lgkmcnt(0)
	v_cmp_gt_u32_e64 s0, s37, v8
	s_delay_alu instid0(VALU_DEP_1) | instskip(SKIP_4) | instid1(SALU_CYCLE_1)
	s_or_b32 s20, s20, s0
	s_mov_b32 s0, -1
	v_cndmask_b32_e64 v5, v5, v7, s20
	v_cndmask_b32_e64 v4, v4, v6, s20
	s_and_b32 s24, s21, s20
	s_and_saveexec_b32 s21, s24
	s_cbranch_execz .LBB46_451
; %bb.446:                              ;   in Loop: Header=BB46_438 Depth=1
	v_and_b32_e32 v1, vcc_lo, v27
	v_sub_nc_u32_e32 v4, s37, v8
	s_mov_b32 s24, -1
	s_mov_b32 s23, exec_lo
	s_delay_alu instid0(VALU_DEP_2) | instskip(NEXT) | instid1(VALU_DEP_1)
	v_bcnt_u32_b32 v1, v1, 0
	v_cmp_le_u32_e64 s22, v4, v1
	v_cmpx_gt_u32_e64 v4, v1
	s_cbranch_execz .LBB46_450
; %bb.447:                              ;   in Loop: Header=BB46_438 Depth=1
	v_add_nc_u32_e32 v1, v8, v1
	s_delay_alu instid0(VALU_DEP_3) | instskip(SKIP_1) | instid1(VALU_DEP_1)
	s_mov_b32 s25, s22
	s_mov_b32 s24, exec_lo
	v_cmpx_gt_u32_e64 s37, v1
	s_cbranch_execz .LBB46_449
; %bb.448:                              ;   in Loop: Header=BB46_438 Depth=1
	v_mul_lo_u32 v4, v1, s12
	v_mov_b32_e32 v5, v3
	v_mul_lo_u32 v12, v1, s1
	v_mov_b32_e32 v13, v3
	v_mov_b32_e32 v1, v3
	s_or_b32 s25, s22, exec_lo
	v_lshlrev_b64 v[4:5], 3, v[4:5]
	s_delay_alu instid0(VALU_DEP_3) | instskip(NEXT) | instid1(VALU_DEP_2)
	v_lshlrev_b64 v[12:13], 3, v[12:13]
	v_add_co_u32 v4, vcc_lo, s6, v4
	s_delay_alu instid0(VALU_DEP_3) | instskip(NEXT) | instid1(VALU_DEP_3)
	v_add_co_ci_u32_e32 v5, vcc_lo, s13, v5, vcc_lo
	v_add_co_u32 v12, vcc_lo, s14, v12
	s_delay_alu instid0(VALU_DEP_4)
	v_add_co_ci_u32_e32 v13, vcc_lo, s15, v13, vcc_lo
	global_store_b64 v[4:5], v[9:10], off
	global_store_b64 v[12:13], v[0:1], off
.LBB46_449:                             ;   in Loop: Header=BB46_438 Depth=1
	s_or_b32 exec_lo, exec_lo, s24
	s_delay_alu instid0(SALU_CYCLE_1)
	s_and_not1_b32 s22, s22, exec_lo
	s_and_b32 s25, s25, exec_lo
	s_xor_b32 s24, exec_lo, -1
	s_or_b32 s22, s22, s25
.LBB46_450:                             ;   in Loop: Header=BB46_438 Depth=1
	s_or_b32 exec_lo, exec_lo, s23
	v_dual_mov_b32 v4, v6 :: v_dual_mov_b32 v5, v7
	s_or_not1_b32 s23, s24, exec_lo
	s_or_b32 s20, s20, exec_lo
	s_or_not1_b32 s22, s22, exec_lo
.LBB46_451:                             ;   in Loop: Header=BB46_438 Depth=1
	s_or_b32 exec_lo, exec_lo, s21
	s_and_saveexec_b32 s21, s22
	s_cbranch_execz .LBB46_436
; %bb.452:                              ;   in Loop: Header=BB46_438 Depth=1
	v_add_nc_u32_e32 v2, s48, v2
	s_xor_b32 s0, s20, -1
	s_or_b32 s23, s23, exec_lo
	s_or_not1_b32 s0, s0, exec_lo
	s_branch .LBB46_436
.LBB46_453:
	s_or_b32 exec_lo, exec_lo, s7
	s_mov_b32 s0, 0
	s_and_saveexec_b32 s1, s4
	s_delay_alu instid0(SALU_CYCLE_1)
	s_xor_b32 s1, exec_lo, s1
	s_cbranch_execnz .LBB46_485
.LBB46_454:
	s_or_b32 exec_lo, exec_lo, s1
	s_delay_alu instid0(SALU_CYCLE_1)
	s_and_b32 s7, s0, exec_lo
	s_and_not1_b32 s16, s16, exec_lo
.LBB46_455:
	s_or_b32 exec_lo, exec_lo, s3
	s_and_saveexec_b32 s0, s16
	s_delay_alu instid0(SALU_CYCLE_1)
	s_xor_b32 s0, exec_lo, s0
	s_cbranch_execnz .LBB46_481
.LBB46_456:
	s_or_b32 exec_lo, exec_lo, s0
	s_waitcnt lgkmcnt(0)
	s_and_b32 s12, s7, exec_lo
.LBB46_457:
	s_and_not1_saveexec_b32 s0, s11
	s_cbranch_execnz .LBB46_477
.LBB46_458:
	s_or_b32 exec_lo, exec_lo, s0
	s_delay_alu instid0(SALU_CYCLE_1)
	s_and_b32 s11, s12, exec_lo
.LBB46_459:
	s_and_not1_saveexec_b32 s0, s10
	s_cbranch_execnz .LBB46_473
.LBB46_460:
	s_or_b32 exec_lo, exec_lo, s0
	s_delay_alu instid0(SALU_CYCLE_1)
	s_and_b32 s10, s11, exec_lo
.LBB46_461:
	s_and_not1_saveexec_b32 s0, s9
	s_cbranch_execnz .LBB46_469
.LBB46_462:
	s_or_b32 exec_lo, exec_lo, s0
	s_delay_alu instid0(SALU_CYCLE_1)
	s_and_b32 s9, s10, exec_lo
.LBB46_463:
	s_and_not1_saveexec_b32 s0, s8
	s_cbranch_execnz .LBB46_467
; %bb.464:
	s_or_b32 exec_lo, exec_lo, s0
	s_and_saveexec_b32 s0, s9
.LBB46_465:
	; divergent unreachable
.LBB46_466:
	s_nop 0
	s_sendmsg sendmsg(MSG_DEALLOC_VGPRS)
	s_endpgm
.LBB46_467:
	s_cbranch_execnz .LBB46_471
; %bb.468:
	s_or_b32 s9, s9, exec_lo
	s_or_b32 exec_lo, exec_lo, s0
	s_and_saveexec_b32 s0, s9
	s_cbranch_execnz .LBB46_465
	s_branch .LBB46_466
.LBB46_469:
	s_cbranch_execnz .LBB46_475
; %bb.470:
	s_or_b32 s10, s10, exec_lo
	s_branch .LBB46_462
.LBB46_471:
	s_trap 2
	s_sendmsg_rtn_b32 s0, sendmsg(MSG_RTN_GET_DOORBELL)
	s_mov_b32 ttmp2, m0
	s_waitcnt lgkmcnt(0)
	s_and_b32 s0, s0, 0x3ff
	s_delay_alu instid0(SALU_CYCLE_1) | instskip(NEXT) | instid1(SALU_CYCLE_1)
	s_bitset1_b32 s0, 10
	s_mov_b32 m0, s0
	s_sendmsg sendmsg(MSG_INTERRUPT)
	s_mov_b32 m0, ttmp2
.LBB46_472:                             ; =>This Inner Loop Header: Depth=1
	s_sethalt 5
	s_branch .LBB46_472
.LBB46_473:
	s_cbranch_execnz .LBB46_479
; %bb.474:
	s_or_b32 s11, s11, exec_lo
	s_branch .LBB46_460
.LBB46_475:
	s_trap 2
	s_sendmsg_rtn_b32 s0, sendmsg(MSG_RTN_GET_DOORBELL)
	s_mov_b32 ttmp2, m0
	s_waitcnt lgkmcnt(0)
	s_and_b32 s0, s0, 0x3ff
	s_delay_alu instid0(SALU_CYCLE_1) | instskip(NEXT) | instid1(SALU_CYCLE_1)
	s_bitset1_b32 s0, 10
	s_mov_b32 m0, s0
	s_sendmsg sendmsg(MSG_INTERRUPT)
	s_mov_b32 m0, ttmp2
.LBB46_476:                             ; =>This Inner Loop Header: Depth=1
	s_sethalt 5
	s_branch .LBB46_476
.LBB46_477:
	s_cbranch_execnz .LBB46_483
; %bb.478:
	s_or_b32 s12, s12, exec_lo
	s_branch .LBB46_458
.LBB46_479:
	s_trap 2
	s_sendmsg_rtn_b32 s0, sendmsg(MSG_RTN_GET_DOORBELL)
	s_mov_b32 ttmp2, m0
	s_waitcnt lgkmcnt(0)
	s_and_b32 s0, s0, 0x3ff
	s_delay_alu instid0(SALU_CYCLE_1) | instskip(NEXT) | instid1(SALU_CYCLE_1)
	s_bitset1_b32 s0, 10
	s_mov_b32 m0, s0
	s_sendmsg sendmsg(MSG_INTERRUPT)
	s_mov_b32 m0, ttmp2
.LBB46_480:                             ; =>This Inner Loop Header: Depth=1
	s_sethalt 5
	s_branch .LBB46_480
.LBB46_481:
	s_cbranch_execnz .LBB46_487
; %bb.482:
	s_or_b32 s7, s7, exec_lo
	s_branch .LBB46_456
.LBB46_483:
	s_trap 2
	s_sendmsg_rtn_b32 s0, sendmsg(MSG_RTN_GET_DOORBELL)
	s_mov_b32 ttmp2, m0
	s_waitcnt lgkmcnt(0)
	s_and_b32 s0, s0, 0x3ff
	s_delay_alu instid0(SALU_CYCLE_1) | instskip(NEXT) | instid1(SALU_CYCLE_1)
	s_bitset1_b32 s0, 10
	s_mov_b32 m0, s0
	s_sendmsg sendmsg(MSG_INTERRUPT)
	s_mov_b32 m0, ttmp2
.LBB46_484:                             ; =>This Inner Loop Header: Depth=1
	s_sethalt 5
	s_branch .LBB46_484
.LBB46_485:
	s_cbranch_execnz .LBB46_489
; %bb.486:
	s_mov_b32 s0, exec_lo
	s_branch .LBB46_454
.LBB46_487:
	s_trap 2
	s_sendmsg_rtn_b32 s0, sendmsg(MSG_RTN_GET_DOORBELL)
	s_mov_b32 ttmp2, m0
	s_waitcnt lgkmcnt(0)
	s_and_b32 s0, s0, 0x3ff
	s_delay_alu instid0(SALU_CYCLE_1) | instskip(NEXT) | instid1(SALU_CYCLE_1)
	s_bitset1_b32 s0, 10
	s_mov_b32 m0, s0
	s_sendmsg sendmsg(MSG_INTERRUPT)
	s_mov_b32 m0, ttmp2
.LBB46_488:                             ; =>This Inner Loop Header: Depth=1
	s_sethalt 5
	s_branch .LBB46_488
.LBB46_489:
	s_trap 2
	s_sendmsg_rtn_b32 s0, sendmsg(MSG_RTN_GET_DOORBELL)
	s_mov_b32 ttmp2, m0
	s_waitcnt lgkmcnt(0)
	s_and_b32 s0, s0, 0x3ff
	s_delay_alu instid0(SALU_CYCLE_1) | instskip(NEXT) | instid1(SALU_CYCLE_1)
	s_bitset1_b32 s0, 10
	s_mov_b32 m0, s0
	s_sendmsg sendmsg(MSG_INTERRUPT)
	s_mov_b32 m0, ttmp2
.LBB46_490:                             ; =>This Inner Loop Header: Depth=1
	s_sethalt 5
	s_branch .LBB46_490
	.section	.rodata,"a",@progbits
	.p2align	6, 0x0
	.amdhsa_kernel _ZN2at6native6sbtopk10gatherTopKIljLi2ELb0EEEvNS_4cuda6detail10TensorInfoIKT_T0_EES8_S8_bS8_S8_NS5_IS6_S8_EES8_NS5_IlS8_EES8_PS6_
		.amdhsa_group_segment_fixed_size 4112
		.amdhsa_private_segment_fixed_size 0
		.amdhsa_kernarg_size 952
		.amdhsa_user_sgpr_count 13
		.amdhsa_user_sgpr_dispatch_ptr 0
		.amdhsa_user_sgpr_queue_ptr 0
		.amdhsa_user_sgpr_kernarg_segment_ptr 1
		.amdhsa_user_sgpr_dispatch_id 0
		.amdhsa_user_sgpr_private_segment_size 0
		.amdhsa_wavefront_size32 1
		.amdhsa_uses_dynamic_stack 0
		.amdhsa_enable_private_segment 0
		.amdhsa_system_sgpr_workgroup_id_x 1
		.amdhsa_system_sgpr_workgroup_id_y 1
		.amdhsa_system_sgpr_workgroup_id_z 1
		.amdhsa_system_sgpr_workgroup_info 0
		.amdhsa_system_vgpr_workitem_id 0
		.amdhsa_next_free_vgpr 55
		.amdhsa_next_free_sgpr 98
		.amdhsa_reserve_vcc 1
		.amdhsa_float_round_mode_32 0
		.amdhsa_float_round_mode_16_64 0
		.amdhsa_float_denorm_mode_32 3
		.amdhsa_float_denorm_mode_16_64 3
		.amdhsa_dx10_clamp 1
		.amdhsa_ieee_mode 1
		.amdhsa_fp16_overflow 0
		.amdhsa_workgroup_processor_mode 1
		.amdhsa_memory_ordered 1
		.amdhsa_forward_progress 0
		.amdhsa_shared_vgpr_count 0
		.amdhsa_exception_fp_ieee_invalid_op 0
		.amdhsa_exception_fp_denorm_src 0
		.amdhsa_exception_fp_ieee_div_zero 0
		.amdhsa_exception_fp_ieee_overflow 0
		.amdhsa_exception_fp_ieee_underflow 0
		.amdhsa_exception_fp_ieee_inexact 0
		.amdhsa_exception_int_div_zero 0
	.end_amdhsa_kernel
	.section	.text._ZN2at6native6sbtopk10gatherTopKIljLi2ELb0EEEvNS_4cuda6detail10TensorInfoIKT_T0_EES8_S8_bS8_S8_NS5_IS6_S8_EES8_NS5_IlS8_EES8_PS6_,"axG",@progbits,_ZN2at6native6sbtopk10gatherTopKIljLi2ELb0EEEvNS_4cuda6detail10TensorInfoIKT_T0_EES8_S8_bS8_S8_NS5_IS6_S8_EES8_NS5_IlS8_EES8_PS6_,comdat
.Lfunc_end46:
	.size	_ZN2at6native6sbtopk10gatherTopKIljLi2ELb0EEEvNS_4cuda6detail10TensorInfoIKT_T0_EES8_S8_bS8_S8_NS5_IS6_S8_EES8_NS5_IlS8_EES8_PS6_, .Lfunc_end46-_ZN2at6native6sbtopk10gatherTopKIljLi2ELb0EEEvNS_4cuda6detail10TensorInfoIKT_T0_EES8_S8_bS8_S8_NS5_IS6_S8_EES8_NS5_IlS8_EES8_PS6_
                                        ; -- End function
	.section	.AMDGPU.csdata,"",@progbits
; Kernel info:
; codeLenInByte = 16224
; NumSgprs: 100
; NumVgprs: 55
; ScratchSize: 0
; MemoryBound: 0
; FloatMode: 240
; IeeeMode: 1
; LDSByteSize: 4112 bytes/workgroup (compile time only)
; SGPRBlocks: 12
; VGPRBlocks: 6
; NumSGPRsForWavesPerEU: 100
; NumVGPRsForWavesPerEU: 55
; Occupancy: 16
; WaveLimiterHint : 1
; COMPUTE_PGM_RSRC2:SCRATCH_EN: 0
; COMPUTE_PGM_RSRC2:USER_SGPR: 13
; COMPUTE_PGM_RSRC2:TRAP_HANDLER: 0
; COMPUTE_PGM_RSRC2:TGID_X_EN: 1
; COMPUTE_PGM_RSRC2:TGID_Y_EN: 1
; COMPUTE_PGM_RSRC2:TGID_Z_EN: 1
; COMPUTE_PGM_RSRC2:TIDIG_COMP_CNT: 0
	.section	.text._ZN2at6native6mbtopk23computeBlockDigitCountsIljmLi3EEEvNS_4cuda6detail10TensorInfoIKT_T0_EEjPjjS8_iijT1_PSB_Ps,"axG",@progbits,_ZN2at6native6mbtopk23computeBlockDigitCountsIljmLi3EEEvNS_4cuda6detail10TensorInfoIKT_T0_EEjPjjS8_iijT1_PSB_Ps,comdat
	.protected	_ZN2at6native6mbtopk23computeBlockDigitCountsIljmLi3EEEvNS_4cuda6detail10TensorInfoIKT_T0_EEjPjjS8_iijT1_PSB_Ps ; -- Begin function _ZN2at6native6mbtopk23computeBlockDigitCountsIljmLi3EEEvNS_4cuda6detail10TensorInfoIKT_T0_EEjPjjS8_iijT1_PSB_Ps
	.globl	_ZN2at6native6mbtopk23computeBlockDigitCountsIljmLi3EEEvNS_4cuda6detail10TensorInfoIKT_T0_EEjPjjS8_iijT1_PSB_Ps
	.p2align	8
	.type	_ZN2at6native6mbtopk23computeBlockDigitCountsIljmLi3EEEvNS_4cuda6detail10TensorInfoIKT_T0_EEjPjjS8_iijT1_PSB_Ps,@function
_ZN2at6native6mbtopk23computeBlockDigitCountsIljmLi3EEEvNS_4cuda6detail10TensorInfoIKT_T0_EEjPjjS8_iijT1_PSB_Ps: ; @_ZN2at6native6mbtopk23computeBlockDigitCountsIljmLi3EEEvNS_4cuda6detail10TensorInfoIKT_T0_EEjPjjS8_iijT1_PSB_Ps
; %bb.0:
	s_clause 0x2
	s_load_b32 s18, s[0:1], 0xf8
	s_load_b128 s[8:11], s[0:1], 0xe8
	s_load_b64 s[2:3], s[0:1], 0x118
	s_waitcnt lgkmcnt(0)
	v_cvt_f32_u32_e32 v1, s18
	s_sub_i32 s5, 0, s18
	s_mul_i32 s3, s3, s15
	s_delay_alu instid0(SALU_CYCLE_1) | instskip(NEXT) | instid1(VALU_DEP_1)
	s_add_i32 s3, s3, s14
	v_rcp_iflag_f32_e32 v1, v1
	s_mul_i32 s16, s3, s2
	s_delay_alu instid0(SALU_CYCLE_1) | instskip(SKIP_3) | instid1(VALU_DEP_1)
	s_add_i32 s16, s16, s13
	s_mov_b32 s13, 0
	s_waitcnt_depctr 0xfff
	v_mul_f32_e32 v1, 0x4f7ffffe, v1
	v_cvt_u32_f32_e32 v1, v1
	s_delay_alu instid0(VALU_DEP_1) | instskip(NEXT) | instid1(VALU_DEP_1)
	v_readfirstlane_b32 s4, v1
	s_mul_i32 s5, s5, s4
	s_delay_alu instid0(SALU_CYCLE_1) | instskip(NEXT) | instid1(SALU_CYCLE_1)
	s_mul_hi_u32 s2, s4, s5
	s_add_i32 s4, s4, s2
	s_delay_alu instid0(SALU_CYCLE_1) | instskip(NEXT) | instid1(SALU_CYCLE_1)
	s_mul_hi_u32 s2, s16, s4
	s_mul_i32 s3, s2, s18
	s_add_i32 s4, s2, 1
	s_sub_i32 s3, s16, s3
	s_delay_alu instid0(SALU_CYCLE_1)
	s_sub_i32 s5, s3, s18
	s_cmp_ge_u32 s3, s18
	s_cselect_b32 s2, s4, s2
	s_cselect_b32 s3, s5, s3
	s_add_i32 s4, s2, 1
	s_cmp_ge_u32 s3, s18
	s_cselect_b32 s12, s4, s2
	s_delay_alu instid0(SALU_CYCLE_1)
	s_cmp_ge_u32 s12, s8
	s_cbranch_scc1 .LBB47_29
; %bb.1:
	s_clause 0x1
	s_load_b64 s[14:15], s[0:1], 0xc
	s_load_b128 s[4:7], s[0:1], 0x100
	s_lshl_b64 s[2:3], s[12:13], 3
	v_cmp_gt_u32_e32 vcc_lo, 0x100, v0
	v_lshlrev_b32_e32 v5, 2, v0
	s_waitcnt lgkmcnt(0)
	v_cvt_f32_u32_e32 v1, s15
	v_cvt_f32_u32_e32 v2, s14
	s_add_u32 s6, s6, s2
	s_addc_u32 s7, s7, s3
	s_sub_i32 s2, 0, s15
	v_rcp_iflag_f32_e32 v1, v1
	v_rcp_iflag_f32_e32 v2, v2
	s_waitcnt_depctr 0xfff
	v_mul_f32_e32 v1, 0x4f7ffffe, v1
	s_delay_alu instid0(VALU_DEP_1) | instskip(NEXT) | instid1(VALU_DEP_1)
	v_cvt_u32_f32_e32 v1, v1
	v_readfirstlane_b32 s8, v1
	v_mul_f32_e32 v1, 0x4f7ffffe, v2
	s_delay_alu instid0(VALU_DEP_2) | instskip(SKIP_2) | instid1(VALU_DEP_1)
	s_mul_i32 s13, s2, s8
	s_load_b64 s[2:3], s[0:1], 0x110
	s_mul_hi_u32 s13, s8, s13
	v_cvt_u32_f32_e32 v1, v1
	s_add_i32 s8, s8, s13
	s_delay_alu instid0(SALU_CYCLE_1) | instskip(NEXT) | instid1(VALU_DEP_1)
	s_mul_hi_u32 s8, s12, s8
	v_readfirstlane_b32 s20, v1
	s_mul_i32 s13, s8, s15
	s_add_i32 s17, s8, 1
	s_sub_i32 s13, s12, s13
	s_delay_alu instid0(SALU_CYCLE_1)
	s_sub_i32 s19, s13, s15
	s_cmp_ge_u32 s13, s15
	s_cselect_b32 s8, s17, s8
	s_cselect_b32 s13, s19, s13
	s_add_i32 s17, s8, 1
	s_cmp_ge_u32 s13, s15
	s_cselect_b32 s19, s17, s8
	s_and_saveexec_b32 s8, vcc_lo
	s_cbranch_execz .LBB47_3
; %bb.2:
	v_mov_b32_e32 v1, 0
	ds_store_b32 v5, v1
.LBB47_3:
	s_or_b32 exec_lo, exec_lo, s8
	s_load_b32 s8, s[0:1], 0xd8
	s_mul_i32 s13, s12, s18
	s_waitcnt lgkmcnt(0)
	s_sub_i32 s13, s16, s13
	s_barrier
	s_mul_i32 s17, s11, s13
	s_add_i32 s13, s13, 1
	s_lshl_b32 s17, s17, 8
	buffer_gl0_inv
	s_sub_i32 s21, s8, s17
	s_delay_alu instid0(SALU_CYCLE_1) | instskip(SKIP_4) | instid1(VALU_DEP_1)
	s_add_u32 s21, s21, 0xff
	s_addc_u32 s22, 0, 0
	s_cmp_lt_u32 s13, s18
	v_alignbit_b32 v1, s22, s21, 8
	s_mov_b32 s13, 0
	v_readfirstlane_b32 s21, v1
	s_delay_alu instid0(VALU_DEP_1) | instskip(NEXT) | instid1(SALU_CYCLE_1)
	s_cselect_b32 s18, s11, s21
	s_cmp_lt_i32 s18, 1
	s_cbranch_scc1 .LBB47_25
; %bb.4:
	s_sub_i32 s11, 0, s14
	s_mul_i32 s15, s19, s15
	s_mul_i32 s11, s11, s20
	s_sub_i32 s12, s12, s15
	s_mul_hi_u32 s11, s20, s11
	s_load_b64 s[6:7], s[6:7], 0x0
	s_add_i32 s11, s20, s11
	s_clause 0x1
	s_load_b128 s[20:23], s[0:1], 0x6c
	s_load_b64 s[24:25], s[0:1], 0x0
	s_mul_hi_u32 s11, s19, s11
	s_waitcnt lgkmcnt(0)
	s_mul_i32 s23, s11, s14
	s_delay_alu instid0(SALU_CYCLE_1)
	s_sub_i32 s15, s19, s23
	s_add_i32 s23, s11, 1
	s_sub_i32 s26, s15, s14
	s_cmp_ge_u32 s15, s14
	s_cselect_b32 s0, s23, s11
	s_cselect_b32 s1, s26, s15
	s_add_i32 s11, s0, 1
	s_cmp_ge_u32 s1, s14
	s_cselect_b32 s0, s11, s0
	s_delay_alu instid0(SALU_CYCLE_1) | instskip(NEXT) | instid1(SALU_CYCLE_1)
	s_mul_i32 s1, s0, s14
	s_sub_i32 s1, s19, s1
	s_mul_i32 s12, s12, s22
	s_mul_i32 s1, s1, s21
	;; [unrolled: 1-line block ×3, first 2 shown]
	s_add_i32 s1, s1, s12
	s_delay_alu instid0(SALU_CYCLE_1) | instskip(NEXT) | instid1(SALU_CYCLE_1)
	s_add_i32 s12, s1, s0
	s_lshl_b64 s[14:15], s[12:13], 3
	s_delay_alu instid0(SALU_CYCLE_1)
	s_add_u32 s1, s24, s14
	s_addc_u32 s11, s25, s15
	s_and_b32 s10, s10, 0xff
	s_cmp_lt_u32 s18, 4
	s_cbranch_scc1 .LBB47_19
; %bb.5:
	v_add_nc_u32_e32 v1, s17, v0
	s_and_b32 s13, s18, 0x7ffffffc
	s_lshl_b32 s12, s9, 10
	s_mov_b32 s14, 0
	s_mov_b32 s15, 0
	v_dual_mov_b32 v11, 1 :: v_dual_add_nc_u32 v2, 0x200, v1
	s_delay_alu instid0(VALU_DEP_1) | instskip(SKIP_4) | instid1(VALU_DEP_3)
	v_mul_lo_u32 v8, s9, v2
	v_mov_b32_e32 v2, 0
	v_add_nc_u32_e32 v6, 0x300, v1
	v_add_nc_u32_e32 v3, 0x100, v1
	v_mul_lo_u32 v10, s9, v1
	v_mul_lo_u32 v7, s9, v6
	s_delay_alu instid0(VALU_DEP_3)
	v_mul_lo_u32 v9, s9, v3
	s_branch .LBB47_7
.LBB47_6:                               ;   in Loop: Header=BB47_7 Depth=1
	s_or_b32 exec_lo, exec_lo, s19
	v_add_nc_u32_e32 v6, 0x400, v6
	s_add_i32 s15, s15, 4
	s_add_i32 s14, s14, s12
	s_cmp_eq_u32 s13, s15
	s_cbranch_scc1 .LBB47_19
.LBB47_7:                               ; =>This Inner Loop Header: Depth=1
	v_add_nc_u32_e32 v1, 0xfffffd00, v6
	s_mov_b32 s19, exec_lo
	s_delay_alu instid0(VALU_DEP_1)
	v_cmpx_gt_u32_e64 s8, v1
	s_cbranch_execz .LBB47_10
; %bb.8:                                ;   in Loop: Header=BB47_7 Depth=1
	v_add_nc_u32_e32 v1, s14, v10
	s_delay_alu instid0(VALU_DEP_1) | instskip(NEXT) | instid1(VALU_DEP_1)
	v_lshlrev_b64 v[3:4], 3, v[1:2]
	v_add_co_u32 v3, s0, s1, v3
	s_delay_alu instid0(VALU_DEP_1) | instskip(SKIP_4) | instid1(VALU_DEP_2)
	v_add_co_ci_u32_e64 v4, s0, s11, v4, s0
	global_load_b64 v[3:4], v[3:4], off
	s_waitcnt vmcnt(0)
	v_xor_b32_e32 v4, 0x80000000, v4
	v_xor_b32_e32 v12, s6, v3
	;; [unrolled: 1-line block ×3, first 2 shown]
	s_delay_alu instid0(VALU_DEP_2) | instskip(NEXT) | instid1(VALU_DEP_2)
	v_and_b32_e32 v12, s4, v12
	v_and_b32_e32 v13, s5, v1
	s_delay_alu instid0(VALU_DEP_1) | instskip(NEXT) | instid1(VALU_DEP_1)
	v_cmp_eq_u64_e64 s0, 0, v[12:13]
	s_and_b32 exec_lo, exec_lo, s0
	s_cbranch_execz .LBB47_10
; %bb.9:                                ;   in Loop: Header=BB47_7 Depth=1
	v_lshrrev_b64 v[3:4], s10, v[3:4]
	s_delay_alu instid0(VALU_DEP_1) | instskip(NEXT) | instid1(VALU_DEP_1)
	v_and_b32_e32 v1, 0xff, v3
	v_lshlrev_b32_e32 v1, 2, v1
	ds_add_u32 v1, v11
.LBB47_10:                              ;   in Loop: Header=BB47_7 Depth=1
	s_or_b32 exec_lo, exec_lo, s19
	v_add_nc_u32_e32 v1, 0xfffffe00, v6
	s_mov_b32 s19, exec_lo
	s_delay_alu instid0(VALU_DEP_1)
	v_cmpx_gt_u32_e64 s8, v1
	s_cbranch_execz .LBB47_13
; %bb.11:                               ;   in Loop: Header=BB47_7 Depth=1
	v_add_nc_u32_e32 v1, s14, v9
	s_delay_alu instid0(VALU_DEP_1) | instskip(NEXT) | instid1(VALU_DEP_1)
	v_lshlrev_b64 v[3:4], 3, v[1:2]
	v_add_co_u32 v3, s0, s1, v3
	s_delay_alu instid0(VALU_DEP_1) | instskip(SKIP_4) | instid1(VALU_DEP_2)
	v_add_co_ci_u32_e64 v4, s0, s11, v4, s0
	global_load_b64 v[3:4], v[3:4], off
	s_waitcnt vmcnt(0)
	v_xor_b32_e32 v4, 0x80000000, v4
	v_xor_b32_e32 v12, s6, v3
	;; [unrolled: 1-line block ×3, first 2 shown]
	s_delay_alu instid0(VALU_DEP_2) | instskip(NEXT) | instid1(VALU_DEP_2)
	v_and_b32_e32 v12, s4, v12
	v_and_b32_e32 v13, s5, v1
	s_delay_alu instid0(VALU_DEP_1) | instskip(NEXT) | instid1(VALU_DEP_1)
	v_cmp_eq_u64_e64 s0, 0, v[12:13]
	s_and_b32 exec_lo, exec_lo, s0
	s_cbranch_execz .LBB47_13
; %bb.12:                               ;   in Loop: Header=BB47_7 Depth=1
	v_lshrrev_b64 v[3:4], s10, v[3:4]
	s_delay_alu instid0(VALU_DEP_1) | instskip(NEXT) | instid1(VALU_DEP_1)
	v_and_b32_e32 v1, 0xff, v3
	v_lshlrev_b32_e32 v1, 2, v1
	ds_add_u32 v1, v11
.LBB47_13:                              ;   in Loop: Header=BB47_7 Depth=1
	s_or_b32 exec_lo, exec_lo, s19
	v_add_nc_u32_e32 v1, 0xffffff00, v6
	s_mov_b32 s19, exec_lo
	s_delay_alu instid0(VALU_DEP_1)
	v_cmpx_gt_u32_e64 s8, v1
	s_cbranch_execz .LBB47_16
; %bb.14:                               ;   in Loop: Header=BB47_7 Depth=1
	v_add_nc_u32_e32 v1, s14, v8
	s_delay_alu instid0(VALU_DEP_1) | instskip(NEXT) | instid1(VALU_DEP_1)
	v_lshlrev_b64 v[3:4], 3, v[1:2]
	v_add_co_u32 v3, s0, s1, v3
	s_delay_alu instid0(VALU_DEP_1) | instskip(SKIP_4) | instid1(VALU_DEP_2)
	v_add_co_ci_u32_e64 v4, s0, s11, v4, s0
	global_load_b64 v[3:4], v[3:4], off
	s_waitcnt vmcnt(0)
	v_xor_b32_e32 v4, 0x80000000, v4
	v_xor_b32_e32 v12, s6, v3
	;; [unrolled: 1-line block ×3, first 2 shown]
	s_delay_alu instid0(VALU_DEP_2) | instskip(NEXT) | instid1(VALU_DEP_2)
	v_and_b32_e32 v12, s4, v12
	v_and_b32_e32 v13, s5, v1
	s_delay_alu instid0(VALU_DEP_1) | instskip(NEXT) | instid1(VALU_DEP_1)
	v_cmp_eq_u64_e64 s0, 0, v[12:13]
	s_and_b32 exec_lo, exec_lo, s0
	s_cbranch_execz .LBB47_16
; %bb.15:                               ;   in Loop: Header=BB47_7 Depth=1
	v_lshrrev_b64 v[3:4], s10, v[3:4]
	s_delay_alu instid0(VALU_DEP_1) | instskip(NEXT) | instid1(VALU_DEP_1)
	v_and_b32_e32 v1, 0xff, v3
	v_lshlrev_b32_e32 v1, 2, v1
	ds_add_u32 v1, v11
.LBB47_16:                              ;   in Loop: Header=BB47_7 Depth=1
	s_or_b32 exec_lo, exec_lo, s19
	s_delay_alu instid0(SALU_CYCLE_1)
	s_mov_b32 s19, exec_lo
	v_cmpx_gt_u32_e64 s8, v6
	s_cbranch_execz .LBB47_6
; %bb.17:                               ;   in Loop: Header=BB47_7 Depth=1
	v_add_nc_u32_e32 v1, s14, v7
	s_delay_alu instid0(VALU_DEP_1) | instskip(NEXT) | instid1(VALU_DEP_1)
	v_lshlrev_b64 v[3:4], 3, v[1:2]
	v_add_co_u32 v3, s0, s1, v3
	s_delay_alu instid0(VALU_DEP_1) | instskip(SKIP_4) | instid1(VALU_DEP_2)
	v_add_co_ci_u32_e64 v4, s0, s11, v4, s0
	global_load_b64 v[3:4], v[3:4], off
	s_waitcnt vmcnt(0)
	v_xor_b32_e32 v4, 0x80000000, v4
	v_xor_b32_e32 v12, s6, v3
	;; [unrolled: 1-line block ×3, first 2 shown]
	s_delay_alu instid0(VALU_DEP_2) | instskip(NEXT) | instid1(VALU_DEP_2)
	v_and_b32_e32 v12, s4, v12
	v_and_b32_e32 v13, s5, v1
	s_delay_alu instid0(VALU_DEP_1) | instskip(NEXT) | instid1(VALU_DEP_1)
	v_cmp_eq_u64_e64 s0, 0, v[12:13]
	s_and_b32 exec_lo, exec_lo, s0
	s_cbranch_execz .LBB47_6
; %bb.18:                               ;   in Loop: Header=BB47_7 Depth=1
	v_lshrrev_b64 v[3:4], s10, v[3:4]
	s_delay_alu instid0(VALU_DEP_1) | instskip(NEXT) | instid1(VALU_DEP_1)
	v_and_b32_e32 v1, 0xff, v3
	v_lshlrev_b32_e32 v1, 2, v1
	ds_add_u32 v1, v11
	s_branch .LBB47_6
.LBB47_19:
	s_and_b32 s12, s18, 3
	s_delay_alu instid0(SALU_CYCLE_1)
	s_cmp_eq_u32 s12, 0
	s_cbranch_scc1 .LBB47_25
; %bb.20:
	s_lshl_b32 s0, s13, 8
	v_dual_mov_b32 v2, 0 :: v_dual_mov_b32 v7, 1
	v_add3_u32 v6, s0, s17, v0
	s_delay_alu instid0(VALU_DEP_1)
	v_mul_lo_u32 v1, s9, v6
	s_lshl_b32 s9, s9, 8
	s_set_inst_prefetch_distance 0x1
	s_branch .LBB47_22
	.p2align	6
.LBB47_21:                              ;   in Loop: Header=BB47_22 Depth=1
	s_or_b32 exec_lo, exec_lo, s13
	v_add_nc_u32_e32 v1, s9, v1
	v_add_nc_u32_e32 v6, 0x100, v6
	s_add_i32 s12, s12, -1
	s_delay_alu instid0(SALU_CYCLE_1)
	s_cmp_lg_u32 s12, 0
	s_cbranch_scc0 .LBB47_25
.LBB47_22:                              ; =>This Inner Loop Header: Depth=1
	s_mov_b32 s13, exec_lo
	v_cmpx_gt_u32_e64 s8, v6
	s_cbranch_execz .LBB47_21
; %bb.23:                               ;   in Loop: Header=BB47_22 Depth=1
	s_delay_alu instid0(VALU_DEP_2) | instskip(NEXT) | instid1(VALU_DEP_1)
	v_lshlrev_b64 v[3:4], 3, v[1:2]
	v_add_co_u32 v3, s0, s1, v3
	s_delay_alu instid0(VALU_DEP_1) | instskip(SKIP_4) | instid1(VALU_DEP_2)
	v_add_co_ci_u32_e64 v4, s0, s11, v4, s0
	global_load_b64 v[3:4], v[3:4], off
	s_waitcnt vmcnt(0)
	v_xor_b32_e32 v4, 0x80000000, v4
	v_xor_b32_e32 v10, s6, v3
	;; [unrolled: 1-line block ×3, first 2 shown]
	s_delay_alu instid0(VALU_DEP_1) | instskip(NEXT) | instid1(VALU_DEP_3)
	v_and_b32_e32 v9, s5, v8
	v_and_b32_e32 v8, s4, v10
	s_delay_alu instid0(VALU_DEP_1) | instskip(NEXT) | instid1(VALU_DEP_1)
	v_cmp_eq_u64_e64 s0, 0, v[8:9]
	s_and_b32 exec_lo, exec_lo, s0
	s_cbranch_execz .LBB47_21
; %bb.24:                               ;   in Loop: Header=BB47_22 Depth=1
	v_lshrrev_b64 v[3:4], s10, v[3:4]
	s_delay_alu instid0(VALU_DEP_1) | instskip(NEXT) | instid1(VALU_DEP_1)
	v_and_b32_e32 v3, 0xff, v3
	v_lshlrev_b32_e32 v3, 2, v3
	ds_add_u32 v3, v7
	s_branch .LBB47_21
.LBB47_25:
	s_set_inst_prefetch_distance 0x2
	v_mov_b32_e32 v1, 0
	s_waitcnt lgkmcnt(0)
	s_barrier
	buffer_gl0_inv
	s_and_saveexec_b32 s0, vcc_lo
	s_cbranch_execz .LBB47_27
; %bb.26:
	ds_load_b32 v1, v5
.LBB47_27:
	s_or_b32 exec_lo, exec_lo, s0
	s_and_saveexec_b32 s0, vcc_lo
	s_cbranch_execz .LBB47_29
; %bb.28:
	v_lshl_or_b32 v2, s16, 8, v0
	v_mov_b32_e32 v3, 0
	s_delay_alu instid0(VALU_DEP_1) | instskip(NEXT) | instid1(VALU_DEP_1)
	v_lshlrev_b64 v[2:3], 1, v[2:3]
	v_add_co_u32 v2, vcc_lo, s2, v2
	s_delay_alu instid0(VALU_DEP_2)
	v_add_co_ci_u32_e32 v3, vcc_lo, s3, v3, vcc_lo
	s_waitcnt lgkmcnt(0)
	global_store_b16 v[2:3], v1, off
.LBB47_29:
	s_nop 0
	s_sendmsg sendmsg(MSG_DEALLOC_VGPRS)
	s_endpgm
	.section	.rodata,"a",@progbits
	.p2align	6, 0x0
	.amdhsa_kernel _ZN2at6native6mbtopk23computeBlockDigitCountsIljmLi3EEEvNS_4cuda6detail10TensorInfoIKT_T0_EEjPjjS8_iijT1_PSB_Ps
		.amdhsa_group_segment_fixed_size 1024
		.amdhsa_private_segment_fixed_size 0
		.amdhsa_kernarg_size 536
		.amdhsa_user_sgpr_count 13
		.amdhsa_user_sgpr_dispatch_ptr 0
		.amdhsa_user_sgpr_queue_ptr 0
		.amdhsa_user_sgpr_kernarg_segment_ptr 1
		.amdhsa_user_sgpr_dispatch_id 0
		.amdhsa_user_sgpr_private_segment_size 0
		.amdhsa_wavefront_size32 1
		.amdhsa_uses_dynamic_stack 0
		.amdhsa_enable_private_segment 0
		.amdhsa_system_sgpr_workgroup_id_x 1
		.amdhsa_system_sgpr_workgroup_id_y 1
		.amdhsa_system_sgpr_workgroup_id_z 1
		.amdhsa_system_sgpr_workgroup_info 0
		.amdhsa_system_vgpr_workitem_id 0
		.amdhsa_next_free_vgpr 14
		.amdhsa_next_free_sgpr 27
		.amdhsa_reserve_vcc 1
		.amdhsa_float_round_mode_32 0
		.amdhsa_float_round_mode_16_64 0
		.amdhsa_float_denorm_mode_32 3
		.amdhsa_float_denorm_mode_16_64 3
		.amdhsa_dx10_clamp 1
		.amdhsa_ieee_mode 1
		.amdhsa_fp16_overflow 0
		.amdhsa_workgroup_processor_mode 1
		.amdhsa_memory_ordered 1
		.amdhsa_forward_progress 0
		.amdhsa_shared_vgpr_count 0
		.amdhsa_exception_fp_ieee_invalid_op 0
		.amdhsa_exception_fp_denorm_src 0
		.amdhsa_exception_fp_ieee_div_zero 0
		.amdhsa_exception_fp_ieee_overflow 0
		.amdhsa_exception_fp_ieee_underflow 0
		.amdhsa_exception_fp_ieee_inexact 0
		.amdhsa_exception_int_div_zero 0
	.end_amdhsa_kernel
	.section	.text._ZN2at6native6mbtopk23computeBlockDigitCountsIljmLi3EEEvNS_4cuda6detail10TensorInfoIKT_T0_EEjPjjS8_iijT1_PSB_Ps,"axG",@progbits,_ZN2at6native6mbtopk23computeBlockDigitCountsIljmLi3EEEvNS_4cuda6detail10TensorInfoIKT_T0_EEjPjjS8_iijT1_PSB_Ps,comdat
.Lfunc_end47:
	.size	_ZN2at6native6mbtopk23computeBlockDigitCountsIljmLi3EEEvNS_4cuda6detail10TensorInfoIKT_T0_EEjPjjS8_iijT1_PSB_Ps, .Lfunc_end47-_ZN2at6native6mbtopk23computeBlockDigitCountsIljmLi3EEEvNS_4cuda6detail10TensorInfoIKT_T0_EEjPjjS8_iijT1_PSB_Ps
                                        ; -- End function
	.section	.AMDGPU.csdata,"",@progbits
; Kernel info:
; codeLenInByte = 1768
; NumSgprs: 29
; NumVgprs: 14
; ScratchSize: 0
; MemoryBound: 0
; FloatMode: 240
; IeeeMode: 1
; LDSByteSize: 1024 bytes/workgroup (compile time only)
; SGPRBlocks: 3
; VGPRBlocks: 1
; NumSGPRsForWavesPerEU: 29
; NumVGPRsForWavesPerEU: 14
; Occupancy: 16
; WaveLimiterHint : 1
; COMPUTE_PGM_RSRC2:SCRATCH_EN: 0
; COMPUTE_PGM_RSRC2:USER_SGPR: 13
; COMPUTE_PGM_RSRC2:TRAP_HANDLER: 0
; COMPUTE_PGM_RSRC2:TGID_X_EN: 1
; COMPUTE_PGM_RSRC2:TGID_Y_EN: 1
; COMPUTE_PGM_RSRC2:TGID_Z_EN: 1
; COMPUTE_PGM_RSRC2:TIDIG_COMP_CNT: 0
	.section	.text._ZN2at6native6mbtopk10gatherTopKIljLi3EEEvNS_4cuda6detail10TensorInfoIKT_T0_EES8_S8_bjS8_NS5_IS6_S8_EES8_NS5_IlS8_EES8_jjPS6_PjSD_j,"axG",@progbits,_ZN2at6native6mbtopk10gatherTopKIljLi3EEEvNS_4cuda6detail10TensorInfoIKT_T0_EES8_S8_bjS8_NS5_IS6_S8_EES8_NS5_IlS8_EES8_jjPS6_PjSD_j,comdat
	.protected	_ZN2at6native6mbtopk10gatherTopKIljLi3EEEvNS_4cuda6detail10TensorInfoIKT_T0_EES8_S8_bjS8_NS5_IS6_S8_EES8_NS5_IlS8_EES8_jjPS6_PjSD_j ; -- Begin function _ZN2at6native6mbtopk10gatherTopKIljLi3EEEvNS_4cuda6detail10TensorInfoIKT_T0_EES8_S8_bjS8_NS5_IS6_S8_EES8_NS5_IlS8_EES8_jjPS6_PjSD_j
	.globl	_ZN2at6native6mbtopk10gatherTopKIljLi3EEEvNS_4cuda6detail10TensorInfoIKT_T0_EES8_S8_bjS8_NS5_IS6_S8_EES8_NS5_IlS8_EES8_jjPS6_PjSD_j
	.p2align	8
	.type	_ZN2at6native6mbtopk10gatherTopKIljLi3EEEvNS_4cuda6detail10TensorInfoIKT_T0_EES8_S8_bjS8_NS5_IS6_S8_EES8_NS5_IlS8_EES8_jjPS6_PjSD_j,@function
_ZN2at6native6mbtopk10gatherTopKIljLi3EEEvNS_4cuda6detail10TensorInfoIKT_T0_EES8_S8_bjS8_NS5_IS6_S8_EES8_NS5_IlS8_EES8_jjPS6_PjSD_j: ; @_ZN2at6native6mbtopk10gatherTopKIljLi3EEEvNS_4cuda6detail10TensorInfoIKT_T0_EES8_S8_bjS8_NS5_IS6_S8_EES8_NS5_IlS8_EES8_jjPS6_PjSD_j
; %bb.0:
	s_clause 0x1
	s_load_b64 s[2:3], s[0:1], 0x2d8
	s_load_b32 s4, s[0:1], 0x2d0
	s_waitcnt lgkmcnt(0)
	s_mul_i32 s3, s3, s15
	s_delay_alu instid0(SALU_CYCLE_1) | instskip(NEXT) | instid1(SALU_CYCLE_1)
	s_add_i32 s3, s3, s14
	s_mul_i32 s2, s3, s2
	s_delay_alu instid0(SALU_CYCLE_1) | instskip(NEXT) | instid1(SALU_CYCLE_1)
	s_add_i32 s2, s2, s13
	s_cmp_ge_u32 s2, s4
	s_cbranch_scc1 .LBB48_40
; %bb.1:
	s_clause 0x6
	s_load_b256 s[4:11], s[0:1], 0x2a8
	s_load_b64 s[40:41], s[0:1], 0xc
	s_load_b64 s[38:39], s[0:1], 0xfc
	;; [unrolled: 1-line block ×4, first 2 shown]
	s_load_b128 s[16:19], s[0:1], 0x15c
	s_load_b64 s[30:31], s[0:1], 0x1d0
	s_mov_b32 s43, 0
	s_waitcnt lgkmcnt(0)
	v_cvt_f32_u32_e32 v1, s6
	v_cvt_f32_u32_e32 v2, s41
	s_sub_i32 s3, 0, s6
	v_cvt_f32_u32_e32 v3, s40
	v_cvt_f32_u32_e32 v4, s39
	v_rcp_iflag_f32_e32 v1, v1
	v_rcp_iflag_f32_e32 v2, v2
	v_cvt_f32_u32_e32 v5, s38
	v_rcp_iflag_f32_e32 v3, v3
	v_rcp_iflag_f32_e32 v4, v4
	v_cvt_f32_u32_e32 v6, s37
	s_delay_alu instid0(VALU_DEP_2) | instskip(NEXT) | instid1(VALU_DEP_1)
	v_rcp_iflag_f32_e32 v5, v5
	v_rcp_iflag_f32_e32 v6, v6
	v_dual_mul_f32 v1, 0x4f7ffffe, v1 :: v_dual_mul_f32 v2, 0x4f7ffffe, v2
	v_mul_f32_e32 v3, 0x4f7ffffe, v3
	s_delay_alu instid0(VALU_DEP_2) | instskip(NEXT) | instid1(VALU_DEP_3)
	v_cvt_u32_f32_e32 v1, v1
	v_cvt_u32_f32_e32 v2, v2
	s_delay_alu instid0(VALU_DEP_2) | instskip(NEXT) | instid1(VALU_DEP_2)
	v_readfirstlane_b32 s7, v1
	v_readfirstlane_b32 s14, v2
	v_mul_f32_e32 v2, 0x4f7ffffe, v4
	v_cvt_u32_f32_e32 v3, v3
	s_delay_alu instid0(TRANS32_DEP_1) | instskip(SKIP_1) | instid1(VALU_DEP_3)
	v_dual_mul_f32 v4, 0x4f7ffffe, v5 :: v_dual_mul_f32 v5, 0x4f7ffffe, v6
	s_mul_i32 s3, s3, s7
	v_cvt_u32_f32_e32 v2, v2
	s_mul_hi_u32 s3, s7, s3
	v_cvt_f32_u32_e32 v1, s36
	s_add_i32 s7, s7, s3
	s_delay_alu instid0(SALU_CYCLE_1) | instskip(NEXT) | instid1(SALU_CYCLE_1)
	s_mul_hi_u32 s3, s2, s7
	s_mul_i32 s7, s3, s6
	s_add_i32 s12, s3, 1
	s_sub_i32 s7, s2, s7
	v_rcp_iflag_f32_e32 v1, v1
	s_sub_i32 s13, s7, s6
	s_cmp_ge_u32 s7, s6
	s_cselect_b32 s3, s12, s3
	s_cselect_b32 s7, s13, s7
	s_add_i32 s12, s3, 1
	s_cmp_ge_u32 s7, s6
	s_cselect_b32 s42, s12, s3
	s_sub_i32 s3, 0, s41
	s_mul_i32 s24, s42, s6
	s_mul_i32 s3, s3, s14
	s_sub_i32 s7, s2, s24
	s_mul_hi_u32 s3, s14, s3
	s_waitcnt_depctr 0xfff
	v_mul_f32_e32 v1, 0x4f7ffffe, v1
	s_add_i32 s14, s14, s3
	s_delay_alu instid0(SALU_CYCLE_1)
	s_mul_hi_u32 s3, s42, s14
	v_readfirstlane_b32 s14, v2
	s_mul_i32 s12, s3, s41
	v_cvt_u32_f32_e32 v2, v4
	s_sub_i32 s2, s42, s12
	s_add_i32 s12, s3, 1
	s_sub_i32 s13, s2, s41
	s_cmp_ge_u32 s2, s41
	v_cvt_u32_f32_e32 v1, v1
	s_cselect_b32 s3, s12, s3
	s_cselect_b32 s2, s13, s2
	s_add_i32 s12, s3, 1
	s_cmp_ge_u32 s2, s41
	v_readfirstlane_b32 s20, v1
	s_cselect_b32 s50, s12, s3
	s_sub_i32 s2, 0, s39
	v_readfirstlane_b32 s3, v3
	s_mul_i32 s2, s2, s14
	s_sub_i32 s12, 0, s40
	s_mul_hi_u32 s2, s14, s2
	v_cvt_u32_f32_e32 v3, v5
	s_add_i32 s14, s14, s2
	s_mul_i32 s12, s12, s3
	s_mul_hi_u32 s2, s42, s14
	s_mul_hi_u32 s12, s3, s12
	s_mul_i32 s13, s2, s39
	s_add_i32 s25, s3, s12
	s_sub_i32 s3, s42, s13
	s_add_i32 s12, s2, 1
	s_sub_i32 s13, s3, s39
	s_cmp_ge_u32 s3, s39
	v_readfirstlane_b32 s14, v3
	s_cselect_b32 s2, s12, s2
	s_cselect_b32 s3, s13, s3
	s_add_i32 s12, s2, 1
	s_cmp_ge_u32 s3, s39
	v_readfirstlane_b32 s3, v2
	s_cselect_b32 s33, s12, s2
	s_sub_i32 s2, 0, s37
	s_sub_i32 s12, 0, s38
	s_mul_i32 s2, s2, s14
	s_mul_i32 s12, s12, s3
	s_mul_hi_u32 s2, s14, s2
	s_mul_hi_u32 s12, s3, s12
	s_add_i32 s14, s14, s2
	s_add_i32 s26, s3, s12
	s_mul_hi_u32 s2, s42, s14
	s_mul_hi_u32 s51, s50, s25
	s_mul_i32 s13, s2, s37
	s_add_i32 s12, s2, 1
	s_sub_i32 s3, s42, s13
	s_delay_alu instid0(SALU_CYCLE_1)
	s_sub_i32 s13, s3, s37
	s_cmp_ge_u32 s3, s37
	s_cselect_b32 s2, s12, s2
	s_cselect_b32 s3, s13, s3
	s_add_i32 s12, s2, 1
	s_cmp_ge_u32 s3, s37
	s_cselect_b32 s19, s12, s2
	s_sub_i32 s2, 0, s36
	s_load_b128 s[12:15], s[0:1], 0x23c
	s_mul_i32 s2, s2, s20
	s_waitcnt lgkmcnt(0)
	s_mul_hi_u32 s15, s20, s2
	s_lshl_b64 s[2:3], s[42:43], 3
	s_add_i32 s15, s20, s15
	s_add_u32 s2, s8, s2
	s_addc_u32 s3, s9, s3
	s_clause 0x1
	s_load_b64 s[44:45], s[0:1], 0xf0
	s_load_b128 s[20:23], s[0:1], 0x6c
	s_load_b64 s[28:29], s[2:3], 0x0
	v_cmp_ne_u32_e64 s2, 0, v0
	v_cmp_eq_u32_e64 s3, 0, v0
	s_waitcnt lgkmcnt(0)
	s_mul_hi_u32 s23, s33, s26
	s_mul_hi_u32 s15, s19, s15
	s_delay_alu instid0(VALU_DEP_1)
	s_and_saveexec_b32 s52, s3
	s_cbranch_execz .LBB48_17
; %bb.2:
	s_load_b64 s[8:9], s[0:1], 0x2c8
	s_mov_b32 s25, s43
	s_delay_alu instid0(SALU_CYCLE_1) | instskip(NEXT) | instid1(SALU_CYCLE_1)
	s_lshl_b64 s[46:47], s[24:25], 2
	s_add_u32 s24, s10, s46
	s_addc_u32 s25, s11, s47
	s_waitcnt lgkmcnt(0)
	s_add_u32 s26, s8, s46
	s_addc_u32 s27, s9, s47
	s_cmp_lt_u32 s6, 4
	s_cbranch_scc1 .LBB48_14
; %bb.3:
	s_mov_b32 s53, s43
	s_mov_b32 s54, s43
	;; [unrolled: 1-line block ×3, first 2 shown]
.LBB48_4:                               ; =>This Inner Loop Header: Depth=1
	s_add_u32 s24, s10, s46
	s_addc_u32 s25, s11, s47
	s_add_u32 s48, s8, s46
	s_load_b128 s[24:27], s[24:25], 0x0
	s_addc_u32 s49, s9, s47
	s_cmp_ge_u32 s55, s7
	s_cbranch_scc0 .LBB48_11
; %bb.5:                                ;   in Loop: Header=BB48_4 Depth=1
	s_add_i32 s56, s55, 1
	s_delay_alu instid0(SALU_CYCLE_1)
	s_cmp_ge_u32 s56, s7
	s_cbranch_scc0 .LBB48_12
.LBB48_6:                               ;   in Loop: Header=BB48_4 Depth=1
	s_add_i32 s56, s56, 1
	s_delay_alu instid0(SALU_CYCLE_1)
	s_cmp_ge_u32 s56, s7
	s_cbranch_scc0 .LBB48_13
.LBB48_7:                               ;   in Loop: Header=BB48_4 Depth=1
	s_add_i32 s56, s56, 1
	s_delay_alu instid0(SALU_CYCLE_1)
	s_cmp_ge_u32 s56, s7
	s_cbranch_scc1 .LBB48_9
.LBB48_8:                               ;   in Loop: Header=BB48_4 Depth=1
	s_load_b32 s48, s[48:49], 0xc
	s_waitcnt lgkmcnt(0)
	s_add_i32 s43, s43, s27
	s_add_i32 s53, s48, s53
.LBB48_9:                               ;   in Loop: Header=BB48_4 Depth=1
	s_waitcnt lgkmcnt(0)
	s_add_i32 s24, s24, s54
	s_delay_alu instid0(SALU_CYCLE_1) | instskip(NEXT) | instid1(SALU_CYCLE_1)
	s_add_i32 s24, s24, s25
	s_add_i32 s24, s24, s26
	s_delay_alu instid0(SALU_CYCLE_1)
	s_add_i32 s54, s24, s27
	s_add_u32 s10, s10, 16
	s_addc_u32 s11, s11, 0
	s_add_u32 s8, s8, 16
	s_addc_u32 s9, s9, 0
	s_add_i32 s49, s56, 4
	s_add_u32 s26, s8, s46
	s_addc_u32 s27, s9, s47
	s_add_u32 s24, s10, s46
	s_addc_u32 s25, s11, s47
	s_add_i32 s48, s56, 1
	s_cmp_ge_u32 s49, s6
	s_cbranch_scc1 .LBB48_15
; %bb.10:                               ;   in Loop: Header=BB48_4 Depth=1
	s_mov_b32 s55, s48
	s_branch .LBB48_4
.LBB48_11:                              ;   in Loop: Header=BB48_4 Depth=1
	s_load_b32 s56, s[48:49], 0x0
	s_waitcnt lgkmcnt(0)
	s_add_i32 s43, s24, s43
	s_add_i32 s53, s56, s53
	;; [unrolled: 1-line block ×3, first 2 shown]
	s_delay_alu instid0(SALU_CYCLE_1)
	s_cmp_ge_u32 s56, s7
	s_cbranch_scc1 .LBB48_6
.LBB48_12:                              ;   in Loop: Header=BB48_4 Depth=1
	s_load_b32 s57, s[48:49], 0x4
	s_waitcnt lgkmcnt(0)
	s_add_i32 s43, s43, s25
	s_add_i32 s53, s57, s53
	;; [unrolled: 1-line block ×3, first 2 shown]
	s_delay_alu instid0(SALU_CYCLE_1)
	s_cmp_ge_u32 s56, s7
	s_cbranch_scc1 .LBB48_7
.LBB48_13:                              ;   in Loop: Header=BB48_4 Depth=1
	s_load_b32 s57, s[48:49], 0x8
	s_waitcnt lgkmcnt(0)
	s_add_i32 s43, s43, s26
	s_add_i32 s53, s57, s53
	;; [unrolled: 1-line block ×3, first 2 shown]
	s_delay_alu instid0(SALU_CYCLE_1)
	s_cmp_ge_u32 s56, s7
	s_cbranch_scc0 .LBB48_8
	s_branch .LBB48_9
.LBB48_14:
	s_mov_b32 s53, 0
	s_mov_b32 s54, 0
	;; [unrolled: 1-line block ×3, first 2 shown]
	s_delay_alu instid0(SALU_CYCLE_1)
	s_cmp_ge_u32 s8, s6
	s_cbranch_scc0 .LBB48_38
	s_branch .LBB48_16
.LBB48_15:
	s_add_i32 s8, s55, 4
	s_delay_alu instid0(SALU_CYCLE_1)
	s_cmp_ge_u32 s8, s6
	s_cbranch_scc0 .LBB48_38
.LBB48_16:
	v_dual_mov_b32 v1, s53 :: v_dual_mov_b32 v2, s54
	v_dual_mov_b32 v3, s43 :: v_dual_mov_b32 v4, 0
	ds_store_b96 v4, v[1:3] offset:1056
.LBB48_17:
	s_or_b32 exec_lo, exec_lo, s52
	s_load_b128 s[8:11], s[0:1], 0xd8
	s_waitcnt lgkmcnt(0)
	s_mul_i32 s11, s5, s7
	s_add_i32 s7, s7, 1
	s_lshl_b32 s24, s11, 8
	s_barrier
	buffer_gl0_inv
	s_sub_i32 s11, s8, s24
	s_delay_alu instid0(SALU_CYCLE_1) | instskip(SKIP_4) | instid1(VALU_DEP_1)
	s_add_u32 s11, s11, 0xff
	s_addc_u32 s25, 0, 0
	s_cmp_lt_u32 s7, s6
	v_alignbit_b32 v1, s25, s11, 8
	s_mov_b32 s7, 0
	v_readfirstlane_b32 s11, v1
	s_delay_alu instid0(VALU_DEP_1) | instskip(NEXT) | instid1(SALU_CYCLE_1)
	s_cselect_b32 s5, s5, s11
	s_cmp_eq_u32 s5, 0
	s_cbranch_scc1 .LBB48_40
; %bb.18:
	s_mul_i32 s11, s51, s40
	s_mul_i32 s6, s50, s41
	s_sub_i32 s11, s50, s11
	s_sub_i32 s6, s42, s6
	s_add_i32 s25, s51, 1
	s_sub_i32 s26, s11, s40
	s_cmp_ge_u32 s11, s40
	s_mul_i32 s6, s6, s22
	s_cselect_b32 s25, s25, s51
	s_cselect_b32 s11, s26, s11
	s_add_i32 s26, s25, 1
	s_cmp_ge_u32 s11, s40
	s_mul_i32 s11, s33, s39
	s_cselect_b32 s25, s26, s25
	s_mul_i32 s26, s23, s38
	s_mul_i32 s27, s25, s40
	;; [unrolled: 1-line block ×3, first 2 shown]
	s_sub_i32 s22, s50, s27
	s_sub_i32 s20, s33, s26
	s_mul_i32 s21, s22, s21
	s_sub_i32 s11, s42, s11
	s_add_i32 s6, s21, s6
	s_add_i32 s21, s23, 1
	;; [unrolled: 1-line block ×3, first 2 shown]
	s_sub_i32 s22, s20, s38
	s_cmp_ge_u32 s20, s38
	s_mul_i32 s11, s11, s18
	s_cselect_b32 s21, s21, s23
	s_cselect_b32 s20, s22, s20
	s_add_i32 s22, s21, 1
	s_cmp_ge_u32 s20, s38
	s_mul_i32 s23, s15, s36
	s_cselect_b32 s20, s22, s21
	s_mul_i32 s21, s19, s37
	s_mul_i32 s22, s20, s38
	;; [unrolled: 1-line block ×3, first 2 shown]
	s_sub_i32 s22, s33, s22
	s_add_i32 s18, s15, 1
	s_mul_i32 s17, s22, s17
	v_dual_mov_b32 v5, 0 :: v_dual_add_nc_u32 v6, -1, v0
	s_add_i32 s11, s17, s11
	s_sub_i32 s17, s42, s21
	s_add_i32 s16, s11, s20
	s_sub_i32 s11, s19, s23
	s_mul_i32 s17, s17, s14
	s_sub_i32 s20, s11, s36
	s_cmp_ge_u32 s11, s36
	ds_load_b96 v[1:3], v5 offset:1056
	s_cselect_b32 s15, s18, s15
	s_cselect_b32 s11, s20, s11
	s_add_i32 s18, s15, 1
	s_cmp_ge_u32 s11, s36
	v_lshrrev_b32_e32 v4, 5, v0
	s_cselect_b32 s11, s18, s15
	v_lshrrev_b32_e32 v7, 5, v6
	s_mul_i32 s15, s11, s36
	s_mul_i32 s11, s11, s12
	s_sub_i32 s15, s19, s15
	v_add_lshl_u32 v9, v4, v0, 2
	s_mul_i32 s13, s15, s13
	v_lshrrev_b32_e32 v4, 2, v0
	s_add_i32 s14, s13, s17
	s_lshl_b64 s[12:13], s[6:7], 3
	s_add_i32 s6, s14, s11
	s_mov_b32 s17, s7
	s_add_u32 s11, s34, s12
	s_addc_u32 s12, s35, s13
	s_lshl_b64 s[14:15], s[16:17], 3
	s_load_b32 s17, s[0:1], 0xe8
	s_add_u32 s13, s44, s14
	s_addc_u32 s14, s45, s15
	s_lshl_b64 s[6:7], s[6:7], 3
	s_waitcnt lgkmcnt(0)
	v_add_nc_u32_e32 v8, v1, v2
	s_add_u32 s15, s30, s6
	s_addc_u32 s16, s31, s7
	s_xor_b32 s7, s29, 0x80000000
	s_bitcmp1_b32 s10, 0
	s_load_b32 s10, s[0:1], 0x1c8
	v_lshlrev_b32_e32 v2, 3, v0
	v_add_nc_u32_e32 v1, s24, v0
	v_mbcnt_lo_u32_b32 v10, -1, 0
	v_cmp_gt_u32_e64 s0, 32, v0
	v_add_lshl_u32 v11, v7, v6, 2
	v_add_lshl_u32 v0, v4, v2, 2
	s_mov_b32 s6, s28
	v_and_b32_e32 v12, 15, v10
	v_bfe_i32 v13, v10, 4, 1
	v_add_nc_u32_e32 v14, -1, v10
	v_mul_lo_u32 v4, s17, v1
	s_cselect_b32 s1, -1, 0
	s_lshl_b32 s17, s17, 8
                                        ; implicit-def: $vgpr6_vgpr7
	s_branch .LBB48_21
.LBB48_19:                              ;   in Loop: Header=BB48_21 Depth=1
	s_or_b32 exec_lo, exec_lo, s18
	v_add_nc_u32_e32 v8, v17, v8
.LBB48_20:                              ;   in Loop: Header=BB48_21 Depth=1
	v_add_nc_u32_e32 v3, v16, v3
	v_add_nc_u32_e32 v4, s17, v4
	;; [unrolled: 1-line block ×3, first 2 shown]
	s_add_i32 s5, s5, -1
	s_delay_alu instid0(SALU_CYCLE_1)
	s_cmp_lg_u32 s5, 0
	s_cbranch_scc0 .LBB48_40
.LBB48_21:                              ; =>This Inner Loop Header: Depth=1
	v_dual_mov_b32 v2, 0 :: v_dual_mov_b32 v15, 0
	s_mov_b32 s18, exec_lo
	v_cmpx_gt_u32_e64 s8, v1
	s_cbranch_execz .LBB48_23
; %bb.22:                               ;   in Loop: Header=BB48_21 Depth=1
	v_lshlrev_b64 v[6:7], 3, v[4:5]
	s_delay_alu instid0(VALU_DEP_1) | instskip(NEXT) | instid1(VALU_DEP_2)
	v_add_co_u32 v6, vcc_lo, s11, v6
	v_add_co_ci_u32_e32 v7, vcc_lo, s12, v7, vcc_lo
	global_load_b64 v[6:7], v[6:7], off
	s_waitcnt vmcnt(0)
	v_xor_b32_e32 v16, 0x80000000, v7
	v_mov_b32_e32 v15, v6
	s_delay_alu instid0(VALU_DEP_1) | instskip(SKIP_4) | instid1(VALU_DEP_2)
	v_cmp_lt_u64_e32 vcc_lo, s[6:7], v[15:16]
	v_cndmask_b32_e64 v2, 0, 1, vcc_lo
	v_cmp_gt_u64_e32 vcc_lo, s[6:7], v[15:16]
	v_cndmask_b32_e64 v15, 0, 1, vcc_lo
	v_cmp_eq_u64_e32 vcc_lo, s[28:29], v[6:7]
	v_cndmask_b32_e64 v2, v15, v2, s1
	v_cndmask_b32_e64 v15, 0, 1, vcc_lo
	s_delay_alu instid0(VALU_DEP_2)
	v_and_b32_e32 v2, 1, v2
.LBB48_23:                              ;   in Loop: Header=BB48_21 Depth=1
	s_or_b32 exec_lo, exec_lo, s18
	ds_store_b32 v9, v2
	s_waitcnt lgkmcnt(0)
	s_waitcnt_vscnt null, 0x0
	s_barrier
	buffer_gl0_inv
	s_and_saveexec_b32 s18, s0
	s_cbranch_execz .LBB48_25
; %bb.24:                               ;   in Loop: Header=BB48_21 Depth=1
	ds_load_2addr_b32 v[16:17], v0 offset1:1
	ds_load_2addr_b32 v[18:19], v0 offset0:2 offset1:3
	ds_load_2addr_b32 v[20:21], v0 offset0:4 offset1:5
	;; [unrolled: 1-line block ×3, first 2 shown]
	v_cmp_ne_u32_e32 vcc_lo, 0, v12
	; wave barrier
	s_waitcnt lgkmcnt(3)
	v_add_nc_u32_e32 v17, v17, v16
	s_waitcnt lgkmcnt(2)
	s_delay_alu instid0(VALU_DEP_1) | instskip(SKIP_1) | instid1(VALU_DEP_1)
	v_add3_u32 v17, v17, v18, v19
	s_waitcnt lgkmcnt(1)
	v_add3_u32 v17, v17, v20, v21
	s_waitcnt lgkmcnt(0)
	s_delay_alu instid0(VALU_DEP_1) | instskip(NEXT) | instid1(VALU_DEP_1)
	v_add3_u32 v17, v17, v22, v23
	v_mov_b32_dpp v18, v17 row_shr:1 row_mask:0xf bank_mask:0xf
	s_delay_alu instid0(VALU_DEP_1) | instskip(SKIP_1) | instid1(VALU_DEP_2)
	v_cndmask_b32_e32 v18, 0, v18, vcc_lo
	v_cmp_lt_u32_e32 vcc_lo, 1, v12
	v_add_nc_u32_e32 v17, v18, v17
	s_delay_alu instid0(VALU_DEP_1) | instskip(NEXT) | instid1(VALU_DEP_1)
	v_mov_b32_dpp v18, v17 row_shr:2 row_mask:0xf bank_mask:0xf
	v_cndmask_b32_e32 v18, 0, v18, vcc_lo
	v_cmp_lt_u32_e32 vcc_lo, 3, v12
	s_delay_alu instid0(VALU_DEP_2) | instskip(NEXT) | instid1(VALU_DEP_1)
	v_add_nc_u32_e32 v17, v17, v18
	v_mov_b32_dpp v18, v17 row_shr:4 row_mask:0xf bank_mask:0xf
	s_delay_alu instid0(VALU_DEP_1) | instskip(SKIP_1) | instid1(VALU_DEP_2)
	v_cndmask_b32_e32 v18, 0, v18, vcc_lo
	v_cmp_lt_u32_e32 vcc_lo, 7, v12
	v_add_nc_u32_e32 v17, v17, v18
	s_delay_alu instid0(VALU_DEP_1) | instskip(NEXT) | instid1(VALU_DEP_1)
	v_mov_b32_dpp v18, v17 row_shr:8 row_mask:0xf bank_mask:0xf
	v_cndmask_b32_e32 v18, 0, v18, vcc_lo
	v_cmp_gt_i32_e32 vcc_lo, 0, v14
	s_delay_alu instid0(VALU_DEP_2)
	v_add_nc_u32_e32 v17, v17, v18
	v_cndmask_b32_e32 v19, v14, v10, vcc_lo
	ds_swizzle_b32 v18, v17 offset:swizzle(BROADCAST,32,15)
	v_lshlrev_b32_e32 v19, 2, v19
	s_waitcnt lgkmcnt(0)
	v_and_b32_e32 v18, v13, v18
	s_delay_alu instid0(VALU_DEP_1) | instskip(SKIP_3) | instid1(VALU_DEP_1)
	v_add_nc_u32_e32 v17, v17, v18
	ds_bpermute_b32 v17, v19, v17
	s_waitcnt lgkmcnt(0)
	v_add_nc_u32_e32 v16, v17, v16
	v_cndmask_b32_e64 v22, v16, v2, s3
	ds_store_b32 v0, v22
	; wave barrier
	ds_load_2addr_b32 v[16:17], v0 offset0:1 offset1:2
	ds_load_2addr_b32 v[18:19], v0 offset0:3 offset1:4
	ds_load_2addr_b32 v[20:21], v0 offset0:5 offset1:6
	ds_load_b32 v23, v0 offset:28
	s_waitcnt lgkmcnt(3)
	v_add_nc_u32_e32 v16, v16, v22
	s_delay_alu instid0(VALU_DEP_1) | instskip(SKIP_1) | instid1(VALU_DEP_1)
	v_add_nc_u32_e32 v17, v17, v16
	s_waitcnt lgkmcnt(2)
	v_add_nc_u32_e32 v18, v18, v17
	s_delay_alu instid0(VALU_DEP_1) | instskip(SKIP_1) | instid1(VALU_DEP_1)
	v_add_nc_u32_e32 v19, v19, v18
	;; [unrolled: 4-line block ×3, first 2 shown]
	s_waitcnt lgkmcnt(0)
	v_add_nc_u32_e32 v22, v23, v21
	ds_store_2addr_b32 v0, v16, v17 offset0:1 offset1:2
	ds_store_2addr_b32 v0, v18, v19 offset0:3 offset1:4
	;; [unrolled: 1-line block ×3, first 2 shown]
	ds_store_b32 v0, v22 offset:28
.LBB48_25:                              ;   in Loop: Header=BB48_21 Depth=1
	s_or_b32 exec_lo, exec_lo, s18
	v_mov_b32_e32 v17, 0
	s_waitcnt lgkmcnt(0)
	s_barrier
	buffer_gl0_inv
	s_and_saveexec_b32 s18, s2
	s_cbranch_execz .LBB48_27
; %bb.26:                               ;   in Loop: Header=BB48_21 Depth=1
	ds_load_b32 v17, v11
.LBB48_27:                              ;   in Loop: Header=BB48_21 Depth=1
	s_or_b32 exec_lo, exec_lo, s18
	ds_load_b32 v16, v5 offset:1048
	s_mov_b32 s18, exec_lo
	s_waitcnt lgkmcnt(0)
	s_barrier
	buffer_gl0_inv
	v_cmpx_ne_u32_e32 0, v2
	s_cbranch_execz .LBB48_29
; %bb.28:                               ;   in Loop: Header=BB48_21 Depth=1
	v_add_nc_u32_e32 v2, v17, v3
	v_mov_b32_e32 v18, v5
	v_mov_b32_e32 v20, v5
	s_delay_alu instid0(VALU_DEP_3) | instskip(SKIP_2) | instid1(VALU_DEP_3)
	v_mul_lo_u32 v17, v2, s10
	v_mul_lo_u32 v19, v2, s4
	v_mov_b32_e32 v2, v5
	v_lshlrev_b64 v[17:18], 3, v[17:18]
	s_delay_alu instid0(VALU_DEP_3) | instskip(NEXT) | instid1(VALU_DEP_2)
	v_lshlrev_b64 v[19:20], 3, v[19:20]
	v_add_co_u32 v17, vcc_lo, s13, v17
	s_delay_alu instid0(VALU_DEP_3) | instskip(NEXT) | instid1(VALU_DEP_3)
	v_add_co_ci_u32_e32 v18, vcc_lo, s14, v18, vcc_lo
	v_add_co_u32 v19, vcc_lo, s15, v19
	s_delay_alu instid0(VALU_DEP_4)
	v_add_co_ci_u32_e32 v20, vcc_lo, s16, v20, vcc_lo
	global_store_b64 v[17:18], v[6:7], off
	global_store_b64 v[19:20], v[1:2], off
.LBB48_29:                              ;   in Loop: Header=BB48_21 Depth=1
	s_or_b32 exec_lo, exec_lo, s18
	v_cmp_le_u32_e32 vcc_lo, s9, v8
	s_cbranch_vccnz .LBB48_20
; %bb.30:                               ;   in Loop: Header=BB48_21 Depth=1
	ds_store_b32 v9, v15
	s_waitcnt lgkmcnt(0)
	s_waitcnt_vscnt null, 0x0
	s_barrier
	buffer_gl0_inv
	s_and_saveexec_b32 s18, s0
	s_cbranch_execz .LBB48_32
; %bb.31:                               ;   in Loop: Header=BB48_21 Depth=1
	ds_load_2addr_b32 v[17:18], v0 offset1:1
	ds_load_2addr_b32 v[19:20], v0 offset0:2 offset1:3
	ds_load_2addr_b32 v[21:22], v0 offset0:4 offset1:5
	;; [unrolled: 1-line block ×3, first 2 shown]
	v_cmp_ne_u32_e32 vcc_lo, 0, v12
	; wave barrier
	s_waitcnt lgkmcnt(3)
	v_add_nc_u32_e32 v2, v18, v17
	s_waitcnt lgkmcnt(2)
	s_delay_alu instid0(VALU_DEP_1) | instskip(SKIP_1) | instid1(VALU_DEP_1)
	v_add3_u32 v2, v2, v19, v20
	s_waitcnt lgkmcnt(1)
	v_add3_u32 v2, v2, v21, v22
	s_waitcnt lgkmcnt(0)
	s_delay_alu instid0(VALU_DEP_1) | instskip(NEXT) | instid1(VALU_DEP_1)
	v_add3_u32 v2, v2, v23, v24
	v_mov_b32_dpp v18, v2 row_shr:1 row_mask:0xf bank_mask:0xf
	s_delay_alu instid0(VALU_DEP_1) | instskip(SKIP_1) | instid1(VALU_DEP_2)
	v_cndmask_b32_e32 v18, 0, v18, vcc_lo
	v_cmp_lt_u32_e32 vcc_lo, 1, v12
	v_add_nc_u32_e32 v2, v18, v2
	s_delay_alu instid0(VALU_DEP_1) | instskip(NEXT) | instid1(VALU_DEP_1)
	v_mov_b32_dpp v18, v2 row_shr:2 row_mask:0xf bank_mask:0xf
	v_cndmask_b32_e32 v18, 0, v18, vcc_lo
	v_cmp_lt_u32_e32 vcc_lo, 3, v12
	s_delay_alu instid0(VALU_DEP_2) | instskip(NEXT) | instid1(VALU_DEP_1)
	v_add_nc_u32_e32 v2, v2, v18
	v_mov_b32_dpp v18, v2 row_shr:4 row_mask:0xf bank_mask:0xf
	s_delay_alu instid0(VALU_DEP_1) | instskip(SKIP_1) | instid1(VALU_DEP_2)
	v_cndmask_b32_e32 v18, 0, v18, vcc_lo
	v_cmp_lt_u32_e32 vcc_lo, 7, v12
	v_add_nc_u32_e32 v2, v2, v18
	s_delay_alu instid0(VALU_DEP_1) | instskip(NEXT) | instid1(VALU_DEP_1)
	v_mov_b32_dpp v18, v2 row_shr:8 row_mask:0xf bank_mask:0xf
	v_cndmask_b32_e32 v18, 0, v18, vcc_lo
	v_cmp_gt_i32_e32 vcc_lo, 0, v14
	s_delay_alu instid0(VALU_DEP_2)
	v_add_nc_u32_e32 v2, v2, v18
	v_cndmask_b32_e32 v19, v14, v10, vcc_lo
	ds_swizzle_b32 v18, v2 offset:swizzle(BROADCAST,32,15)
	v_lshlrev_b32_e32 v19, 2, v19
	s_waitcnt lgkmcnt(0)
	v_and_b32_e32 v18, v13, v18
	s_delay_alu instid0(VALU_DEP_1) | instskip(SKIP_3) | instid1(VALU_DEP_1)
	v_add_nc_u32_e32 v2, v2, v18
	ds_bpermute_b32 v2, v19, v2
	s_waitcnt lgkmcnt(0)
	v_add_nc_u32_e32 v2, v2, v17
	v_cndmask_b32_e64 v2, v2, v15, s3
	ds_store_b32 v0, v2
	; wave barrier
	ds_load_2addr_b32 v[17:18], v0 offset0:1 offset1:2
	ds_load_2addr_b32 v[19:20], v0 offset0:3 offset1:4
	;; [unrolled: 1-line block ×3, first 2 shown]
	ds_load_b32 v23, v0 offset:28
	s_waitcnt lgkmcnt(3)
	v_add_nc_u32_e32 v2, v17, v2
	s_delay_alu instid0(VALU_DEP_1) | instskip(SKIP_1) | instid1(VALU_DEP_1)
	v_add_nc_u32_e32 v17, v18, v2
	s_waitcnt lgkmcnt(2)
	v_add_nc_u32_e32 v18, v19, v17
	s_delay_alu instid0(VALU_DEP_1) | instskip(SKIP_1) | instid1(VALU_DEP_1)
	v_add_nc_u32_e32 v19, v20, v18
	;; [unrolled: 4-line block ×3, first 2 shown]
	s_waitcnt lgkmcnt(0)
	v_add_nc_u32_e32 v22, v23, v21
	ds_store_2addr_b32 v0, v2, v17 offset0:1 offset1:2
	ds_store_2addr_b32 v0, v18, v19 offset0:3 offset1:4
	;; [unrolled: 1-line block ×3, first 2 shown]
	ds_store_b32 v0, v22 offset:28
.LBB48_32:                              ;   in Loop: Header=BB48_21 Depth=1
	s_or_b32 exec_lo, exec_lo, s18
	v_mov_b32_e32 v2, 0
	s_waitcnt lgkmcnt(0)
	s_barrier
	buffer_gl0_inv
	s_and_saveexec_b32 s18, s2
	s_cbranch_execz .LBB48_34
; %bb.33:                               ;   in Loop: Header=BB48_21 Depth=1
	ds_load_b32 v2, v11
.LBB48_34:                              ;   in Loop: Header=BB48_21 Depth=1
	s_or_b32 exec_lo, exec_lo, s18
	ds_load_b32 v17, v5 offset:1048
	s_mov_b32 s18, exec_lo
	s_waitcnt lgkmcnt(0)
	s_barrier
	buffer_gl0_inv
	v_cmpx_ne_u32_e32 0, v15
	s_cbranch_execz .LBB48_19
; %bb.35:                               ;   in Loop: Header=BB48_21 Depth=1
	v_add_nc_u32_e32 v2, v2, v8
	s_delay_alu instid0(VALU_DEP_1)
	v_cmp_gt_u32_e32 vcc_lo, s9, v2
	s_and_b32 exec_lo, exec_lo, vcc_lo
	s_cbranch_execz .LBB48_19
; %bb.36:                               ;   in Loop: Header=BB48_21 Depth=1
	v_mul_lo_u32 v18, v2, s10
	v_mov_b32_e32 v19, v5
	v_mul_lo_u32 v20, v2, s4
	v_mov_b32_e32 v21, v5
	v_mov_b32_e32 v2, v5
	s_delay_alu instid0(VALU_DEP_4) | instskip(NEXT) | instid1(VALU_DEP_3)
	v_lshlrev_b64 v[18:19], 3, v[18:19]
	v_lshlrev_b64 v[20:21], 3, v[20:21]
	s_delay_alu instid0(VALU_DEP_2) | instskip(NEXT) | instid1(VALU_DEP_3)
	v_add_co_u32 v18, vcc_lo, s13, v18
	v_add_co_ci_u32_e32 v19, vcc_lo, s14, v19, vcc_lo
	s_delay_alu instid0(VALU_DEP_3) | instskip(NEXT) | instid1(VALU_DEP_4)
	v_add_co_u32 v20, vcc_lo, s15, v20
	v_add_co_ci_u32_e32 v21, vcc_lo, s16, v21, vcc_lo
	global_store_b64 v[18:19], v[6:7], off
	global_store_b64 v[20:21], v[1:2], off
	s_branch .LBB48_19
	.p2align	6
.LBB48_37:                              ;   in Loop: Header=BB48_38 Depth=1
	s_add_u32 s24, s24, 4
	s_addc_u32 s25, s25, 0
	s_waitcnt lgkmcnt(0)
	s_add_i32 s54, s9, s54
	s_add_u32 s26, s26, 4
	s_addc_u32 s27, s27, 0
	s_add_i32 s8, s8, 1
	s_delay_alu instid0(SALU_CYCLE_1)
	s_cmp_lt_u32 s8, s6
	s_cbranch_scc0 .LBB48_16
.LBB48_38:                              ; =>This Inner Loop Header: Depth=1
	s_load_b32 s9, s[24:25], 0x0
	s_cmp_ge_u32 s8, s7
	s_cbranch_scc1 .LBB48_37
; %bb.39:                               ;   in Loop: Header=BB48_38 Depth=1
	s_load_b32 s10, s[26:27], 0x0
	s_waitcnt lgkmcnt(0)
	s_add_i32 s43, s9, s43
	s_add_i32 s53, s10, s53
	s_branch .LBB48_37
.LBB48_40:
	s_nop 0
	s_sendmsg sendmsg(MSG_DEALLOC_VGPRS)
	s_endpgm
	.section	.rodata,"a",@progbits
	.p2align	6, 0x0
	.amdhsa_kernel _ZN2at6native6mbtopk10gatherTopKIljLi3EEEvNS_4cuda6detail10TensorInfoIKT_T0_EES8_S8_bjS8_NS5_IS6_S8_EES8_NS5_IlS8_EES8_jjPS6_PjSD_j
		.amdhsa_group_segment_fixed_size 1068
		.amdhsa_private_segment_fixed_size 0
		.amdhsa_kernarg_size 984
		.amdhsa_user_sgpr_count 13
		.amdhsa_user_sgpr_dispatch_ptr 0
		.amdhsa_user_sgpr_queue_ptr 0
		.amdhsa_user_sgpr_kernarg_segment_ptr 1
		.amdhsa_user_sgpr_dispatch_id 0
		.amdhsa_user_sgpr_private_segment_size 0
		.amdhsa_wavefront_size32 1
		.amdhsa_uses_dynamic_stack 0
		.amdhsa_enable_private_segment 0
		.amdhsa_system_sgpr_workgroup_id_x 1
		.amdhsa_system_sgpr_workgroup_id_y 1
		.amdhsa_system_sgpr_workgroup_id_z 1
		.amdhsa_system_sgpr_workgroup_info 0
		.amdhsa_system_vgpr_workitem_id 0
		.amdhsa_next_free_vgpr 25
		.amdhsa_next_free_sgpr 58
		.amdhsa_reserve_vcc 1
		.amdhsa_float_round_mode_32 0
		.amdhsa_float_round_mode_16_64 0
		.amdhsa_float_denorm_mode_32 3
		.amdhsa_float_denorm_mode_16_64 3
		.amdhsa_dx10_clamp 1
		.amdhsa_ieee_mode 1
		.amdhsa_fp16_overflow 0
		.amdhsa_workgroup_processor_mode 1
		.amdhsa_memory_ordered 1
		.amdhsa_forward_progress 0
		.amdhsa_shared_vgpr_count 0
		.amdhsa_exception_fp_ieee_invalid_op 0
		.amdhsa_exception_fp_denorm_src 0
		.amdhsa_exception_fp_ieee_div_zero 0
		.amdhsa_exception_fp_ieee_overflow 0
		.amdhsa_exception_fp_ieee_underflow 0
		.amdhsa_exception_fp_ieee_inexact 0
		.amdhsa_exception_int_div_zero 0
	.end_amdhsa_kernel
	.section	.text._ZN2at6native6mbtopk10gatherTopKIljLi3EEEvNS_4cuda6detail10TensorInfoIKT_T0_EES8_S8_bjS8_NS5_IS6_S8_EES8_NS5_IlS8_EES8_jjPS6_PjSD_j,"axG",@progbits,_ZN2at6native6mbtopk10gatherTopKIljLi3EEEvNS_4cuda6detail10TensorInfoIKT_T0_EES8_S8_bjS8_NS5_IS6_S8_EES8_NS5_IlS8_EES8_jjPS6_PjSD_j,comdat
.Lfunc_end48:
	.size	_ZN2at6native6mbtopk10gatherTopKIljLi3EEEvNS_4cuda6detail10TensorInfoIKT_T0_EES8_S8_bjS8_NS5_IS6_S8_EES8_NS5_IlS8_EES8_jjPS6_PjSD_j, .Lfunc_end48-_ZN2at6native6mbtopk10gatherTopKIljLi3EEEvNS_4cuda6detail10TensorInfoIKT_T0_EES8_S8_bjS8_NS5_IS6_S8_EES8_NS5_IlS8_EES8_jjPS6_PjSD_j
                                        ; -- End function
	.section	.AMDGPU.csdata,"",@progbits
; Kernel info:
; codeLenInByte = 3132
; NumSgprs: 60
; NumVgprs: 25
; ScratchSize: 0
; MemoryBound: 0
; FloatMode: 240
; IeeeMode: 1
; LDSByteSize: 1068 bytes/workgroup (compile time only)
; SGPRBlocks: 7
; VGPRBlocks: 3
; NumSGPRsForWavesPerEU: 60
; NumVGPRsForWavesPerEU: 25
; Occupancy: 16
; WaveLimiterHint : 1
; COMPUTE_PGM_RSRC2:SCRATCH_EN: 0
; COMPUTE_PGM_RSRC2:USER_SGPR: 13
; COMPUTE_PGM_RSRC2:TRAP_HANDLER: 0
; COMPUTE_PGM_RSRC2:TGID_X_EN: 1
; COMPUTE_PGM_RSRC2:TGID_Y_EN: 1
; COMPUTE_PGM_RSRC2:TGID_Z_EN: 1
; COMPUTE_PGM_RSRC2:TIDIG_COMP_CNT: 0
	.section	.text._ZN2at6native6sbtopk10gatherTopKIljLi3ELb0EEEvNS_4cuda6detail10TensorInfoIKT_T0_EES8_S8_bS8_S8_NS5_IS6_S8_EES8_NS5_IlS8_EES8_PS6_,"axG",@progbits,_ZN2at6native6sbtopk10gatherTopKIljLi3ELb0EEEvNS_4cuda6detail10TensorInfoIKT_T0_EES8_S8_bS8_S8_NS5_IS6_S8_EES8_NS5_IlS8_EES8_PS6_,comdat
	.protected	_ZN2at6native6sbtopk10gatherTopKIljLi3ELb0EEEvNS_4cuda6detail10TensorInfoIKT_T0_EES8_S8_bS8_S8_NS5_IS6_S8_EES8_NS5_IlS8_EES8_PS6_ ; -- Begin function _ZN2at6native6sbtopk10gatherTopKIljLi3ELb0EEEvNS_4cuda6detail10TensorInfoIKT_T0_EES8_S8_bS8_S8_NS5_IS6_S8_EES8_NS5_IlS8_EES8_PS6_
	.globl	_ZN2at6native6sbtopk10gatherTopKIljLi3ELb0EEEvNS_4cuda6detail10TensorInfoIKT_T0_EES8_S8_bS8_S8_NS5_IS6_S8_EES8_NS5_IlS8_EES8_PS6_
	.p2align	8
	.type	_ZN2at6native6sbtopk10gatherTopKIljLi3ELb0EEEvNS_4cuda6detail10TensorInfoIKT_T0_EES8_S8_bS8_S8_NS5_IS6_S8_EES8_NS5_IlS8_EES8_PS6_,@function
_ZN2at6native6sbtopk10gatherTopKIljLi3ELb0EEEvNS_4cuda6detail10TensorInfoIKT_T0_EES8_S8_bS8_S8_NS5_IS6_S8_EES8_NS5_IlS8_EES8_PS6_: ; @_ZN2at6native6sbtopk10gatherTopKIljLi3ELb0EEEvNS_4cuda6detail10TensorInfoIKT_T0_EES8_S8_bS8_S8_NS5_IS6_S8_EES8_NS5_IlS8_EES8_PS6_
; %bb.0:
	s_clause 0x1
	s_load_b64 s[4:5], s[0:1], 0x2b8
	s_load_b128 s[36:39], s[0:1], 0xd8
	s_add_u32 s6, s0, 0x2b8
	s_addc_u32 s7, s1, 0
	s_waitcnt lgkmcnt(0)
	s_mul_i32 s2, s5, s15
	s_delay_alu instid0(SALU_CYCLE_1) | instskip(NEXT) | instid1(SALU_CYCLE_1)
	s_add_i32 s2, s2, s14
	s_mul_i32 s56, s2, s4
	s_delay_alu instid0(SALU_CYCLE_1) | instskip(NEXT) | instid1(SALU_CYCLE_1)
	s_add_i32 s56, s56, s13
	s_cmp_ge_u32 s56, s39
	s_cbranch_scc1 .LBB49_466
; %bb.1:
	s_clause 0x9
	s_load_b64 s[14:15], s[0:1], 0xc
	s_load_b64 s[50:51], s[0:1], 0xfc
	;; [unrolled: 1-line block ×4, first 2 shown]
	s_load_b128 s[40:43], s[0:1], 0x23c
	s_load_b64 s[30:31], s[0:1], 0x1d0
	s_load_b128 s[44:47], s[0:1], 0x15c
	s_load_b64 s[34:35], s[0:1], 0xf0
	s_load_b32 s52, s[0:1], 0xe8
	s_load_b128 s[8:11], s[0:1], 0x6c
	s_mov_b32 s55, 0
	s_waitcnt lgkmcnt(0)
	v_cvt_f32_u32_e32 v1, s15
	v_cvt_f32_u32_e32 v2, s14
	;; [unrolled: 1-line block ×4, first 2 shown]
	s_sub_i32 s11, 0, s15
	v_rcp_iflag_f32_e32 v1, v1
	v_rcp_iflag_f32_e32 v2, v2
	;; [unrolled: 1-line block ×4, first 2 shown]
	v_cvt_f32_u32_e32 v5, s49
	v_cvt_f32_u32_e32 v6, s48
	s_delay_alu instid0(VALU_DEP_2)
	v_rcp_iflag_f32_e32 v5, v5
	v_dual_mul_f32 v1, 0x4f7ffffe, v1 :: v_dual_mul_f32 v2, 0x4f7ffffe, v2
	s_waitcnt_depctr 0xfff
	v_dual_mul_f32 v3, 0x4f7ffffe, v3 :: v_dual_mul_f32 v4, 0x4f7ffffe, v4
	v_cvt_u32_f32_e32 v1, v1
	v_cvt_u32_f32_e32 v2, v2
	s_delay_alu instid0(VALU_DEP_3) | instskip(SKIP_1) | instid1(VALU_DEP_4)
	v_cvt_u32_f32_e32 v3, v3
	v_mul_f32_e32 v5, 0x4f7ffffe, v5
	v_readfirstlane_b32 s5, v1
	v_rcp_iflag_f32_e32 v1, v6
	s_delay_alu instid0(VALU_DEP_3) | instskip(SKIP_1) | instid1(VALU_DEP_3)
	v_readfirstlane_b32 s17, v3
	v_cvt_u32_f32_e32 v3, v4
	s_mul_i32 s11, s11, s5
	s_delay_alu instid0(SALU_CYCLE_1) | instskip(NEXT) | instid1(SALU_CYCLE_1)
	s_mul_hi_u32 s11, s5, s11
	s_add_i32 s5, s5, s11
	s_waitcnt_depctr 0xfff
	v_mul_f32_e32 v1, 0x4f7ffffe, v1
	s_mul_hi_u32 s5, s56, s5
	s_delay_alu instid0(SALU_CYCLE_1)
	s_mul_i32 s11, s5, s15
	s_add_i32 s12, s5, 1
	s_sub_i32 s11, s56, s11
	v_cvt_u32_f32_e32 v1, v1
	s_sub_i32 s16, s11, s15
	s_cmp_ge_u32 s11, s15
	s_cselect_b32 s5, s12, s5
	s_cselect_b32 s11, s16, s11
	s_add_i32 s12, s5, 1
	s_cmp_ge_u32 s11, s15
	v_readfirstlane_b32 s20, v1
	s_cselect_b32 s11, s12, s5
	s_sub_i32 s5, 0, s51
	v_readfirstlane_b32 s12, v2
	s_mul_i32 s5, s5, s17
	s_sub_i32 s16, 0, s14
	s_mul_hi_u32 s5, s17, s5
	v_cvt_u32_f32_e32 v2, v5
	s_add_i32 s17, s17, s5
	s_mul_i32 s16, s16, s12
	s_mul_hi_u32 s5, s56, s17
	s_mul_hi_u32 s16, s12, s16
	s_mul_i32 s17, s5, s51
	s_add_i32 s12, s12, s16
	s_sub_i32 s16, s56, s17
	s_add_i32 s17, s5, 1
	s_sub_i32 s18, s16, s51
	s_cmp_ge_u32 s16, s51
	v_readfirstlane_b32 s19, v2
	s_cselect_b32 s5, s17, s5
	s_cselect_b32 s16, s18, s16
	s_add_i32 s17, s5, 1
	s_cmp_ge_u32 s16, s51
	v_readfirstlane_b32 s16, v3
	s_cselect_b32 s57, s17, s5
	s_sub_i32 s5, 0, s49
	s_sub_i32 s17, 0, s50
	s_mul_i32 s5, s5, s19
	s_mul_i32 s17, s17, s16
	s_mul_hi_u32 s5, s19, s5
	s_mul_hi_u32 s17, s16, s17
	s_add_i32 s19, s19, s5
	s_add_i32 s16, s16, s17
	s_mul_hi_u32 s5, s56, s19
	s_mul_hi_u32 s12, s11, s12
	s_mul_i32 s18, s5, s49
	s_mul_hi_u32 s60, s57, s16
	s_sub_i32 s17, s56, s18
	s_add_i32 s18, s5, 1
	s_sub_i32 s19, s17, s49
	s_cmp_ge_u32 s17, s49
	s_cselect_b32 s5, s18, s5
	s_cselect_b32 s17, s19, s17
	s_add_i32 s18, s5, 1
	s_cmp_ge_u32 s17, s49
	s_cselect_b32 s58, s18, s5
	s_sub_i32 s5, 0, s48
	s_delay_alu instid0(SALU_CYCLE_1) | instskip(NEXT) | instid1(SALU_CYCLE_1)
	s_mul_i32 s5, s5, s20
	s_mul_hi_u32 s17, s20, s5
	v_cmp_eq_u32_e64 s5, 0, v0
	s_add_i32 s20, s20, s17
	s_delay_alu instid0(SALU_CYCLE_1) | instskip(NEXT) | instid1(VALU_DEP_1)
	s_mul_hi_u32 s59, s58, s20
	s_and_saveexec_b32 s16, s5
	s_cbranch_execz .LBB49_3
; %bb.2:
	v_dual_mov_b32 v1, 0 :: v_dual_mov_b32 v2, s36
	s_delay_alu instid0(VALU_DEP_1)
	v_mov_b32_e32 v3, v1
	ds_store_b96 v1, v[1:3] offset:4096
.LBB49_3:
	s_or_b32 exec_lo, exec_lo, s16
	s_mul_i32 s16, s12, s14
	s_mul_i32 s15, s11, s15
	s_sub_i32 s16, s11, s16
	s_sub_i32 s15, s56, s15
	s_add_i32 s17, s12, 1
	s_sub_i32 s18, s16, s14
	s_cmp_ge_u32 s16, s14
	s_waitcnt lgkmcnt(0)
	s_cselect_b32 s12, s17, s12
	s_cselect_b32 s16, s18, s16
	s_add_i32 s17, s12, 1
	s_cmp_ge_u32 s16, s14
	s_barrier
	buffer_gl0_inv
	s_load_b32 s16, s[6:7], 0xc
	s_cselect_b32 s12, s17, s12
	s_mul_i32 s15, s15, s10
	s_mul_i32 s14, s12, s14
	;; [unrolled: 1-line block ×3, first 2 shown]
	s_sub_i32 s11, s11, s14
	v_mbcnt_lo_u32_b32 v28, -1, 0
	s_mul_i32 s9, s11, s9
	v_cmp_gt_u32_e32 vcc_lo, 32, v0
	s_add_i32 s8, s9, s15
	v_dual_mov_b32 v14, 0 :: v_dual_lshlrev_b32 v29, 2, v0
	s_add_i32 s54, s8, s12
	v_mul_lo_u32 v15, v0, s52
	s_lshl_b64 s[8:9], s[54:55], 3
	v_lshrrev_b32_e32 v3, 3, v0
	s_add_u32 s33, s2, s8
	s_addc_u32 s43, s3, s9
	s_bitcmp1_b32 s38, 0
	v_cmp_gt_i32_e64 s2, 4, v28
	s_cselect_b32 s3, -1, 0
	s_waitcnt lgkmcnt(0)
	s_and_b32 s47, s16, 0xffff
	s_xor_b32 s54, s3, -1
	s_lshl_b32 s61, s47, 2
	s_bfe_u32 s8, s16, 0xb0005
	v_cvt_f32_u32_e32 v1, s61
	s_and_b32 s62, vcc_lo, s2
	s_cmpk_gt_u32 s36, 0x180
	v_cvt_f32_u32_e32 v2, s47
	s_cselect_b32 s63, -1, 0
	v_rcp_iflag_f32_e32 v1, v1
	s_cmp_gt_u32 s47, 31
	v_lshlrev_b32_e32 v32, 3, v0
	s_cselect_b32 s64, -1, 0
	s_add_i32 s65, s47, -1
	v_mov_b32_e32 v16, v14
	s_add_i32 s9, s65, s36
	s_cmp_lt_u32 s13, s4
	v_dual_mov_b32 v5, 0 :: v_dual_and_b32 v30, 0x7c, v3
	s_waitcnt_depctr 0xfff
	v_mul_f32_e32 v1, 0x4f7ffffe, v1
	s_cselect_b32 s2, 12, 18
	v_or_b32_e32 v3, 3, v29
	s_add_u32 s38, s6, s2
	s_addc_u32 s39, s7, 0
	v_cvt_u32_f32_e32 v1, v1
	s_add_i32 s2, s8, -1
	s_bfe_u32 s66, s47, 0x30005
	s_cmp_gt_u32 s2, 6
	v_mad_u64_u32 v[18:19], null, s52, v29, s[52:53]
	s_cselect_b32 s67, -1, 0
	s_and_b32 s68, s8, 0x7f8
	v_readfirstlane_b32 s2, v1
	s_cmp_lg_u32 s66, 0
	v_rcp_iflag_f32_e32 v1, v2
	s_cselect_b32 s69, -1, 0
	s_sub_i32 s6, 0, s61
	v_mul_lo_u32 v35, s52, v3
	s_mul_i32 s6, s6, s2
	v_cmp_gt_u32_e64 s4, s36, v0
	s_mul_hi_u32 s6, s2, s6
	v_lshl_or_b32 v39, v28, 2, 0xc00
	s_add_i32 s70, s2, s6
	v_cmp_eq_u32_e64 s2, 0, v28
	s_mul_hi_u32 s6, s36, s70
	v_mov_b32_e32 v40, s37
	s_mul_i32 s6, s6, s61
	s_mul_i32 s53, s52, s47
	s_sub_i32 s6, s36, s6
	s_mov_b32 s83, 62
	s_sub_i32 s7, s6, s61
	s_cmp_ge_u32 s6, s61
	s_mov_b32 s78, 0
	s_cselect_b32 s6, s7, s6
                                        ; implicit-def: $sgpr77
                                        ; implicit-def: $sgpr81
                                        ; implicit-def: $sgpr80
                                        ; implicit-def: $sgpr82
                                        ; implicit-def: $sgpr79
                                        ; implicit-def: $sgpr84
                                        ; implicit-def: $sgpr86
                                        ; implicit-def: $sgpr85
                                        ; implicit-def: $sgpr87
                                        ; implicit-def: $sgpr88
	v_mov_b32_e32 v6, 0
	s_sub_i32 s7, s6, s61
	s_cmp_ge_u32 s6, s61
	v_lshlrev_b32_e32 v36, 2, v15
	s_cselect_b32 s10, s7, s6
	s_sub_i32 s6, 0, s47
	s_sub_i32 s71, s36, s10
	s_delay_alu instid0(SALU_CYCLE_1) | instskip(SKIP_3) | instid1(VALU_DEP_4)
	v_dual_mul_f32 v4, 0x4f7ffffe, v1 :: v_dual_add_nc_u32 v31, s71, v0
	v_lshlrev_b64 v[1:2], 3, v[15:16]
	v_lshlrev_b32_e32 v38, 5, v0
	v_mov_b32_e32 v22, v6
	v_cvt_u32_f32_e32 v4, v4
	v_mul_lo_u32 v13, v31, s52
	v_dual_mov_b32 v20, v6 :: v_dual_mov_b32 v19, v5
	v_add_co_u32 v11, vcc_lo, s33, v1
	s_delay_alu instid0(VALU_DEP_4) | instskip(SKIP_3) | instid1(VALU_DEP_4)
	v_readfirstlane_b32 s8, v4
	v_add_co_ci_u32_e32 v12, vcc_lo, s43, v2, vcc_lo
	v_lshlrev_b64 v[1:2], v28, -1
	v_mov_b32_e32 v21, v5
	s_mul_i32 s6, s6, s8
	s_delay_alu instid0(SALU_CYCLE_1) | instskip(NEXT) | instid1(VALU_DEP_2)
	s_mul_hi_u32 s6, s8, s6
	v_not_b32_e32 v27, v1
	v_lshlrev_b64 v[1:2], 3, v[13:14]
	s_add_i32 s72, s8, s6
	s_delay_alu instid0(SALU_CYCLE_1) | instskip(NEXT) | instid1(SALU_CYCLE_1)
	s_mul_hi_u32 s6, s9, s72
	s_mul_i32 s7, s6, s47
	s_delay_alu instid0(VALU_DEP_1)
	v_add_co_u32 v16, vcc_lo, s33, v1
	v_add3_u32 v1, s47, s36, v0
	s_sub_i32 s7, s9, s7
	v_add_co_ci_u32_e32 v17, vcc_lo, s43, v2, vcc_lo
	s_sub_i32 s8, s7, s47
	s_cmp_ge_u32 s7, s47
	v_subrev_nc_u32_e32 v1, s10, v1
	s_cselect_b32 s8, s8, s7
	v_or_b32_e32 v2, 2, v29
	s_sub_i32 s11, s8, s47
	s_cmp_ge_u32 s8, s47
	v_mul_lo_u32 v37, s52, v1
	v_mov_b32_e32 v1, 1
	v_add_nc_u32_e32 v33, 0xc00, v32
	s_cselect_b32 s11, s11, s8
	v_mul_lo_u32 v34, s52, v2
	s_sub_i32 s73, s9, s11
	v_cmp_gt_u32_e64 s6, 2, v0
	v_cmp_gt_u32_e64 s7, s71, v29
	;; [unrolled: 1-line block ×4, first 2 shown]
	s_lshl_b32 s74, s53, 2
	s_lshl_b32 s75, s47, 5
	;; [unrolled: 1-line block ×3, first 2 shown]
	s_branch .LBB49_6
.LBB49_4:                               ;   in Loop: Header=BB49_6 Depth=1
	s_or_b32 exec_lo, exec_lo, s13
	v_dual_mov_b32 v19, v25 :: v_dual_mov_b32 v20, v26
	v_dual_mov_b32 v21, v23 :: v_dual_mov_b32 v22, v24
	v_mov_b32_e32 v40, v41
	v_dual_mov_b32 v5, v9 :: v_dual_mov_b32 v6, v10
	s_and_not1_b32 s13, s88, exec_lo
	s_and_b32 s12, s12, exec_lo
	s_and_not1_b32 s87, s87, exec_lo
	s_or_b32 s88, s13, s12
	s_and_not1_b32 s85, s85, exec_lo
	s_and_not1_b32 s86, s86, exec_lo
	;; [unrolled: 1-line block ×3, first 2 shown]
	s_or_not1_b32 s12, s11, exec_lo
.LBB49_5:                               ;   in Loop: Header=BB49_6 Depth=1
	s_or_b32 exec_lo, exec_lo, s10
	s_delay_alu instid0(SALU_CYCLE_1) | instskip(NEXT) | instid1(SALU_CYCLE_1)
	s_and_b32 s10, exec_lo, s12
	s_or_b32 s55, s10, s55
	s_and_not1_b32 s10, s79, exec_lo
	s_and_b32 s11, s88, exec_lo
	s_and_not1_b32 s12, s82, exec_lo
	s_or_b32 s79, s10, s11
	s_and_b32 s10, s87, exec_lo
	s_and_not1_b32 s11, s80, exec_lo
	s_and_b32 s13, s85, exec_lo
	s_or_b32 s82, s12, s10
	s_or_b32 s80, s11, s13
	s_and_not1_b32 s10, s81, exec_lo
	s_and_b32 s11, s86, exec_lo
	s_and_not1_b32 s12, s77, exec_lo
	s_and_b32 s13, s84, exec_lo
	s_or_b32 s81, s10, s11
	s_or_b32 s77, s12, s13
	s_and_not1_b32 exec_lo, exec_lo, s55
	s_cbranch_execz .LBB49_406
.LBB49_6:                               ; =>This Loop Header: Depth=1
                                        ;     Child Loop BB49_14 Depth 2
                                        ;     Child Loop BB49_29 Depth 2
	;; [unrolled: 1-line block ×24, first 2 shown]
	ds_load_b64 v[2:3], v14 offset:4096
	s_waitcnt lgkmcnt(0)
	v_readfirstlane_b32 s89, v2
	s_delay_alu instid0(VALU_DEP_1)
	s_cmp_lg_u32 s89, 0
	s_cbranch_scc1 .LBB49_36
; %bb.7:                                ;   in Loop: Header=BB49_6 Depth=1
	s_and_b32 vcc_lo, exec_lo, s63
	s_cbranch_vccz .LBB49_22
; %bb.8:                                ;   in Loop: Header=BB49_6 Depth=1
	v_cmp_gt_u32_e32 vcc_lo, 0x181, v3
	s_mov_b32 s89, 0
	s_mov_b32 s10, 0
	s_cbranch_vccz .LBB49_23
; %bb.9:                                ;   in Loop: Header=BB49_6 Depth=1
	v_mov_b32_e32 v2, 0
	v_mov_b32_e32 v3, 0
	s_and_saveexec_b32 s10, s4
	s_cbranch_execz .LBB49_11
; %bb.10:                               ;   in Loop: Header=BB49_6 Depth=1
	global_load_b64 v[2:3], v[11:12], off
.LBB49_11:                              ;   in Loop: Header=BB49_6 Depth=1
	s_or_b32 exec_lo, exec_lo, s10
	s_and_saveexec_b32 s12, s4
	s_cbranch_execz .LBB49_87
; %bb.12:                               ;   in Loop: Header=BB49_6 Depth=1
	global_load_u16 v4, v14, s[38:39]
	v_mov_b32_e32 v10, v0
	s_mov_b32 s13, 0
	s_waitcnt vmcnt(0)
	v_add_nc_u32_e32 v7, v0, v4
	v_mul_lo_u32 v9, s52, v4
	s_delay_alu instid0(VALU_DEP_2)
	v_mul_lo_u32 v13, s52, v7
	s_branch .LBB49_14
.LBB49_13:                              ;   in Loop: Header=BB49_14 Depth=2
	s_or_b32 exec_lo, exec_lo, s11
	s_waitcnt vmcnt(0)
	v_dual_mov_b32 v2, v7 :: v_dual_add_nc_u32 v13, v13, v9
	v_mov_b32_e32 v3, v8
	s_and_not1_b32 exec_lo, exec_lo, s13
	s_cbranch_execz .LBB49_87
.LBB49_14:                              ;   Parent Loop BB49_6 Depth=1
                                        ; =>  This Inner Loop Header: Depth=2
	v_dual_mov_b32 v7, 0 :: v_dual_add_nc_u32 v10, v10, v4
	v_mov_b32_e32 v8, 0
	s_mov_b32 s11, exec_lo
	s_delay_alu instid0(VALU_DEP_2)
	v_cmp_le_u32_e32 vcc_lo, s36, v10
	v_cmpx_gt_u32_e64 s36, v10
	s_cbranch_execz .LBB49_16
; %bb.15:                               ;   in Loop: Header=BB49_14 Depth=2
	v_lshlrev_b64 v[7:8], 3, v[13:14]
	s_delay_alu instid0(VALU_DEP_1) | instskip(NEXT) | instid1(VALU_DEP_1)
	v_add_co_u32 v7, s10, s33, v7
	v_add_co_ci_u32_e64 v8, s10, s43, v8, s10
	global_load_b64 v[7:8], v[7:8], off
.LBB49_16:                              ;   in Loop: Header=BB49_14 Depth=2
	s_or_b32 exec_lo, exec_lo, s11
	s_waitcnt lgkmcnt(0)
	v_xor_b32_e32 v23, 0x80000000, v3
	s_delay_alu instid0(VALU_DEP_1) | instskip(SKIP_1) | instid1(VALU_DEP_1)
	v_and_b32_e32 v24, v23, v20
	v_and_b32_e32 v23, v2, v19
	v_cmp_eq_u64_e64 s10, v[23:24], v[21:22]
	v_mov_b32_e32 v23, 0
	s_delay_alu instid0(VALU_DEP_2) | instskip(SKIP_1) | instid1(SALU_CYCLE_1)
	s_cmp_lg_u32 s10, 0
	s_cselect_b32 s11, -1, 0
	s_and_b32 s11, s2, s11
	s_delay_alu instid0(SALU_CYCLE_1)
	s_and_saveexec_b32 s14, s11
	s_cbranch_execz .LBB49_20
; %bb.17:                               ;   in Loop: Header=BB49_14 Depth=2
	s_mov_b32 s17, exec_lo
	s_bcnt1_i32_b32 s15, s10
	v_mbcnt_lo_u32_b32 v23, s17, 0
	s_mov_b32 s16, exec_lo
                                        ; implicit-def: $vgpr24
	s_delay_alu instid0(VALU_DEP_1)
	v_cmpx_eq_u32_e32 0, v23
	s_cbranch_execz .LBB49_19
; %bb.18:                               ;   in Loop: Header=BB49_14 Depth=2
	s_bcnt1_i32_b32 s11, s17
	s_delay_alu instid0(SALU_CYCLE_1) | instskip(NEXT) | instid1(SALU_CYCLE_1)
	s_mul_i32 s11, s15, s11
	v_mov_b32_e32 v24, s11
	ds_add_rtn_u32 v24, v14, v24 offset:4104
.LBB49_19:                              ;   in Loop: Header=BB49_14 Depth=2
	s_or_b32 exec_lo, exec_lo, s16
	s_waitcnt lgkmcnt(0)
	v_readfirstlane_b32 s11, v24
	s_delay_alu instid0(VALU_DEP_1)
	v_mad_u32_u24 v23, s15, v23, s11
.LBB49_20:                              ;   in Loop: Header=BB49_14 Depth=2
	s_or_b32 exec_lo, exec_lo, s14
	ds_bpermute_b32 v23, v14, v23
	s_and_b32 s11, exec_lo, vcc_lo
	s_delay_alu instid0(SALU_CYCLE_1)
	s_or_b32 s13, s11, s13
	s_and_saveexec_b32 s11, s10
	s_cbranch_execz .LBB49_13
; %bb.21:                               ;   in Loop: Header=BB49_14 Depth=2
	v_and_b32_e32 v24, s10, v27
	s_delay_alu instid0(VALU_DEP_1) | instskip(NEXT) | instid1(VALU_DEP_1)
	v_bcnt_u32_b32 v24, v24, 0
	v_lshlrev_b32_e32 v24, 3, v24
	s_waitcnt lgkmcnt(0)
	s_delay_alu instid0(VALU_DEP_1)
	v_lshl_add_u32 v23, v23, 3, v24
	ds_store_b64 v23, v[2:3]
	s_branch .LBB49_13
.LBB49_22:                              ;   in Loop: Header=BB49_6 Depth=1
	s_mov_b32 s89, -1
	s_mov_b32 s10, 0
.LBB49_23:                              ;   in Loop: Header=BB49_6 Depth=1
	s_and_b32 vcc_lo, exec_lo, s89
	s_cbranch_vccz .LBB49_34
.LBB49_24:                              ;   in Loop: Header=BB49_6 Depth=1
	v_mov_b32_e32 v2, 0
	v_mov_b32_e32 v3, 0
	s_and_saveexec_b32 s10, s4
	s_cbranch_execz .LBB49_26
; %bb.25:                               ;   in Loop: Header=BB49_6 Depth=1
	global_load_b64 v[2:3], v[11:12], off
.LBB49_26:                              ;   in Loop: Header=BB49_6 Depth=1
	s_or_b32 exec_lo, exec_lo, s10
	s_and_saveexec_b32 s11, s4
	s_cbranch_execz .LBB49_31
; %bb.27:                               ;   in Loop: Header=BB49_6 Depth=1
	global_load_u16 v4, v14, s[38:39]
	v_mov_b32_e32 v24, v0
	s_mov_b32 s12, 0
	v_mov_b32_e32 v23, v32
	s_waitcnt vmcnt(0)
	v_add_nc_u32_e32 v7, v0, v4
	v_mul_lo_u32 v9, s52, v4
	v_lshlrev_b32_e32 v10, 3, v4
	s_delay_alu instid0(VALU_DEP_3)
	v_mul_lo_u32 v13, s52, v7
	s_set_inst_prefetch_distance 0x1
	s_branch .LBB49_29
	.p2align	6
.LBB49_28:                              ;   in Loop: Header=BB49_29 Depth=2
	s_or_b32 exec_lo, exec_lo, s13
	ds_store_b64 v23, v[2:3]
	s_waitcnt vmcnt(0)
	v_dual_mov_b32 v2, v7 :: v_dual_add_nc_u32 v13, v13, v9
	v_add_nc_u32_e32 v23, v23, v10
	v_mov_b32_e32 v3, v8
	s_and_b32 s10, exec_lo, vcc_lo
	s_delay_alu instid0(SALU_CYCLE_1) | instskip(NEXT) | instid1(SALU_CYCLE_1)
	s_or_b32 s12, s10, s12
	s_and_not1_b32 exec_lo, exec_lo, s12
	s_cbranch_execz .LBB49_31
.LBB49_29:                              ;   Parent Loop BB49_6 Depth=1
                                        ; =>  This Inner Loop Header: Depth=2
	v_dual_mov_b32 v7, 0 :: v_dual_add_nc_u32 v24, v24, v4
	v_mov_b32_e32 v8, 0
	s_mov_b32 s13, exec_lo
	s_delay_alu instid0(VALU_DEP_2)
	v_cmp_le_u32_e32 vcc_lo, s36, v24
	v_cmpx_gt_u32_e64 s36, v24
	s_cbranch_execz .LBB49_28
; %bb.30:                               ;   in Loop: Header=BB49_29 Depth=2
	v_lshlrev_b64 v[7:8], 3, v[13:14]
	s_delay_alu instid0(VALU_DEP_1) | instskip(NEXT) | instid1(VALU_DEP_1)
	v_add_co_u32 v7, s10, s33, v7
	v_add_co_ci_u32_e64 v8, s10, s43, v8, s10
	global_load_b64 v[7:8], v[7:8], off
	s_branch .LBB49_28
.LBB49_31:                              ;   in Loop: Header=BB49_6 Depth=1
	s_set_inst_prefetch_distance 0x2
	s_or_b32 exec_lo, exec_lo, s11
	s_waitcnt vmcnt(0) lgkmcnt(0)
	s_barrier
	buffer_gl0_inv
	s_and_saveexec_b32 s10, s5
	s_cbranch_execz .LBB49_33
; %bb.32:                               ;   in Loop: Header=BB49_6 Depth=1
	v_mov_b32_e32 v2, s36
	ds_store_b32 v14, v2 offset:4096
.LBB49_33:                              ;   in Loop: Header=BB49_6 Depth=1
	s_or_b32 exec_lo, exec_lo, s10
	s_mov_b32 s10, -1
	s_waitcnt lgkmcnt(0)
	s_barrier
                                        ; implicit-def: $sgpr89
.LBB49_34:                              ;   in Loop: Header=BB49_6 Depth=1
	s_and_b32 vcc_lo, exec_lo, s10
	s_cbranch_vccz .LBB49_36
; %bb.35:                               ;   in Loop: Header=BB49_6 Depth=1
	buffer_gl0_inv
	ds_load_b32 v2, v14 offset:4096
	s_waitcnt lgkmcnt(0)
	v_readfirstlane_b32 s89, v2
.LBB49_36:                              ;   in Loop: Header=BB49_6 Depth=1
	s_delay_alu instid0(VALU_DEP_1)
	s_cmp_lt_i32 s89, 1
	s_cbranch_scc0 .LBB49_48
; %bb.37:                               ;   in Loop: Header=BB49_6 Depth=1
	v_dual_mov_b32 v7, 0 :: v_dual_mov_b32 v8, 0
	v_dual_mov_b32 v9, 0 :: v_dual_mov_b32 v10, 0
	s_mov_b32 s25, 0
	s_and_saveexec_b32 s24, s7
	s_cbranch_execz .LBB49_41
; %bb.38:                               ;   in Loop: Header=BB49_6 Depth=1
	v_mov_b32_e32 v2, v29
	s_and_b32 s26, s83, 0xfe
	s_mov_b32 s27, 0
	s_mov_b32 s28, 0
	;; [unrolled: 1-line block ×5, first 2 shown]
.LBB49_39:                              ;   Parent Loop BB49_6 Depth=1
                                        ; =>  This Inner Loop Header: Depth=2
	v_dual_mov_b32 v26, v14 :: v_dual_add_nc_u32 v13, s27, v36
	v_mov_b32_e32 v42, v14
	v_mov_b32_e32 v44, v14
	s_delay_alu instid0(VALU_DEP_3) | instskip(SKIP_1) | instid1(VALU_DEP_1)
	v_lshlrev_b64 v[3:4], 3, v[13:14]
	v_add_nc_u32_e32 v13, s27, v18
	v_lshlrev_b64 v[7:8], 3, v[13:14]
	v_add_nc_u32_e32 v13, s27, v34
	s_delay_alu instid0(VALU_DEP_4) | instskip(SKIP_1) | instid1(VALU_DEP_3)
	v_add_co_u32 v3, vcc_lo, s33, v3
	v_add_co_ci_u32_e32 v4, vcc_lo, s43, v4, vcc_lo
	v_lshlrev_b64 v[9:10], 3, v[13:14]
	v_add_nc_u32_e32 v13, s27, v35
	v_add_co_u32 v7, vcc_lo, s33, v7
	global_load_b64 v[3:4], v[3:4], off
	v_add_co_ci_u32_e32 v8, vcc_lo, s43, v8, vcc_lo
	v_add_co_u32 v9, vcc_lo, s33, v9
	v_lshlrev_b64 v[23:24], 3, v[13:14]
	v_add_co_ci_u32_e32 v10, vcc_lo, s43, v10, vcc_lo
	s_clause 0x1
	global_load_b64 v[7:8], v[7:8], off
	global_load_b64 v[9:10], v[9:10], off
	v_add_co_u32 v23, vcc_lo, s33, v23
	v_add_co_ci_u32_e32 v24, vcc_lo, s43, v24, vcc_lo
	s_add_i32 s27, s27, s74
	global_load_b64 v[23:24], v[23:24], off
	s_waitcnt vmcnt(3)
	v_xor_b32_e32 v4, 0x80000000, v4
	v_and_b32_e32 v45, v3, v19
	s_delay_alu instid0(VALU_DEP_2)
	v_and_b32_e32 v46, v4, v20
	v_lshrrev_b64 v[3:4], s26, v[3:4]
	s_waitcnt vmcnt(2)
	v_xor_b32_e32 v8, 0x80000000, v8
	v_and_b32_e32 v47, v7, v19
	s_waitcnt vmcnt(1)
	v_xor_b32_e32 v10, 0x80000000, v10
	v_and_b32_e32 v13, 3, v3
	v_cmp_eq_u64_e64 s10, v[45:46], v[21:22]
	v_and_b32_e32 v48, v8, v20
	v_lshrrev_b64 v[7:8], s26, v[7:8]
	v_and_b32_e32 v45, v9, v19
	v_cmp_eq_u64_e64 s12, 0, v[13:14]
	s_waitcnt vmcnt(0)
	v_xor_b32_e32 v24, 0x80000000, v24
	v_lshrrev_b64 v[8:9], s26, v[9:10]
	v_cmp_eq_u64_e64 s13, 1, v[13:14]
	v_and_b32_e32 v25, 3, v7
	v_cmp_eq_u64_e64 s14, 2, v[13:14]
	v_and_b32_e32 v46, v10, v20
	v_lshrrev_b64 v[9:10], s26, v[23:24]
	s_and_b32 s12, s10, s12
	v_cmp_eq_u64_e64 s11, v[47:48], v[21:22]
	v_cmp_eq_u64_e64 s15, 3, v[13:14]
	v_and_b32_e32 v41, 3, v8
	v_cmp_eq_u64_e64 s17, 0, v[25:26]
	v_cndmask_b32_e64 v7, 0, 1, s12
	s_and_b32 s12, s10, s13
	v_cmp_eq_u64_e64 s18, 1, v[25:26]
	v_cmp_eq_u64_e64 s19, 2, v[25:26]
	;; [unrolled: 1-line block ×3, first 2 shown]
	v_and_b32_e32 v3, v23, v19
	v_and_b32_e32 v4, v24, v20
	v_cndmask_b32_e64 v8, 0, 1, s12
	s_and_b32 s12, s10, s14
	v_cmp_eq_u64_e64 s16, v[45:46], v[21:22]
	v_cndmask_b32_e64 v10, 0, 1, s12
	v_and_b32_e32 v43, 3, v9
	v_cmp_eq_u64_e64 s12, 0, v[41:42]
	s_and_b32 s10, s10, s15
	s_and_b32 s17, s11, s17
	v_cndmask_b32_e64 v13, 0, 1, s10
	v_cmp_eq_u64_e64 s10, v[3:4], v[21:22]
	v_cmp_eq_u64_e64 s13, 1, v[41:42]
	v_cmp_ne_u32_e64 s21, 0, v7
	v_cndmask_b32_e64 v3, 0, 1, s17
	s_and_b32 s18, s11, s18
	s_and_b32 s19, s11, s19
	;; [unrolled: 1-line block ×3, first 2 shown]
	v_cmp_eq_u64_e64 s14, 2, v[41:42]
	v_cmp_eq_u64_e64 s15, 3, v[41:42]
	v_cmp_ne_u32_e64 s17, 0, v8
	v_cndmask_b32_e64 v8, 0, 1, s11
	v_cmp_eq_u64_e64 s11, 0, v[43:44]
	v_cndmask_b32_e64 v4, 0, 1, s18
	v_cndmask_b32_e64 v7, 0, 1, s19
	s_and_b32 s12, s16, s12
	s_bcnt1_i32_b32 s92, s21
	v_cmp_ne_u32_e64 s21, 0, v3
	v_cndmask_b32_e64 v3, 0, 1, s12
	v_cmp_ne_u32_e64 s19, 0, v13
	s_and_b32 s13, s16, s13
	v_cmp_eq_u64_e64 s20, 1, v[43:44]
	v_cmp_eq_u64_e64 s22, 2, v[43:44]
	;; [unrolled: 1-line block ×3, first 2 shown]
	v_cmp_ne_u32_e64 s12, 0, v4
	v_cndmask_b32_e64 v4, 0, 1, s13
	v_cmp_ne_u32_e64 s13, 0, v7
	s_and_b32 s14, s16, s14
	s_and_b32 s15, s16, s15
	;; [unrolled: 1-line block ×3, first 2 shown]
	v_cndmask_b32_e64 v7, 0, 1, s14
	v_cmp_ne_u32_e64 s14, 0, v8
	v_cndmask_b32_e64 v8, 0, 1, s15
	v_cmp_ne_u32_e64 s15, 0, v3
	;; [unrolled: 2-line block ×3, first 2 shown]
	s_bcnt1_i32_b32 s19, s19
	v_cmp_ne_u32_e64 s11, 0, v4
	s_add_i32 s19, s19, s28
	s_bcnt1_i32_b32 s28, s12
	s_and_b32 s12, s10, s20
	s_bcnt1_i32_b32 s20, s13
	s_and_b32 s13, s10, s22
	s_and_b32 s10, s10, s23
	v_cndmask_b32_e64 v4, 0, 1, s12
	v_cmp_ne_u32_e64 s12, 0, v7
	v_cndmask_b32_e64 v7, 0, 1, s13
	v_cmp_ne_u32_e64 s13, 0, v8
	;; [unrolled: 2-line block ×3, first 2 shown]
	s_bcnt1_i32_b32 s18, s18
	s_add_i32 s16, s92, s91
	s_bcnt1_i32_b32 s21, s21
	s_add_i32 s18, s18, s29
	;; [unrolled: 2-line block ×3, first 2 shown]
	s_bcnt1_i32_b32 s15, s15
	s_bcnt1_i32_b32 s17, s17
	s_add_i32 s18, s18, s20
	s_add_i32 s14, s19, s14
	s_bcnt1_i32_b32 s19, s11
	v_cmp_ne_u32_e64 s11, 0, v4
	s_bcnt1_i32_b32 s20, s12
	v_cmp_ne_u32_e64 s12, 0, v7
	;; [unrolled: 2-line block ×3, first 2 shown]
	s_add_i32 s15, s16, s15
	s_bcnt1_i32_b32 s10, s10
	s_add_i32 s17, s17, s90
	s_add_i32 s91, s15, s10
	s_delay_alu instid0(SALU_CYCLE_1)
	v_dual_mov_b32 v7, s91 :: v_dual_add_nc_u32 v2, s61, v2
	s_add_i32 s17, s17, s28
	s_add_i32 s14, s14, s21
	;; [unrolled: 1-line block ×4, first 2 shown]
	s_bcnt1_i32_b32 s11, s11
	s_bcnt1_i32_b32 s12, s12
	;; [unrolled: 1-line block ×3, first 2 shown]
	v_cmp_le_u32_e32 vcc_lo, s71, v2
	s_add_i32 s90, s16, s11
	s_add_i32 s29, s17, s12
	;; [unrolled: 1-line block ×3, first 2 shown]
	v_dual_mov_b32 v8, s90 :: v_dual_mov_b32 v9, s29
	v_mov_b32_e32 v10, s28
	s_or_b32 s25, vcc_lo, s25
	s_delay_alu instid0(SALU_CYCLE_1)
	s_and_not1_b32 exec_lo, exec_lo, s25
	s_cbranch_execnz .LBB49_39
; %bb.40:                               ;   in Loop: Header=BB49_6 Depth=1
	s_or_b32 exec_lo, exec_lo, s25
.LBB49_41:                              ;   in Loop: Header=BB49_6 Depth=1
	s_delay_alu instid0(SALU_CYCLE_1)
	s_or_b32 exec_lo, exec_lo, s24
	v_mov_b32_e32 v23, 0
	v_mov_b32_e32 v24, 0
	s_and_saveexec_b32 s10, s8
	s_cbranch_execz .LBB49_43
; %bb.42:                               ;   in Loop: Header=BB49_6 Depth=1
	global_load_b64 v[23:24], v[16:17], off
.LBB49_43:                              ;   in Loop: Header=BB49_6 Depth=1
	s_or_b32 exec_lo, exec_lo, s10
	s_and_saveexec_b32 s14, s8
	s_cbranch_execz .LBB49_50
; %bb.44:                               ;   in Loop: Header=BB49_6 Depth=1
	v_dual_mov_b32 v2, v37 :: v_dual_mov_b32 v25, v31
	s_and_b32 s16, s83, 0xfe
	s_mov_b32 s15, 0
	s_branch .LBB49_46
.LBB49_45:                              ;   in Loop: Header=BB49_46 Depth=2
	s_or_b32 exec_lo, exec_lo, s11
	s_waitcnt vmcnt(0)
	v_xor_b32_e32 v24, 0x80000000, v24
	s_and_b32 s12, exec_lo, vcc_lo
	v_add_nc_u32_e32 v2, s53, v2
	s_or_b32 s15, s12, s15
	s_delay_alu instid0(VALU_DEP_2) | instskip(SKIP_2) | instid1(VALU_DEP_3)
	v_lshrrev_b64 v[41:42], s16, v[23:24]
	v_and_b32_e32 v23, v23, v19
	v_and_b32_e32 v24, v24, v20
	;; [unrolled: 1-line block ×3, first 2 shown]
	s_delay_alu instid0(VALU_DEP_2) | instskip(NEXT) | instid1(VALU_DEP_2)
	v_cmp_eq_u64_e64 s10, v[23:24], v[21:22]
	v_cmp_eq_u64_e64 s11, 0, v[13:14]
	v_cmp_eq_u64_e32 vcc_lo, 1, v[13:14]
	v_cmp_eq_u64_e64 s12, 2, v[13:14]
	v_cmp_eq_u64_e64 s13, 3, v[13:14]
	s_delay_alu instid0(VALU_DEP_4) | instskip(NEXT) | instid1(SALU_CYCLE_1)
	s_and_b32 s11, s10, s11
	v_cndmask_b32_e64 v13, 0, 1, s11
	s_and_b32 s11, s10, vcc_lo
	s_delay_alu instid0(SALU_CYCLE_1)
	v_cndmask_b32_e64 v23, 0, 1, s11
	s_and_b32 s11, s10, s12
	s_and_b32 s10, s10, s13
	v_cndmask_b32_e64 v24, 0, 1, s11
	v_cndmask_b32_e64 v26, 0, 1, s10
	v_cmp_ne_u32_e32 vcc_lo, 0, v13
	v_cmp_ne_u32_e64 s10, 0, v23
	s_delay_alu instid0(VALU_DEP_4)
	v_cmp_ne_u32_e64 s11, 0, v24
	v_mov_b32_e32 v24, v4
	v_cmp_ne_u32_e64 s12, 0, v26
	s_bcnt1_i32_b32 s13, vcc_lo
	s_bcnt1_i32_b32 s10, s10
	s_bcnt1_i32_b32 s11, s11
	v_add_nc_u32_e32 v7, s13, v7
	s_bcnt1_i32_b32 s12, s12
	v_add_nc_u32_e32 v8, s10, v8
	v_add_nc_u32_e32 v9, s11, v9
	v_dual_mov_b32 v23, v3 :: v_dual_add_nc_u32 v10, s12, v10
	s_and_not1_b32 exec_lo, exec_lo, s15
	s_cbranch_execz .LBB49_49
.LBB49_46:                              ;   Parent Loop BB49_6 Depth=1
                                        ; =>  This Inner Loop Header: Depth=2
	s_delay_alu instid0(VALU_DEP_1) | instskip(SKIP_3) | instid1(VALU_DEP_3)
	v_add_nc_u32_e32 v25, s47, v25
	v_mov_b32_e32 v3, 0
	v_mov_b32_e32 v4, 0
	s_mov_b32 s11, exec_lo
	v_cmp_le_u32_e32 vcc_lo, s36, v25
	v_cmpx_gt_u32_e64 s36, v25
	s_cbranch_execz .LBB49_45
; %bb.47:                               ;   in Loop: Header=BB49_46 Depth=2
	v_mov_b32_e32 v3, v14
	s_delay_alu instid0(VALU_DEP_1) | instskip(NEXT) | instid1(VALU_DEP_1)
	v_lshlrev_b64 v[3:4], 3, v[2:3]
	v_add_co_u32 v3, s10, s33, v3
	s_delay_alu instid0(VALU_DEP_1)
	v_add_co_ci_u32_e64 v4, s10, s43, v4, s10
	global_load_b64 v[3:4], v[3:4], off
	s_branch .LBB49_45
.LBB49_48:                              ;   in Loop: Header=BB49_6 Depth=1
                                        ; implicit-def: $vgpr10
	s_cbranch_execnz .LBB49_51
	s_branch .LBB49_60
.LBB49_49:                              ;   in Loop: Header=BB49_6 Depth=1
	s_or_b32 exec_lo, exec_lo, s15
.LBB49_50:                              ;   in Loop: Header=BB49_6 Depth=1
	s_delay_alu instid0(SALU_CYCLE_1)
	s_or_b32 exec_lo, exec_lo, s14
	s_branch .LBB49_60
.LBB49_51:                              ;   in Loop: Header=BB49_6 Depth=1
	s_mul_hi_u32 s10, s89, s70
	v_dual_mov_b32 v7, 0 :: v_dual_mov_b32 v8, 0
	s_mul_i32 s10, s10, s61
	v_dual_mov_b32 v9, 0 :: v_dual_mov_b32 v10, 0
	s_sub_i32 s10, s89, s10
	s_mov_b32 s92, 0
	s_sub_i32 s11, s10, s61
	s_cmp_ge_u32 s10, s61
	s_mov_b32 s91, exec_lo
	s_cselect_b32 s10, s11, s10
	s_delay_alu instid0(SALU_CYCLE_1) | instskip(SKIP_2) | instid1(SALU_CYCLE_1)
	s_sub_i32 s11, s10, s61
	s_cmp_ge_u32 s10, s61
	s_cselect_b32 s10, s11, s10
	s_sub_i32 s90, s89, s10
	s_delay_alu instid0(SALU_CYCLE_1)
	v_cmpx_gt_u32_e64 s90, v29
	s_cbranch_execz .LBB49_55
; %bb.52:                               ;   in Loop: Header=BB49_6 Depth=1
	v_dual_mov_b32 v2, v38 :: v_dual_mov_b32 v3, v29
	s_and_b32 s93, s83, 0xfe
	s_mov_b32 s94, 0
	s_mov_b32 s95, 0
	;; [unrolled: 1-line block ×4, first 2 shown]
.LBB49_53:                              ;   Parent Loop BB49_6 Depth=1
                                        ; =>  This Inner Loop Header: Depth=2
	ds_load_b128 v[7:10], v2
	s_waitcnt vmcnt(0)
	ds_load_b128 v[23:26], v2 offset:16
	v_mov_b32_e32 v44, v14
	v_dual_mov_b32 v46, v14 :: v_dual_add_nc_u32 v3, s61, v3
	v_mov_b32_e32 v42, v14
	s_delay_alu instid0(VALU_DEP_2)
	v_cmp_le_u32_e32 vcc_lo, s90, v3
	s_waitcnt lgkmcnt(1)
	v_xor_b32_e32 v8, 0x80000000, v8
	v_xor_b32_e32 v10, 0x80000000, v10
	s_waitcnt lgkmcnt(0)
	v_xor_b32_e32 v24, 0x80000000, v24
	v_and_b32_e32 v47, v7, v19
	v_xor_b32_e32 v26, 0x80000000, v26
	v_and_b32_e32 v48, v8, v20
	v_lshrrev_b64 v[7:8], s93, v[7:8]
	v_and_b32_e32 v49, v9, v19
	v_lshrrev_b64 v[8:9], s93, v[9:10]
	;; [unrolled: 2-line block ×3, first 2 shown]
	v_and_b32_e32 v51, v23, v19
	v_and_b32_e32 v52, v24, v20
	v_lshrrev_b64 v[23:24], s93, v[25:26]
	v_and_b32_e32 v13, 3, v7
	v_and_b32_e32 v41, 3, v8
	;; [unrolled: 1-line block ×3, first 2 shown]
	v_cmp_eq_u64_e64 s10, v[47:48], v[21:22]
	v_and_b32_e32 v53, v25, v19
	v_cmp_eq_u64_e64 s14, 0, v[13:14]
	v_and_b32_e32 v54, v26, v20
	v_and_b32_e32 v45, 3, v23
	v_cmp_eq_u64_e64 s11, v[49:50], v[21:22]
	v_cmp_eq_u64_e64 s15, 0, v[41:42]
	;; [unrolled: 1-line block ×6, first 2 shown]
	s_and_b32 s14, s10, s14
	v_cmp_eq_u64_e64 s18, 1, v[13:14]
	v_cndmask_b32_e64 v4, 0, 1, s14
	s_and_b32 s14, s11, s15
	v_cmp_eq_u64_e64 s19, 1, v[41:42]
	v_cndmask_b32_e64 v7, 0, 1, s14
	;; [unrolled: 3-line block ×4, first 2 shown]
	s_and_b32 s14, s10, s18
	v_cmp_eq_u64_e64 s22, 2, v[13:14]
	v_cmp_eq_u64_e64 s26, 3, v[13:14]
	v_cndmask_b32_e64 v10, 0, 1, s14
	s_and_b32 s14, s11, s19
	v_cmp_eq_u64_e64 s23, 2, v[41:42]
	v_cmp_eq_u64_e64 s27, 3, v[41:42]
	v_cndmask_b32_e64 v13, 0, 1, s14
	;; [unrolled: 4-line block ×4, first 2 shown]
	s_and_b32 s14, s10, s22
	s_and_b32 s10, s10, s26
	v_cndmask_b32_e64 v25, 0, 1, s14
	s_and_b32 s14, s11, s23
	v_cndmask_b32_e64 v43, 0, 1, s10
	;; [unrolled: 2-line block ×7, first 2 shown]
	v_cndmask_b32_e64 v46, 0, 1, s10
	v_cmp_ne_u32_e64 s10, 0, v4
	v_cmp_ne_u32_e64 s14, 0, v10
	;; [unrolled: 1-line block ×12, first 2 shown]
	s_bcnt1_i32_b32 s10, s10
	s_bcnt1_i32_b32 s14, s14
	;; [unrolled: 1-line block ×4, first 2 shown]
	v_cmp_ne_u32_e64 s13, 0, v9
	v_cmp_ne_u32_e64 s17, 0, v24
	;; [unrolled: 1-line block ×4, first 2 shown]
	s_bcnt1_i32_b32 s11, s11
	s_bcnt1_i32_b32 s15, s15
	s_bcnt1_i32_b32 s19, s19
	s_bcnt1_i32_b32 s23, s23
	s_add_i32 s10, s10, s97
	s_add_i32 s14, s14, s96
	s_add_i32 s18, s18, s95
	s_add_i32 s22, s22, s94
	s_bcnt1_i32_b32 s12, s12
	s_bcnt1_i32_b32 s16, s16
	s_bcnt1_i32_b32 s20, s20
	s_bcnt1_i32_b32 s24, s24
	s_add_i32 s10, s10, s11
	s_add_i32 s11, s14, s15
	s_add_i32 s14, s18, s19
	s_add_i32 s15, s22, s23
	;; [unrolled: 8-line block ×3, first 2 shown]
	s_add_i32 s97, s10, s13
	s_add_i32 s96, s11, s17
	;; [unrolled: 1-line block ×4, first 2 shown]
	v_dual_mov_b32 v7, s97 :: v_dual_add_nc_u32 v2, s75, v2
	v_dual_mov_b32 v8, s96 :: v_dual_mov_b32 v9, s95
	v_mov_b32_e32 v10, s94
	s_or_b32 s92, vcc_lo, s92
	s_delay_alu instid0(SALU_CYCLE_1)
	s_and_not1_b32 exec_lo, exec_lo, s92
	s_cbranch_execnz .LBB49_53
; %bb.54:                               ;   in Loop: Header=BB49_6 Depth=1
	s_or_b32 exec_lo, exec_lo, s92
.LBB49_55:                              ;   in Loop: Header=BB49_6 Depth=1
	s_delay_alu instid0(SALU_CYCLE_1) | instskip(SKIP_2) | instid1(VALU_DEP_1)
	s_or_b32 exec_lo, exec_lo, s91
	v_add_nc_u32_e32 v2, s90, v0
	s_mov_b32 s15, exec_lo
	v_cmpx_gt_u32_e64 s89, v2
	s_cbranch_execz .LBB49_59
; %bb.56:                               ;   in Loop: Header=BB49_6 Depth=1
	v_lshlrev_b32_e32 v3, 3, v2
	s_and_b32 s17, s83, 0xfe
	s_mov_b32 s16, 0
.LBB49_57:                              ;   Parent Loop BB49_6 Depth=1
                                        ; =>  This Inner Loop Header: Depth=2
	s_waitcnt vmcnt(0)
	ds_load_b64 v[23:24], v3
	v_add_nc_u32_e32 v2, s47, v2
	v_add_nc_u32_e32 v3, s76, v3
	s_delay_alu instid0(VALU_DEP_2) | instskip(SKIP_3) | instid1(VALU_DEP_2)
	v_cmp_le_u32_e32 vcc_lo, s89, v2
	s_waitcnt lgkmcnt(0)
	v_xor_b32_e32 v24, 0x80000000, v24
	v_and_b32_e32 v25, v23, v19
	v_and_b32_e32 v26, v24, v20
	v_lshrrev_b64 v[23:24], s17, v[23:24]
	s_delay_alu instid0(VALU_DEP_2) | instskip(NEXT) | instid1(VALU_DEP_2)
	v_cmp_eq_u64_e64 s10, v[25:26], v[21:22]
	v_and_b32_e32 v13, 3, v23
	s_delay_alu instid0(VALU_DEP_1) | instskip(SKIP_3) | instid1(VALU_DEP_4)
	v_cmp_eq_u64_e64 s11, 0, v[13:14]
	v_cmp_eq_u64_e64 s12, 1, v[13:14]
	v_cmp_eq_u64_e64 s13, 2, v[13:14]
	v_cmp_eq_u64_e64 s14, 3, v[13:14]
	s_and_b32 s11, s10, s11
	s_delay_alu instid0(SALU_CYCLE_1) | instskip(NEXT) | instid1(VALU_DEP_4)
	v_cndmask_b32_e64 v4, 0, 1, s11
	s_and_b32 s11, s10, s12
	s_delay_alu instid0(SALU_CYCLE_1)
	v_cndmask_b32_e64 v13, 0, 1, s11
	s_and_b32 s11, s10, s13
	s_and_b32 s10, s10, s14
	v_cndmask_b32_e64 v23, 0, 1, s11
	v_cndmask_b32_e64 v24, 0, 1, s10
	v_cmp_ne_u32_e64 s10, 0, v4
	v_cmp_ne_u32_e64 s11, 0, v13
	s_delay_alu instid0(VALU_DEP_4) | instskip(NEXT) | instid1(VALU_DEP_4)
	v_cmp_ne_u32_e64 s12, 0, v23
	v_cmp_ne_u32_e64 s13, 0, v24
	s_delay_alu instid0(VALU_DEP_4) | instskip(NEXT) | instid1(VALU_DEP_3)
	s_bcnt1_i32_b32 s10, s10
	s_bcnt1_i32_b32 s11, s11
	v_add_nc_u32_e32 v7, s10, v7
	s_bcnt1_i32_b32 s12, s12
	s_bcnt1_i32_b32 s13, s13
	v_add_nc_u32_e32 v8, s11, v8
	v_add_nc_u32_e32 v9, s12, v9
	;; [unrolled: 1-line block ×3, first 2 shown]
	s_or_b32 s16, vcc_lo, s16
	s_delay_alu instid0(SALU_CYCLE_1)
	s_and_not1_b32 exec_lo, exec_lo, s16
	s_cbranch_execnz .LBB49_57
; %bb.58:                               ;   in Loop: Header=BB49_6 Depth=1
	s_or_b32 exec_lo, exec_lo, s16
.LBB49_59:                              ;   in Loop: Header=BB49_6 Depth=1
	s_delay_alu instid0(SALU_CYCLE_1)
	s_or_b32 exec_lo, exec_lo, s15
.LBB49_60:                              ;   in Loop: Header=BB49_6 Depth=1
	s_lshl_b32 s10, s78, 7
	s_and_saveexec_b32 s11, s2
	s_cbranch_execz .LBB49_62
; %bb.61:                               ;   in Loop: Header=BB49_6 Depth=1
	v_or_b32_e32 v2, s10, v30
	s_delay_alu instid0(VALU_DEP_1)
	v_lshlrev_b32_e32 v2, 2, v2
	ds_store_b128 v2, v[7:10] offset:3072
.LBB49_62:                              ;   in Loop: Header=BB49_6 Depth=1
	s_or_b32 exec_lo, exec_lo, s11
	s_waitcnt vmcnt(0) lgkmcnt(0)
	s_barrier
	buffer_gl0_inv
	s_and_saveexec_b32 s11, s62
	s_cbranch_execz .LBB49_72
; %bb.63:                               ;   in Loop: Header=BB49_6 Depth=1
	v_mov_b32_e32 v2, 0
	s_and_not1_b32 vcc_lo, exec_lo, s64
	s_cbranch_vccnz .LBB49_71
; %bb.64:                               ;   in Loop: Header=BB49_6 Depth=1
	v_mov_b32_e32 v2, 0
	s_and_not1_b32 vcc_lo, exec_lo, s67
	s_mov_b32 s12, 0
	s_cbranch_vccnz .LBB49_68
; %bb.65:                               ;   in Loop: Header=BB49_6 Depth=1
	v_lshl_add_u32 v3, s78, 9, v39
	v_mov_b32_e32 v2, 0
	.p2align	6
.LBB49_66:                              ;   Parent Loop BB49_6 Depth=1
                                        ; =>  This Inner Loop Header: Depth=2
	ds_load_2addr_b32 v[7:8], v3 offset1:4
	ds_load_2addr_b32 v[9:10], v3 offset0:8 offset1:12
	ds_load_2addr_b32 v[23:24], v3 offset0:16 offset1:20
	;; [unrolled: 1-line block ×3, first 2 shown]
	v_add_nc_u32_e32 v3, 0x80, v3
	s_add_i32 s12, s12, 8
	s_delay_alu instid0(SALU_CYCLE_1) | instskip(SKIP_3) | instid1(VALU_DEP_1)
	s_cmp_eq_u32 s68, s12
	s_waitcnt lgkmcnt(3)
	v_add3_u32 v2, v7, v2, v8
	s_waitcnt lgkmcnt(2)
	v_add3_u32 v2, v9, v2, v10
	s_waitcnt lgkmcnt(1)
	s_delay_alu instid0(VALU_DEP_1) | instskip(SKIP_1) | instid1(VALU_DEP_1)
	v_add3_u32 v2, v23, v2, v24
	s_waitcnt lgkmcnt(0)
	v_add3_u32 v2, v25, v2, v26
	s_cbranch_scc0 .LBB49_66
; %bb.67:                               ;   in Loop: Header=BB49_6 Depth=1
	s_mov_b32 s12, s68
.LBB49_68:                              ;   in Loop: Header=BB49_6 Depth=1
	s_and_not1_b32 vcc_lo, exec_lo, s69
	s_cbranch_vccnz .LBB49_71
; %bb.69:                               ;   in Loop: Header=BB49_6 Depth=1
	s_lshl_b32 s13, s78, 9
	s_lshl_b32 s12, s12, 4
	s_delay_alu instid0(SALU_CYCLE_1)
	v_add3_u32 v3, s13, s12, v39
	s_mov_b32 s12, s66
.LBB49_70:                              ;   Parent Loop BB49_6 Depth=1
                                        ; =>  This Inner Loop Header: Depth=2
	ds_load_b32 v4, v3
	v_add_nc_u32_e32 v3, 16, v3
	s_add_i32 s12, s12, -1
	s_delay_alu instid0(SALU_CYCLE_1)
	s_cmp_lg_u32 s12, 0
	s_waitcnt lgkmcnt(0)
	v_add_nc_u32_e32 v2, v4, v2
	s_cbranch_scc1 .LBB49_70
.LBB49_71:                              ;   in Loop: Header=BB49_6 Depth=1
	v_add_lshl_u32 v3, s10, v28, 2
	ds_store_b32 v3, v2 offset:3072
.LBB49_72:                              ;   in Loop: Header=BB49_6 Depth=1
	s_or_b32 exec_lo, exec_lo, s11
	s_lshl_b32 s10, s10, 2
	s_waitcnt lgkmcnt(0)
	v_mov_b32_e32 v2, s10
	s_barrier
	buffer_gl0_inv
	s_and_b32 s19, s83, 0xfe
	v_cmp_eq_u32_e64 s10, 1, v40
	ds_load_b128 v[7:10], v2 offset:3072
	s_lshl_b64 s[12:13], 3, s19
	s_mov_b32 s22, 0
	s_and_not1_b32 vcc_lo, exec_lo, s54
	s_not_b64 s[14:15], s[12:13]
	s_waitcnt lgkmcnt(0)
	v_readfirstlane_b32 s16, v7
	v_readfirstlane_b32 s18, v8
	;; [unrolled: 1-line block ×4, first 2 shown]
	s_cbranch_vccnz .LBB49_85
; %bb.73:                               ;   in Loop: Header=BB49_6 Depth=1
	s_cmp_eq_u32 s16, 1
	v_dual_mov_b32 v24, v22 :: v_dual_mov_b32 v23, v21
	v_dual_mov_b32 v26, v20 :: v_dual_mov_b32 v25, v19
	;; [unrolled: 1-line block ×3, first 2 shown]
	s_cselect_b32 s11, -1, 0
	s_mov_b32 s28, -1
	s_and_b32 s27, s11, s10
                                        ; implicit-def: $sgpr17
                                        ; implicit-def: $sgpr24
                                        ; implicit-def: $sgpr23
	s_delay_alu instid0(SALU_CYCLE_1)
	s_and_saveexec_b32 s22, s27
	s_cbranch_execz .LBB49_104
; %bb.74:                               ;   in Loop: Header=BB49_6 Depth=1
	ds_load_b32 v2, v14 offset:4096
	s_waitcnt lgkmcnt(0)
	s_barrier
	buffer_gl0_inv
	v_readfirstlane_b32 s11, v2
	s_and_saveexec_b32 s17, s6
	s_cbranch_execz .LBB49_76
; %bb.75:                               ;   in Loop: Header=BB49_6 Depth=1
	v_mov_b32_e32 v13, v14
	ds_store_b64 v33, v[13:14]
.LBB49_76:                              ;   in Loop: Header=BB49_6 Depth=1
	s_or_b32 exec_lo, exec_lo, s17
	v_and_b32_e32 v24, s15, v22
	v_and_b32_e32 v23, s14, v21
	v_or_b32_e32 v26, s13, v20
	v_or_b32_e32 v25, s12, v19
	s_cmp_eq_u32 s11, 0
	s_waitcnt lgkmcnt(0)
	s_barrier
	buffer_gl0_inv
	s_cbranch_scc1 .LBB49_90
; %bb.77:                               ;   in Loop: Header=BB49_6 Depth=1
	s_add_i32 s17, s11, s65
	s_mov_b32 s25, 0
	s_mul_hi_u32 s23, s17, s72
                                        ; implicit-def: $vgpr9_vgpr10
	s_delay_alu instid0(SALU_CYCLE_1) | instskip(NEXT) | instid1(SALU_CYCLE_1)
	s_mul_i32 s23, s23, s47
	s_sub_i32 s23, s17, s23
	s_delay_alu instid0(SALU_CYCLE_1) | instskip(SKIP_2) | instid1(SALU_CYCLE_1)
	s_sub_i32 s24, s23, s47
	s_cmp_ge_u32 s23, s47
	s_cselect_b32 s23, s24, s23
	s_sub_i32 s24, s23, s47
	s_cmp_ge_u32 s23, s47
	s_cselect_b32 s23, s24, s23
	s_delay_alu instid0(SALU_CYCLE_1)
	s_sub_i32 s23, s17, s23
	s_mov_b32 s17, exec_lo
	v_cmpx_gt_u32_e64 s23, v0
	s_cbranch_execz .LBB49_92
; %bb.78:                               ;   in Loop: Header=BB49_6 Depth=1
	v_mov_b32_e32 v13, v32
	v_mov_b32_e32 v41, v0
                                        ; implicit-def: $sgpr24
	s_set_inst_prefetch_distance 0x1
	s_branch .LBB49_80
	.p2align	6
.LBB49_79:                              ;   in Loop: Header=BB49_80 Depth=2
	s_or_b32 exec_lo, exec_lo, s26
	s_waitcnt lgkmcnt(0)
	s_barrier
	buffer_gl0_inv
	ds_load_b128 v[7:10], v14 offset:3072
	v_add_nc_u32_e32 v41, s47, v41
	v_add_nc_u32_e32 v13, s76, v13
	s_waitcnt lgkmcnt(0)
	s_barrier
	buffer_gl0_inv
	v_cmp_le_u32_e32 vcc_lo, s23, v41
	v_readfirstlane_b32 s29, v8
	v_readfirstlane_b32 s28, v7
	s_delay_alu instid0(VALU_DEP_1) | instskip(SKIP_1) | instid1(SALU_CYCLE_1)
	s_cmp_lg_u64 s[28:29], 0
	s_cselect_b32 s26, -1, 0
	s_or_b32 s28, vcc_lo, s26
	s_delay_alu instid0(SALU_CYCLE_1) | instskip(NEXT) | instid1(SALU_CYCLE_1)
	s_and_b32 s28, exec_lo, s28
	s_or_b32 s25, s28, s25
	s_and_not1_b32 s24, s24, exec_lo
	s_and_b32 s26, s26, exec_lo
	s_delay_alu instid0(SALU_CYCLE_1)
	s_or_b32 s24, s24, s26
	s_and_not1_b32 exec_lo, exec_lo, s25
	s_cbranch_execz .LBB49_91
.LBB49_80:                              ;   Parent Loop BB49_6 Depth=1
                                        ; =>  This Inner Loop Header: Depth=2
	v_mov_b32_e32 v3, 0
	v_mov_b32_e32 v4, 0
	v_cmp_gt_u32_e32 vcc_lo, s11, v41
	s_and_saveexec_b32 s26, vcc_lo
	s_cbranch_execz .LBB49_82
; %bb.81:                               ;   in Loop: Header=BB49_80 Depth=2
	ds_load_b64 v[3:4], v13
.LBB49_82:                              ;   in Loop: Header=BB49_80 Depth=2
	s_or_b32 exec_lo, exec_lo, s26
	s_and_saveexec_b32 s26, vcc_lo
	s_cbranch_execz .LBB49_79
; %bb.83:                               ;   in Loop: Header=BB49_80 Depth=2
	s_waitcnt lgkmcnt(0)
	v_xor_b32_e32 v2, 0x80000000, v4
	v_and_b32_e32 v7, v3, v25
	s_delay_alu instid0(VALU_DEP_2) | instskip(NEXT) | instid1(VALU_DEP_1)
	v_and_b32_e32 v8, v2, v26
	v_cmp_eq_u64_e32 vcc_lo, v[7:8], v[23:24]
	s_and_b32 exec_lo, exec_lo, vcc_lo
	s_cbranch_execz .LBB49_79
; %bb.84:                               ;   in Loop: Header=BB49_80 Depth=2
	v_mov_b32_e32 v2, v14
	ds_store_b128 v14, v[1:4] offset:3072
	s_branch .LBB49_79
.LBB49_85:                              ;   in Loop: Header=BB49_6 Depth=1
	s_mov_b32 s11, 0
                                        ; implicit-def: $sgpr23
                                        ; implicit-def: $sgpr24
                                        ; implicit-def: $sgpr17
                                        ; implicit-def: $vgpr2
                                        ; implicit-def: $vgpr41
                                        ; implicit-def: $vgpr23_vgpr24
                                        ; implicit-def: $vgpr25_vgpr26
                                        ; implicit-def: $vgpr9_vgpr10
	s_cbranch_execnz .LBB49_240
.LBB49_86:                              ;   in Loop: Header=BB49_6 Depth=1
	s_mov_b32 s25, s17
	s_mov_b32 s26, s17
	s_and_saveexec_b32 s10, s22
	s_cbranch_execnz .LBB49_402
	s_branch .LBB49_403
.LBB49_87:                              ;   in Loop: Header=BB49_6 Depth=1
	s_or_b32 exec_lo, exec_lo, s12
	s_waitcnt vmcnt(0) lgkmcnt(0)
	s_barrier
	buffer_gl0_inv
	s_and_saveexec_b32 s10, s5
	s_cbranch_execz .LBB49_89
; %bb.88:                               ;   in Loop: Header=BB49_6 Depth=1
	ds_load_b32 v2, v14 offset:4104
	s_waitcnt lgkmcnt(0)
	ds_store_b32 v14, v2 offset:4096
.LBB49_89:                              ;   in Loop: Header=BB49_6 Depth=1
	s_or_b32 exec_lo, exec_lo, s10
	s_waitcnt lgkmcnt(0)
	s_mov_b32 s10, -1
	s_barrier
	s_and_b32 vcc_lo, exec_lo, s89
	s_cbranch_vccnz .LBB49_24
	s_branch .LBB49_34
.LBB49_90:                              ;   in Loop: Header=BB49_6 Depth=1
	s_mov_b32 s17, -1
	s_mov_b32 s25, 0
                                        ; implicit-def: $sgpr23
                                        ; implicit-def: $vgpr9_vgpr10
	s_mov_b32 s24, s17
	s_cbranch_execnz .LBB49_93
	s_branch .LBB49_103
.LBB49_91:                              ;   in Loop: Header=BB49_6 Depth=1
	s_set_inst_prefetch_distance 0x2
	s_or_b32 exec_lo, exec_lo, s25
	s_delay_alu instid0(SALU_CYCLE_1)
	s_and_b32 s25, s24, exec_lo
.LBB49_92:                              ;   in Loop: Header=BB49_6 Depth=1
	s_or_b32 exec_lo, exec_lo, s17
	s_mov_b32 s23, -1
	s_mov_b32 s17, 0
	s_delay_alu instid0(SALU_CYCLE_1)
	s_mov_b32 s24, s17
	s_branch .LBB49_103
.LBB49_93:                              ;   in Loop: Header=BB49_6 Depth=1
	s_mov_b32 s25, 0
                                        ; implicit-def: $vgpr9_vgpr10
	s_and_saveexec_b32 s17, s9
	s_cbranch_execz .LBB49_102
; %bb.94:                               ;   in Loop: Header=BB49_6 Depth=1
	v_mov_b32_e32 v13, v15
	v_mov_b32_e32 v41, v0
	s_mov_b32 s24, 0
                                        ; implicit-def: $sgpr23
	s_set_inst_prefetch_distance 0x1
	s_branch .LBB49_96
	.p2align	6
.LBB49_95:                              ;   in Loop: Header=BB49_96 Depth=2
	s_or_b32 exec_lo, exec_lo, s11
	s_waitcnt vmcnt(0) lgkmcnt(0)
	s_barrier
	buffer_gl0_inv
	ds_load_b128 v[7:10], v14 offset:3072
	v_add_nc_u32_e32 v41, s47, v41
	v_add_nc_u32_e32 v13, s53, v13
	s_waitcnt lgkmcnt(0)
	s_barrier
	buffer_gl0_inv
	v_cmp_le_u32_e32 vcc_lo, s73, v41
	v_readfirstlane_b32 s29, v8
	v_readfirstlane_b32 s28, v7
	s_delay_alu instid0(VALU_DEP_1) | instskip(SKIP_1) | instid1(SALU_CYCLE_1)
	s_cmp_lg_u64 s[28:29], 0
	s_cselect_b32 s11, -1, 0
	s_or_b32 s25, vcc_lo, s11
	s_delay_alu instid0(SALU_CYCLE_1) | instskip(NEXT) | instid1(SALU_CYCLE_1)
	s_and_b32 s25, exec_lo, s25
	s_or_b32 s24, s25, s24
	s_and_not1_b32 s23, s23, exec_lo
	s_and_b32 s11, s11, exec_lo
	s_delay_alu instid0(SALU_CYCLE_1)
	s_or_b32 s23, s23, s11
	s_and_not1_b32 exec_lo, exec_lo, s24
	s_cbranch_execz .LBB49_101
.LBB49_96:                              ;   Parent Loop BB49_6 Depth=1
                                        ; =>  This Inner Loop Header: Depth=2
	v_mov_b32_e32 v3, 0
	v_mov_b32_e32 v4, 0
	v_cmp_gt_u32_e32 vcc_lo, s36, v41
	s_and_saveexec_b32 s25, vcc_lo
	s_cbranch_execz .LBB49_98
; %bb.97:                               ;   in Loop: Header=BB49_96 Depth=2
	v_lshlrev_b64 v[2:3], 3, v[13:14]
	s_delay_alu instid0(VALU_DEP_1) | instskip(NEXT) | instid1(VALU_DEP_1)
	v_add_co_u32 v2, s11, s33, v2
	v_add_co_ci_u32_e64 v3, s11, s43, v3, s11
	global_load_b64 v[3:4], v[2:3], off
.LBB49_98:                              ;   in Loop: Header=BB49_96 Depth=2
	s_or_b32 exec_lo, exec_lo, s25
	s_and_saveexec_b32 s11, vcc_lo
	s_cbranch_execz .LBB49_95
; %bb.99:                               ;   in Loop: Header=BB49_96 Depth=2
	s_waitcnt vmcnt(0)
	v_xor_b32_e32 v2, 0x80000000, v4
	v_and_b32_e32 v7, v3, v25
	s_delay_alu instid0(VALU_DEP_2) | instskip(NEXT) | instid1(VALU_DEP_1)
	v_and_b32_e32 v8, v2, v26
	v_cmp_eq_u64_e32 vcc_lo, v[7:8], v[23:24]
	s_and_b32 exec_lo, exec_lo, vcc_lo
	s_cbranch_execz .LBB49_95
; %bb.100:                              ;   in Loop: Header=BB49_96 Depth=2
	v_mov_b32_e32 v2, v14
	ds_store_b128 v14, v[1:4] offset:3072
	s_branch .LBB49_95
.LBB49_101:                             ;   in Loop: Header=BB49_6 Depth=1
	s_set_inst_prefetch_distance 0x2
	s_or_b32 exec_lo, exec_lo, s24
	s_delay_alu instid0(SALU_CYCLE_1)
	s_and_b32 s25, s23, exec_lo
.LBB49_102:                             ;   in Loop: Header=BB49_6 Depth=1
	s_or_b32 exec_lo, exec_lo, s17
	s_mov_b32 s24, -1
	s_mov_b32 s17, 0
	s_mov_b32 s23, 0
.LBB49_103:                             ;   in Loop: Header=BB49_6 Depth=1
	s_or_not1_b32 s28, s25, exec_lo
.LBB49_104:                             ;   in Loop: Header=BB49_6 Depth=1
	s_or_b32 exec_lo, exec_lo, s22
	s_mov_b32 s25, 0
	s_mov_b32 s22, 0
	;; [unrolled: 1-line block ×3, first 2 shown]
                                        ; implicit-def: $vgpr2
                                        ; implicit-def: $vgpr41
	s_and_saveexec_b32 s26, s28
	s_cbranch_execz .LBB49_239
; %bb.105:                              ;   in Loop: Header=BB49_6 Depth=1
	v_dual_mov_b32 v41, 1 :: v_dual_mov_b32 v2, 1
	s_xor_b32 s27, s27, -1
	s_delay_alu instid0(SALU_CYCLE_1)
	s_and_saveexec_b32 s11, s27
	s_cbranch_execz .LBB49_115
; %bb.106:                              ;   in Loop: Header=BB49_6 Depth=1
	s_mov_b32 s27, exec_lo
                                        ; implicit-def: $sgpr28
                                        ; implicit-def: $sgpr22
	v_cmpx_ge_u32_e64 s16, v40
	s_xor_b32 s27, exec_lo, s27
	s_cbranch_execz .LBB49_112
; %bb.107:                              ;   in Loop: Header=BB49_6 Depth=1
	ds_load_b32 v2, v14 offset:4096
	s_waitcnt lgkmcnt(0)
	v_cmp_ne_u32_e32 vcc_lo, 0, v2
	s_cbranch_vccnz .LBB49_111
; %bb.108:                              ;   in Loop: Header=BB49_6 Depth=1
	s_and_saveexec_b32 s22, s5
	s_cbranch_execz .LBB49_110
; %bb.109:                              ;   in Loop: Header=BB49_6 Depth=1
	v_mov_b32_e32 v2, s16
	ds_store_b32 v14, v2 offset:4100
.LBB49_110:                             ;   in Loop: Header=BB49_6 Depth=1
	s_or_b32 exec_lo, exec_lo, s22
	s_waitcnt lgkmcnt(0)
	s_barrier
	buffer_gl0_inv
.LBB49_111:                             ;   in Loop: Header=BB49_6 Depth=1
	v_and_b32_e32 v24, s15, v24
	v_and_b32_e32 v23, s14, v23
	v_or_b32_e32 v26, s13, v26
	v_or_b32_e32 v25, s12, v25
	s_mov_b32 s22, 0
	s_mov_b32 s28, 8
.LBB49_112:                             ;   in Loop: Header=BB49_6 Depth=1
	s_or_saveexec_b32 s27, s27
	v_dual_mov_b32 v2, s28 :: v_dual_mov_b32 v41, v40
	s_xor_b32 exec_lo, exec_lo, s27
; %bb.113:                              ;   in Loop: Header=BB49_6 Depth=1
	v_subrev_nc_u32_e32 v41, s16, v40
	v_mov_b32_e32 v2, 0
	s_or_b32 s22, s22, exec_lo
; %bb.114:                              ;   in Loop: Header=BB49_6 Depth=1
	s_or_b32 exec_lo, exec_lo, s27
	s_delay_alu instid0(SALU_CYCLE_1)
	s_and_b32 s22, s22, exec_lo
.LBB49_115:                             ;   in Loop: Header=BB49_6 Depth=1
	s_or_b32 exec_lo, exec_lo, s11
	s_mov_b32 s11, -1
                                        ; implicit-def: $sgpr27
                                        ; implicit-def: $sgpr29
                                        ; implicit-def: $sgpr89
	s_and_saveexec_b32 s28, s22
	s_delay_alu instid0(SALU_CYCLE_1)
	s_xor_b32 s22, exec_lo, s28
	s_cbranch_execz .LBB49_236
; %bb.116:                              ;   in Loop: Header=BB49_6 Depth=1
	v_cmp_eq_u32_e32 vcc_lo, 1, v41
	s_cmp_eq_u32 s18, 1
                                        ; implicit-def: $sgpr27
                                        ; implicit-def: $sgpr29
                                        ; implicit-def: $sgpr28
	s_cselect_b32 s11, -1, 0
	s_delay_alu instid0(SALU_CYCLE_1)
	s_and_b32 s90, s11, vcc_lo
	s_mov_b32 s11, -1
	s_and_saveexec_b32 s89, s90
	s_cbranch_execz .LBB49_142
; %bb.117:                              ;   in Loop: Header=BB49_6 Depth=1
	ds_load_b32 v2, v14 offset:4096
	s_waitcnt lgkmcnt(0)
	s_barrier
	buffer_gl0_inv
	v_readfirstlane_b32 s11, v2
	s_and_saveexec_b32 s27, s6
	s_cbranch_execz .LBB49_119
; %bb.118:                              ;   in Loop: Header=BB49_6 Depth=1
	v_mov_b32_e32 v13, v14
	ds_store_b64 v33, v[13:14]
.LBB49_119:                             ;   in Loop: Header=BB49_6 Depth=1
	s_or_b32 exec_lo, exec_lo, s27
	v_and_b32_e32 v2, s15, v24
	v_and_b32_e32 v3, s14, v23
	s_lshl_b64 s[28:29], 1, s19
	v_or_b32_e32 v26, s13, v26
	v_or_b32_e32 v25, s12, v25
	;; [unrolled: 1-line block ×4, first 2 shown]
	s_cmp_eq_u32 s11, 0
	s_waitcnt lgkmcnt(0)
	s_barrier
	buffer_gl0_inv
	s_cbranch_scc1 .LBB49_128
; %bb.120:                              ;   in Loop: Header=BB49_6 Depth=1
	s_add_i32 s27, s11, s65
	s_mov_b32 s91, 0
	s_mul_hi_u32 s28, s27, s72
                                        ; implicit-def: $vgpr9_vgpr10
	s_delay_alu instid0(SALU_CYCLE_1) | instskip(NEXT) | instid1(SALU_CYCLE_1)
	s_mul_i32 s28, s28, s47
	s_sub_i32 s28, s27, s28
	s_delay_alu instid0(SALU_CYCLE_1) | instskip(SKIP_2) | instid1(SALU_CYCLE_1)
	s_sub_i32 s29, s28, s47
	s_cmp_ge_u32 s28, s47
	s_cselect_b32 s28, s29, s28
	s_sub_i32 s29, s28, s47
	s_cmp_ge_u32 s28, s47
	s_cselect_b32 s28, s29, s28
	s_delay_alu instid0(SALU_CYCLE_1)
	s_sub_i32 s28, s27, s28
	s_mov_b32 s27, exec_lo
	v_cmpx_gt_u32_e64 s28, v0
	s_cbranch_execz .LBB49_130
; %bb.121:                              ;   in Loop: Header=BB49_6 Depth=1
	v_mov_b32_e32 v13, v32
	v_mov_b32_e32 v42, v0
                                        ; implicit-def: $sgpr29
	s_set_inst_prefetch_distance 0x1
	s_branch .LBB49_123
	.p2align	6
.LBB49_122:                             ;   in Loop: Header=BB49_123 Depth=2
	s_or_b32 exec_lo, exec_lo, s92
	s_waitcnt lgkmcnt(0)
	s_barrier
	buffer_gl0_inv
	ds_load_b128 v[7:10], v14 offset:3072
	v_add_nc_u32_e32 v42, s47, v42
	v_add_nc_u32_e32 v13, s76, v13
	s_waitcnt lgkmcnt(0)
	s_barrier
	buffer_gl0_inv
	v_cmp_le_u32_e32 vcc_lo, s28, v42
	v_readfirstlane_b32 s93, v8
	v_readfirstlane_b32 s92, v7
	s_delay_alu instid0(VALU_DEP_1) | instskip(SKIP_1) | instid1(SALU_CYCLE_1)
	s_cmp_lg_u64 s[92:93], 0
	s_cselect_b32 s92, -1, 0
	s_or_b32 s93, vcc_lo, s92
	s_delay_alu instid0(SALU_CYCLE_1) | instskip(NEXT) | instid1(SALU_CYCLE_1)
	s_and_b32 s93, exec_lo, s93
	s_or_b32 s91, s93, s91
	s_and_not1_b32 s29, s29, exec_lo
	s_and_b32 s92, s92, exec_lo
	s_delay_alu instid0(SALU_CYCLE_1)
	s_or_b32 s29, s29, s92
	s_and_not1_b32 exec_lo, exec_lo, s91
	s_cbranch_execz .LBB49_129
.LBB49_123:                             ;   Parent Loop BB49_6 Depth=1
                                        ; =>  This Inner Loop Header: Depth=2
	v_mov_b32_e32 v3, 0
	v_mov_b32_e32 v4, 0
	v_cmp_gt_u32_e32 vcc_lo, s11, v42
	s_and_saveexec_b32 s92, vcc_lo
	s_cbranch_execz .LBB49_125
; %bb.124:                              ;   in Loop: Header=BB49_123 Depth=2
	ds_load_b64 v[3:4], v13
.LBB49_125:                             ;   in Loop: Header=BB49_123 Depth=2
	s_or_b32 exec_lo, exec_lo, s92
	s_and_saveexec_b32 s92, vcc_lo
	s_cbranch_execz .LBB49_122
; %bb.126:                              ;   in Loop: Header=BB49_123 Depth=2
	s_waitcnt lgkmcnt(0)
	v_xor_b32_e32 v2, 0x80000000, v4
	v_and_b32_e32 v7, v3, v25
	s_delay_alu instid0(VALU_DEP_2) | instskip(NEXT) | instid1(VALU_DEP_1)
	v_and_b32_e32 v8, v2, v26
	v_cmp_eq_u64_e32 vcc_lo, v[7:8], v[23:24]
	s_and_b32 exec_lo, exec_lo, vcc_lo
	s_cbranch_execz .LBB49_122
; %bb.127:                              ;   in Loop: Header=BB49_123 Depth=2
	v_mov_b32_e32 v2, v14
	ds_store_b128 v14, v[1:4] offset:3072
	s_branch .LBB49_122
.LBB49_128:                             ;   in Loop: Header=BB49_6 Depth=1
	s_mov_b32 s27, -1
	s_mov_b32 s91, 0
                                        ; implicit-def: $sgpr28
                                        ; implicit-def: $vgpr9_vgpr10
	s_mov_b32 s29, s27
	s_cbranch_execnz .LBB49_131
	s_branch .LBB49_141
.LBB49_129:                             ;   in Loop: Header=BB49_6 Depth=1
	s_set_inst_prefetch_distance 0x2
	s_or_b32 exec_lo, exec_lo, s91
	s_delay_alu instid0(SALU_CYCLE_1)
	s_and_b32 s91, s29, exec_lo
.LBB49_130:                             ;   in Loop: Header=BB49_6 Depth=1
	s_or_b32 exec_lo, exec_lo, s27
	s_mov_b32 s28, -1
	s_mov_b32 s27, 0
	s_delay_alu instid0(SALU_CYCLE_1)
	s_mov_b32 s29, s27
	s_branch .LBB49_141
.LBB49_131:                             ;   in Loop: Header=BB49_6 Depth=1
	s_mov_b32 s91, 0
                                        ; implicit-def: $vgpr9_vgpr10
	s_and_saveexec_b32 s27, s9
	s_cbranch_execz .LBB49_140
; %bb.132:                              ;   in Loop: Header=BB49_6 Depth=1
	v_dual_mov_b32 v13, v15 :: v_dual_mov_b32 v42, v0
	s_mov_b32 s29, 0
                                        ; implicit-def: $sgpr28
	s_set_inst_prefetch_distance 0x1
	s_branch .LBB49_134
	.p2align	6
.LBB49_133:                             ;   in Loop: Header=BB49_134 Depth=2
	s_or_b32 exec_lo, exec_lo, s11
	s_waitcnt vmcnt(0) lgkmcnt(0)
	s_barrier
	buffer_gl0_inv
	ds_load_b128 v[7:10], v14 offset:3072
	v_add_nc_u32_e32 v42, s47, v42
	v_add_nc_u32_e32 v13, s53, v13
	s_waitcnt lgkmcnt(0)
	s_barrier
	buffer_gl0_inv
	v_cmp_le_u32_e32 vcc_lo, s73, v42
	v_readfirstlane_b32 s93, v8
	v_readfirstlane_b32 s92, v7
	s_delay_alu instid0(VALU_DEP_1) | instskip(SKIP_1) | instid1(SALU_CYCLE_1)
	s_cmp_lg_u64 s[92:93], 0
	s_cselect_b32 s11, -1, 0
	s_or_b32 s91, vcc_lo, s11
	s_delay_alu instid0(SALU_CYCLE_1) | instskip(NEXT) | instid1(SALU_CYCLE_1)
	s_and_b32 s91, exec_lo, s91
	s_or_b32 s29, s91, s29
	s_and_not1_b32 s28, s28, exec_lo
	s_and_b32 s11, s11, exec_lo
	s_delay_alu instid0(SALU_CYCLE_1)
	s_or_b32 s28, s28, s11
	s_and_not1_b32 exec_lo, exec_lo, s29
	s_cbranch_execz .LBB49_139
.LBB49_134:                             ;   Parent Loop BB49_6 Depth=1
                                        ; =>  This Inner Loop Header: Depth=2
	v_mov_b32_e32 v3, 0
	v_mov_b32_e32 v4, 0
	v_cmp_gt_u32_e32 vcc_lo, s36, v42
	s_and_saveexec_b32 s91, vcc_lo
	s_cbranch_execz .LBB49_136
; %bb.135:                              ;   in Loop: Header=BB49_134 Depth=2
	v_lshlrev_b64 v[2:3], 3, v[13:14]
	s_delay_alu instid0(VALU_DEP_1) | instskip(NEXT) | instid1(VALU_DEP_1)
	v_add_co_u32 v2, s11, s33, v2
	v_add_co_ci_u32_e64 v3, s11, s43, v3, s11
	global_load_b64 v[3:4], v[2:3], off
.LBB49_136:                             ;   in Loop: Header=BB49_134 Depth=2
	s_or_b32 exec_lo, exec_lo, s91
	s_and_saveexec_b32 s11, vcc_lo
	s_cbranch_execz .LBB49_133
; %bb.137:                              ;   in Loop: Header=BB49_134 Depth=2
	s_waitcnt vmcnt(0)
	v_xor_b32_e32 v2, 0x80000000, v4
	v_and_b32_e32 v7, v3, v25
	s_delay_alu instid0(VALU_DEP_2) | instskip(NEXT) | instid1(VALU_DEP_1)
	v_and_b32_e32 v8, v2, v26
	v_cmp_eq_u64_e32 vcc_lo, v[7:8], v[23:24]
	s_and_b32 exec_lo, exec_lo, vcc_lo
	s_cbranch_execz .LBB49_133
; %bb.138:                              ;   in Loop: Header=BB49_134 Depth=2
	v_mov_b32_e32 v2, v14
	ds_store_b128 v14, v[1:4] offset:3072
	s_branch .LBB49_133
.LBB49_139:                             ;   in Loop: Header=BB49_6 Depth=1
	s_set_inst_prefetch_distance 0x2
	s_or_b32 exec_lo, exec_lo, s29
	s_delay_alu instid0(SALU_CYCLE_1)
	s_and_b32 s91, s28, exec_lo
.LBB49_140:                             ;   in Loop: Header=BB49_6 Depth=1
	s_or_b32 exec_lo, exec_lo, s27
	s_mov_b32 s29, -1
	s_mov_b32 s27, 0
	s_mov_b32 s28, 0
.LBB49_141:                             ;   in Loop: Header=BB49_6 Depth=1
	s_or_not1_b32 s11, s91, exec_lo
.LBB49_142:                             ;   in Loop: Header=BB49_6 Depth=1
	s_or_b32 exec_lo, exec_lo, s89
	s_mov_b32 s91, 0
                                        ; implicit-def: $vgpr2
	s_and_saveexec_b32 s89, s11
	s_cbranch_execz .LBB49_235
; %bb.143:                              ;   in Loop: Header=BB49_6 Depth=1
	v_mov_b32_e32 v42, 1
	v_mov_b32_e32 v2, 1
	s_xor_b32 s90, s90, -1
	s_mov_b32 s92, 0
	s_and_saveexec_b32 s11, s90
	s_cbranch_execz .LBB49_153
; %bb.144:                              ;   in Loop: Header=BB49_6 Depth=1
	s_mov_b32 s91, exec_lo
                                        ; implicit-def: $sgpr92
                                        ; implicit-def: $sgpr90
	v_cmpx_ge_u32_e64 s18, v41
	s_xor_b32 s91, exec_lo, s91
	s_cbranch_execz .LBB49_150
; %bb.145:                              ;   in Loop: Header=BB49_6 Depth=1
	ds_load_b32 v2, v14 offset:4096
	s_waitcnt lgkmcnt(0)
	v_cmp_ne_u32_e32 vcc_lo, 0, v2
	s_cbranch_vccnz .LBB49_149
; %bb.146:                              ;   in Loop: Header=BB49_6 Depth=1
	s_and_saveexec_b32 s90, s5
	s_cbranch_execz .LBB49_148
; %bb.147:                              ;   in Loop: Header=BB49_6 Depth=1
	v_mov_b32_e32 v2, s18
	ds_store_b32 v14, v2 offset:4100
.LBB49_148:                             ;   in Loop: Header=BB49_6 Depth=1
	s_or_b32 exec_lo, exec_lo, s90
	s_waitcnt lgkmcnt(0)
	s_barrier
	buffer_gl0_inv
.LBB49_149:                             ;   in Loop: Header=BB49_6 Depth=1
	v_and_b32_e32 v2, s15, v24
	v_and_b32_e32 v3, s14, v23
	s_lshl_b64 s[92:93], 1, s19
	v_or_b32_e32 v26, s13, v26
	v_or_b32_e32 v25, s12, v25
	v_or_b32_e32 v24, s93, v2
	v_or_b32_e32 v23, s92, v3
	s_mov_b32 s90, 0
	s_mov_b32 s92, 8
.LBB49_150:                             ;   in Loop: Header=BB49_6 Depth=1
	s_or_saveexec_b32 s91, s91
	v_mov_b32_e32 v2, s92
	s_xor_b32 exec_lo, exec_lo, s91
; %bb.151:                              ;   in Loop: Header=BB49_6 Depth=1
	v_subrev_nc_u32_e32 v41, s18, v41
	v_mov_b32_e32 v2, 0
	s_or_b32 s90, s90, exec_lo
; %bb.152:                              ;   in Loop: Header=BB49_6 Depth=1
	s_or_b32 exec_lo, exec_lo, s91
	s_delay_alu instid0(VALU_DEP_2)
	v_mov_b32_e32 v42, v41
	s_and_b32 s92, s90, exec_lo
.LBB49_153:                             ;   in Loop: Header=BB49_6 Depth=1
	s_or_b32 exec_lo, exec_lo, s11
	s_mov_b32 s11, -1
                                        ; implicit-def: $sgpr91
                                        ; implicit-def: $sgpr93
                                        ; implicit-def: $sgpr94
	s_and_saveexec_b32 s90, s92
	s_cbranch_execz .LBB49_234
; %bb.154:                              ;   in Loop: Header=BB49_6 Depth=1
	v_cmp_eq_u32_e32 vcc_lo, 1, v42
	s_cmp_eq_u32 s20, 1
                                        ; implicit-def: $sgpr91
                                        ; implicit-def: $sgpr93
                                        ; implicit-def: $sgpr92
	s_cselect_b32 s11, -1, 0
	s_delay_alu instid0(SALU_CYCLE_1)
	s_and_b32 s95, s11, vcc_lo
	s_mov_b32 s11, -1
	s_and_saveexec_b32 s94, s95
	s_cbranch_execz .LBB49_180
; %bb.155:                              ;   in Loop: Header=BB49_6 Depth=1
	ds_load_b32 v2, v14 offset:4096
	s_waitcnt lgkmcnt(0)
	s_barrier
	buffer_gl0_inv
	v_readfirstlane_b32 s11, v2
	s_and_saveexec_b32 s91, s6
	s_cbranch_execz .LBB49_157
; %bb.156:                              ;   in Loop: Header=BB49_6 Depth=1
	v_mov_b32_e32 v13, v14
	ds_store_b64 v33, v[13:14]
.LBB49_157:                             ;   in Loop: Header=BB49_6 Depth=1
	s_or_b32 exec_lo, exec_lo, s91
	v_and_b32_e32 v2, s15, v24
	v_and_b32_e32 v3, s14, v23
	s_lshl_b64 s[92:93], 2, s19
	v_or_b32_e32 v26, s13, v26
	v_or_b32_e32 v25, s12, v25
	;; [unrolled: 1-line block ×4, first 2 shown]
	s_cmp_eq_u32 s11, 0
	s_waitcnt lgkmcnt(0)
	s_barrier
	buffer_gl0_inv
	s_cbranch_scc1 .LBB49_166
; %bb.158:                              ;   in Loop: Header=BB49_6 Depth=1
	s_add_i32 s91, s11, s65
	s_mov_b32 s96, 0
	s_mul_hi_u32 s92, s91, s72
                                        ; implicit-def: $vgpr9_vgpr10
	s_delay_alu instid0(SALU_CYCLE_1) | instskip(NEXT) | instid1(SALU_CYCLE_1)
	s_mul_i32 s92, s92, s47
	s_sub_i32 s92, s91, s92
	s_delay_alu instid0(SALU_CYCLE_1) | instskip(SKIP_2) | instid1(SALU_CYCLE_1)
	s_sub_i32 s93, s92, s47
	s_cmp_ge_u32 s92, s47
	s_cselect_b32 s92, s93, s92
	s_sub_i32 s93, s92, s47
	s_cmp_ge_u32 s92, s47
	s_cselect_b32 s92, s93, s92
	s_delay_alu instid0(SALU_CYCLE_1)
	s_sub_i32 s92, s91, s92
	s_mov_b32 s91, exec_lo
	v_cmpx_gt_u32_e64 s92, v0
	s_cbranch_execz .LBB49_168
; %bb.159:                              ;   in Loop: Header=BB49_6 Depth=1
	v_mov_b32_e32 v13, v32
	v_mov_b32_e32 v41, v0
                                        ; implicit-def: $sgpr93
	s_set_inst_prefetch_distance 0x1
	s_branch .LBB49_161
	.p2align	6
.LBB49_160:                             ;   in Loop: Header=BB49_161 Depth=2
	s_or_b32 exec_lo, exec_lo, s97
	s_waitcnt lgkmcnt(0)
	s_barrier
	buffer_gl0_inv
	ds_load_b128 v[7:10], v14 offset:3072
	v_add_nc_u32_e32 v41, s47, v41
	v_add_nc_u32_e32 v13, s76, v13
	s_waitcnt lgkmcnt(0)
	s_barrier
	buffer_gl0_inv
	v_cmp_le_u32_e32 vcc_lo, s92, v41
	v_readfirstlane_b32 s99, v8
	v_readfirstlane_b32 s98, v7
	s_delay_alu instid0(VALU_DEP_1) | instskip(SKIP_1) | instid1(SALU_CYCLE_1)
	s_cmp_lg_u64 s[98:99], 0
	s_cselect_b32 s97, -1, 0
	s_or_b32 s98, vcc_lo, s97
	s_delay_alu instid0(SALU_CYCLE_1) | instskip(NEXT) | instid1(SALU_CYCLE_1)
	s_and_b32 s98, exec_lo, s98
	s_or_b32 s96, s98, s96
	s_and_not1_b32 s93, s93, exec_lo
	s_and_b32 s97, s97, exec_lo
	s_delay_alu instid0(SALU_CYCLE_1)
	s_or_b32 s93, s93, s97
	s_and_not1_b32 exec_lo, exec_lo, s96
	s_cbranch_execz .LBB49_167
.LBB49_161:                             ;   Parent Loop BB49_6 Depth=1
                                        ; =>  This Inner Loop Header: Depth=2
	v_mov_b32_e32 v3, 0
	v_mov_b32_e32 v4, 0
	v_cmp_gt_u32_e32 vcc_lo, s11, v41
	s_and_saveexec_b32 s97, vcc_lo
	s_cbranch_execz .LBB49_163
; %bb.162:                              ;   in Loop: Header=BB49_161 Depth=2
	ds_load_b64 v[3:4], v13
.LBB49_163:                             ;   in Loop: Header=BB49_161 Depth=2
	s_or_b32 exec_lo, exec_lo, s97
	s_and_saveexec_b32 s97, vcc_lo
	s_cbranch_execz .LBB49_160
; %bb.164:                              ;   in Loop: Header=BB49_161 Depth=2
	s_waitcnt lgkmcnt(0)
	v_xor_b32_e32 v2, 0x80000000, v4
	v_and_b32_e32 v7, v3, v25
	s_delay_alu instid0(VALU_DEP_2) | instskip(NEXT) | instid1(VALU_DEP_1)
	v_and_b32_e32 v8, v2, v26
	v_cmp_eq_u64_e32 vcc_lo, v[7:8], v[23:24]
	s_and_b32 exec_lo, exec_lo, vcc_lo
	s_cbranch_execz .LBB49_160
; %bb.165:                              ;   in Loop: Header=BB49_161 Depth=2
	v_mov_b32_e32 v2, v14
	ds_store_b128 v14, v[1:4] offset:3072
	s_branch .LBB49_160
.LBB49_166:                             ;   in Loop: Header=BB49_6 Depth=1
	s_mov_b32 s91, -1
	s_mov_b32 s96, 0
                                        ; implicit-def: $sgpr92
                                        ; implicit-def: $vgpr9_vgpr10
	s_mov_b32 s93, s91
	s_cbranch_execnz .LBB49_169
	s_branch .LBB49_179
.LBB49_167:                             ;   in Loop: Header=BB49_6 Depth=1
	s_set_inst_prefetch_distance 0x2
	s_or_b32 exec_lo, exec_lo, s96
	s_delay_alu instid0(SALU_CYCLE_1)
	s_and_b32 s96, s93, exec_lo
.LBB49_168:                             ;   in Loop: Header=BB49_6 Depth=1
	s_or_b32 exec_lo, exec_lo, s91
	s_mov_b32 s92, -1
	s_mov_b32 s91, 0
	s_delay_alu instid0(SALU_CYCLE_1)
	s_mov_b32 s93, s91
	s_branch .LBB49_179
.LBB49_169:                             ;   in Loop: Header=BB49_6 Depth=1
	s_mov_b32 s96, 0
                                        ; implicit-def: $vgpr9_vgpr10
	s_and_saveexec_b32 s91, s9
	s_cbranch_execz .LBB49_178
; %bb.170:                              ;   in Loop: Header=BB49_6 Depth=1
	v_mov_b32_e32 v13, v15
	v_mov_b32_e32 v41, v0
	s_mov_b32 s93, 0
                                        ; implicit-def: $sgpr92
	s_set_inst_prefetch_distance 0x1
	s_branch .LBB49_172
	.p2align	6
.LBB49_171:                             ;   in Loop: Header=BB49_172 Depth=2
	s_or_b32 exec_lo, exec_lo, s11
	s_waitcnt vmcnt(0) lgkmcnt(0)
	s_barrier
	buffer_gl0_inv
	ds_load_b128 v[7:10], v14 offset:3072
	v_add_nc_u32_e32 v41, s47, v41
	v_add_nc_u32_e32 v13, s53, v13
	s_waitcnt lgkmcnt(0)
	s_barrier
	buffer_gl0_inv
	v_cmp_le_u32_e32 vcc_lo, s73, v41
	v_readfirstlane_b32 s97, v8
	v_readfirstlane_b32 s96, v7
	s_delay_alu instid0(VALU_DEP_1) | instskip(SKIP_1) | instid1(SALU_CYCLE_1)
	s_cmp_lg_u64 s[96:97], 0
	s_cselect_b32 s11, -1, 0
	s_or_b32 s96, vcc_lo, s11
	s_delay_alu instid0(SALU_CYCLE_1) | instskip(NEXT) | instid1(SALU_CYCLE_1)
	s_and_b32 s96, exec_lo, s96
	s_or_b32 s93, s96, s93
	s_and_not1_b32 s92, s92, exec_lo
	s_and_b32 s11, s11, exec_lo
	s_delay_alu instid0(SALU_CYCLE_1)
	s_or_b32 s92, s92, s11
	s_and_not1_b32 exec_lo, exec_lo, s93
	s_cbranch_execz .LBB49_177
.LBB49_172:                             ;   Parent Loop BB49_6 Depth=1
                                        ; =>  This Inner Loop Header: Depth=2
	v_mov_b32_e32 v3, 0
	v_mov_b32_e32 v4, 0
	v_cmp_gt_u32_e32 vcc_lo, s36, v41
	s_and_saveexec_b32 s96, vcc_lo
	s_cbranch_execz .LBB49_174
; %bb.173:                              ;   in Loop: Header=BB49_172 Depth=2
	v_lshlrev_b64 v[2:3], 3, v[13:14]
	s_delay_alu instid0(VALU_DEP_1) | instskip(NEXT) | instid1(VALU_DEP_1)
	v_add_co_u32 v2, s11, s33, v2
	v_add_co_ci_u32_e64 v3, s11, s43, v3, s11
	global_load_b64 v[3:4], v[2:3], off
.LBB49_174:                             ;   in Loop: Header=BB49_172 Depth=2
	s_or_b32 exec_lo, exec_lo, s96
	s_and_saveexec_b32 s11, vcc_lo
	s_cbranch_execz .LBB49_171
; %bb.175:                              ;   in Loop: Header=BB49_172 Depth=2
	s_waitcnt vmcnt(0)
	v_xor_b32_e32 v2, 0x80000000, v4
	v_and_b32_e32 v7, v3, v25
	s_delay_alu instid0(VALU_DEP_2) | instskip(NEXT) | instid1(VALU_DEP_1)
	v_and_b32_e32 v8, v2, v26
	v_cmp_eq_u64_e32 vcc_lo, v[7:8], v[23:24]
	s_and_b32 exec_lo, exec_lo, vcc_lo
	s_cbranch_execz .LBB49_171
; %bb.176:                              ;   in Loop: Header=BB49_172 Depth=2
	v_mov_b32_e32 v2, v14
	ds_store_b128 v14, v[1:4] offset:3072
	s_branch .LBB49_171
.LBB49_177:                             ;   in Loop: Header=BB49_6 Depth=1
	s_set_inst_prefetch_distance 0x2
	s_or_b32 exec_lo, exec_lo, s93
	s_delay_alu instid0(SALU_CYCLE_1)
	s_and_b32 s96, s92, exec_lo
.LBB49_178:                             ;   in Loop: Header=BB49_6 Depth=1
	s_or_b32 exec_lo, exec_lo, s91
	s_mov_b32 s93, -1
	s_mov_b32 s91, 0
	s_mov_b32 s92, 0
.LBB49_179:                             ;   in Loop: Header=BB49_6 Depth=1
	s_or_not1_b32 s11, s96, exec_lo
.LBB49_180:                             ;   in Loop: Header=BB49_6 Depth=1
	s_or_b32 exec_lo, exec_lo, s94
	s_mov_b32 s96, 0
                                        ; implicit-def: $vgpr2
	s_and_saveexec_b32 s94, s11
	s_cbranch_execz .LBB49_233
; %bb.181:                              ;   in Loop: Header=BB49_6 Depth=1
	v_dual_mov_b32 v41, 1 :: v_dual_mov_b32 v2, 1
	s_xor_b32 s95, s95, -1
	s_mov_b32 s97, 0
	s_and_saveexec_b32 s11, s95
	s_cbranch_execz .LBB49_191
; %bb.182:                              ;   in Loop: Header=BB49_6 Depth=1
	s_mov_b32 s96, exec_lo
                                        ; implicit-def: $sgpr97
                                        ; implicit-def: $sgpr95
	v_cmpx_ge_u32_e64 s20, v42
	s_xor_b32 s96, exec_lo, s96
	s_cbranch_execz .LBB49_188
; %bb.183:                              ;   in Loop: Header=BB49_6 Depth=1
	ds_load_b32 v2, v14 offset:4096
	s_waitcnt lgkmcnt(0)
	v_cmp_ne_u32_e32 vcc_lo, 0, v2
	s_cbranch_vccnz .LBB49_187
; %bb.184:                              ;   in Loop: Header=BB49_6 Depth=1
	s_and_saveexec_b32 s95, s5
	s_cbranch_execz .LBB49_186
; %bb.185:                              ;   in Loop: Header=BB49_6 Depth=1
	v_mov_b32_e32 v2, s20
	ds_store_b32 v14, v2 offset:4100
.LBB49_186:                             ;   in Loop: Header=BB49_6 Depth=1
	s_or_b32 exec_lo, exec_lo, s95
	s_waitcnt lgkmcnt(0)
	s_barrier
	buffer_gl0_inv
.LBB49_187:                             ;   in Loop: Header=BB49_6 Depth=1
	v_and_b32_e32 v2, s15, v24
	v_and_b32_e32 v3, s14, v23
	s_lshl_b64 s[98:99], 2, s19
	v_or_b32_e32 v26, s13, v26
	v_or_b32_e32 v25, s12, v25
	v_or_b32_e32 v24, s99, v2
	v_or_b32_e32 v23, s98, v3
	s_mov_b32 s95, 0
	s_mov_b32 s97, 8
.LBB49_188:                             ;   in Loop: Header=BB49_6 Depth=1
	s_or_saveexec_b32 s96, s96
	v_mov_b32_e32 v2, s97
	s_xor_b32 exec_lo, exec_lo, s96
; %bb.189:                              ;   in Loop: Header=BB49_6 Depth=1
	v_subrev_nc_u32_e32 v42, s20, v42
	v_mov_b32_e32 v2, 0
	s_or_b32 s95, s95, exec_lo
; %bb.190:                              ;   in Loop: Header=BB49_6 Depth=1
	s_or_b32 exec_lo, exec_lo, s96
	s_delay_alu instid0(VALU_DEP_2)
	v_mov_b32_e32 v41, v42
	s_and_b32 s97, s95, exec_lo
.LBB49_191:                             ;   in Loop: Header=BB49_6 Depth=1
	s_or_b32 exec_lo, exec_lo, s11
	s_mov_b32 s96, -1
                                        ; implicit-def: $sgpr11
                                        ; implicit-def: $sgpr99
                                        ; implicit-def: $sgpr98
	s_and_saveexec_b32 s95, s97
	s_cbranch_execz .LBB49_232
; %bb.192:                              ;   in Loop: Header=BB49_6 Depth=1
	v_cmp_eq_u32_e32 vcc_lo, 1, v41
	s_cmp_eq_u32 s21, 1
	s_mov_b32 s100, -1
	s_cselect_b32 s11, -1, 0
                                        ; implicit-def: $sgpr99
                                        ; implicit-def: $sgpr98
	s_delay_alu instid0(SALU_CYCLE_1) | instskip(NEXT) | instid1(SALU_CYCLE_1)
	s_and_b32 s96, s11, vcc_lo
                                        ; implicit-def: $sgpr11
	s_and_saveexec_b32 s97, s96
	s_cbranch_execz .LBB49_219
; %bb.193:                              ;   in Loop: Header=BB49_6 Depth=1
	ds_load_b32 v2, v14 offset:4096
	s_waitcnt lgkmcnt(0)
	s_barrier
	buffer_gl0_inv
	v_readfirstlane_b32 s11, v2
	s_and_saveexec_b32 s98, s6
	s_cbranch_execz .LBB49_195
; %bb.194:                              ;   in Loop: Header=BB49_6 Depth=1
	v_mov_b32_e32 v13, v14
	ds_store_b64 v33, v[13:14]
.LBB49_195:                             ;   in Loop: Header=BB49_6 Depth=1
	s_or_b32 exec_lo, exec_lo, s98
	v_or_b32_e32 v24, s13, v24
	v_or_b32_e32 v23, s12, v23
	v_or_b32_e32 v26, s13, v26
	v_or_b32_e32 v25, s12, v25
	s_cmp_eq_u32 s11, 0
	s_waitcnt lgkmcnt(0)
	s_barrier
	buffer_gl0_inv
	s_cbranch_scc1 .LBB49_204
; %bb.196:                              ;   in Loop: Header=BB49_6 Depth=1
	s_add_i32 s98, s11, s65
                                        ; implicit-def: $vgpr9_vgpr10
	s_delay_alu instid0(SALU_CYCLE_1) | instskip(NEXT) | instid1(SALU_CYCLE_1)
	s_mul_hi_u32 s99, s98, s72
	s_mul_i32 s99, s99, s47
	s_delay_alu instid0(SALU_CYCLE_1) | instskip(NEXT) | instid1(SALU_CYCLE_1)
	s_sub_i32 s99, s98, s99
	s_sub_i32 s100, s99, s47
	s_cmp_ge_u32 s99, s47
	s_cselect_b32 s99, s100, s99
	s_delay_alu instid0(SALU_CYCLE_1)
	s_sub_i32 s100, s99, s47
	s_cmp_ge_u32 s99, s47
	s_cselect_b32 s99, s100, s99
	s_mov_b32 s100, 0
	s_sub_i32 s99, s98, s99
	s_mov_b32 s98, exec_lo
	v_cmpx_gt_u32_e64 s99, v0
	s_cbranch_execz .LBB49_206
; %bb.197:                              ;   in Loop: Header=BB49_6 Depth=1
	v_mov_b32_e32 v13, v32
	v_mov_b32_e32 v42, v0
	s_mov_b32 s101, 0
                                        ; implicit-def: $sgpr100
	s_set_inst_prefetch_distance 0x1
	s_branch .LBB49_199
	.p2align	6
.LBB49_198:                             ;   in Loop: Header=BB49_199 Depth=2
	s_or_b32 exec_lo, exec_lo, s102
	s_waitcnt lgkmcnt(0)
	s_barrier
	buffer_gl0_inv
	ds_load_b128 v[7:10], v14 offset:3072
	v_add_nc_u32_e32 v42, s47, v42
	v_add_nc_u32_e32 v13, s76, v13
	s_waitcnt lgkmcnt(0)
	s_barrier
	buffer_gl0_inv
	v_cmp_le_u32_e32 vcc_lo, s99, v42
	v_readfirstlane_b32 s103, v8
	v_readfirstlane_b32 s102, v7
	s_delay_alu instid0(VALU_DEP_1) | instskip(SKIP_1) | instid1(SALU_CYCLE_1)
	s_cmp_lg_u64 s[102:103], 0
	s_cselect_b32 s102, -1, 0
	s_or_b32 s103, vcc_lo, s102
	s_delay_alu instid0(SALU_CYCLE_1) | instskip(NEXT) | instid1(SALU_CYCLE_1)
	s_and_b32 s103, exec_lo, s103
	s_or_b32 s101, s103, s101
	s_and_not1_b32 s100, s100, exec_lo
	s_and_b32 s102, s102, exec_lo
	s_delay_alu instid0(SALU_CYCLE_1)
	s_or_b32 s100, s100, s102
	s_and_not1_b32 exec_lo, exec_lo, s101
	s_cbranch_execz .LBB49_205
.LBB49_199:                             ;   Parent Loop BB49_6 Depth=1
                                        ; =>  This Inner Loop Header: Depth=2
	v_mov_b32_e32 v3, 0
	v_mov_b32_e32 v4, 0
	v_cmp_gt_u32_e32 vcc_lo, s11, v42
	s_and_saveexec_b32 s102, vcc_lo
	s_cbranch_execz .LBB49_201
; %bb.200:                              ;   in Loop: Header=BB49_199 Depth=2
	ds_load_b64 v[3:4], v13
.LBB49_201:                             ;   in Loop: Header=BB49_199 Depth=2
	s_or_b32 exec_lo, exec_lo, s102
	s_and_saveexec_b32 s102, vcc_lo
	s_cbranch_execz .LBB49_198
; %bb.202:                              ;   in Loop: Header=BB49_199 Depth=2
	s_waitcnt lgkmcnt(0)
	v_xor_b32_e32 v2, 0x80000000, v4
	v_and_b32_e32 v7, v3, v25
	s_delay_alu instid0(VALU_DEP_2) | instskip(NEXT) | instid1(VALU_DEP_1)
	v_and_b32_e32 v8, v2, v26
	v_cmp_eq_u64_e32 vcc_lo, v[7:8], v[23:24]
	s_and_b32 exec_lo, exec_lo, vcc_lo
	s_cbranch_execz .LBB49_198
; %bb.203:                              ;   in Loop: Header=BB49_199 Depth=2
	v_mov_b32_e32 v2, v14
	ds_store_b128 v14, v[1:4] offset:3072
	s_branch .LBB49_198
.LBB49_204:                             ;   in Loop: Header=BB49_6 Depth=1
	s_mov_b32 s11, -1
	s_mov_b32 s100, 0
                                        ; implicit-def: $sgpr98
                                        ; implicit-def: $vgpr9_vgpr10
	s_branch .LBB49_207
.LBB49_205:                             ;   in Loop: Header=BB49_6 Depth=1
	s_set_inst_prefetch_distance 0x2
	s_or_b32 exec_lo, exec_lo, s101
	s_delay_alu instid0(SALU_CYCLE_1)
	s_and_b32 s100, s100, exec_lo
.LBB49_206:                             ;   in Loop: Header=BB49_6 Depth=1
	s_or_b32 exec_lo, exec_lo, s98
	s_mov_b32 s98, -1
	s_mov_b32 s11, 0
.LBB49_207:                             ;   in Loop: Header=BB49_6 Depth=1
	s_delay_alu instid0(SALU_CYCLE_1)
	s_and_b32 vcc_lo, exec_lo, s11
	s_mov_b32 s99, s11
	s_cbranch_vccz .LBB49_218
; %bb.208:                              ;   in Loop: Header=BB49_6 Depth=1
	s_mov_b32 s100, 0
                                        ; implicit-def: $vgpr9_vgpr10
	s_and_saveexec_b32 s98, s9
	s_cbranch_execz .LBB49_217
; %bb.209:                              ;   in Loop: Header=BB49_6 Depth=1
	v_dual_mov_b32 v13, v15 :: v_dual_mov_b32 v42, v0
                                        ; implicit-def: $sgpr99
	s_set_inst_prefetch_distance 0x1
	s_branch .LBB49_211
	.p2align	6
.LBB49_210:                             ;   in Loop: Header=BB49_211 Depth=2
	s_or_b32 exec_lo, exec_lo, s11
	s_waitcnt vmcnt(0) lgkmcnt(0)
	s_barrier
	buffer_gl0_inv
	ds_load_b128 v[7:10], v14 offset:3072
	v_add_nc_u32_e32 v42, s47, v42
	v_add_nc_u32_e32 v13, s53, v13
	s_waitcnt lgkmcnt(0)
	s_barrier
	buffer_gl0_inv
	v_cmp_le_u32_e32 vcc_lo, s73, v42
	v_readfirstlane_b32 s103, v8
	v_readfirstlane_b32 s102, v7
	s_delay_alu instid0(VALU_DEP_1) | instskip(SKIP_1) | instid1(SALU_CYCLE_1)
	s_cmp_lg_u64 s[102:103], 0
	s_cselect_b32 s11, -1, 0
	s_or_b32 s101, vcc_lo, s11
	s_delay_alu instid0(SALU_CYCLE_1) | instskip(NEXT) | instid1(SALU_CYCLE_1)
	s_and_b32 s101, exec_lo, s101
	s_or_b32 s100, s101, s100
	s_and_not1_b32 s99, s99, exec_lo
	s_and_b32 s11, s11, exec_lo
	s_delay_alu instid0(SALU_CYCLE_1)
	s_or_b32 s99, s99, s11
	s_and_not1_b32 exec_lo, exec_lo, s100
	s_cbranch_execz .LBB49_216
.LBB49_211:                             ;   Parent Loop BB49_6 Depth=1
                                        ; =>  This Inner Loop Header: Depth=2
	v_mov_b32_e32 v3, 0
	v_mov_b32_e32 v4, 0
	v_cmp_gt_u32_e32 vcc_lo, s36, v42
	s_and_saveexec_b32 s101, vcc_lo
	s_cbranch_execz .LBB49_213
; %bb.212:                              ;   in Loop: Header=BB49_211 Depth=2
	v_lshlrev_b64 v[2:3], 3, v[13:14]
	s_delay_alu instid0(VALU_DEP_1) | instskip(NEXT) | instid1(VALU_DEP_1)
	v_add_co_u32 v2, s11, s33, v2
	v_add_co_ci_u32_e64 v3, s11, s43, v3, s11
	global_load_b64 v[3:4], v[2:3], off
.LBB49_213:                             ;   in Loop: Header=BB49_211 Depth=2
	s_or_b32 exec_lo, exec_lo, s101
	s_and_saveexec_b32 s11, vcc_lo
	s_cbranch_execz .LBB49_210
; %bb.214:                              ;   in Loop: Header=BB49_211 Depth=2
	s_waitcnt vmcnt(0)
	v_xor_b32_e32 v2, 0x80000000, v4
	v_and_b32_e32 v7, v3, v25
	s_delay_alu instid0(VALU_DEP_2) | instskip(NEXT) | instid1(VALU_DEP_1)
	v_and_b32_e32 v8, v2, v26
	v_cmp_eq_u64_e32 vcc_lo, v[7:8], v[23:24]
	s_and_b32 exec_lo, exec_lo, vcc_lo
	s_cbranch_execz .LBB49_210
; %bb.215:                              ;   in Loop: Header=BB49_211 Depth=2
	v_mov_b32_e32 v2, v14
	ds_store_b128 v14, v[1:4] offset:3072
	s_branch .LBB49_210
.LBB49_216:                             ;   in Loop: Header=BB49_6 Depth=1
	s_set_inst_prefetch_distance 0x2
	s_or_b32 exec_lo, exec_lo, s100
	s_delay_alu instid0(SALU_CYCLE_1)
	s_and_b32 s100, s99, exec_lo
.LBB49_217:                             ;   in Loop: Header=BB49_6 Depth=1
	s_or_b32 exec_lo, exec_lo, s98
	s_mov_b32 s99, -1
	s_mov_b32 s11, 0
	s_mov_b32 s98, 0
.LBB49_218:                             ;   in Loop: Header=BB49_6 Depth=1
	s_or_not1_b32 s100, s100, exec_lo
.LBB49_219:                             ;   in Loop: Header=BB49_6 Depth=1
	s_or_b32 exec_lo, exec_lo, s97
	s_mov_b32 s101, 0
                                        ; implicit-def: $vgpr2
                                        ; implicit-def: $vgpr3
	s_and_saveexec_b32 s97, s100
	s_cbranch_execz .LBB49_231
; %bb.220:                              ;   in Loop: Header=BB49_6 Depth=1
	v_dual_mov_b32 v2, 1 :: v_dual_mov_b32 v3, 1
	s_xor_b32 s100, s96, -1
	s_delay_alu instid0(SALU_CYCLE_1)
	s_and_saveexec_b32 s96, s100
	s_cbranch_execz .LBB49_230
; %bb.221:                              ;   in Loop: Header=BB49_6 Depth=1
	s_mov_b32 s100, exec_lo
                                        ; implicit-def: $sgpr101
	v_cmpx_ge_u32_e64 s21, v41
	s_xor_b32 s100, exec_lo, s100
	s_cbranch_execz .LBB49_227
; %bb.222:                              ;   in Loop: Header=BB49_6 Depth=1
	ds_load_b32 v2, v14 offset:4096
	s_waitcnt lgkmcnt(0)
	v_cmp_ne_u32_e32 vcc_lo, 0, v2
	s_cbranch_vccnz .LBB49_226
; %bb.223:                              ;   in Loop: Header=BB49_6 Depth=1
	s_and_saveexec_b32 s101, s5
	s_cbranch_execz .LBB49_225
; %bb.224:                              ;   in Loop: Header=BB49_6 Depth=1
	v_mov_b32_e32 v2, s21
	ds_store_b32 v14, v2 offset:4100
.LBB49_225:                             ;   in Loop: Header=BB49_6 Depth=1
	s_or_b32 exec_lo, exec_lo, s101
	s_waitcnt lgkmcnt(0)
	s_barrier
	buffer_gl0_inv
.LBB49_226:                             ;   in Loop: Header=BB49_6 Depth=1
	v_or_b32_e32 v24, s13, v24
	v_or_b32_e32 v23, s12, v23
	;; [unrolled: 1-line block ×4, first 2 shown]
	s_mov_b32 s101, 8
.LBB49_227:                             ;   in Loop: Header=BB49_6 Depth=1
	s_or_saveexec_b32 s100, s100
	v_mov_b32_e32 v2, s101
	s_xor_b32 exec_lo, exec_lo, s100
; %bb.228:                              ;   in Loop: Header=BB49_6 Depth=1
	v_subrev_nc_u32_e32 v41, s21, v41
	v_mov_b32_e32 v2, 8
; %bb.229:                              ;   in Loop: Header=BB49_6 Depth=1
	s_or_b32 exec_lo, exec_lo, s100
	s_delay_alu instid0(VALU_DEP_2)
	v_mov_b32_e32 v3, v41
.LBB49_230:                             ;   in Loop: Header=BB49_6 Depth=1
	s_or_b32 exec_lo, exec_lo, s96
	s_delay_alu instid0(SALU_CYCLE_1)
	s_mov_b32 s101, exec_lo
.LBB49_231:                             ;   in Loop: Header=BB49_6 Depth=1
	s_or_b32 exec_lo, exec_lo, s97
	s_delay_alu instid0(VALU_DEP_1)
	v_mov_b32_e32 v41, v3
	s_or_not1_b32 s96, s101, exec_lo
.LBB49_232:                             ;   in Loop: Header=BB49_6 Depth=1
	s_or_b32 exec_lo, exec_lo, s95
	s_delay_alu instid0(SALU_CYCLE_1)
	s_and_not1_b32 s91, s91, exec_lo
	s_and_b32 s11, s11, exec_lo
	v_mov_b32_e32 v42, v41
	s_or_b32 s91, s91, s11
	s_and_not1_b32 s11, s93, exec_lo
	s_and_b32 s93, s99, exec_lo
	s_and_not1_b32 s92, s92, exec_lo
	s_and_b32 s95, s98, exec_lo
	s_or_b32 s93, s11, s93
	s_or_b32 s92, s92, s95
	s_and_b32 s96, s96, exec_lo
.LBB49_233:                             ;   in Loop: Header=BB49_6 Depth=1
	s_or_b32 exec_lo, exec_lo, s94
	s_delay_alu instid0(SALU_CYCLE_1)
	s_and_b32 s94, s91, exec_lo
	s_and_b32 s93, s93, exec_lo
	;; [unrolled: 1-line block ×3, first 2 shown]
	s_or_not1_b32 s11, s96, exec_lo
.LBB49_234:                             ;   in Loop: Header=BB49_6 Depth=1
	s_or_b32 exec_lo, exec_lo, s90
	s_delay_alu instid0(SALU_CYCLE_1)
	s_and_not1_b32 s27, s27, exec_lo
	s_and_b32 s90, s94, exec_lo
	v_mov_b32_e32 v41, v42
	s_or_b32 s27, s27, s90
	s_and_not1_b32 s29, s29, exec_lo
	s_and_b32 s90, s93, exec_lo
	s_and_not1_b32 s28, s28, exec_lo
	s_and_b32 s91, s91, exec_lo
	s_or_b32 s29, s29, s90
	s_or_b32 s28, s28, s91
	s_and_b32 s91, s11, exec_lo
.LBB49_235:                             ;   in Loop: Header=BB49_6 Depth=1
	s_or_b32 exec_lo, exec_lo, s89
	s_delay_alu instid0(SALU_CYCLE_1)
	s_and_b32 s89, s27, exec_lo
	s_and_b32 s29, s29, exec_lo
	;; [unrolled: 1-line block ×3, first 2 shown]
	s_or_not1_b32 s11, s91, exec_lo
.LBB49_236:                             ;   in Loop: Header=BB49_6 Depth=1
	s_or_b32 exec_lo, exec_lo, s22
	s_mov_b32 s22, 0
	s_mov_b32 s28, 0
	s_and_saveexec_b32 s90, s11
	s_delay_alu instid0(SALU_CYCLE_1)
	s_xor_b32 s90, exec_lo, s90
; %bb.237:                              ;   in Loop: Header=BB49_6 Depth=1
	v_cmp_ne_u32_e32 vcc_lo, 8, v2
	v_cmp_eq_u32_e64 s11, 8, v2
	s_and_not1_b32 s89, s89, exec_lo
	s_and_not1_b32 s29, s29, exec_lo
	;; [unrolled: 1-line block ×3, first 2 shown]
	s_and_b32 s28, vcc_lo, exec_lo
	s_and_b32 s22, s11, exec_lo
; %bb.238:                              ;   in Loop: Header=BB49_6 Depth=1
	s_or_b32 exec_lo, exec_lo, s90
	s_delay_alu instid0(SALU_CYCLE_1)
	s_and_not1_b32 s11, s17, exec_lo
	s_and_b32 s17, s89, exec_lo
	s_and_not1_b32 s23, s23, exec_lo
	s_or_b32 s17, s11, s17
	s_and_not1_b32 s11, s24, exec_lo
	s_and_b32 s24, s29, exec_lo
	s_and_b32 s27, s27, exec_lo
	s_or_b32 s24, s11, s24
	s_or_b32 s23, s23, s27
	s_and_b32 s11, s28, exec_lo
	s_and_b32 s22, s22, exec_lo
.LBB49_239:                             ;   in Loop: Header=BB49_6 Depth=1
	s_or_b32 exec_lo, exec_lo, s26
	s_delay_alu instid0(SALU_CYCLE_1)
	s_and_b32 vcc_lo, exec_lo, s25
	s_cbranch_vccz .LBB49_86
.LBB49_240:                             ;   in Loop: Header=BB49_6 Depth=1
	s_delay_alu instid0(VALU_DEP_1) | instskip(SKIP_1) | instid1(SALU_CYCLE_1)
	s_cmp_eq_u32 s21, 1
                                        ; implicit-def: $sgpr25
                                        ; implicit-def: $sgpr26
	s_cselect_b32 s17, -1, 0
	s_and_b32 s24, s17, s10
	s_mov_b32 s10, -1
                                        ; implicit-def: $sgpr17
	s_and_saveexec_b32 s23, s24
	s_cbranch_execz .LBB49_266
; %bb.241:                              ;   in Loop: Header=BB49_6 Depth=1
	ds_load_b32 v2, v14 offset:4096
	s_waitcnt lgkmcnt(0)
	s_barrier
	buffer_gl0_inv
	v_readfirstlane_b32 s10, v2
	s_and_saveexec_b32 s17, s6
	s_cbranch_execz .LBB49_243
; %bb.242:                              ;   in Loop: Header=BB49_6 Depth=1
	v_mov_b32_e32 v13, v14
	ds_store_b64 v33, v[13:14]
.LBB49_243:                             ;   in Loop: Header=BB49_6 Depth=1
	s_or_b32 exec_lo, exec_lo, s17
	v_or_b32_e32 v22, s13, v22
	v_or_b32_e32 v21, s12, v21
	;; [unrolled: 1-line block ×4, first 2 shown]
	s_cmp_eq_u32 s10, 0
	s_waitcnt lgkmcnt(0)
	s_barrier
	buffer_gl0_inv
	s_cbranch_scc1 .LBB49_252
; %bb.244:                              ;   in Loop: Header=BB49_6 Depth=1
	s_add_i32 s17, s10, s65
	s_mov_b32 s27, 0
	s_mul_hi_u32 s25, s17, s72
                                        ; implicit-def: $vgpr5_vgpr6
	s_delay_alu instid0(SALU_CYCLE_1) | instskip(NEXT) | instid1(SALU_CYCLE_1)
	s_mul_i32 s25, s25, s47
	s_sub_i32 s25, s17, s25
	s_delay_alu instid0(SALU_CYCLE_1) | instskip(SKIP_2) | instid1(SALU_CYCLE_1)
	s_sub_i32 s26, s25, s47
	s_cmp_ge_u32 s25, s47
	s_cselect_b32 s25, s26, s25
	s_sub_i32 s26, s25, s47
	s_cmp_ge_u32 s25, s47
	s_cselect_b32 s25, s26, s25
	s_delay_alu instid0(SALU_CYCLE_1)
	s_sub_i32 s25, s17, s25
	s_mov_b32 s17, exec_lo
	v_cmpx_gt_u32_e64 s25, v0
	s_cbranch_execz .LBB49_254
; %bb.245:                              ;   in Loop: Header=BB49_6 Depth=1
	v_mov_b32_e32 v7, v32
	v_mov_b32_e32 v8, v0
                                        ; implicit-def: $sgpr26
	s_set_inst_prefetch_distance 0x1
	s_branch .LBB49_247
	.p2align	6
.LBB49_246:                             ;   in Loop: Header=BB49_247 Depth=2
	s_or_b32 exec_lo, exec_lo, s28
	s_waitcnt lgkmcnt(0)
	s_barrier
	buffer_gl0_inv
	ds_load_b128 v[3:6], v14 offset:3072
	v_add_nc_u32_e32 v8, s47, v8
	v_add_nc_u32_e32 v7, s76, v7
	s_waitcnt lgkmcnt(0)
	s_barrier
	buffer_gl0_inv
	v_cmp_le_u32_e32 vcc_lo, s25, v8
	v_readfirstlane_b32 s29, v4
	v_readfirstlane_b32 s28, v3
	s_delay_alu instid0(VALU_DEP_1) | instskip(SKIP_1) | instid1(SALU_CYCLE_1)
	s_cmp_lg_u64 s[28:29], 0
	s_cselect_b32 s28, -1, 0
	s_or_b32 s29, vcc_lo, s28
	s_delay_alu instid0(SALU_CYCLE_1) | instskip(NEXT) | instid1(SALU_CYCLE_1)
	s_and_b32 s29, exec_lo, s29
	s_or_b32 s27, s29, s27
	s_and_not1_b32 s26, s26, exec_lo
	s_and_b32 s28, s28, exec_lo
	s_delay_alu instid0(SALU_CYCLE_1)
	s_or_b32 s26, s26, s28
	s_and_not1_b32 exec_lo, exec_lo, s27
	s_cbranch_execz .LBB49_253
.LBB49_247:                             ;   Parent Loop BB49_6 Depth=1
                                        ; =>  This Inner Loop Header: Depth=2
	v_mov_b32_e32 v3, 0
	v_mov_b32_e32 v4, 0
	v_cmp_gt_u32_e32 vcc_lo, s10, v8
	s_and_saveexec_b32 s28, vcc_lo
	s_cbranch_execz .LBB49_249
; %bb.248:                              ;   in Loop: Header=BB49_247 Depth=2
	ds_load_b64 v[3:4], v7
.LBB49_249:                             ;   in Loop: Header=BB49_247 Depth=2
	s_or_b32 exec_lo, exec_lo, s28
	s_and_saveexec_b32 s28, vcc_lo
	s_cbranch_execz .LBB49_246
; %bb.250:                              ;   in Loop: Header=BB49_247 Depth=2
	s_waitcnt lgkmcnt(0)
	v_xor_b32_e32 v2, 0x80000000, v4
	v_and_b32_e32 v5, v3, v19
	s_delay_alu instid0(VALU_DEP_2) | instskip(NEXT) | instid1(VALU_DEP_1)
	v_and_b32_e32 v6, v2, v20
	v_cmp_eq_u64_e32 vcc_lo, v[5:6], v[21:22]
	s_and_b32 exec_lo, exec_lo, vcc_lo
	s_cbranch_execz .LBB49_246
; %bb.251:                              ;   in Loop: Header=BB49_247 Depth=2
	v_mov_b32_e32 v2, v14
	ds_store_b128 v14, v[1:4] offset:3072
	s_branch .LBB49_246
.LBB49_252:                             ;   in Loop: Header=BB49_6 Depth=1
	s_mov_b32 s25, -1
	s_mov_b32 s27, 0
                                        ; implicit-def: $sgpr26
                                        ; implicit-def: $vgpr5_vgpr6
	s_mov_b32 s17, s25
	s_cbranch_execnz .LBB49_255
	s_branch .LBB49_265
.LBB49_253:                             ;   in Loop: Header=BB49_6 Depth=1
	s_set_inst_prefetch_distance 0x2
	s_or_b32 exec_lo, exec_lo, s27
	s_delay_alu instid0(SALU_CYCLE_1)
	s_and_b32 s27, s26, exec_lo
.LBB49_254:                             ;   in Loop: Header=BB49_6 Depth=1
	s_or_b32 exec_lo, exec_lo, s17
	s_mov_b32 s25, 0
	s_mov_b32 s26, -1
	s_mov_b32 s17, s25
	s_branch .LBB49_265
.LBB49_255:                             ;   in Loop: Header=BB49_6 Depth=1
	s_mov_b32 s27, 0
                                        ; implicit-def: $vgpr5_vgpr6
	s_and_saveexec_b32 s17, s9
	s_cbranch_execz .LBB49_264
; %bb.256:                              ;   in Loop: Header=BB49_6 Depth=1
	v_mov_b32_e32 v13, v15
	v_mov_b32_e32 v7, v0
	s_mov_b32 s26, 0
                                        ; implicit-def: $sgpr25
	s_set_inst_prefetch_distance 0x1
	s_branch .LBB49_258
	.p2align	6
.LBB49_257:                             ;   in Loop: Header=BB49_258 Depth=2
	s_or_b32 exec_lo, exec_lo, s10
	s_waitcnt vmcnt(0) lgkmcnt(0)
	s_barrier
	buffer_gl0_inv
	ds_load_b128 v[3:6], v14 offset:3072
	v_add_nc_u32_e32 v7, s47, v7
	v_add_nc_u32_e32 v13, s53, v13
	s_waitcnt lgkmcnt(0)
	s_barrier
	buffer_gl0_inv
	v_cmp_le_u32_e32 vcc_lo, s73, v7
	v_readfirstlane_b32 s29, v4
	v_readfirstlane_b32 s28, v3
	s_delay_alu instid0(VALU_DEP_1) | instskip(SKIP_1) | instid1(SALU_CYCLE_1)
	s_cmp_lg_u64 s[28:29], 0
	s_cselect_b32 s10, -1, 0
	s_or_b32 s27, vcc_lo, s10
	s_delay_alu instid0(SALU_CYCLE_1) | instskip(NEXT) | instid1(SALU_CYCLE_1)
	s_and_b32 s27, exec_lo, s27
	s_or_b32 s26, s27, s26
	s_and_not1_b32 s25, s25, exec_lo
	s_and_b32 s10, s10, exec_lo
	s_delay_alu instid0(SALU_CYCLE_1)
	s_or_b32 s25, s25, s10
	s_and_not1_b32 exec_lo, exec_lo, s26
	s_cbranch_execz .LBB49_263
.LBB49_258:                             ;   Parent Loop BB49_6 Depth=1
                                        ; =>  This Inner Loop Header: Depth=2
	v_mov_b32_e32 v3, 0
	v_mov_b32_e32 v4, 0
	v_cmp_gt_u32_e32 vcc_lo, s36, v7
	s_and_saveexec_b32 s27, vcc_lo
	s_cbranch_execz .LBB49_260
; %bb.259:                              ;   in Loop: Header=BB49_258 Depth=2
	v_lshlrev_b64 v[2:3], 3, v[13:14]
	s_delay_alu instid0(VALU_DEP_1) | instskip(NEXT) | instid1(VALU_DEP_1)
	v_add_co_u32 v2, s10, s33, v2
	v_add_co_ci_u32_e64 v3, s10, s43, v3, s10
	global_load_b64 v[3:4], v[2:3], off
.LBB49_260:                             ;   in Loop: Header=BB49_258 Depth=2
	s_or_b32 exec_lo, exec_lo, s27
	s_and_saveexec_b32 s10, vcc_lo
	s_cbranch_execz .LBB49_257
; %bb.261:                              ;   in Loop: Header=BB49_258 Depth=2
	s_waitcnt vmcnt(0)
	v_xor_b32_e32 v2, 0x80000000, v4
	v_and_b32_e32 v5, v3, v19
	s_delay_alu instid0(VALU_DEP_2) | instskip(NEXT) | instid1(VALU_DEP_1)
	v_and_b32_e32 v6, v2, v20
	v_cmp_eq_u64_e32 vcc_lo, v[5:6], v[21:22]
	s_and_b32 exec_lo, exec_lo, vcc_lo
	s_cbranch_execz .LBB49_257
; %bb.262:                              ;   in Loop: Header=BB49_258 Depth=2
	v_mov_b32_e32 v2, v14
	ds_store_b128 v14, v[1:4] offset:3072
	s_branch .LBB49_257
.LBB49_263:                             ;   in Loop: Header=BB49_6 Depth=1
	s_set_inst_prefetch_distance 0x2
	s_or_b32 exec_lo, exec_lo, s26
	s_delay_alu instid0(SALU_CYCLE_1)
	s_and_b32 s27, s25, exec_lo
.LBB49_264:                             ;   in Loop: Header=BB49_6 Depth=1
	s_or_b32 exec_lo, exec_lo, s17
	s_mov_b32 s26, 0
	s_mov_b32 s25, -1
	s_mov_b32 s17, 0
.LBB49_265:                             ;   in Loop: Header=BB49_6 Depth=1
	s_or_not1_b32 s10, s27, exec_lo
.LBB49_266:                             ;   in Loop: Header=BB49_6 Depth=1
	s_or_b32 exec_lo, exec_lo, s23
                                        ; implicit-def: $vgpr2
                                        ; implicit-def: $vgpr41
                                        ; implicit-def: $vgpr23_vgpr24
                                        ; implicit-def: $vgpr25_vgpr26
                                        ; implicit-def: $vgpr9_vgpr10
	s_and_saveexec_b32 s23, s10
	s_cbranch_execz .LBB49_401
; %bb.267:                              ;   in Loop: Header=BB49_6 Depth=1
	v_dual_mov_b32 v41, 1 :: v_dual_mov_b32 v2, 1
	s_xor_b32 s24, s24, -1
	s_mov_b32 s89, 0
	s_and_saveexec_b32 s10, s24
	s_cbranch_execz .LBB49_277
; %bb.268:                              ;   in Loop: Header=BB49_6 Depth=1
	s_mov_b32 s27, exec_lo
                                        ; implicit-def: $sgpr28
                                        ; implicit-def: $sgpr24
	v_cmpx_ge_u32_e64 s21, v40
	s_xor_b32 s27, exec_lo, s27
	s_cbranch_execz .LBB49_274
; %bb.269:                              ;   in Loop: Header=BB49_6 Depth=1
	ds_load_b32 v2, v14 offset:4096
	s_waitcnt lgkmcnt(0)
	v_cmp_ne_u32_e32 vcc_lo, 0, v2
	s_cbranch_vccnz .LBB49_273
; %bb.270:                              ;   in Loop: Header=BB49_6 Depth=1
	s_and_saveexec_b32 s24, s5
	s_cbranch_execz .LBB49_272
; %bb.271:                              ;   in Loop: Header=BB49_6 Depth=1
	v_mov_b32_e32 v2, s21
	ds_store_b32 v14, v2 offset:4100
.LBB49_272:                             ;   in Loop: Header=BB49_6 Depth=1
	s_or_b32 exec_lo, exec_lo, s24
	s_waitcnt lgkmcnt(0)
	s_barrier
	buffer_gl0_inv
.LBB49_273:                             ;   in Loop: Header=BB49_6 Depth=1
	v_or_b32_e32 v22, s13, v22
	v_or_b32_e32 v21, s12, v21
	v_or_b32_e32 v20, s13, v20
	v_or_b32_e32 v19, s12, v19
	s_mov_b32 s24, 0
	s_mov_b32 s28, 5
.LBB49_274:                             ;   in Loop: Header=BB49_6 Depth=1
	s_or_saveexec_b32 s27, s27
	v_mov_b32_e32 v2, s28
	s_xor_b32 exec_lo, exec_lo, s27
; %bb.275:                              ;   in Loop: Header=BB49_6 Depth=1
	v_subrev_nc_u32_e32 v40, s21, v40
	v_mov_b32_e32 v2, 0
	s_or_b32 s24, s24, exec_lo
; %bb.276:                              ;   in Loop: Header=BB49_6 Depth=1
	s_or_b32 exec_lo, exec_lo, s27
	s_delay_alu instid0(VALU_DEP_2)
	v_mov_b32_e32 v41, v40
	s_and_b32 s89, s24, exec_lo
.LBB49_277:                             ;   in Loop: Header=BB49_6 Depth=1
	s_or_b32 exec_lo, exec_lo, s10
	s_mov_b32 s28, -1
                                        ; implicit-def: $sgpr24
                                        ; implicit-def: $sgpr27
                                        ; implicit-def: $sgpr29
	s_and_saveexec_b32 s10, s89
	s_delay_alu instid0(SALU_CYCLE_1)
	s_xor_b32 s21, exec_lo, s10
	s_cbranch_execz .LBB49_398
; %bb.278:                              ;   in Loop: Header=BB49_6 Depth=1
	v_cmp_eq_u32_e32 vcc_lo, 1, v41
	s_cmp_eq_u32 s20, 1
                                        ; implicit-def: $sgpr24
                                        ; implicit-def: $sgpr27
                                        ; implicit-def: $sgpr28
	s_cselect_b32 s10, -1, 0
	s_delay_alu instid0(SALU_CYCLE_1)
	s_and_b32 s89, s10, vcc_lo
	s_mov_b32 s10, -1
	s_and_saveexec_b32 s29, s89
	s_cbranch_execz .LBB49_304
; %bb.279:                              ;   in Loop: Header=BB49_6 Depth=1
	ds_load_b32 v2, v14 offset:4096
	s_waitcnt lgkmcnt(0)
	s_barrier
	buffer_gl0_inv
	v_readfirstlane_b32 s10, v2
	s_and_saveexec_b32 s24, s6
	s_cbranch_execz .LBB49_281
; %bb.280:                              ;   in Loop: Header=BB49_6 Depth=1
	v_mov_b32_e32 v13, v14
	ds_store_b64 v33, v[13:14]
.LBB49_281:                             ;   in Loop: Header=BB49_6 Depth=1
	s_or_b32 exec_lo, exec_lo, s24
	v_and_b32_e32 v2, s15, v22
	v_and_b32_e32 v3, s14, v21
	s_lshl_b64 s[90:91], 2, s19
	v_or_b32_e32 v20, s13, v20
	v_or_b32_e32 v19, s12, v19
	;; [unrolled: 1-line block ×4, first 2 shown]
	s_cmp_eq_u32 s10, 0
	s_waitcnt lgkmcnt(0)
	s_barrier
	buffer_gl0_inv
	s_cbranch_scc1 .LBB49_290
; %bb.282:                              ;   in Loop: Header=BB49_6 Depth=1
	s_add_i32 s24, s10, s65
	s_mov_b32 s90, 0
	s_mul_hi_u32 s27, s24, s72
                                        ; implicit-def: $vgpr5_vgpr6
	s_delay_alu instid0(SALU_CYCLE_1) | instskip(NEXT) | instid1(SALU_CYCLE_1)
	s_mul_i32 s27, s27, s47
	s_sub_i32 s27, s24, s27
	s_delay_alu instid0(SALU_CYCLE_1) | instskip(SKIP_2) | instid1(SALU_CYCLE_1)
	s_sub_i32 s28, s27, s47
	s_cmp_ge_u32 s27, s47
	s_cselect_b32 s27, s28, s27
	s_sub_i32 s28, s27, s47
	s_cmp_ge_u32 s27, s47
	s_cselect_b32 s27, s28, s27
	s_delay_alu instid0(SALU_CYCLE_1)
	s_sub_i32 s27, s24, s27
	s_mov_b32 s24, exec_lo
	v_cmpx_gt_u32_e64 s27, v0
	s_cbranch_execz .LBB49_292
; %bb.283:                              ;   in Loop: Header=BB49_6 Depth=1
	v_mov_b32_e32 v7, v32
	v_mov_b32_e32 v8, v0
                                        ; implicit-def: $sgpr28
	s_set_inst_prefetch_distance 0x1
	s_branch .LBB49_285
	.p2align	6
.LBB49_284:                             ;   in Loop: Header=BB49_285 Depth=2
	s_or_b32 exec_lo, exec_lo, s91
	s_waitcnt lgkmcnt(0)
	s_barrier
	buffer_gl0_inv
	ds_load_b128 v[3:6], v14 offset:3072
	v_add_nc_u32_e32 v8, s47, v8
	v_add_nc_u32_e32 v7, s76, v7
	s_waitcnt lgkmcnt(0)
	s_barrier
	buffer_gl0_inv
	v_cmp_le_u32_e32 vcc_lo, s27, v8
	v_readfirstlane_b32 s93, v4
	v_readfirstlane_b32 s92, v3
	s_delay_alu instid0(VALU_DEP_1) | instskip(SKIP_1) | instid1(SALU_CYCLE_1)
	s_cmp_lg_u64 s[92:93], 0
	s_cselect_b32 s91, -1, 0
	s_or_b32 s92, vcc_lo, s91
	s_delay_alu instid0(SALU_CYCLE_1) | instskip(NEXT) | instid1(SALU_CYCLE_1)
	s_and_b32 s92, exec_lo, s92
	s_or_b32 s90, s92, s90
	s_and_not1_b32 s28, s28, exec_lo
	s_and_b32 s91, s91, exec_lo
	s_delay_alu instid0(SALU_CYCLE_1)
	s_or_b32 s28, s28, s91
	s_and_not1_b32 exec_lo, exec_lo, s90
	s_cbranch_execz .LBB49_291
.LBB49_285:                             ;   Parent Loop BB49_6 Depth=1
                                        ; =>  This Inner Loop Header: Depth=2
	v_mov_b32_e32 v3, 0
	v_mov_b32_e32 v4, 0
	v_cmp_gt_u32_e32 vcc_lo, s10, v8
	s_and_saveexec_b32 s91, vcc_lo
	s_cbranch_execz .LBB49_287
; %bb.286:                              ;   in Loop: Header=BB49_285 Depth=2
	ds_load_b64 v[3:4], v7
.LBB49_287:                             ;   in Loop: Header=BB49_285 Depth=2
	s_or_b32 exec_lo, exec_lo, s91
	s_and_saveexec_b32 s91, vcc_lo
	s_cbranch_execz .LBB49_284
; %bb.288:                              ;   in Loop: Header=BB49_285 Depth=2
	s_waitcnt lgkmcnt(0)
	v_xor_b32_e32 v2, 0x80000000, v4
	v_and_b32_e32 v5, v3, v19
	s_delay_alu instid0(VALU_DEP_2) | instskip(NEXT) | instid1(VALU_DEP_1)
	v_and_b32_e32 v6, v2, v20
	v_cmp_eq_u64_e32 vcc_lo, v[5:6], v[21:22]
	s_and_b32 exec_lo, exec_lo, vcc_lo
	s_cbranch_execz .LBB49_284
; %bb.289:                              ;   in Loop: Header=BB49_285 Depth=2
	v_mov_b32_e32 v2, v14
	ds_store_b128 v14, v[1:4] offset:3072
	s_branch .LBB49_284
.LBB49_290:                             ;   in Loop: Header=BB49_6 Depth=1
	s_mov_b32 s24, -1
	s_mov_b32 s90, 0
                                        ; implicit-def: $sgpr27
                                        ; implicit-def: $vgpr5_vgpr6
	s_mov_b32 s28, s24
	s_cbranch_execnz .LBB49_293
	s_branch .LBB49_303
.LBB49_291:                             ;   in Loop: Header=BB49_6 Depth=1
	s_set_inst_prefetch_distance 0x2
	s_or_b32 exec_lo, exec_lo, s90
	s_delay_alu instid0(SALU_CYCLE_1)
	s_and_b32 s90, s28, exec_lo
.LBB49_292:                             ;   in Loop: Header=BB49_6 Depth=1
	s_or_b32 exec_lo, exec_lo, s24
	s_mov_b32 s24, 0
	s_mov_b32 s27, -1
	s_mov_b32 s28, s24
	s_branch .LBB49_303
.LBB49_293:                             ;   in Loop: Header=BB49_6 Depth=1
	s_mov_b32 s90, 0
                                        ; implicit-def: $vgpr5_vgpr6
	s_and_saveexec_b32 s24, s9
	s_cbranch_execz .LBB49_302
; %bb.294:                              ;   in Loop: Header=BB49_6 Depth=1
	v_mov_b32_e32 v13, v15
	v_mov_b32_e32 v7, v0
	s_mov_b32 s28, 0
                                        ; implicit-def: $sgpr27
	s_set_inst_prefetch_distance 0x1
	s_branch .LBB49_296
	.p2align	6
.LBB49_295:                             ;   in Loop: Header=BB49_296 Depth=2
	s_or_b32 exec_lo, exec_lo, s10
	s_waitcnt vmcnt(0) lgkmcnt(0)
	s_barrier
	buffer_gl0_inv
	ds_load_b128 v[3:6], v14 offset:3072
	v_add_nc_u32_e32 v7, s47, v7
	v_add_nc_u32_e32 v13, s53, v13
	s_waitcnt lgkmcnt(0)
	s_barrier
	buffer_gl0_inv
	v_cmp_le_u32_e32 vcc_lo, s73, v7
	v_readfirstlane_b32 s91, v4
	v_readfirstlane_b32 s90, v3
	s_delay_alu instid0(VALU_DEP_1) | instskip(SKIP_1) | instid1(SALU_CYCLE_1)
	s_cmp_lg_u64 s[90:91], 0
	s_cselect_b32 s10, -1, 0
	s_or_b32 s90, vcc_lo, s10
	s_delay_alu instid0(SALU_CYCLE_1) | instskip(NEXT) | instid1(SALU_CYCLE_1)
	s_and_b32 s90, exec_lo, s90
	s_or_b32 s28, s90, s28
	s_and_not1_b32 s27, s27, exec_lo
	s_and_b32 s10, s10, exec_lo
	s_delay_alu instid0(SALU_CYCLE_1)
	s_or_b32 s27, s27, s10
	s_and_not1_b32 exec_lo, exec_lo, s28
	s_cbranch_execz .LBB49_301
.LBB49_296:                             ;   Parent Loop BB49_6 Depth=1
                                        ; =>  This Inner Loop Header: Depth=2
	v_mov_b32_e32 v3, 0
	v_mov_b32_e32 v4, 0
	v_cmp_gt_u32_e32 vcc_lo, s36, v7
	s_and_saveexec_b32 s90, vcc_lo
	s_cbranch_execz .LBB49_298
; %bb.297:                              ;   in Loop: Header=BB49_296 Depth=2
	v_lshlrev_b64 v[2:3], 3, v[13:14]
	s_delay_alu instid0(VALU_DEP_1) | instskip(NEXT) | instid1(VALU_DEP_1)
	v_add_co_u32 v2, s10, s33, v2
	v_add_co_ci_u32_e64 v3, s10, s43, v3, s10
	global_load_b64 v[3:4], v[2:3], off
.LBB49_298:                             ;   in Loop: Header=BB49_296 Depth=2
	s_or_b32 exec_lo, exec_lo, s90
	s_and_saveexec_b32 s10, vcc_lo
	s_cbranch_execz .LBB49_295
; %bb.299:                              ;   in Loop: Header=BB49_296 Depth=2
	s_waitcnt vmcnt(0)
	v_xor_b32_e32 v2, 0x80000000, v4
	v_and_b32_e32 v5, v3, v19
	s_delay_alu instid0(VALU_DEP_2) | instskip(NEXT) | instid1(VALU_DEP_1)
	v_and_b32_e32 v6, v2, v20
	v_cmp_eq_u64_e32 vcc_lo, v[5:6], v[21:22]
	s_and_b32 exec_lo, exec_lo, vcc_lo
	s_cbranch_execz .LBB49_295
; %bb.300:                              ;   in Loop: Header=BB49_296 Depth=2
	v_mov_b32_e32 v2, v14
	ds_store_b128 v14, v[1:4] offset:3072
	s_branch .LBB49_295
.LBB49_301:                             ;   in Loop: Header=BB49_6 Depth=1
	s_set_inst_prefetch_distance 0x2
	s_or_b32 exec_lo, exec_lo, s28
	s_delay_alu instid0(SALU_CYCLE_1)
	s_and_b32 s90, s27, exec_lo
.LBB49_302:                             ;   in Loop: Header=BB49_6 Depth=1
	s_or_b32 exec_lo, exec_lo, s24
	s_mov_b32 s27, 0
	s_mov_b32 s24, -1
	s_mov_b32 s28, 0
.LBB49_303:                             ;   in Loop: Header=BB49_6 Depth=1
	s_or_not1_b32 s10, s90, exec_lo
.LBB49_304:                             ;   in Loop: Header=BB49_6 Depth=1
	s_or_b32 exec_lo, exec_lo, s29
	s_mov_b32 s90, 0
                                        ; implicit-def: $vgpr2
	s_and_saveexec_b32 s29, s10
	s_cbranch_execz .LBB49_397
; %bb.305:                              ;   in Loop: Header=BB49_6 Depth=1
	v_dual_mov_b32 v7, 1 :: v_dual_mov_b32 v2, 1
	s_xor_b32 s89, s89, -1
	s_mov_b32 s91, 0
	s_and_saveexec_b32 s10, s89
	s_cbranch_execz .LBB49_315
; %bb.306:                              ;   in Loop: Header=BB49_6 Depth=1
	s_mov_b32 s90, exec_lo
                                        ; implicit-def: $sgpr91
                                        ; implicit-def: $sgpr89
	v_cmpx_ge_u32_e64 s20, v41
	s_xor_b32 s90, exec_lo, s90
	s_cbranch_execz .LBB49_312
; %bb.307:                              ;   in Loop: Header=BB49_6 Depth=1
	ds_load_b32 v2, v14 offset:4096
	s_waitcnt lgkmcnt(0)
	v_cmp_ne_u32_e32 vcc_lo, 0, v2
	s_cbranch_vccnz .LBB49_311
; %bb.308:                              ;   in Loop: Header=BB49_6 Depth=1
	s_and_saveexec_b32 s89, s5
	s_cbranch_execz .LBB49_310
; %bb.309:                              ;   in Loop: Header=BB49_6 Depth=1
	v_mov_b32_e32 v2, s20
	ds_store_b32 v14, v2 offset:4100
.LBB49_310:                             ;   in Loop: Header=BB49_6 Depth=1
	s_or_b32 exec_lo, exec_lo, s89
	s_waitcnt lgkmcnt(0)
	s_barrier
	buffer_gl0_inv
.LBB49_311:                             ;   in Loop: Header=BB49_6 Depth=1
	v_and_b32_e32 v2, s15, v22
	v_and_b32_e32 v3, s14, v21
	s_lshl_b64 s[92:93], 2, s19
	v_or_b32_e32 v20, s13, v20
	v_or_b32_e32 v19, s12, v19
	;; [unrolled: 1-line block ×4, first 2 shown]
	s_mov_b32 s89, 0
	s_mov_b32 s91, 5
.LBB49_312:                             ;   in Loop: Header=BB49_6 Depth=1
	s_or_saveexec_b32 s90, s90
	v_mov_b32_e32 v2, s91
	s_xor_b32 exec_lo, exec_lo, s90
; %bb.313:                              ;   in Loop: Header=BB49_6 Depth=1
	v_subrev_nc_u32_e32 v41, s20, v41
	v_mov_b32_e32 v2, 0
	s_or_b32 s89, s89, exec_lo
; %bb.314:                              ;   in Loop: Header=BB49_6 Depth=1
	s_or_b32 exec_lo, exec_lo, s90
	s_delay_alu instid0(VALU_DEP_2)
	v_mov_b32_e32 v7, v41
	s_and_b32 s91, s89, exec_lo
.LBB49_315:                             ;   in Loop: Header=BB49_6 Depth=1
	s_or_b32 exec_lo, exec_lo, s10
	s_mov_b32 s10, -1
                                        ; implicit-def: $sgpr89
                                        ; implicit-def: $sgpr90
                                        ; implicit-def: $sgpr92
	s_and_saveexec_b32 s20, s91
	s_cbranch_execz .LBB49_396
; %bb.316:                              ;   in Loop: Header=BB49_6 Depth=1
	v_cmp_eq_u32_e32 vcc_lo, 1, v7
	s_cmp_eq_u32 s18, 1
                                        ; implicit-def: $sgpr89
                                        ; implicit-def: $sgpr90
                                        ; implicit-def: $sgpr91
	s_cselect_b32 s10, -1, 0
	s_delay_alu instid0(SALU_CYCLE_1)
	s_and_b32 s93, s10, vcc_lo
	s_mov_b32 s10, -1
	s_and_saveexec_b32 s92, s93
	s_cbranch_execz .LBB49_342
; %bb.317:                              ;   in Loop: Header=BB49_6 Depth=1
	ds_load_b32 v2, v14 offset:4096
	s_waitcnt lgkmcnt(0)
	s_barrier
	buffer_gl0_inv
	v_readfirstlane_b32 s10, v2
	s_and_saveexec_b32 s89, s6
	s_cbranch_execz .LBB49_319
; %bb.318:                              ;   in Loop: Header=BB49_6 Depth=1
	v_mov_b32_e32 v13, v14
	ds_store_b64 v33, v[13:14]
.LBB49_319:                             ;   in Loop: Header=BB49_6 Depth=1
	s_or_b32 exec_lo, exec_lo, s89
	v_and_b32_e32 v2, s15, v22
	v_and_b32_e32 v3, s14, v21
	s_lshl_b64 s[90:91], 1, s19
	v_or_b32_e32 v20, s13, v20
	v_or_b32_e32 v19, s12, v19
	;; [unrolled: 1-line block ×4, first 2 shown]
	s_cmp_eq_u32 s10, 0
	s_waitcnt lgkmcnt(0)
	s_barrier
	buffer_gl0_inv
	s_cbranch_scc1 .LBB49_328
; %bb.320:                              ;   in Loop: Header=BB49_6 Depth=1
	s_add_i32 s89, s10, s65
	s_mov_b32 s94, 0
	s_mul_hi_u32 s90, s89, s72
                                        ; implicit-def: $vgpr5_vgpr6
	s_delay_alu instid0(SALU_CYCLE_1) | instskip(NEXT) | instid1(SALU_CYCLE_1)
	s_mul_i32 s90, s90, s47
	s_sub_i32 s90, s89, s90
	s_delay_alu instid0(SALU_CYCLE_1) | instskip(SKIP_2) | instid1(SALU_CYCLE_1)
	s_sub_i32 s91, s90, s47
	s_cmp_ge_u32 s90, s47
	s_cselect_b32 s90, s91, s90
	s_sub_i32 s91, s90, s47
	s_cmp_ge_u32 s90, s47
	s_cselect_b32 s90, s91, s90
	s_delay_alu instid0(SALU_CYCLE_1)
	s_sub_i32 s90, s89, s90
	s_mov_b32 s89, exec_lo
	v_cmpx_gt_u32_e64 s90, v0
	s_cbranch_execz .LBB49_330
; %bb.321:                              ;   in Loop: Header=BB49_6 Depth=1
	v_mov_b32_e32 v8, v32
	v_mov_b32_e32 v9, v0
                                        ; implicit-def: $sgpr91
	s_set_inst_prefetch_distance 0x1
	s_branch .LBB49_323
	.p2align	6
.LBB49_322:                             ;   in Loop: Header=BB49_323 Depth=2
	s_or_b32 exec_lo, exec_lo, s95
	s_waitcnt lgkmcnt(0)
	s_barrier
	buffer_gl0_inv
	ds_load_b128 v[3:6], v14 offset:3072
	v_add_nc_u32_e32 v9, s47, v9
	v_add_nc_u32_e32 v8, s76, v8
	s_waitcnt lgkmcnt(0)
	s_barrier
	buffer_gl0_inv
	v_cmp_le_u32_e32 vcc_lo, s90, v9
	v_readfirstlane_b32 s97, v4
	v_readfirstlane_b32 s96, v3
	s_delay_alu instid0(VALU_DEP_1) | instskip(SKIP_1) | instid1(SALU_CYCLE_1)
	s_cmp_lg_u64 s[96:97], 0
	s_cselect_b32 s95, -1, 0
	s_or_b32 s96, vcc_lo, s95
	s_delay_alu instid0(SALU_CYCLE_1) | instskip(NEXT) | instid1(SALU_CYCLE_1)
	s_and_b32 s96, exec_lo, s96
	s_or_b32 s94, s96, s94
	s_and_not1_b32 s91, s91, exec_lo
	s_and_b32 s95, s95, exec_lo
	s_delay_alu instid0(SALU_CYCLE_1)
	s_or_b32 s91, s91, s95
	s_and_not1_b32 exec_lo, exec_lo, s94
	s_cbranch_execz .LBB49_329
.LBB49_323:                             ;   Parent Loop BB49_6 Depth=1
                                        ; =>  This Inner Loop Header: Depth=2
	v_mov_b32_e32 v3, 0
	v_mov_b32_e32 v4, 0
	v_cmp_gt_u32_e32 vcc_lo, s10, v9
	s_and_saveexec_b32 s95, vcc_lo
	s_cbranch_execz .LBB49_325
; %bb.324:                              ;   in Loop: Header=BB49_323 Depth=2
	ds_load_b64 v[3:4], v8
.LBB49_325:                             ;   in Loop: Header=BB49_323 Depth=2
	s_or_b32 exec_lo, exec_lo, s95
	s_and_saveexec_b32 s95, vcc_lo
	s_cbranch_execz .LBB49_322
; %bb.326:                              ;   in Loop: Header=BB49_323 Depth=2
	s_waitcnt lgkmcnt(0)
	v_xor_b32_e32 v2, 0x80000000, v4
	v_and_b32_e32 v5, v3, v19
	s_delay_alu instid0(VALU_DEP_2) | instskip(NEXT) | instid1(VALU_DEP_1)
	v_and_b32_e32 v6, v2, v20
	v_cmp_eq_u64_e32 vcc_lo, v[5:6], v[21:22]
	s_and_b32 exec_lo, exec_lo, vcc_lo
	s_cbranch_execz .LBB49_322
; %bb.327:                              ;   in Loop: Header=BB49_323 Depth=2
	v_mov_b32_e32 v2, v14
	ds_store_b128 v14, v[1:4] offset:3072
	s_branch .LBB49_322
.LBB49_328:                             ;   in Loop: Header=BB49_6 Depth=1
	s_mov_b32 s89, -1
	s_mov_b32 s94, 0
                                        ; implicit-def: $sgpr90
                                        ; implicit-def: $vgpr5_vgpr6
	s_mov_b32 s91, s89
	s_cbranch_execnz .LBB49_331
	s_branch .LBB49_341
.LBB49_329:                             ;   in Loop: Header=BB49_6 Depth=1
	s_set_inst_prefetch_distance 0x2
	s_or_b32 exec_lo, exec_lo, s94
	s_delay_alu instid0(SALU_CYCLE_1)
	s_and_b32 s94, s91, exec_lo
.LBB49_330:                             ;   in Loop: Header=BB49_6 Depth=1
	s_or_b32 exec_lo, exec_lo, s89
	s_mov_b32 s89, 0
	s_mov_b32 s90, -1
	s_mov_b32 s91, s89
	s_branch .LBB49_341
.LBB49_331:                             ;   in Loop: Header=BB49_6 Depth=1
	s_mov_b32 s94, 0
                                        ; implicit-def: $vgpr5_vgpr6
	s_and_saveexec_b32 s89, s9
	s_cbranch_execz .LBB49_340
; %bb.332:                              ;   in Loop: Header=BB49_6 Depth=1
	v_dual_mov_b32 v13, v15 :: v_dual_mov_b32 v8, v0
	s_mov_b32 s91, 0
                                        ; implicit-def: $sgpr90
	s_set_inst_prefetch_distance 0x1
	s_branch .LBB49_334
	.p2align	6
.LBB49_333:                             ;   in Loop: Header=BB49_334 Depth=2
	s_or_b32 exec_lo, exec_lo, s10
	s_waitcnt vmcnt(0) lgkmcnt(0)
	s_barrier
	buffer_gl0_inv
	ds_load_b128 v[3:6], v14 offset:3072
	v_add_nc_u32_e32 v8, s47, v8
	v_add_nc_u32_e32 v13, s53, v13
	s_waitcnt lgkmcnt(0)
	s_barrier
	buffer_gl0_inv
	v_cmp_le_u32_e32 vcc_lo, s73, v8
	v_readfirstlane_b32 s95, v4
	v_readfirstlane_b32 s94, v3
	s_delay_alu instid0(VALU_DEP_1) | instskip(SKIP_1) | instid1(SALU_CYCLE_1)
	s_cmp_lg_u64 s[94:95], 0
	s_cselect_b32 s10, -1, 0
	s_or_b32 s94, vcc_lo, s10
	s_delay_alu instid0(SALU_CYCLE_1) | instskip(NEXT) | instid1(SALU_CYCLE_1)
	s_and_b32 s94, exec_lo, s94
	s_or_b32 s91, s94, s91
	s_and_not1_b32 s90, s90, exec_lo
	s_and_b32 s10, s10, exec_lo
	s_delay_alu instid0(SALU_CYCLE_1)
	s_or_b32 s90, s90, s10
	s_and_not1_b32 exec_lo, exec_lo, s91
	s_cbranch_execz .LBB49_339
.LBB49_334:                             ;   Parent Loop BB49_6 Depth=1
                                        ; =>  This Inner Loop Header: Depth=2
	v_mov_b32_e32 v3, 0
	v_mov_b32_e32 v4, 0
	v_cmp_gt_u32_e32 vcc_lo, s36, v8
	s_and_saveexec_b32 s94, vcc_lo
	s_cbranch_execz .LBB49_336
; %bb.335:                              ;   in Loop: Header=BB49_334 Depth=2
	v_lshlrev_b64 v[2:3], 3, v[13:14]
	s_delay_alu instid0(VALU_DEP_1) | instskip(NEXT) | instid1(VALU_DEP_1)
	v_add_co_u32 v2, s10, s33, v2
	v_add_co_ci_u32_e64 v3, s10, s43, v3, s10
	global_load_b64 v[3:4], v[2:3], off
.LBB49_336:                             ;   in Loop: Header=BB49_334 Depth=2
	s_or_b32 exec_lo, exec_lo, s94
	s_and_saveexec_b32 s10, vcc_lo
	s_cbranch_execz .LBB49_333
; %bb.337:                              ;   in Loop: Header=BB49_334 Depth=2
	s_waitcnt vmcnt(0)
	v_xor_b32_e32 v2, 0x80000000, v4
	v_and_b32_e32 v5, v3, v19
	s_delay_alu instid0(VALU_DEP_2) | instskip(NEXT) | instid1(VALU_DEP_1)
	v_and_b32_e32 v6, v2, v20
	v_cmp_eq_u64_e32 vcc_lo, v[5:6], v[21:22]
	s_and_b32 exec_lo, exec_lo, vcc_lo
	s_cbranch_execz .LBB49_333
; %bb.338:                              ;   in Loop: Header=BB49_334 Depth=2
	v_mov_b32_e32 v2, v14
	ds_store_b128 v14, v[1:4] offset:3072
	s_branch .LBB49_333
.LBB49_339:                             ;   in Loop: Header=BB49_6 Depth=1
	s_set_inst_prefetch_distance 0x2
	s_or_b32 exec_lo, exec_lo, s91
	s_delay_alu instid0(SALU_CYCLE_1)
	s_and_b32 s94, s90, exec_lo
.LBB49_340:                             ;   in Loop: Header=BB49_6 Depth=1
	s_or_b32 exec_lo, exec_lo, s89
	s_mov_b32 s90, 0
	s_mov_b32 s89, -1
	s_mov_b32 s91, 0
.LBB49_341:                             ;   in Loop: Header=BB49_6 Depth=1
	s_or_not1_b32 s10, s94, exec_lo
.LBB49_342:                             ;   in Loop: Header=BB49_6 Depth=1
	s_or_b32 exec_lo, exec_lo, s92
	s_mov_b32 s94, 0
                                        ; implicit-def: $vgpr2
	s_and_saveexec_b32 s92, s10
	s_cbranch_execz .LBB49_395
; %bb.343:                              ;   in Loop: Header=BB49_6 Depth=1
	v_mov_b32_e32 v8, 1
	v_mov_b32_e32 v2, 1
	s_xor_b32 s94, s93, -1
	s_mov_b32 s93, 0
	s_and_saveexec_b32 s10, s94
	s_cbranch_execz .LBB49_353
; %bb.344:                              ;   in Loop: Header=BB49_6 Depth=1
	s_mov_b32 s94, exec_lo
                                        ; implicit-def: $sgpr95
                                        ; implicit-def: $sgpr93
	v_cmpx_ge_u32_e64 s18, v7
	s_xor_b32 s94, exec_lo, s94
	s_cbranch_execz .LBB49_350
; %bb.345:                              ;   in Loop: Header=BB49_6 Depth=1
	ds_load_b32 v2, v14 offset:4096
	s_waitcnt lgkmcnt(0)
	v_cmp_ne_u32_e32 vcc_lo, 0, v2
	s_cbranch_vccnz .LBB49_349
; %bb.346:                              ;   in Loop: Header=BB49_6 Depth=1
	s_and_saveexec_b32 s93, s5
	s_cbranch_execz .LBB49_348
; %bb.347:                              ;   in Loop: Header=BB49_6 Depth=1
	v_mov_b32_e32 v2, s18
	ds_store_b32 v14, v2 offset:4100
.LBB49_348:                             ;   in Loop: Header=BB49_6 Depth=1
	s_or_b32 exec_lo, exec_lo, s93
	s_waitcnt lgkmcnt(0)
	s_barrier
	buffer_gl0_inv
.LBB49_349:                             ;   in Loop: Header=BB49_6 Depth=1
	v_and_b32_e32 v2, s15, v22
	v_and_b32_e32 v3, s14, v21
	s_lshl_b64 s[96:97], 1, s19
	v_or_b32_e32 v20, s13, v20
	v_or_b32_e32 v19, s12, v19
	;; [unrolled: 1-line block ×4, first 2 shown]
	s_mov_b32 s93, 0
	s_mov_b32 s95, 5
.LBB49_350:                             ;   in Loop: Header=BB49_6 Depth=1
	s_or_saveexec_b32 s19, s94
	v_mov_b32_e32 v2, s95
	s_xor_b32 exec_lo, exec_lo, s19
; %bb.351:                              ;   in Loop: Header=BB49_6 Depth=1
	v_subrev_nc_u32_e32 v7, s18, v7
	v_mov_b32_e32 v2, 0
	s_or_b32 s93, s93, exec_lo
; %bb.352:                              ;   in Loop: Header=BB49_6 Depth=1
	s_or_b32 exec_lo, exec_lo, s19
	s_delay_alu instid0(VALU_DEP_2)
	v_mov_b32_e32 v8, v7
	s_and_b32 s93, s93, exec_lo
.LBB49_353:                             ;   in Loop: Header=BB49_6 Depth=1
	s_or_b32 exec_lo, exec_lo, s10
	s_mov_b32 s19, -1
                                        ; implicit-def: $sgpr10
                                        ; implicit-def: $sgpr94
                                        ; implicit-def: $sgpr95
	s_and_saveexec_b32 s18, s93
	s_cbranch_execz .LBB49_394
; %bb.354:                              ;   in Loop: Header=BB49_6 Depth=1
	v_cmp_eq_u32_e32 vcc_lo, 1, v8
	s_cmp_eq_u32 s16, 1
	s_mov_b32 s96, -1
	s_cselect_b32 s10, -1, 0
                                        ; implicit-def: $sgpr94
                                        ; implicit-def: $sgpr95
	s_delay_alu instid0(SALU_CYCLE_1) | instskip(NEXT) | instid1(SALU_CYCLE_1)
	s_and_b32 s19, s10, vcc_lo
                                        ; implicit-def: $sgpr10
	s_and_saveexec_b32 s93, s19
	s_cbranch_execz .LBB49_381
; %bb.355:                              ;   in Loop: Header=BB49_6 Depth=1
	ds_load_b32 v2, v14 offset:4096
	s_waitcnt lgkmcnt(0)
	s_barrier
	buffer_gl0_inv
	v_readfirstlane_b32 s10, v2
	s_and_saveexec_b32 s94, s6
	s_cbranch_execz .LBB49_357
; %bb.356:                              ;   in Loop: Header=BB49_6 Depth=1
	v_mov_b32_e32 v13, v14
	ds_store_b64 v33, v[13:14]
.LBB49_357:                             ;   in Loop: Header=BB49_6 Depth=1
	s_or_b32 exec_lo, exec_lo, s94
	v_and_b32_e32 v22, s15, v22
	v_and_b32_e32 v21, s14, v21
	v_or_b32_e32 v20, s13, v20
	v_or_b32_e32 v19, s12, v19
	s_cmp_eq_u32 s10, 0
	s_waitcnt lgkmcnt(0)
	s_barrier
	buffer_gl0_inv
	s_cbranch_scc1 .LBB49_366
; %bb.358:                              ;   in Loop: Header=BB49_6 Depth=1
	s_add_i32 s94, s10, s65
                                        ; implicit-def: $vgpr5_vgpr6
	s_delay_alu instid0(SALU_CYCLE_1) | instskip(NEXT) | instid1(SALU_CYCLE_1)
	s_mul_hi_u32 s95, s94, s72
	s_mul_i32 s95, s95, s47
	s_delay_alu instid0(SALU_CYCLE_1) | instskip(NEXT) | instid1(SALU_CYCLE_1)
	s_sub_i32 s95, s94, s95
	s_sub_i32 s96, s95, s47
	s_cmp_ge_u32 s95, s47
	s_cselect_b32 s95, s96, s95
	s_delay_alu instid0(SALU_CYCLE_1)
	s_sub_i32 s96, s95, s47
	s_cmp_ge_u32 s95, s47
	s_cselect_b32 s95, s96, s95
	s_mov_b32 s96, 0
	s_sub_i32 s95, s94, s95
	s_mov_b32 s94, exec_lo
	v_cmpx_gt_u32_e64 s95, v0
	s_cbranch_execz .LBB49_368
; %bb.359:                              ;   in Loop: Header=BB49_6 Depth=1
	v_mov_b32_e32 v7, v32
	v_mov_b32_e32 v9, v0
	s_mov_b32 s97, 0
                                        ; implicit-def: $sgpr96
	s_set_inst_prefetch_distance 0x1
	s_branch .LBB49_361
	.p2align	6
.LBB49_360:                             ;   in Loop: Header=BB49_361 Depth=2
	s_or_b32 exec_lo, exec_lo, s98
	s_waitcnt lgkmcnt(0)
	s_barrier
	buffer_gl0_inv
	ds_load_b128 v[3:6], v14 offset:3072
	v_add_nc_u32_e32 v9, s47, v9
	v_add_nc_u32_e32 v7, s76, v7
	s_waitcnt lgkmcnt(0)
	s_barrier
	buffer_gl0_inv
	v_cmp_le_u32_e32 vcc_lo, s95, v9
	v_readfirstlane_b32 s99, v4
	v_readfirstlane_b32 s98, v3
	s_delay_alu instid0(VALU_DEP_1) | instskip(SKIP_1) | instid1(SALU_CYCLE_1)
	s_cmp_lg_u64 s[98:99], 0
	s_cselect_b32 s98, -1, 0
	s_or_b32 s99, vcc_lo, s98
	s_delay_alu instid0(SALU_CYCLE_1) | instskip(NEXT) | instid1(SALU_CYCLE_1)
	s_and_b32 s99, exec_lo, s99
	s_or_b32 s97, s99, s97
	s_and_not1_b32 s96, s96, exec_lo
	s_and_b32 s98, s98, exec_lo
	s_delay_alu instid0(SALU_CYCLE_1)
	s_or_b32 s96, s96, s98
	s_and_not1_b32 exec_lo, exec_lo, s97
	s_cbranch_execz .LBB49_367
.LBB49_361:                             ;   Parent Loop BB49_6 Depth=1
                                        ; =>  This Inner Loop Header: Depth=2
	v_mov_b32_e32 v3, 0
	v_mov_b32_e32 v4, 0
	v_cmp_gt_u32_e32 vcc_lo, s10, v9
	s_and_saveexec_b32 s98, vcc_lo
	s_cbranch_execz .LBB49_363
; %bb.362:                              ;   in Loop: Header=BB49_361 Depth=2
	ds_load_b64 v[3:4], v7
.LBB49_363:                             ;   in Loop: Header=BB49_361 Depth=2
	s_or_b32 exec_lo, exec_lo, s98
	s_and_saveexec_b32 s98, vcc_lo
	s_cbranch_execz .LBB49_360
; %bb.364:                              ;   in Loop: Header=BB49_361 Depth=2
	s_waitcnt lgkmcnt(0)
	v_xor_b32_e32 v2, 0x80000000, v4
	v_and_b32_e32 v5, v3, v19
	s_delay_alu instid0(VALU_DEP_2) | instskip(NEXT) | instid1(VALU_DEP_1)
	v_and_b32_e32 v6, v2, v20
	v_cmp_eq_u64_e32 vcc_lo, v[5:6], v[21:22]
	s_and_b32 exec_lo, exec_lo, vcc_lo
	s_cbranch_execz .LBB49_360
; %bb.365:                              ;   in Loop: Header=BB49_361 Depth=2
	v_mov_b32_e32 v2, v14
	ds_store_b128 v14, v[1:4] offset:3072
	s_branch .LBB49_360
.LBB49_366:                             ;   in Loop: Header=BB49_6 Depth=1
	s_mov_b32 s10, -1
	s_mov_b32 s96, 0
                                        ; implicit-def: $sgpr94
                                        ; implicit-def: $vgpr5_vgpr6
	s_branch .LBB49_369
.LBB49_367:                             ;   in Loop: Header=BB49_6 Depth=1
	s_set_inst_prefetch_distance 0x2
	s_or_b32 exec_lo, exec_lo, s97
	s_delay_alu instid0(SALU_CYCLE_1)
	s_and_b32 s96, s96, exec_lo
.LBB49_368:                             ;   in Loop: Header=BB49_6 Depth=1
	s_or_b32 exec_lo, exec_lo, s94
	s_mov_b32 s10, 0
	s_mov_b32 s94, -1
.LBB49_369:                             ;   in Loop: Header=BB49_6 Depth=1
	s_and_b32 vcc_lo, exec_lo, s10
	s_mov_b32 s95, s10
	s_cbranch_vccz .LBB49_380
; %bb.370:                              ;   in Loop: Header=BB49_6 Depth=1
	s_mov_b32 s96, 0
                                        ; implicit-def: $vgpr5_vgpr6
	s_and_saveexec_b32 s94, s9
	s_cbranch_execz .LBB49_379
; %bb.371:                              ;   in Loop: Header=BB49_6 Depth=1
	v_mov_b32_e32 v13, v15
	v_mov_b32_e32 v7, v0
                                        ; implicit-def: $sgpr95
	s_set_inst_prefetch_distance 0x1
	s_branch .LBB49_373
	.p2align	6
.LBB49_372:                             ;   in Loop: Header=BB49_373 Depth=2
	s_or_b32 exec_lo, exec_lo, s10
	s_waitcnt vmcnt(0) lgkmcnt(0)
	s_barrier
	buffer_gl0_inv
	ds_load_b128 v[3:6], v14 offset:3072
	v_add_nc_u32_e32 v7, s47, v7
	v_add_nc_u32_e32 v13, s53, v13
	s_waitcnt lgkmcnt(0)
	s_barrier
	buffer_gl0_inv
	v_cmp_le_u32_e32 vcc_lo, s73, v7
	v_readfirstlane_b32 s99, v4
	v_readfirstlane_b32 s98, v3
	s_delay_alu instid0(VALU_DEP_1) | instskip(SKIP_1) | instid1(SALU_CYCLE_1)
	s_cmp_lg_u64 s[98:99], 0
	s_cselect_b32 s10, -1, 0
	s_or_b32 s97, vcc_lo, s10
	s_delay_alu instid0(SALU_CYCLE_1) | instskip(NEXT) | instid1(SALU_CYCLE_1)
	s_and_b32 s97, exec_lo, s97
	s_or_b32 s96, s97, s96
	s_and_not1_b32 s95, s95, exec_lo
	s_and_b32 s10, s10, exec_lo
	s_delay_alu instid0(SALU_CYCLE_1)
	s_or_b32 s95, s95, s10
	s_and_not1_b32 exec_lo, exec_lo, s96
	s_cbranch_execz .LBB49_378
.LBB49_373:                             ;   Parent Loop BB49_6 Depth=1
                                        ; =>  This Inner Loop Header: Depth=2
	v_mov_b32_e32 v3, 0
	v_mov_b32_e32 v4, 0
	v_cmp_gt_u32_e32 vcc_lo, s36, v7
	s_and_saveexec_b32 s97, vcc_lo
	s_cbranch_execz .LBB49_375
; %bb.374:                              ;   in Loop: Header=BB49_373 Depth=2
	v_lshlrev_b64 v[2:3], 3, v[13:14]
	s_delay_alu instid0(VALU_DEP_1) | instskip(NEXT) | instid1(VALU_DEP_1)
	v_add_co_u32 v2, s10, s33, v2
	v_add_co_ci_u32_e64 v3, s10, s43, v3, s10
	global_load_b64 v[3:4], v[2:3], off
.LBB49_375:                             ;   in Loop: Header=BB49_373 Depth=2
	s_or_b32 exec_lo, exec_lo, s97
	s_and_saveexec_b32 s10, vcc_lo
	s_cbranch_execz .LBB49_372
; %bb.376:                              ;   in Loop: Header=BB49_373 Depth=2
	s_waitcnt vmcnt(0)
	v_xor_b32_e32 v2, 0x80000000, v4
	v_and_b32_e32 v5, v3, v19
	s_delay_alu instid0(VALU_DEP_2) | instskip(NEXT) | instid1(VALU_DEP_1)
	v_and_b32_e32 v6, v2, v20
	v_cmp_eq_u64_e32 vcc_lo, v[5:6], v[21:22]
	s_and_b32 exec_lo, exec_lo, vcc_lo
	s_cbranch_execz .LBB49_372
; %bb.377:                              ;   in Loop: Header=BB49_373 Depth=2
	v_mov_b32_e32 v2, v14
	ds_store_b128 v14, v[1:4] offset:3072
	s_branch .LBB49_372
.LBB49_378:                             ;   in Loop: Header=BB49_6 Depth=1
	s_set_inst_prefetch_distance 0x2
	s_or_b32 exec_lo, exec_lo, s96
	s_delay_alu instid0(SALU_CYCLE_1)
	s_and_b32 s96, s95, exec_lo
.LBB49_379:                             ;   in Loop: Header=BB49_6 Depth=1
	s_or_b32 exec_lo, exec_lo, s94
	s_mov_b32 s94, 0
	s_mov_b32 s10, -1
	s_mov_b32 s95, 0
.LBB49_380:                             ;   in Loop: Header=BB49_6 Depth=1
	s_or_not1_b32 s96, s96, exec_lo
.LBB49_381:                             ;   in Loop: Header=BB49_6 Depth=1
	s_or_b32 exec_lo, exec_lo, s93
	s_mov_b32 s97, 0
                                        ; implicit-def: $vgpr2
                                        ; implicit-def: $vgpr3
	s_and_saveexec_b32 s93, s96
	s_cbranch_execz .LBB49_393
; %bb.382:                              ;   in Loop: Header=BB49_6 Depth=1
	v_dual_mov_b32 v2, 1 :: v_dual_mov_b32 v3, 1
	s_xor_b32 s96, s19, -1
	s_delay_alu instid0(SALU_CYCLE_1)
	s_and_saveexec_b32 s19, s96
	s_cbranch_execz .LBB49_392
; %bb.383:                              ;   in Loop: Header=BB49_6 Depth=1
	s_mov_b32 s96, exec_lo
                                        ; implicit-def: $sgpr97
	v_cmpx_ge_u32_e64 s16, v8
	s_xor_b32 s96, exec_lo, s96
	s_cbranch_execz .LBB49_389
; %bb.384:                              ;   in Loop: Header=BB49_6 Depth=1
	ds_load_b32 v2, v14 offset:4096
	s_waitcnt lgkmcnt(0)
	v_cmp_ne_u32_e32 vcc_lo, 0, v2
	s_cbranch_vccnz .LBB49_388
; %bb.385:                              ;   in Loop: Header=BB49_6 Depth=1
	s_and_saveexec_b32 s97, s5
	s_cbranch_execz .LBB49_387
; %bb.386:                              ;   in Loop: Header=BB49_6 Depth=1
	v_mov_b32_e32 v2, s16
	ds_store_b32 v14, v2 offset:4100
.LBB49_387:                             ;   in Loop: Header=BB49_6 Depth=1
	s_or_b32 exec_lo, exec_lo, s97
	s_waitcnt lgkmcnt(0)
	s_barrier
	buffer_gl0_inv
.LBB49_388:                             ;   in Loop: Header=BB49_6 Depth=1
	v_and_b32_e32 v22, s15, v22
	v_and_b32_e32 v21, s14, v21
	v_or_b32_e32 v20, s13, v20
	v_or_b32_e32 v19, s12, v19
	s_mov_b32 s97, 5
.LBB49_389:                             ;   in Loop: Header=BB49_6 Depth=1
	s_or_saveexec_b32 s12, s96
	v_mov_b32_e32 v2, s97
	s_xor_b32 exec_lo, exec_lo, s12
; %bb.390:                              ;   in Loop: Header=BB49_6 Depth=1
	v_subrev_nc_u32_e32 v8, s16, v8
	v_mov_b32_e32 v2, 5
; %bb.391:                              ;   in Loop: Header=BB49_6 Depth=1
	s_or_b32 exec_lo, exec_lo, s12
	s_delay_alu instid0(VALU_DEP_2)
	v_mov_b32_e32 v3, v8
.LBB49_392:                             ;   in Loop: Header=BB49_6 Depth=1
	s_or_b32 exec_lo, exec_lo, s19
	s_delay_alu instid0(SALU_CYCLE_1)
	s_mov_b32 s97, exec_lo
.LBB49_393:                             ;   in Loop: Header=BB49_6 Depth=1
	s_or_b32 exec_lo, exec_lo, s93
	s_delay_alu instid0(VALU_DEP_1)
	v_mov_b32_e32 v8, v3
	s_or_not1_b32 s19, s97, exec_lo
.LBB49_394:                             ;   in Loop: Header=BB49_6 Depth=1
	s_or_b32 exec_lo, exec_lo, s18
	s_delay_alu instid0(SALU_CYCLE_1)
	s_and_not1_b32 s12, s89, exec_lo
	s_and_b32 s10, s10, exec_lo
	s_and_not1_b32 s13, s91, exec_lo
	s_or_b32 s89, s12, s10
	s_and_not1_b32 s10, s90, exec_lo
	s_and_b32 s12, s94, exec_lo
	s_and_b32 s14, s95, exec_lo
	v_mov_b32_e32 v7, v8
	s_or_b32 s90, s10, s12
	s_or_b32 s91, s13, s14
	s_and_b32 s94, s19, exec_lo
.LBB49_395:                             ;   in Loop: Header=BB49_6 Depth=1
	s_or_b32 exec_lo, exec_lo, s92
	s_delay_alu instid0(SALU_CYCLE_1)
	s_and_b32 s92, s89, exec_lo
	s_and_b32 s90, s90, exec_lo
	;; [unrolled: 1-line block ×3, first 2 shown]
	s_or_not1_b32 s10, s94, exec_lo
.LBB49_396:                             ;   in Loop: Header=BB49_6 Depth=1
	s_or_b32 exec_lo, exec_lo, s20
	s_delay_alu instid0(SALU_CYCLE_1)
	s_and_not1_b32 s12, s24, exec_lo
	s_and_b32 s13, s92, exec_lo
	s_and_not1_b32 s14, s28, exec_lo
	s_or_b32 s24, s12, s13
	s_and_not1_b32 s12, s27, exec_lo
	s_and_b32 s13, s90, exec_lo
	s_and_b32 s15, s89, exec_lo
	v_mov_b32_e32 v41, v7
	s_or_b32 s27, s12, s13
	s_or_b32 s28, s14, s15
	s_and_b32 s90, s10, exec_lo
.LBB49_397:                             ;   in Loop: Header=BB49_6 Depth=1
	s_or_b32 exec_lo, exec_lo, s29
	s_delay_alu instid0(SALU_CYCLE_1)
	s_and_b32 s29, s24, exec_lo
	s_and_b32 s27, s27, exec_lo
	s_and_b32 s24, s28, exec_lo
	s_or_not1_b32 s28, s90, exec_lo
.LBB49_398:                             ;   in Loop: Header=BB49_6 Depth=1
	s_or_b32 exec_lo, exec_lo, s21
	s_mov_b32 s10, s22
	s_mov_b32 s12, s11
	s_and_saveexec_b32 s13, s28
; %bb.399:                              ;   in Loop: Header=BB49_6 Depth=1
	v_cmp_eq_u32_e32 vcc_lo, 5, v2
	v_cmp_ne_u32_e64 s10, 5, v2
	s_and_not1_b32 s12, s11, exec_lo
	s_and_not1_b32 s14, s22, exec_lo
	s_and_not1_b32 s29, s29, exec_lo
	s_and_b32 s15, vcc_lo, exec_lo
	s_and_b32 s10, s10, exec_lo
	s_and_not1_b32 s27, s27, exec_lo
	s_and_not1_b32 s24, s24, exec_lo
	s_or_b32 s12, s12, s10
	s_or_b32 s10, s14, s15
; %bb.400:                              ;   in Loop: Header=BB49_6 Depth=1
	s_or_b32 exec_lo, exec_lo, s13
	s_delay_alu instid0(SALU_CYCLE_1)
	s_and_not1_b32 s13, s25, exec_lo
	s_and_b32 s14, s29, exec_lo
	v_dual_mov_b32 v24, v22 :: v_dual_mov_b32 v23, v21
	s_or_b32 s25, s13, s14
	s_and_not1_b32 s13, s26, exec_lo
	s_and_b32 s14, s27, exec_lo
	v_dual_mov_b32 v26, v20 :: v_dual_mov_b32 v25, v19
	v_dual_mov_b32 v10, v6 :: v_dual_mov_b32 v9, v5
	s_and_not1_b32 s15, s17, exec_lo
	s_and_b32 s16, s24, exec_lo
	s_or_b32 s26, s13, s14
	s_and_not1_b32 s11, s11, exec_lo
	s_and_b32 s12, s12, exec_lo
	s_and_not1_b32 s13, s22, exec_lo
	s_and_b32 s10, s10, exec_lo
	s_or_b32 s17, s15, s16
	s_or_b32 s11, s11, s12
	;; [unrolled: 1-line block ×3, first 2 shown]
.LBB49_401:                             ;   in Loop: Header=BB49_6 Depth=1
	s_or_b32 exec_lo, exec_lo, s23
	s_mov_b32 s24, s17
	s_mov_b32 s23, s17
	s_and_saveexec_b32 s10, s22
.LBB49_402:                             ;   in Loop: Header=BB49_6 Depth=1
	v_mov_b32_e32 v2, 0
	s_and_not1_b32 s17, s17, exec_lo
	s_and_not1_b32 s25, s25, exec_lo
	;; [unrolled: 1-line block ×5, first 2 shown]
	s_or_b32 s11, s11, exec_lo
.LBB49_403:                             ;   in Loop: Header=BB49_6 Depth=1
	s_or_b32 exec_lo, exec_lo, s10
	s_delay_alu instid0(SALU_CYCLE_1)
	s_and_not1_b32 s10, s88, exec_lo
	s_and_b32 s13, s17, exec_lo
	s_and_not1_b32 s14, s85, exec_lo
	s_or_b32 s88, s10, s13
	s_and_not1_b32 s10, s87, exec_lo
	s_and_b32 s13, s25, exec_lo
	s_and_b32 s15, s26, exec_lo
	s_or_b32 s87, s10, s13
	s_or_b32 s85, s14, s15
	s_and_not1_b32 s10, s86, exec_lo
	s_and_b32 s13, s24, exec_lo
	s_and_not1_b32 s14, s84, exec_lo
	s_and_b32 s15, s23, exec_lo
	s_mov_b32 s12, -1
	s_or_b32 s86, s10, s13
	s_or_b32 s84, s14, s15
                                        ; implicit-def: $vgpr19_vgpr20
                                        ; implicit-def: $vgpr21_vgpr22
                                        ; implicit-def: $vgpr40
                                        ; implicit-def: $vgpr5_vgpr6
	s_and_saveexec_b32 s10, s11
	s_delay_alu instid0(SALU_CYCLE_1)
	s_xor_b32 s10, exec_lo, s10
	s_cbranch_execz .LBB49_5
; %bb.404:                              ;   in Loop: Header=BB49_6 Depth=1
	s_mov_b32 s11, -1
	s_mov_b32 s13, exec_lo
	v_cmpx_eq_u32_e32 0, v2
	s_cbranch_execz .LBB49_4
; %bb.405:                              ;   in Loop: Header=BB49_6 Depth=1
	s_xor_b32 s78, s78, 1
	s_add_i32 s14, s83, -2
	s_cmp_eq_u32 s83, 0
	s_mov_b32 s83, s14
	s_cselect_b32 s11, -1, 0
	s_xor_b32 s12, exec_lo, -1
	s_or_not1_b32 s11, s11, exec_lo
	s_branch .LBB49_4
.LBB49_406:
	s_or_b32 exec_lo, exec_lo, s55
	s_xor_b32 s7, s82, -1
	s_xor_b32 s12, s80, -1
	;; [unrolled: 1-line block ×5, first 2 shown]
	s_mov_b32 s9, 0
	s_and_saveexec_b32 s10, s8
	s_delay_alu instid0(SALU_CYCLE_1)
	s_xor_b32 s8, exec_lo, s10
	s_cbranch_execz .LBB49_463
; %bb.407:
	s_mov_b32 s10, 0
	s_and_saveexec_b32 s9, s11
	s_delay_alu instid0(SALU_CYCLE_1)
	s_xor_b32 s9, exec_lo, s9
	s_cbranch_execz .LBB49_461
; %bb.408:
	;; [unrolled: 6-line block ×4, first 2 shown]
	s_and_saveexec_b32 s7, s6
	s_delay_alu instid0(SALU_CYCLE_1)
	s_xor_b32 s6, exec_lo, s7
; %bb.411:
	v_xor_b32_e32 v24, 0x80000000, v24
	s_delay_alu instid0(VALU_DEP_1)
	v_dual_mov_b32 v9, v23 :: v_dual_mov_b32 v10, v24
; %bb.412:
	s_or_b32 exec_lo, exec_lo, s6
	s_and_saveexec_b32 s6, s5
	s_cbranch_execz .LBB49_414
; %bb.413:
	v_mov_b32_e32 v1, 0
	ds_store_b32 v1, v1 offset:4108
.LBB49_414:
	s_or_b32 exec_lo, exec_lo, s6
	v_mov_b32_e32 v3, 0
	v_mov_b32_e32 v4, 0
	s_waitcnt lgkmcnt(0)
	s_barrier
	buffer_gl0_inv
	s_and_saveexec_b32 s5, s4
	s_cbranch_execz .LBB49_416
; %bb.415:
	global_load_b64 v[3:4], v[11:12], off
.LBB49_416:
	s_or_b32 exec_lo, exec_lo, s5
	s_mul_i32 s7, s60, s50
	s_add_i32 s5, s36, 31
	s_mul_i32 s6, s57, s51
	s_sub_i32 s7, s57, s7
	s_and_not1_b32 s5, s5, 31
	s_sub_i32 s6, s56, s6
	s_add_i32 s12, s60, 1
	s_sub_i32 s13, s7, s50
	s_cmp_ge_u32 s7, s50
	s_mul_i32 s6, s6, s46
	s_cselect_b32 s12, s12, s60
	s_cselect_b32 s7, s13, s7
	s_add_i32 s13, s12, 1
	s_cmp_ge_u32 s7, s50
	v_add_nc_u32_e32 v1, s47, v0
	s_cselect_b32 s7, s13, s12
	s_mul_i32 s13, s58, s49
	s_mul_i32 s12, s7, s50
	;; [unrolled: 1-line block ×3, first 2 shown]
	s_sub_i32 s12, s57, s12
	v_mul_lo_u32 v2, s52, v1
	s_mul_i32 s12, s12, s45
	s_delay_alu instid0(SALU_CYCLE_1)
	s_add_i32 s6, s12, s6
	s_mul_i32 s12, s59, s48
	s_add_i32 s6, s6, s7
	s_sub_i32 s12, s58, s12
	s_sub_i32 s7, s56, s13
	s_add_i32 s13, s59, 1
	s_sub_i32 s14, s12, s48
	s_cmp_ge_u32 s12, s48
	s_mul_i32 s7, s7, s42
	s_cselect_b32 s13, s13, s59
	s_cselect_b32 s12, s14, s12
	s_add_i32 s14, s13, 1
	s_cmp_ge_u32 s12, s48
	s_cselect_b32 s13, s14, s13
	s_delay_alu instid0(SALU_CYCLE_1) | instskip(SKIP_2) | instid1(SALU_CYCLE_1)
	s_mul_i32 s12, s13, s48
	s_mul_i32 s13, s13, s40
	s_sub_i32 s12, s58, s12
	s_mul_i32 s14, s12, s41
	s_clause 0x1
	s_load_b32 s12, s[0:1], 0x1c8
	s_load_b32 s1, s[0:1], 0x2a8
	s_add_i32 s0, s14, s7
	s_mov_b32 s7, 0
	s_add_i32 s14, s0, s13
	s_lshl_b64 s[16:17], s[6:7], 3
	s_mov_b32 s15, s7
	s_add_u32 s6, s34, s16
	s_addc_u32 s13, s35, s17
	s_lshl_b64 s[14:15], s[14:15], 3
	s_mov_b32 s0, -1
	s_add_u32 s14, s30, s14
	s_addc_u32 s15, s31, s15
	s_mov_b32 s16, 0
	s_mov_b32 s17, exec_lo
	v_cmpx_gt_u32_e64 s5, v0
	s_cbranch_execz .LBB49_432
; %bb.417:
	v_mul_lo_u32 v7, s52, v1
	v_xor_b32_e32 v6, 0x80000000, v10
	v_dual_mov_b32 v5, v9 :: v_dual_mov_b32 v8, 0
	v_mov_b32_e32 v15, v0
                                        ; implicit-def: $sgpr18
                                        ; implicit-def: $vgpr17
	s_branch .LBB49_419
.LBB49_418:                             ;   in Loop: Header=BB49_419 Depth=1
	s_or_b32 exec_lo, exec_lo, s19
	s_xor_b32 s19, s21, -1
	s_and_b32 s0, exec_lo, s0
	v_dual_mov_b32 v3, v13 :: v_dual_mov_b32 v4, v14
	s_or_b32 s16, s0, s16
	v_mov_b32_e32 v15, v1
	s_and_not1_b32 s0, s18, exec_lo
	s_and_b32 s18, s19, exec_lo
	s_delay_alu instid0(SALU_CYCLE_1)
	s_or_b32 s18, s0, s18
	s_and_not1_b32 exec_lo, exec_lo, s16
	s_cbranch_execz .LBB49_431
.LBB49_419:                             ; =>This Inner Loop Header: Depth=1
	v_mov_b32_e32 v13, 0
	s_delay_alu instid0(VALU_DEP_2) | instskip(SKIP_1) | instid1(VALU_DEP_1)
	v_dual_mov_b32 v14, 0 :: v_dual_add_nc_u32 v1, s47, v15
	s_mov_b32 s0, exec_lo
	v_cmpx_gt_u32_e64 s36, v1
	s_cbranch_execz .LBB49_421
; %bb.420:                              ;   in Loop: Header=BB49_419 Depth=1
	v_lshlrev_b64 v[13:14], 3, v[7:8]
	s_delay_alu instid0(VALU_DEP_1) | instskip(NEXT) | instid1(VALU_DEP_2)
	v_add_co_u32 v13, vcc_lo, s33, v13
	v_add_co_ci_u32_e32 v14, vcc_lo, s43, v14, vcc_lo
	global_load_b64 v[13:14], v[13:14], off
.LBB49_421:                             ;   in Loop: Header=BB49_419 Depth=1
	s_or_b32 exec_lo, exec_lo, s0
	s_waitcnt vmcnt(0)
	v_xor_b32_e32 v19, 0x80000000, v4
	v_mov_b32_e32 v18, v3
	s_delay_alu instid0(VALU_DEP_1) | instskip(SKIP_4) | instid1(VALU_DEP_2)
	v_cmp_gt_u64_e32 vcc_lo, v[18:19], v[5:6]
	v_cndmask_b32_e64 v16, 0, 1, vcc_lo
	v_cmp_lt_u64_e32 vcc_lo, v[18:19], v[5:6]
	v_cndmask_b32_e64 v18, 0, 1, vcc_lo
	v_cmp_gt_u32_e32 vcc_lo, s36, v15
	v_cndmask_b32_e64 v16, v18, v16, s3
	s_delay_alu instid0(VALU_DEP_1) | instskip(NEXT) | instid1(VALU_DEP_1)
	v_and_b32_e32 v16, 1, v16
	v_cmp_eq_u32_e64 s0, 1, v16
	s_delay_alu instid0(VALU_DEP_1) | instskip(NEXT) | instid1(SALU_CYCLE_1)
	s_and_b32 s20, vcc_lo, s0
	v_cndmask_b32_e64 v16, 0, 1, s20
	s_delay_alu instid0(VALU_DEP_1) | instskip(SKIP_2) | instid1(SALU_CYCLE_1)
	v_cmp_ne_u32_e32 vcc_lo, 0, v16
	s_cmp_lg_u32 vcc_lo, 0
	s_cselect_b32 s0, -1, 0
	s_and_b32 s0, s2, s0
	s_delay_alu instid0(SALU_CYCLE_1)
	s_and_saveexec_b32 s19, s0
	s_cbranch_execz .LBB49_425
; %bb.422:                              ;   in Loop: Header=BB49_419 Depth=1
	s_mov_b32 s23, exec_lo
	s_bcnt1_i32_b32 s21, vcc_lo
	v_mbcnt_lo_u32_b32 v16, s23, 0
	s_mov_b32 s22, exec_lo
                                        ; implicit-def: $vgpr17
	s_delay_alu instid0(VALU_DEP_1)
	v_cmpx_eq_u32_e32 0, v16
	s_cbranch_execz .LBB49_424
; %bb.423:                              ;   in Loop: Header=BB49_419 Depth=1
	s_bcnt1_i32_b32 s0, s23
	s_delay_alu instid0(SALU_CYCLE_1)
	s_mul_i32 s0, s21, s0
	s_waitcnt lgkmcnt(0)
	v_mov_b32_e32 v17, s0
	ds_add_rtn_u32 v17, v8, v17 offset:4108
.LBB49_424:                             ;   in Loop: Header=BB49_419 Depth=1
	s_or_b32 exec_lo, exec_lo, s22
	s_waitcnt lgkmcnt(0)
	v_readfirstlane_b32 s0, v17
	s_delay_alu instid0(VALU_DEP_1)
	v_mad_u32_u24 v17, s21, v16, s0
.LBB49_425:                             ;   in Loop: Header=BB49_419 Depth=1
	s_or_b32 exec_lo, exec_lo, s19
	s_waitcnt lgkmcnt(0)
	ds_bpermute_b32 v17, v8, v17
	s_mov_b32 s0, -1
	s_mov_b32 s22, -1
                                        ; implicit-def: $sgpr21
	s_and_saveexec_b32 s19, s20
	s_cbranch_execz .LBB49_429
; %bb.426:                              ;   in Loop: Header=BB49_419 Depth=1
	v_and_b32_e32 v16, vcc_lo, v27
	s_mov_b32 s20, 0
	s_mov_b32 s21, exec_lo
	s_waitcnt lgkmcnt(0)
	s_delay_alu instid0(VALU_DEP_1) | instskip(NEXT) | instid1(VALU_DEP_1)
	v_bcnt_u32_b32 v16, v16, v17
	v_cmpx_gt_u32_e64 s37, v16
	s_cbranch_execz .LBB49_428
; %bb.427:                              ;   in Loop: Header=BB49_419 Depth=1
	v_mul_lo_u32 v18, v16, s12
	v_mov_b32_e32 v19, v8
	v_mul_lo_u32 v20, v16, s1
	v_mov_b32_e32 v21, v8
	v_mov_b32_e32 v16, v8
	s_mov_b32 s20, exec_lo
	v_lshlrev_b64 v[18:19], 3, v[18:19]
	s_delay_alu instid0(VALU_DEP_3) | instskip(NEXT) | instid1(VALU_DEP_2)
	v_lshlrev_b64 v[20:21], 3, v[20:21]
	v_add_co_u32 v18, vcc_lo, s6, v18
	s_delay_alu instid0(VALU_DEP_3) | instskip(NEXT) | instid1(VALU_DEP_3)
	v_add_co_ci_u32_e32 v19, vcc_lo, s13, v19, vcc_lo
	v_add_co_u32 v20, vcc_lo, s14, v20
	s_delay_alu instid0(VALU_DEP_4)
	v_add_co_ci_u32_e32 v21, vcc_lo, s15, v21, vcc_lo
	global_store_b64 v[18:19], v[3:4], off
	global_store_b64 v[20:21], v[15:16], off
.LBB49_428:                             ;   in Loop: Header=BB49_419 Depth=1
	s_or_b32 exec_lo, exec_lo, s21
	s_mov_b32 s21, -1
	s_or_not1_b32 s22, s20, exec_lo
.LBB49_429:                             ;   in Loop: Header=BB49_419 Depth=1
	s_or_b32 exec_lo, exec_lo, s19
	s_and_saveexec_b32 s19, s22
	s_cbranch_execz .LBB49_418
; %bb.430:                              ;   in Loop: Header=BB49_419 Depth=1
	v_cmp_le_u32_e32 vcc_lo, s5, v1
	v_add_nc_u32_e32 v7, s53, v7
	s_and_not1_b32 s21, s21, exec_lo
	s_or_not1_b32 s0, vcc_lo, exec_lo
	s_branch .LBB49_418
.LBB49_431:
	s_or_b32 exec_lo, exec_lo, s16
	s_delay_alu instid0(SALU_CYCLE_1)
	s_mov_b32 s16, exec_lo
	s_or_not1_b32 s0, s18, exec_lo
.LBB49_432:
	s_or_b32 exec_lo, exec_lo, s17
	s_and_saveexec_b32 s3, s0
	s_cbranch_execz .LBB49_455
; %bb.433:
	s_waitcnt vmcnt(0)
	v_mov_b32_e32 v4, 0
	v_mov_b32_e32 v5, 0
	s_waitcnt lgkmcnt(0)
	s_waitcnt_vscnt null, 0x0
	s_barrier
	buffer_gl0_inv
	s_and_saveexec_b32 s0, s4
	s_cbranch_execz .LBB49_435
; %bb.434:
	global_load_b64 v[4:5], v[11:12], off
.LBB49_435:
	s_or_b32 exec_lo, exec_lo, s0
	v_mov_b32_e32 v3, 0
	s_mov_b32 s7, 0
                                        ; implicit-def: $sgpr4
                                        ; implicit-def: $sgpr17
                                        ; implicit-def: $sgpr18
                                        ; implicit-def: $vgpr8
	s_branch .LBB49_438
.LBB49_436:                             ;   in Loop: Header=BB49_438 Depth=1
	s_or_b32 exec_lo, exec_lo, s21
	v_mov_b32_e32 v0, v11
	s_and_not1_b32 s18, s18, exec_lo
	s_and_b32 s20, s23, exec_lo
	s_and_not1_b32 s17, s17, exec_lo
	s_and_b32 s0, s0, exec_lo
	s_or_b32 s18, s18, s20
	s_or_b32 s17, s17, s0
.LBB49_437:                             ;   in Loop: Header=BB49_438 Depth=1
	s_or_b32 exec_lo, exec_lo, s19
	s_xor_b32 s0, s18, -1
	s_and_b32 s19, exec_lo, s17
	s_delay_alu instid0(SALU_CYCLE_1) | instskip(SKIP_2) | instid1(SALU_CYCLE_1)
	s_or_b32 s7, s19, s7
	s_and_not1_b32 s4, s4, exec_lo
	s_and_b32 s0, s0, exec_lo
	s_or_b32 s4, s4, s0
	s_and_not1_b32 exec_lo, exec_lo, s7
	s_cbranch_execz .LBB49_453
.LBB49_438:                             ; =>This Inner Loop Header: Depth=1
	s_or_b32 s18, s18, exec_lo
	s_or_b32 s17, s17, exec_lo
	s_mov_b32 s19, exec_lo
	v_cmpx_gt_u32_e64 s5, v0
	s_cbranch_execz .LBB49_437
; %bb.439:                              ;   in Loop: Header=BB49_438 Depth=1
	v_dual_mov_b32 v6, 0 :: v_dual_add_nc_u32 v11, s47, v0
	v_mov_b32_e32 v7, 0
	s_mov_b32 s0, exec_lo
	s_delay_alu instid0(VALU_DEP_2)
	v_cmpx_gt_u32_e64 s36, v11
	s_cbranch_execz .LBB49_441
; %bb.440:                              ;   in Loop: Header=BB49_438 Depth=1
	v_lshlrev_b64 v[6:7], 3, v[2:3]
	s_delay_alu instid0(VALU_DEP_1) | instskip(NEXT) | instid1(VALU_DEP_2)
	v_add_co_u32 v6, vcc_lo, s33, v6
	v_add_co_ci_u32_e32 v7, vcc_lo, s43, v7, vcc_lo
	global_load_b64 v[6:7], v[6:7], off
.LBB49_441:                             ;   in Loop: Header=BB49_438 Depth=1
	s_or_b32 exec_lo, exec_lo, s0
	s_waitcnt vmcnt(0)
	v_cmp_eq_u64_e32 vcc_lo, v[4:5], v[9:10]
	v_cmp_gt_u32_e64 s0, s36, v0
	s_delay_alu instid0(VALU_DEP_1) | instskip(NEXT) | instid1(SALU_CYCLE_1)
	s_and_b32 s21, s0, vcc_lo
	v_cndmask_b32_e64 v1, 0, 1, s21
	s_delay_alu instid0(VALU_DEP_1) | instskip(SKIP_2) | instid1(SALU_CYCLE_1)
	v_cmp_ne_u32_e32 vcc_lo, 0, v1
	s_cmp_lg_u32 vcc_lo, 0
	s_cselect_b32 s0, -1, 0
	s_and_b32 s0, s2, s0
	s_delay_alu instid0(SALU_CYCLE_1)
	s_and_saveexec_b32 s20, s0
	s_cbranch_execz .LBB49_445
; %bb.442:                              ;   in Loop: Header=BB49_438 Depth=1
	s_mov_b32 s24, exec_lo
	s_bcnt1_i32_b32 s22, vcc_lo
	v_mbcnt_lo_u32_b32 v1, s24, 0
	s_mov_b32 s23, exec_lo
                                        ; implicit-def: $vgpr8
	s_delay_alu instid0(VALU_DEP_1)
	v_cmpx_eq_u32_e32 0, v1
	s_cbranch_execz .LBB49_444
; %bb.443:                              ;   in Loop: Header=BB49_438 Depth=1
	s_bcnt1_i32_b32 s0, s24
	s_delay_alu instid0(SALU_CYCLE_1) | instskip(NEXT) | instid1(SALU_CYCLE_1)
	s_mul_i32 s0, s22, s0
	v_mov_b32_e32 v8, s0
	ds_add_rtn_u32 v8, v3, v8 offset:4108
.LBB49_444:                             ;   in Loop: Header=BB49_438 Depth=1
	s_or_b32 exec_lo, exec_lo, s23
	s_waitcnt lgkmcnt(0)
	v_readfirstlane_b32 s0, v8
	s_delay_alu instid0(VALU_DEP_1)
	v_mad_u32_u24 v8, s22, v1, s0
.LBB49_445:                             ;   in Loop: Header=BB49_438 Depth=1
	s_or_b32 exec_lo, exec_lo, s20
	ds_bpermute_b32 v8, v3, v8
	s_cmp_eq_u32 vcc_lo, 0
	s_mov_b32 s22, -1
	s_cselect_b32 s20, -1, 0
	s_mov_b32 s23, -1
	s_waitcnt lgkmcnt(0)
	v_cmp_gt_u32_e64 s0, s37, v8
	s_delay_alu instid0(VALU_DEP_1) | instskip(SKIP_4) | instid1(SALU_CYCLE_1)
	s_or_b32 s20, s20, s0
	s_mov_b32 s0, -1
	v_cndmask_b32_e64 v5, v5, v7, s20
	v_cndmask_b32_e64 v4, v4, v6, s20
	s_and_b32 s24, s21, s20
	s_and_saveexec_b32 s21, s24
	s_cbranch_execz .LBB49_451
; %bb.446:                              ;   in Loop: Header=BB49_438 Depth=1
	v_and_b32_e32 v1, vcc_lo, v27
	v_sub_nc_u32_e32 v4, s37, v8
	s_mov_b32 s24, -1
	s_mov_b32 s23, exec_lo
	s_delay_alu instid0(VALU_DEP_2) | instskip(NEXT) | instid1(VALU_DEP_1)
	v_bcnt_u32_b32 v1, v1, 0
	v_cmp_le_u32_e64 s22, v4, v1
	v_cmpx_gt_u32_e64 v4, v1
	s_cbranch_execz .LBB49_450
; %bb.447:                              ;   in Loop: Header=BB49_438 Depth=1
	v_add_nc_u32_e32 v1, v8, v1
	s_delay_alu instid0(VALU_DEP_3) | instskip(SKIP_1) | instid1(VALU_DEP_1)
	s_mov_b32 s25, s22
	s_mov_b32 s24, exec_lo
	v_cmpx_gt_u32_e64 s37, v1
	s_cbranch_execz .LBB49_449
; %bb.448:                              ;   in Loop: Header=BB49_438 Depth=1
	v_mul_lo_u32 v4, v1, s12
	v_mov_b32_e32 v5, v3
	v_mul_lo_u32 v12, v1, s1
	v_mov_b32_e32 v13, v3
	v_mov_b32_e32 v1, v3
	s_or_b32 s25, s22, exec_lo
	v_lshlrev_b64 v[4:5], 3, v[4:5]
	s_delay_alu instid0(VALU_DEP_3) | instskip(NEXT) | instid1(VALU_DEP_2)
	v_lshlrev_b64 v[12:13], 3, v[12:13]
	v_add_co_u32 v4, vcc_lo, s6, v4
	s_delay_alu instid0(VALU_DEP_3) | instskip(NEXT) | instid1(VALU_DEP_3)
	v_add_co_ci_u32_e32 v5, vcc_lo, s13, v5, vcc_lo
	v_add_co_u32 v12, vcc_lo, s14, v12
	s_delay_alu instid0(VALU_DEP_4)
	v_add_co_ci_u32_e32 v13, vcc_lo, s15, v13, vcc_lo
	global_store_b64 v[4:5], v[9:10], off
	global_store_b64 v[12:13], v[0:1], off
.LBB49_449:                             ;   in Loop: Header=BB49_438 Depth=1
	s_or_b32 exec_lo, exec_lo, s24
	s_delay_alu instid0(SALU_CYCLE_1)
	s_and_not1_b32 s22, s22, exec_lo
	s_and_b32 s25, s25, exec_lo
	s_xor_b32 s24, exec_lo, -1
	s_or_b32 s22, s22, s25
.LBB49_450:                             ;   in Loop: Header=BB49_438 Depth=1
	s_or_b32 exec_lo, exec_lo, s23
	v_dual_mov_b32 v4, v6 :: v_dual_mov_b32 v5, v7
	s_or_not1_b32 s23, s24, exec_lo
	s_or_b32 s20, s20, exec_lo
	s_or_not1_b32 s22, s22, exec_lo
.LBB49_451:                             ;   in Loop: Header=BB49_438 Depth=1
	s_or_b32 exec_lo, exec_lo, s21
	s_and_saveexec_b32 s21, s22
	s_cbranch_execz .LBB49_436
; %bb.452:                              ;   in Loop: Header=BB49_438 Depth=1
	v_add_nc_u32_e32 v2, s53, v2
	s_xor_b32 s0, s20, -1
	s_or_b32 s23, s23, exec_lo
	s_or_not1_b32 s0, s0, exec_lo
	s_branch .LBB49_436
.LBB49_453:
	s_or_b32 exec_lo, exec_lo, s7
	s_mov_b32 s0, 0
	s_and_saveexec_b32 s1, s4
	s_delay_alu instid0(SALU_CYCLE_1)
	s_xor_b32 s1, exec_lo, s1
	s_cbranch_execnz .LBB49_485
.LBB49_454:
	s_or_b32 exec_lo, exec_lo, s1
	s_delay_alu instid0(SALU_CYCLE_1)
	s_and_b32 s7, s0, exec_lo
	s_and_not1_b32 s16, s16, exec_lo
.LBB49_455:
	s_or_b32 exec_lo, exec_lo, s3
	s_and_saveexec_b32 s0, s16
	s_delay_alu instid0(SALU_CYCLE_1)
	s_xor_b32 s0, exec_lo, s0
	s_cbranch_execnz .LBB49_481
.LBB49_456:
	s_or_b32 exec_lo, exec_lo, s0
	s_waitcnt lgkmcnt(0)
	s_and_b32 s12, s7, exec_lo
.LBB49_457:
	s_and_not1_saveexec_b32 s0, s11
	s_cbranch_execnz .LBB49_477
.LBB49_458:
	s_or_b32 exec_lo, exec_lo, s0
	s_delay_alu instid0(SALU_CYCLE_1)
	s_and_b32 s11, s12, exec_lo
.LBB49_459:
	s_and_not1_saveexec_b32 s0, s10
	s_cbranch_execnz .LBB49_473
.LBB49_460:
	s_or_b32 exec_lo, exec_lo, s0
	s_delay_alu instid0(SALU_CYCLE_1)
	s_and_b32 s10, s11, exec_lo
.LBB49_461:
	s_and_not1_saveexec_b32 s0, s9
	s_cbranch_execnz .LBB49_469
.LBB49_462:
	s_or_b32 exec_lo, exec_lo, s0
	s_delay_alu instid0(SALU_CYCLE_1)
	s_and_b32 s9, s10, exec_lo
.LBB49_463:
	s_and_not1_saveexec_b32 s0, s8
	s_cbranch_execnz .LBB49_467
; %bb.464:
	s_or_b32 exec_lo, exec_lo, s0
	s_and_saveexec_b32 s0, s9
.LBB49_465:
	; divergent unreachable
.LBB49_466:
	s_nop 0
	s_sendmsg sendmsg(MSG_DEALLOC_VGPRS)
	s_endpgm
.LBB49_467:
	s_cbranch_execnz .LBB49_471
; %bb.468:
	s_or_b32 s9, s9, exec_lo
	s_or_b32 exec_lo, exec_lo, s0
	s_and_saveexec_b32 s0, s9
	s_cbranch_execnz .LBB49_465
	s_branch .LBB49_466
.LBB49_469:
	s_cbranch_execnz .LBB49_475
; %bb.470:
	s_or_b32 s10, s10, exec_lo
	s_branch .LBB49_462
.LBB49_471:
	s_trap 2
	s_sendmsg_rtn_b32 s0, sendmsg(MSG_RTN_GET_DOORBELL)
	s_mov_b32 ttmp2, m0
	s_waitcnt lgkmcnt(0)
	s_and_b32 s0, s0, 0x3ff
	s_delay_alu instid0(SALU_CYCLE_1) | instskip(NEXT) | instid1(SALU_CYCLE_1)
	s_bitset1_b32 s0, 10
	s_mov_b32 m0, s0
	s_sendmsg sendmsg(MSG_INTERRUPT)
	s_mov_b32 m0, ttmp2
.LBB49_472:                             ; =>This Inner Loop Header: Depth=1
	s_sethalt 5
	s_branch .LBB49_472
.LBB49_473:
	s_cbranch_execnz .LBB49_479
; %bb.474:
	s_or_b32 s11, s11, exec_lo
	s_branch .LBB49_460
.LBB49_475:
	s_trap 2
	s_sendmsg_rtn_b32 s0, sendmsg(MSG_RTN_GET_DOORBELL)
	s_mov_b32 ttmp2, m0
	s_waitcnt lgkmcnt(0)
	s_and_b32 s0, s0, 0x3ff
	s_delay_alu instid0(SALU_CYCLE_1) | instskip(NEXT) | instid1(SALU_CYCLE_1)
	s_bitset1_b32 s0, 10
	s_mov_b32 m0, s0
	s_sendmsg sendmsg(MSG_INTERRUPT)
	s_mov_b32 m0, ttmp2
.LBB49_476:                             ; =>This Inner Loop Header: Depth=1
	s_sethalt 5
	s_branch .LBB49_476
.LBB49_477:
	s_cbranch_execnz .LBB49_483
; %bb.478:
	s_or_b32 s12, s12, exec_lo
	s_branch .LBB49_458
.LBB49_479:
	s_trap 2
	s_sendmsg_rtn_b32 s0, sendmsg(MSG_RTN_GET_DOORBELL)
	s_mov_b32 ttmp2, m0
	s_waitcnt lgkmcnt(0)
	s_and_b32 s0, s0, 0x3ff
	s_delay_alu instid0(SALU_CYCLE_1) | instskip(NEXT) | instid1(SALU_CYCLE_1)
	s_bitset1_b32 s0, 10
	s_mov_b32 m0, s0
	s_sendmsg sendmsg(MSG_INTERRUPT)
	s_mov_b32 m0, ttmp2
.LBB49_480:                             ; =>This Inner Loop Header: Depth=1
	s_sethalt 5
	s_branch .LBB49_480
.LBB49_481:
	s_cbranch_execnz .LBB49_487
; %bb.482:
	s_or_b32 s7, s7, exec_lo
	s_branch .LBB49_456
.LBB49_483:
	s_trap 2
	s_sendmsg_rtn_b32 s0, sendmsg(MSG_RTN_GET_DOORBELL)
	s_mov_b32 ttmp2, m0
	s_waitcnt lgkmcnt(0)
	s_and_b32 s0, s0, 0x3ff
	s_delay_alu instid0(SALU_CYCLE_1) | instskip(NEXT) | instid1(SALU_CYCLE_1)
	s_bitset1_b32 s0, 10
	s_mov_b32 m0, s0
	s_sendmsg sendmsg(MSG_INTERRUPT)
	s_mov_b32 m0, ttmp2
.LBB49_484:                             ; =>This Inner Loop Header: Depth=1
	s_sethalt 5
	s_branch .LBB49_484
.LBB49_485:
	s_cbranch_execnz .LBB49_489
; %bb.486:
	s_mov_b32 s0, exec_lo
	s_branch .LBB49_454
.LBB49_487:
	s_trap 2
	s_sendmsg_rtn_b32 s0, sendmsg(MSG_RTN_GET_DOORBELL)
	s_mov_b32 ttmp2, m0
	s_waitcnt lgkmcnt(0)
	s_and_b32 s0, s0, 0x3ff
	s_delay_alu instid0(SALU_CYCLE_1) | instskip(NEXT) | instid1(SALU_CYCLE_1)
	s_bitset1_b32 s0, 10
	s_mov_b32 m0, s0
	s_sendmsg sendmsg(MSG_INTERRUPT)
	s_mov_b32 m0, ttmp2
.LBB49_488:                             ; =>This Inner Loop Header: Depth=1
	s_sethalt 5
	s_branch .LBB49_488
.LBB49_489:
	s_trap 2
	s_sendmsg_rtn_b32 s0, sendmsg(MSG_RTN_GET_DOORBELL)
	s_mov_b32 ttmp2, m0
	s_waitcnt lgkmcnt(0)
	s_and_b32 s0, s0, 0x3ff
	s_delay_alu instid0(SALU_CYCLE_1) | instskip(NEXT) | instid1(SALU_CYCLE_1)
	s_bitset1_b32 s0, 10
	s_mov_b32 m0, s0
	s_sendmsg sendmsg(MSG_INTERRUPT)
	s_mov_b32 m0, ttmp2
.LBB49_490:                             ; =>This Inner Loop Header: Depth=1
	s_sethalt 5
	s_branch .LBB49_490
	.section	.rodata,"a",@progbits
	.p2align	6, 0x0
	.amdhsa_kernel _ZN2at6native6sbtopk10gatherTopKIljLi3ELb0EEEvNS_4cuda6detail10TensorInfoIKT_T0_EES8_S8_bS8_S8_NS5_IS6_S8_EES8_NS5_IlS8_EES8_PS6_
		.amdhsa_group_segment_fixed_size 4112
		.amdhsa_private_segment_fixed_size 0
		.amdhsa_kernarg_size 952
		.amdhsa_user_sgpr_count 13
		.amdhsa_user_sgpr_dispatch_ptr 0
		.amdhsa_user_sgpr_queue_ptr 0
		.amdhsa_user_sgpr_kernarg_segment_ptr 1
		.amdhsa_user_sgpr_dispatch_id 0
		.amdhsa_user_sgpr_private_segment_size 0
		.amdhsa_wavefront_size32 1
		.amdhsa_uses_dynamic_stack 0
		.amdhsa_enable_private_segment 0
		.amdhsa_system_sgpr_workgroup_id_x 1
		.amdhsa_system_sgpr_workgroup_id_y 1
		.amdhsa_system_sgpr_workgroup_id_z 1
		.amdhsa_system_sgpr_workgroup_info 0
		.amdhsa_system_vgpr_workitem_id 0
		.amdhsa_next_free_vgpr 55
		.amdhsa_next_free_sgpr 104
		.amdhsa_reserve_vcc 1
		.amdhsa_float_round_mode_32 0
		.amdhsa_float_round_mode_16_64 0
		.amdhsa_float_denorm_mode_32 3
		.amdhsa_float_denorm_mode_16_64 3
		.amdhsa_dx10_clamp 1
		.amdhsa_ieee_mode 1
		.amdhsa_fp16_overflow 0
		.amdhsa_workgroup_processor_mode 1
		.amdhsa_memory_ordered 1
		.amdhsa_forward_progress 0
		.amdhsa_shared_vgpr_count 0
		.amdhsa_exception_fp_ieee_invalid_op 0
		.amdhsa_exception_fp_denorm_src 0
		.amdhsa_exception_fp_ieee_div_zero 0
		.amdhsa_exception_fp_ieee_overflow 0
		.amdhsa_exception_fp_ieee_underflow 0
		.amdhsa_exception_fp_ieee_inexact 0
		.amdhsa_exception_int_div_zero 0
	.end_amdhsa_kernel
	.section	.text._ZN2at6native6sbtopk10gatherTopKIljLi3ELb0EEEvNS_4cuda6detail10TensorInfoIKT_T0_EES8_S8_bS8_S8_NS5_IS6_S8_EES8_NS5_IlS8_EES8_PS6_,"axG",@progbits,_ZN2at6native6sbtopk10gatherTopKIljLi3ELb0EEEvNS_4cuda6detail10TensorInfoIKT_T0_EES8_S8_bS8_S8_NS5_IS6_S8_EES8_NS5_IlS8_EES8_PS6_,comdat
.Lfunc_end49:
	.size	_ZN2at6native6sbtopk10gatherTopKIljLi3ELb0EEEvNS_4cuda6detail10TensorInfoIKT_T0_EES8_S8_bS8_S8_NS5_IS6_S8_EES8_NS5_IlS8_EES8_PS6_, .Lfunc_end49-_ZN2at6native6sbtopk10gatherTopKIljLi3ELb0EEEvNS_4cuda6detail10TensorInfoIKT_T0_EES8_S8_bS8_S8_NS5_IS6_S8_EES8_NS5_IlS8_EES8_PS6_
                                        ; -- End function
	.section	.AMDGPU.csdata,"",@progbits
; Kernel info:
; codeLenInByte = 16536
; NumSgprs: 106
; NumVgprs: 55
; ScratchSize: 0
; MemoryBound: 0
; FloatMode: 240
; IeeeMode: 1
; LDSByteSize: 4112 bytes/workgroup (compile time only)
; SGPRBlocks: 13
; VGPRBlocks: 6
; NumSGPRsForWavesPerEU: 106
; NumVGPRsForWavesPerEU: 55
; Occupancy: 16
; WaveLimiterHint : 1
; COMPUTE_PGM_RSRC2:SCRATCH_EN: 0
; COMPUTE_PGM_RSRC2:USER_SGPR: 13
; COMPUTE_PGM_RSRC2:TRAP_HANDLER: 0
; COMPUTE_PGM_RSRC2:TGID_X_EN: 1
; COMPUTE_PGM_RSRC2:TGID_Y_EN: 1
; COMPUTE_PGM_RSRC2:TGID_Z_EN: 1
; COMPUTE_PGM_RSRC2:TIDIG_COMP_CNT: 0
	.section	.text._ZN2at6native6mbtopk23computeBlockDigitCountsIljmLin1EEEvNS_4cuda6detail10TensorInfoIKT_T0_EEjPjjS8_iijT1_PSB_Ps,"axG",@progbits,_ZN2at6native6mbtopk23computeBlockDigitCountsIljmLin1EEEvNS_4cuda6detail10TensorInfoIKT_T0_EEjPjjS8_iijT1_PSB_Ps,comdat
	.protected	_ZN2at6native6mbtopk23computeBlockDigitCountsIljmLin1EEEvNS_4cuda6detail10TensorInfoIKT_T0_EEjPjjS8_iijT1_PSB_Ps ; -- Begin function _ZN2at6native6mbtopk23computeBlockDigitCountsIljmLin1EEEvNS_4cuda6detail10TensorInfoIKT_T0_EEjPjjS8_iijT1_PSB_Ps
	.globl	_ZN2at6native6mbtopk23computeBlockDigitCountsIljmLin1EEEvNS_4cuda6detail10TensorInfoIKT_T0_EEjPjjS8_iijT1_PSB_Ps
	.p2align	8
	.type	_ZN2at6native6mbtopk23computeBlockDigitCountsIljmLin1EEEvNS_4cuda6detail10TensorInfoIKT_T0_EEjPjjS8_iijT1_PSB_Ps,@function
_ZN2at6native6mbtopk23computeBlockDigitCountsIljmLin1EEEvNS_4cuda6detail10TensorInfoIKT_T0_EEjPjjS8_iijT1_PSB_Ps: ; @_ZN2at6native6mbtopk23computeBlockDigitCountsIljmLin1EEEvNS_4cuda6detail10TensorInfoIKT_T0_EEjPjjS8_iijT1_PSB_Ps
; %bb.0:
	s_clause 0x2
	s_load_b32 s17, s[0:1], 0xf8
	s_load_b128 s[8:11], s[0:1], 0xe8
	s_load_b64 s[2:3], s[0:1], 0x118
	s_waitcnt lgkmcnt(0)
	v_cvt_f32_u32_e32 v1, s17
	s_sub_i32 s5, 0, s17
	s_mul_i32 s3, s3, s15
	s_mov_b32 s15, 0
	s_add_i32 s3, s3, s14
	v_rcp_iflag_f32_e32 v1, v1
	s_mul_i32 s16, s3, s2
	s_delay_alu instid0(SALU_CYCLE_1) | instskip(SKIP_2) | instid1(VALU_DEP_1)
	s_add_i32 s16, s16, s13
	s_waitcnt_depctr 0xfff
	v_mul_f32_e32 v1, 0x4f7ffffe, v1
	v_cvt_u32_f32_e32 v1, v1
	s_delay_alu instid0(VALU_DEP_1) | instskip(NEXT) | instid1(VALU_DEP_1)
	v_readfirstlane_b32 s4, v1
	s_mul_i32 s5, s5, s4
	s_delay_alu instid0(SALU_CYCLE_1) | instskip(NEXT) | instid1(SALU_CYCLE_1)
	s_mul_hi_u32 s2, s4, s5
	s_add_i32 s4, s4, s2
	s_delay_alu instid0(SALU_CYCLE_1) | instskip(NEXT) | instid1(SALU_CYCLE_1)
	s_mul_hi_u32 s2, s16, s4
	s_mul_i32 s3, s2, s17
	s_add_i32 s4, s2, 1
	s_sub_i32 s3, s16, s3
	s_delay_alu instid0(SALU_CYCLE_1)
	s_sub_i32 s5, s3, s17
	s_cmp_ge_u32 s3, s17
	s_cselect_b32 s2, s4, s2
	s_cselect_b32 s3, s5, s3
	s_add_i32 s4, s2, 1
	s_cmp_ge_u32 s3, s17
	s_cselect_b32 s14, s4, s2
	s_delay_alu instid0(SALU_CYCLE_1)
	s_cmp_ge_u32 s14, s8
	s_cbranch_scc1 .LBB50_32
; %bb.1:
	s_clause 0x1
	s_load_b128 s[4:7], s[0:1], 0x100
	s_load_b32 s8, s[0:1], 0xd0
	s_lshl_b64 s[2:3], s[14:15], 3
	s_mov_b32 s18, s14
	s_waitcnt lgkmcnt(0)
	s_add_u32 s6, s6, s2
	s_addc_u32 s7, s7, s3
	s_load_b64 s[2:3], s[0:1], 0x110
	s_load_b64 s[6:7], s[6:7], 0x0
	s_cmp_lt_i32 s8, 2
	s_cbranch_scc1 .LBB50_4
; %bb.2:
	s_add_i32 s18, s8, -1
	s_mov_b32 s19, 0
	s_add_i32 s8, s8, 1
	s_lshl_b64 s[12:13], s[18:19], 2
	s_mov_b32 s18, s14
	s_add_u32 s12, s12, s0
	s_addc_u32 s13, s13, s1
	s_add_u32 s12, s12, 8
	s_addc_u32 s13, s13, 0
	s_mov_b32 s15, s19
	s_set_inst_prefetch_distance 0x1
	.p2align	6
.LBB50_3:                               ; =>This Inner Loop Header: Depth=1
	s_clause 0x1
	s_load_b32 s19, s[12:13], 0x0
	s_load_b32 s20, s[12:13], 0x64
	s_mov_b32 s23, s18
	s_waitcnt lgkmcnt(0)
	v_cvt_f32_u32_e32 v1, s19
	s_sub_i32 s22, 0, s19
	s_waitcnt_depctr 0xfff
	v_rcp_iflag_f32_e32 v1, v1
	s_waitcnt_depctr 0xfff
	v_mul_f32_e32 v1, 0x4f7ffffe, v1
	s_delay_alu instid0(VALU_DEP_1) | instskip(NEXT) | instid1(VALU_DEP_1)
	v_cvt_u32_f32_e32 v1, v1
	v_readfirstlane_b32 s21, v1
	s_delay_alu instid0(VALU_DEP_1) | instskip(NEXT) | instid1(SALU_CYCLE_1)
	s_mul_i32 s22, s22, s21
	s_mul_hi_u32 s22, s21, s22
	s_delay_alu instid0(SALU_CYCLE_1) | instskip(NEXT) | instid1(SALU_CYCLE_1)
	s_add_i32 s21, s21, s22
	s_mul_hi_u32 s18, s18, s21
	s_delay_alu instid0(SALU_CYCLE_1) | instskip(SKIP_2) | instid1(SALU_CYCLE_1)
	s_mul_i32 s21, s18, s19
	s_add_i32 s22, s18, 1
	s_sub_i32 s21, s23, s21
	s_sub_i32 s24, s21, s19
	s_cmp_ge_u32 s21, s19
	s_cselect_b32 s18, s22, s18
	s_cselect_b32 s21, s24, s21
	s_add_i32 s22, s18, 1
	s_cmp_ge_u32 s21, s19
	s_cselect_b32 s18, s22, s18
	s_add_i32 s8, s8, -1
	s_mul_i32 s19, s18, s19
	s_delay_alu instid0(SALU_CYCLE_1) | instskip(NEXT) | instid1(SALU_CYCLE_1)
	s_sub_i32 s19, s23, s19
	s_mul_i32 s19, s20, s19
	s_delay_alu instid0(SALU_CYCLE_1)
	s_add_i32 s15, s19, s15
	s_add_u32 s12, s12, -4
	s_addc_u32 s13, s13, -1
	s_cmp_gt_u32 s8, 2
	s_cbranch_scc1 .LBB50_3
.LBB50_4:
	s_set_inst_prefetch_distance 0x2
	v_cmp_gt_u32_e32 vcc_lo, 0x100, v0
	v_lshlrev_b32_e32 v5, 2, v0
	s_and_saveexec_b32 s8, vcc_lo
	s_cbranch_execz .LBB50_6
; %bb.5:
	v_mov_b32_e32 v1, 0
	ds_store_b32 v5, v1
.LBB50_6:
	s_or_b32 exec_lo, exec_lo, s8
	s_load_b32 s8, s[0:1], 0xd8
	s_mul_i32 s12, s14, s17
	s_waitcnt lgkmcnt(0)
	s_sub_i32 s12, s16, s12
	s_barrier
	s_mul_i32 s13, s11, s12
	s_add_i32 s12, s12, 1
	s_lshl_b32 s14, s13, 8
	buffer_gl0_inv
	s_sub_i32 s13, s8, s14
	s_delay_alu instid0(SALU_CYCLE_1) | instskip(SKIP_3) | instid1(VALU_DEP_1)
	s_add_u32 s13, s13, 0xff
	s_addc_u32 s19, 0, 0
	s_cmp_lt_u32 s12, s17
	v_alignbit_b32 v1, s19, s13, 8
	v_readfirstlane_b32 s13, v1
	s_delay_alu instid0(VALU_DEP_1)
	s_cselect_b32 s17, s11, s13
	s_mov_b32 s13, 0
	s_cmp_lt_i32 s17, 1
	s_cbranch_scc1 .LBB50_28
; %bb.7:
	s_clause 0x1
	s_load_b32 s11, s[0:1], 0x6c
	s_load_b64 s[20:21], s[0:1], 0x0
	s_waitcnt lgkmcnt(0)
	s_mul_i32 s0, s11, s18
	s_delay_alu instid0(SALU_CYCLE_1) | instskip(NEXT) | instid1(SALU_CYCLE_1)
	s_add_i32 s12, s0, s15
	s_lshl_b64 s[18:19], s[12:13], 3
	s_delay_alu instid0(SALU_CYCLE_1)
	s_add_u32 s1, s20, s18
	s_addc_u32 s11, s21, s19
	s_and_b32 s10, s10, 0xff
	s_cmp_lt_u32 s17, 4
	s_cbranch_scc1 .LBB50_22
; %bb.8:
	v_add_nc_u32_e32 v1, s14, v0
	s_and_b32 s13, s17, 0x7ffffffc
	s_lshl_b32 s12, s9, 10
	s_mov_b32 s15, 0
	s_mov_b32 s18, 0
	v_dual_mov_b32 v11, 1 :: v_dual_add_nc_u32 v2, 0x200, v1
	s_delay_alu instid0(VALU_DEP_1) | instskip(SKIP_4) | instid1(VALU_DEP_3)
	v_mul_lo_u32 v8, s9, v2
	v_mov_b32_e32 v2, 0
	v_add_nc_u32_e32 v6, 0x300, v1
	v_add_nc_u32_e32 v3, 0x100, v1
	v_mul_lo_u32 v10, s9, v1
	v_mul_lo_u32 v7, s9, v6
	s_delay_alu instid0(VALU_DEP_3)
	v_mul_lo_u32 v9, s9, v3
	s_branch .LBB50_10
.LBB50_9:                               ;   in Loop: Header=BB50_10 Depth=1
	s_or_b32 exec_lo, exec_lo, s19
	v_add_nc_u32_e32 v6, 0x400, v6
	s_add_i32 s18, s18, 4
	s_add_i32 s15, s15, s12
	s_cmp_eq_u32 s13, s18
	s_cbranch_scc1 .LBB50_22
.LBB50_10:                              ; =>This Inner Loop Header: Depth=1
	v_add_nc_u32_e32 v1, 0xfffffd00, v6
	s_mov_b32 s19, exec_lo
	s_delay_alu instid0(VALU_DEP_1)
	v_cmpx_gt_u32_e64 s8, v1
	s_cbranch_execz .LBB50_13
; %bb.11:                               ;   in Loop: Header=BB50_10 Depth=1
	v_add_nc_u32_e32 v1, s15, v10
	s_delay_alu instid0(VALU_DEP_1) | instskip(NEXT) | instid1(VALU_DEP_1)
	v_lshlrev_b64 v[3:4], 3, v[1:2]
	v_add_co_u32 v3, s0, s1, v3
	s_delay_alu instid0(VALU_DEP_1) | instskip(SKIP_4) | instid1(VALU_DEP_2)
	v_add_co_ci_u32_e64 v4, s0, s11, v4, s0
	global_load_b64 v[3:4], v[3:4], off
	s_waitcnt vmcnt(0)
	v_xor_b32_e32 v4, 0x80000000, v4
	v_xor_b32_e32 v12, s6, v3
	v_xor_b32_e32 v1, s7, v4
	s_delay_alu instid0(VALU_DEP_2) | instskip(NEXT) | instid1(VALU_DEP_2)
	v_and_b32_e32 v12, s4, v12
	v_and_b32_e32 v13, s5, v1
	s_delay_alu instid0(VALU_DEP_1) | instskip(NEXT) | instid1(VALU_DEP_1)
	v_cmp_eq_u64_e64 s0, 0, v[12:13]
	s_and_b32 exec_lo, exec_lo, s0
	s_cbranch_execz .LBB50_13
; %bb.12:                               ;   in Loop: Header=BB50_10 Depth=1
	v_lshrrev_b64 v[3:4], s10, v[3:4]
	s_delay_alu instid0(VALU_DEP_1) | instskip(NEXT) | instid1(VALU_DEP_1)
	v_and_b32_e32 v1, 0xff, v3
	v_lshlrev_b32_e32 v1, 2, v1
	ds_add_u32 v1, v11
.LBB50_13:                              ;   in Loop: Header=BB50_10 Depth=1
	s_or_b32 exec_lo, exec_lo, s19
	v_add_nc_u32_e32 v1, 0xfffffe00, v6
	s_mov_b32 s19, exec_lo
	s_delay_alu instid0(VALU_DEP_1)
	v_cmpx_gt_u32_e64 s8, v1
	s_cbranch_execz .LBB50_16
; %bb.14:                               ;   in Loop: Header=BB50_10 Depth=1
	v_add_nc_u32_e32 v1, s15, v9
	s_delay_alu instid0(VALU_DEP_1) | instskip(NEXT) | instid1(VALU_DEP_1)
	v_lshlrev_b64 v[3:4], 3, v[1:2]
	v_add_co_u32 v3, s0, s1, v3
	s_delay_alu instid0(VALU_DEP_1) | instskip(SKIP_4) | instid1(VALU_DEP_2)
	v_add_co_ci_u32_e64 v4, s0, s11, v4, s0
	global_load_b64 v[3:4], v[3:4], off
	s_waitcnt vmcnt(0)
	v_xor_b32_e32 v4, 0x80000000, v4
	v_xor_b32_e32 v12, s6, v3
	v_xor_b32_e32 v1, s7, v4
	s_delay_alu instid0(VALU_DEP_2) | instskip(NEXT) | instid1(VALU_DEP_2)
	v_and_b32_e32 v12, s4, v12
	v_and_b32_e32 v13, s5, v1
	s_delay_alu instid0(VALU_DEP_1) | instskip(NEXT) | instid1(VALU_DEP_1)
	v_cmp_eq_u64_e64 s0, 0, v[12:13]
	s_and_b32 exec_lo, exec_lo, s0
	s_cbranch_execz .LBB50_16
; %bb.15:                               ;   in Loop: Header=BB50_10 Depth=1
	v_lshrrev_b64 v[3:4], s10, v[3:4]
	s_delay_alu instid0(VALU_DEP_1) | instskip(NEXT) | instid1(VALU_DEP_1)
	v_and_b32_e32 v1, 0xff, v3
	v_lshlrev_b32_e32 v1, 2, v1
	ds_add_u32 v1, v11
.LBB50_16:                              ;   in Loop: Header=BB50_10 Depth=1
	s_or_b32 exec_lo, exec_lo, s19
	;; [unrolled: 32-line block ×3, first 2 shown]
	s_delay_alu instid0(SALU_CYCLE_1)
	s_mov_b32 s19, exec_lo
	v_cmpx_gt_u32_e64 s8, v6
	s_cbranch_execz .LBB50_9
; %bb.20:                               ;   in Loop: Header=BB50_10 Depth=1
	v_add_nc_u32_e32 v1, s15, v7
	s_delay_alu instid0(VALU_DEP_1) | instskip(NEXT) | instid1(VALU_DEP_1)
	v_lshlrev_b64 v[3:4], 3, v[1:2]
	v_add_co_u32 v3, s0, s1, v3
	s_delay_alu instid0(VALU_DEP_1) | instskip(SKIP_4) | instid1(VALU_DEP_2)
	v_add_co_ci_u32_e64 v4, s0, s11, v4, s0
	global_load_b64 v[3:4], v[3:4], off
	s_waitcnt vmcnt(0)
	v_xor_b32_e32 v4, 0x80000000, v4
	v_xor_b32_e32 v12, s6, v3
	;; [unrolled: 1-line block ×3, first 2 shown]
	s_delay_alu instid0(VALU_DEP_2) | instskip(NEXT) | instid1(VALU_DEP_2)
	v_and_b32_e32 v12, s4, v12
	v_and_b32_e32 v13, s5, v1
	s_delay_alu instid0(VALU_DEP_1) | instskip(NEXT) | instid1(VALU_DEP_1)
	v_cmp_eq_u64_e64 s0, 0, v[12:13]
	s_and_b32 exec_lo, exec_lo, s0
	s_cbranch_execz .LBB50_9
; %bb.21:                               ;   in Loop: Header=BB50_10 Depth=1
	v_lshrrev_b64 v[3:4], s10, v[3:4]
	s_delay_alu instid0(VALU_DEP_1) | instskip(NEXT) | instid1(VALU_DEP_1)
	v_and_b32_e32 v1, 0xff, v3
	v_lshlrev_b32_e32 v1, 2, v1
	ds_add_u32 v1, v11
	s_branch .LBB50_9
.LBB50_22:
	s_and_b32 s12, s17, 3
	s_delay_alu instid0(SALU_CYCLE_1)
	s_cmp_eq_u32 s12, 0
	s_cbranch_scc1 .LBB50_28
; %bb.23:
	s_lshl_b32 s0, s13, 8
	v_dual_mov_b32 v2, 0 :: v_dual_mov_b32 v7, 1
	v_add3_u32 v6, s0, s14, v0
	s_delay_alu instid0(VALU_DEP_1)
	v_mul_lo_u32 v1, s9, v6
	s_lshl_b32 s9, s9, 8
	s_set_inst_prefetch_distance 0x1
	s_branch .LBB50_25
	.p2align	6
.LBB50_24:                              ;   in Loop: Header=BB50_25 Depth=1
	s_or_b32 exec_lo, exec_lo, s13
	v_add_nc_u32_e32 v1, s9, v1
	v_add_nc_u32_e32 v6, 0x100, v6
	s_add_i32 s12, s12, -1
	s_delay_alu instid0(SALU_CYCLE_1)
	s_cmp_lg_u32 s12, 0
	s_cbranch_scc0 .LBB50_28
.LBB50_25:                              ; =>This Inner Loop Header: Depth=1
	s_mov_b32 s13, exec_lo
	v_cmpx_gt_u32_e64 s8, v6
	s_cbranch_execz .LBB50_24
; %bb.26:                               ;   in Loop: Header=BB50_25 Depth=1
	s_delay_alu instid0(VALU_DEP_2) | instskip(NEXT) | instid1(VALU_DEP_1)
	v_lshlrev_b64 v[3:4], 3, v[1:2]
	v_add_co_u32 v3, s0, s1, v3
	s_delay_alu instid0(VALU_DEP_1) | instskip(SKIP_4) | instid1(VALU_DEP_2)
	v_add_co_ci_u32_e64 v4, s0, s11, v4, s0
	global_load_b64 v[3:4], v[3:4], off
	s_waitcnt vmcnt(0)
	v_xor_b32_e32 v4, 0x80000000, v4
	v_xor_b32_e32 v10, s6, v3
	;; [unrolled: 1-line block ×3, first 2 shown]
	s_delay_alu instid0(VALU_DEP_1) | instskip(NEXT) | instid1(VALU_DEP_3)
	v_and_b32_e32 v9, s5, v8
	v_and_b32_e32 v8, s4, v10
	s_delay_alu instid0(VALU_DEP_1) | instskip(NEXT) | instid1(VALU_DEP_1)
	v_cmp_eq_u64_e64 s0, 0, v[8:9]
	s_and_b32 exec_lo, exec_lo, s0
	s_cbranch_execz .LBB50_24
; %bb.27:                               ;   in Loop: Header=BB50_25 Depth=1
	v_lshrrev_b64 v[3:4], s10, v[3:4]
	s_delay_alu instid0(VALU_DEP_1) | instskip(NEXT) | instid1(VALU_DEP_1)
	v_and_b32_e32 v3, 0xff, v3
	v_lshlrev_b32_e32 v3, 2, v3
	ds_add_u32 v3, v7
	s_branch .LBB50_24
.LBB50_28:
	s_set_inst_prefetch_distance 0x2
	v_mov_b32_e32 v1, 0
	s_waitcnt lgkmcnt(0)
	s_barrier
	buffer_gl0_inv
	s_and_saveexec_b32 s0, vcc_lo
	s_cbranch_execz .LBB50_30
; %bb.29:
	ds_load_b32 v1, v5
.LBB50_30:
	s_or_b32 exec_lo, exec_lo, s0
	s_and_saveexec_b32 s0, vcc_lo
	s_cbranch_execz .LBB50_32
; %bb.31:
	v_lshl_or_b32 v2, s16, 8, v0
	v_mov_b32_e32 v3, 0
	s_delay_alu instid0(VALU_DEP_1) | instskip(NEXT) | instid1(VALU_DEP_1)
	v_lshlrev_b64 v[2:3], 1, v[2:3]
	v_add_co_u32 v2, vcc_lo, s2, v2
	s_delay_alu instid0(VALU_DEP_2)
	v_add_co_ci_u32_e32 v3, vcc_lo, s3, v3, vcc_lo
	s_waitcnt lgkmcnt(0)
	global_store_b16 v[2:3], v1, off
.LBB50_32:
	s_nop 0
	s_sendmsg sendmsg(MSG_DEALLOC_VGPRS)
	s_endpgm
	.section	.rodata,"a",@progbits
	.p2align	6, 0x0
	.amdhsa_kernel _ZN2at6native6mbtopk23computeBlockDigitCountsIljmLin1EEEvNS_4cuda6detail10TensorInfoIKT_T0_EEjPjjS8_iijT1_PSB_Ps
		.amdhsa_group_segment_fixed_size 1024
		.amdhsa_private_segment_fixed_size 0
		.amdhsa_kernarg_size 536
		.amdhsa_user_sgpr_count 13
		.amdhsa_user_sgpr_dispatch_ptr 0
		.amdhsa_user_sgpr_queue_ptr 0
		.amdhsa_user_sgpr_kernarg_segment_ptr 1
		.amdhsa_user_sgpr_dispatch_id 0
		.amdhsa_user_sgpr_private_segment_size 0
		.amdhsa_wavefront_size32 1
		.amdhsa_uses_dynamic_stack 0
		.amdhsa_enable_private_segment 0
		.amdhsa_system_sgpr_workgroup_id_x 1
		.amdhsa_system_sgpr_workgroup_id_y 1
		.amdhsa_system_sgpr_workgroup_id_z 1
		.amdhsa_system_sgpr_workgroup_info 0
		.amdhsa_system_vgpr_workitem_id 0
		.amdhsa_next_free_vgpr 14
		.amdhsa_next_free_sgpr 25
		.amdhsa_reserve_vcc 1
		.amdhsa_float_round_mode_32 0
		.amdhsa_float_round_mode_16_64 0
		.amdhsa_float_denorm_mode_32 3
		.amdhsa_float_denorm_mode_16_64 3
		.amdhsa_dx10_clamp 1
		.amdhsa_ieee_mode 1
		.amdhsa_fp16_overflow 0
		.amdhsa_workgroup_processor_mode 1
		.amdhsa_memory_ordered 1
		.amdhsa_forward_progress 0
		.amdhsa_shared_vgpr_count 0
		.amdhsa_exception_fp_ieee_invalid_op 0
		.amdhsa_exception_fp_denorm_src 0
		.amdhsa_exception_fp_ieee_div_zero 0
		.amdhsa_exception_fp_ieee_overflow 0
		.amdhsa_exception_fp_ieee_underflow 0
		.amdhsa_exception_fp_ieee_inexact 0
		.amdhsa_exception_int_div_zero 0
	.end_amdhsa_kernel
	.section	.text._ZN2at6native6mbtopk23computeBlockDigitCountsIljmLin1EEEvNS_4cuda6detail10TensorInfoIKT_T0_EEjPjjS8_iijT1_PSB_Ps,"axG",@progbits,_ZN2at6native6mbtopk23computeBlockDigitCountsIljmLin1EEEvNS_4cuda6detail10TensorInfoIKT_T0_EEjPjjS8_iijT1_PSB_Ps,comdat
.Lfunc_end50:
	.size	_ZN2at6native6mbtopk23computeBlockDigitCountsIljmLin1EEEvNS_4cuda6detail10TensorInfoIKT_T0_EEjPjjS8_iijT1_PSB_Ps, .Lfunc_end50-_ZN2at6native6mbtopk23computeBlockDigitCountsIljmLin1EEEvNS_4cuda6detail10TensorInfoIKT_T0_EEjPjjS8_iijT1_PSB_Ps
                                        ; -- End function
	.section	.AMDGPU.csdata,"",@progbits
; Kernel info:
; codeLenInByte = 1780
; NumSgprs: 27
; NumVgprs: 14
; ScratchSize: 0
; MemoryBound: 0
; FloatMode: 240
; IeeeMode: 1
; LDSByteSize: 1024 bytes/workgroup (compile time only)
; SGPRBlocks: 3
; VGPRBlocks: 1
; NumSGPRsForWavesPerEU: 27
; NumVGPRsForWavesPerEU: 14
; Occupancy: 16
; WaveLimiterHint : 1
; COMPUTE_PGM_RSRC2:SCRATCH_EN: 0
; COMPUTE_PGM_RSRC2:USER_SGPR: 13
; COMPUTE_PGM_RSRC2:TRAP_HANDLER: 0
; COMPUTE_PGM_RSRC2:TGID_X_EN: 1
; COMPUTE_PGM_RSRC2:TGID_Y_EN: 1
; COMPUTE_PGM_RSRC2:TGID_Z_EN: 1
; COMPUTE_PGM_RSRC2:TIDIG_COMP_CNT: 0
	.section	.text._ZN2at6native6mbtopk10gatherTopKIljLin1EEEvNS_4cuda6detail10TensorInfoIKT_T0_EES8_S8_bjS8_NS5_IS6_S8_EES8_NS5_IlS8_EES8_jjPS6_PjSD_j,"axG",@progbits,_ZN2at6native6mbtopk10gatherTopKIljLin1EEEvNS_4cuda6detail10TensorInfoIKT_T0_EES8_S8_bjS8_NS5_IS6_S8_EES8_NS5_IlS8_EES8_jjPS6_PjSD_j,comdat
	.protected	_ZN2at6native6mbtopk10gatherTopKIljLin1EEEvNS_4cuda6detail10TensorInfoIKT_T0_EES8_S8_bjS8_NS5_IS6_S8_EES8_NS5_IlS8_EES8_jjPS6_PjSD_j ; -- Begin function _ZN2at6native6mbtopk10gatherTopKIljLin1EEEvNS_4cuda6detail10TensorInfoIKT_T0_EES8_S8_bjS8_NS5_IS6_S8_EES8_NS5_IlS8_EES8_jjPS6_PjSD_j
	.globl	_ZN2at6native6mbtopk10gatherTopKIljLin1EEEvNS_4cuda6detail10TensorInfoIKT_T0_EES8_S8_bjS8_NS5_IS6_S8_EES8_NS5_IlS8_EES8_jjPS6_PjSD_j
	.p2align	8
	.type	_ZN2at6native6mbtopk10gatherTopKIljLin1EEEvNS_4cuda6detail10TensorInfoIKT_T0_EES8_S8_bjS8_NS5_IS6_S8_EES8_NS5_IlS8_EES8_jjPS6_PjSD_j,@function
_ZN2at6native6mbtopk10gatherTopKIljLin1EEEvNS_4cuda6detail10TensorInfoIKT_T0_EES8_S8_bjS8_NS5_IS6_S8_EES8_NS5_IlS8_EES8_jjPS6_PjSD_j: ; @_ZN2at6native6mbtopk10gatherTopKIljLin1EEEvNS_4cuda6detail10TensorInfoIKT_T0_EES8_S8_bjS8_NS5_IS6_S8_EES8_NS5_IlS8_EES8_jjPS6_PjSD_j
; %bb.0:
	s_clause 0x1
	s_load_b64 s[2:3], s[0:1], 0x2d8
	s_load_b32 s4, s[0:1], 0x2d0
	s_waitcnt lgkmcnt(0)
	s_mul_i32 s3, s3, s15
	s_delay_alu instid0(SALU_CYCLE_1) | instskip(NEXT) | instid1(SALU_CYCLE_1)
	s_add_i32 s3, s3, s14
	s_mul_i32 s2, s3, s2
	s_delay_alu instid0(SALU_CYCLE_1) | instskip(NEXT) | instid1(SALU_CYCLE_1)
	s_add_i32 s13, s2, s13
	s_cmp_ge_u32 s13, s4
	s_cbranch_scc1 .LBB51_49
; %bb.1:
	s_clause 0x1
	s_load_b128 s[4:7], s[0:1], 0x2a8
	s_load_b32 s2, s[0:1], 0xd0
	s_mov_b32 s19, 0
	s_waitcnt lgkmcnt(0)
	v_cvt_f32_u32_e32 v1, s6
	s_sub_i32 s7, 0, s6
	s_delay_alu instid0(VALU_DEP_1) | instskip(SKIP_2) | instid1(VALU_DEP_1)
	v_rcp_iflag_f32_e32 v1, v1
	s_waitcnt_depctr 0xfff
	v_mul_f32_e32 v1, 0x4f7ffffe, v1
	v_cvt_u32_f32_e32 v1, v1
	s_delay_alu instid0(VALU_DEP_1) | instskip(NEXT) | instid1(VALU_DEP_1)
	v_readfirstlane_b32 s3, v1
	s_mul_i32 s7, s7, s3
	s_delay_alu instid0(SALU_CYCLE_1) | instskip(NEXT) | instid1(SALU_CYCLE_1)
	s_mul_hi_u32 s7, s3, s7
	s_add_i32 s3, s3, s7
	s_delay_alu instid0(SALU_CYCLE_1) | instskip(NEXT) | instid1(SALU_CYCLE_1)
	s_mul_hi_u32 s3, s13, s3
	s_mul_i32 s7, s3, s6
	s_add_i32 s8, s3, 1
	s_sub_i32 s7, s13, s7
	s_delay_alu instid0(SALU_CYCLE_1)
	s_sub_i32 s9, s7, s6
	s_cmp_ge_u32 s7, s6
	s_cselect_b32 s3, s8, s3
	s_cselect_b32 s7, s9, s7
	s_add_i32 s8, s3, 1
	s_cmp_ge_u32 s7, s6
	s_cselect_b32 s20, s8, s3
	s_cmp_lt_i32 s2, 2
	s_mov_b32 s18, s20
	s_cbranch_scc1 .LBB51_4
; %bb.2:
	s_add_i32 s18, s2, -1
	s_add_i32 s7, s2, 1
	s_lshl_b64 s[8:9], s[18:19], 2
	s_mov_b32 s18, s20
	s_add_u32 s2, s8, s0
	s_addc_u32 s3, s9, s1
	s_add_u32 s2, s2, 8
	s_addc_u32 s3, s3, 0
	s_set_inst_prefetch_distance 0x1
	.p2align	6
.LBB51_3:                               ; =>This Inner Loop Header: Depth=1
	s_clause 0x1
	s_load_b32 s8, s[2:3], 0x0
	s_load_b32 s9, s[2:3], 0x64
	s_mov_b32 s12, s18
	s_waitcnt lgkmcnt(0)
	v_cvt_f32_u32_e32 v1, s8
	s_sub_i32 s11, 0, s8
	s_waitcnt_depctr 0xfff
	v_rcp_iflag_f32_e32 v1, v1
	s_waitcnt_depctr 0xfff
	v_mul_f32_e32 v1, 0x4f7ffffe, v1
	s_delay_alu instid0(VALU_DEP_1) | instskip(NEXT) | instid1(VALU_DEP_1)
	v_cvt_u32_f32_e32 v1, v1
	v_readfirstlane_b32 s10, v1
	s_delay_alu instid0(VALU_DEP_1) | instskip(NEXT) | instid1(SALU_CYCLE_1)
	s_mul_i32 s11, s11, s10
	s_mul_hi_u32 s11, s10, s11
	s_delay_alu instid0(SALU_CYCLE_1) | instskip(NEXT) | instid1(SALU_CYCLE_1)
	s_add_i32 s10, s10, s11
	s_mul_hi_u32 s10, s18, s10
	s_delay_alu instid0(SALU_CYCLE_1) | instskip(SKIP_2) | instid1(SALU_CYCLE_1)
	s_mul_i32 s11, s10, s8
	s_add_i32 s14, s10, 1
	s_sub_i32 s11, s18, s11
	s_sub_i32 s15, s11, s8
	s_cmp_ge_u32 s11, s8
	s_cselect_b32 s10, s14, s10
	s_cselect_b32 s11, s15, s11
	s_add_i32 s14, s10, 1
	s_cmp_ge_u32 s11, s8
	s_cselect_b32 s18, s14, s10
	s_add_i32 s7, s7, -1
	s_mul_i32 s8, s18, s8
	s_delay_alu instid0(SALU_CYCLE_1) | instskip(NEXT) | instid1(SALU_CYCLE_1)
	s_sub_i32 s8, s12, s8
	s_mul_i32 s8, s9, s8
	s_delay_alu instid0(SALU_CYCLE_1)
	s_add_i32 s19, s8, s19
	s_add_u32 s2, s2, -4
	s_addc_u32 s3, s3, -1
	s_cmp_gt_u32 s7, 2
	s_cbranch_scc1 .LBB51_3
.LBB51_4:
	s_set_inst_prefetch_distance 0x2
	s_load_b32 s7, s[0:1], 0x1c0
	s_add_u32 s2, s0, 0xf0
	s_addc_u32 s3, s1, 0
	s_mov_b32 s23, 0
	s_mov_b32 s22, s20
	s_waitcnt lgkmcnt(0)
	s_cmp_lt_i32 s7, 2
	s_cbranch_scc1 .LBB51_7
; %bb.5:
	s_add_i32 s22, s7, -1
	s_add_i32 s7, s7, 1
	s_lshl_b64 s[8:9], s[22:23], 2
	s_mov_b32 s22, s20
	s_add_u32 s8, s8, s2
	s_addc_u32 s9, s9, s3
	s_add_u32 s8, s8, 8
	s_addc_u32 s9, s9, 0
	s_set_inst_prefetch_distance 0x1
	.p2align	6
.LBB51_6:                               ; =>This Inner Loop Header: Depth=1
	s_clause 0x1
	s_load_b32 s10, s[8:9], 0x0
	s_load_b32 s11, s[8:9], 0x64
	s_mov_b32 s15, s22
	s_waitcnt lgkmcnt(0)
	v_cvt_f32_u32_e32 v1, s10
	s_sub_i32 s14, 0, s10
	s_waitcnt_depctr 0xfff
	v_rcp_iflag_f32_e32 v1, v1
	s_waitcnt_depctr 0xfff
	v_mul_f32_e32 v1, 0x4f7ffffe, v1
	s_delay_alu instid0(VALU_DEP_1) | instskip(NEXT) | instid1(VALU_DEP_1)
	v_cvt_u32_f32_e32 v1, v1
	v_readfirstlane_b32 s12, v1
	s_delay_alu instid0(VALU_DEP_1) | instskip(NEXT) | instid1(SALU_CYCLE_1)
	s_mul_i32 s14, s14, s12
	s_mul_hi_u32 s14, s12, s14
	s_delay_alu instid0(SALU_CYCLE_1) | instskip(NEXT) | instid1(SALU_CYCLE_1)
	s_add_i32 s12, s12, s14
	s_mul_hi_u32 s12, s22, s12
	s_delay_alu instid0(SALU_CYCLE_1) | instskip(SKIP_2) | instid1(SALU_CYCLE_1)
	s_mul_i32 s14, s12, s10
	s_add_i32 s16, s12, 1
	s_sub_i32 s14, s22, s14
	s_sub_i32 s17, s14, s10
	s_cmp_ge_u32 s14, s10
	s_cselect_b32 s12, s16, s12
	s_cselect_b32 s14, s17, s14
	s_add_i32 s16, s12, 1
	s_cmp_ge_u32 s14, s10
	s_cselect_b32 s22, s16, s12
	s_add_i32 s7, s7, -1
	s_mul_i32 s10, s22, s10
	s_delay_alu instid0(SALU_CYCLE_1) | instskip(NEXT) | instid1(SALU_CYCLE_1)
	s_sub_i32 s10, s15, s10
	s_mul_i32 s10, s11, s10
	s_delay_alu instid0(SALU_CYCLE_1)
	s_add_i32 s23, s10, s23
	s_add_u32 s8, s8, -4
	s_addc_u32 s9, s9, -1
	s_cmp_gt_u32 s7, 2
	s_cbranch_scc1 .LBB51_6
.LBB51_7:
	s_set_inst_prefetch_distance 0x2
	s_clause 0x1
	s_load_b32 s33, s[0:1], 0x6c
	s_load_b32 s7, s[0:1], 0x2a0
	s_add_u32 s8, s0, 0x1d0
	s_addc_u32 s9, s1, 0
	s_mov_b32 s25, 0
	s_mov_b32 s24, s20
	s_waitcnt lgkmcnt(0)
	s_cmp_lt_i32 s7, 2
	s_cbranch_scc1 .LBB51_10
; %bb.8:
	s_add_i32 s24, s7, -1
	s_add_i32 s7, s7, 1
	s_lshl_b64 s[10:11], s[24:25], 2
	s_mov_b32 s24, s20
	s_add_u32 s8, s10, s8
	s_addc_u32 s9, s11, s9
	s_add_u32 s8, s8, 8
	s_addc_u32 s9, s9, 0
	s_set_inst_prefetch_distance 0x1
	.p2align	6
.LBB51_9:                               ; =>This Inner Loop Header: Depth=1
	s_clause 0x1
	s_load_b32 s10, s[8:9], 0x0
	s_load_b32 s11, s[8:9], 0x64
	s_mov_b32 s15, s24
	s_waitcnt lgkmcnt(0)
	v_cvt_f32_u32_e32 v1, s10
	s_sub_i32 s14, 0, s10
	s_waitcnt_depctr 0xfff
	v_rcp_iflag_f32_e32 v1, v1
	s_waitcnt_depctr 0xfff
	v_mul_f32_e32 v1, 0x4f7ffffe, v1
	s_delay_alu instid0(VALU_DEP_1) | instskip(NEXT) | instid1(VALU_DEP_1)
	v_cvt_u32_f32_e32 v1, v1
	v_readfirstlane_b32 s12, v1
	s_delay_alu instid0(VALU_DEP_1) | instskip(NEXT) | instid1(SALU_CYCLE_1)
	s_mul_i32 s14, s14, s12
	s_mul_hi_u32 s14, s12, s14
	s_delay_alu instid0(SALU_CYCLE_1) | instskip(NEXT) | instid1(SALU_CYCLE_1)
	s_add_i32 s12, s12, s14
	s_mul_hi_u32 s12, s24, s12
	s_delay_alu instid0(SALU_CYCLE_1) | instskip(SKIP_2) | instid1(SALU_CYCLE_1)
	s_mul_i32 s14, s12, s10
	s_add_i32 s16, s12, 1
	s_sub_i32 s14, s24, s14
	s_sub_i32 s17, s14, s10
	s_cmp_ge_u32 s14, s10
	s_cselect_b32 s12, s16, s12
	s_cselect_b32 s14, s17, s14
	s_add_i32 s16, s12, 1
	s_cmp_ge_u32 s14, s10
	s_cselect_b32 s24, s16, s12
	s_add_i32 s7, s7, -1
	s_mul_i32 s10, s24, s10
	s_delay_alu instid0(SALU_CYCLE_1) | instskip(NEXT) | instid1(SALU_CYCLE_1)
	s_sub_i32 s10, s15, s10
	s_mul_i32 s10, s11, s10
	s_delay_alu instid0(SALU_CYCLE_1)
	s_add_i32 s25, s10, s25
	s_add_u32 s8, s8, -4
	s_addc_u32 s9, s9, -1
	s_cmp_gt_u32 s7, 2
	s_cbranch_scc1 .LBB51_9
.LBB51_10:
	s_set_inst_prefetch_distance 0x2
	s_clause 0x1
	s_load_b32 s38, s[2:3], 0x6c
	s_load_b128 s[8:11], s[0:1], 0x2b8
	s_mov_b32 s21, 0
	s_mul_i32 s12, s20, s6
	s_lshl_b64 s[2:3], s[20:21], 3
	s_sub_i32 s7, s13, s12
	s_waitcnt lgkmcnt(0)
	s_add_u32 s2, s8, s2
	s_addc_u32 s3, s9, s3
	s_clause 0x2
	s_load_b64 s[30:31], s[0:1], 0x0
	s_load_b64 s[28:29], s[0:1], 0xf0
	;; [unrolled: 1-line block ×4, first 2 shown]
	v_cmp_ne_u32_e64 s2, 0, v0
	v_cmp_eq_u32_e64 s3, 0, v0
	s_delay_alu instid0(VALU_DEP_1)
	s_and_saveexec_b32 s20, s3
	s_cbranch_execz .LBB51_26
; %bb.11:
	s_load_b64 s[8:9], s[0:1], 0x2c8
	s_mov_b32 s13, s21
	s_mov_b32 s39, 0
	s_lshl_b64 s[34:35], s[12:13], 2
	s_mov_b32 s40, 0
	s_add_u32 s12, s10, s34
	s_addc_u32 s13, s11, s35
	s_waitcnt lgkmcnt(0)
	s_add_u32 s14, s8, s34
	s_addc_u32 s15, s9, s35
	s_cmp_lt_u32 s6, 4
	s_cbranch_scc1 .LBB51_23
; %bb.12:
	s_mov_b32 s41, 0
.LBB51_13:                              ; =>This Inner Loop Header: Depth=1
	s_add_u32 s12, s10, s34
	s_addc_u32 s13, s11, s35
	s_add_u32 s36, s8, s34
	s_load_b128 s[12:15], s[12:13], 0x0
	s_addc_u32 s37, s9, s35
	s_cmp_ge_u32 s41, s7
	s_cbranch_scc0 .LBB51_20
; %bb.14:                               ;   in Loop: Header=BB51_13 Depth=1
	s_add_i32 s42, s41, 1
	s_delay_alu instid0(SALU_CYCLE_1)
	s_cmp_ge_u32 s42, s7
	s_cbranch_scc0 .LBB51_21
.LBB51_15:                              ;   in Loop: Header=BB51_13 Depth=1
	s_add_i32 s42, s42, 1
	s_delay_alu instid0(SALU_CYCLE_1)
	s_cmp_ge_u32 s42, s7
	s_cbranch_scc0 .LBB51_22
.LBB51_16:                              ;   in Loop: Header=BB51_13 Depth=1
	s_add_i32 s42, s42, 1
	s_delay_alu instid0(SALU_CYCLE_1)
	s_cmp_ge_u32 s42, s7
	s_cbranch_scc1 .LBB51_18
.LBB51_17:                              ;   in Loop: Header=BB51_13 Depth=1
	s_load_b32 s36, s[36:37], 0xc
	s_waitcnt lgkmcnt(0)
	s_add_i32 s21, s21, s15
	s_add_i32 s39, s36, s39
.LBB51_18:                              ;   in Loop: Header=BB51_13 Depth=1
	s_waitcnt lgkmcnt(0)
	s_add_i32 s12, s12, s40
	s_delay_alu instid0(SALU_CYCLE_1) | instskip(NEXT) | instid1(SALU_CYCLE_1)
	s_add_i32 s12, s12, s13
	s_add_i32 s12, s12, s14
	s_delay_alu instid0(SALU_CYCLE_1)
	s_add_i32 s40, s12, s15
	s_add_u32 s10, s10, 16
	s_addc_u32 s11, s11, 0
	s_add_u32 s8, s8, 16
	s_addc_u32 s9, s9, 0
	s_add_i32 s37, s42, 4
	s_add_u32 s14, s8, s34
	s_addc_u32 s15, s9, s35
	s_add_u32 s12, s10, s34
	s_addc_u32 s13, s11, s35
	s_add_i32 s36, s42, 1
	s_cmp_ge_u32 s37, s6
	s_cbranch_scc1 .LBB51_24
; %bb.19:                               ;   in Loop: Header=BB51_13 Depth=1
	s_mov_b32 s41, s36
	s_branch .LBB51_13
.LBB51_20:                              ;   in Loop: Header=BB51_13 Depth=1
	s_load_b32 s42, s[36:37], 0x0
	s_waitcnt lgkmcnt(0)
	s_add_i32 s21, s12, s21
	s_add_i32 s39, s42, s39
	;; [unrolled: 1-line block ×3, first 2 shown]
	s_delay_alu instid0(SALU_CYCLE_1)
	s_cmp_ge_u32 s42, s7
	s_cbranch_scc1 .LBB51_15
.LBB51_21:                              ;   in Loop: Header=BB51_13 Depth=1
	s_load_b32 s43, s[36:37], 0x4
	s_waitcnt lgkmcnt(0)
	s_add_i32 s21, s21, s13
	s_add_i32 s39, s43, s39
	;; [unrolled: 1-line block ×3, first 2 shown]
	s_delay_alu instid0(SALU_CYCLE_1)
	s_cmp_ge_u32 s42, s7
	s_cbranch_scc1 .LBB51_16
.LBB51_22:                              ;   in Loop: Header=BB51_13 Depth=1
	s_load_b32 s43, s[36:37], 0x8
	s_waitcnt lgkmcnt(0)
	s_add_i32 s21, s21, s14
	s_add_i32 s39, s43, s39
	;; [unrolled: 1-line block ×3, first 2 shown]
	s_delay_alu instid0(SALU_CYCLE_1)
	s_cmp_ge_u32 s42, s7
	s_cbranch_scc0 .LBB51_17
	s_branch .LBB51_18
.LBB51_23:
	s_mov_b32 s8, 0
	s_delay_alu instid0(SALU_CYCLE_1)
	s_cmp_ge_u32 s8, s6
	s_cbranch_scc0 .LBB51_47
	s_branch .LBB51_25
.LBB51_24:
	s_add_i32 s8, s41, 4
	s_delay_alu instid0(SALU_CYCLE_1)
	s_cmp_ge_u32 s8, s6
	s_cbranch_scc0 .LBB51_47
.LBB51_25:
	v_dual_mov_b32 v1, s39 :: v_dual_mov_b32 v2, s40
	v_dual_mov_b32 v3, s21 :: v_dual_mov_b32 v4, 0
	ds_store_b96 v4, v[1:3] offset:1056
.LBB51_26:
	s_or_b32 exec_lo, exec_lo, s20
	s_clause 0x1
	s_load_b32 s12, s[0:1], 0x23c
	s_load_b128 s[8:11], s[0:1], 0xd8
	s_waitcnt lgkmcnt(0)
	s_mul_i32 s11, s5, s7
	s_add_i32 s7, s7, 1
	s_lshl_b32 s20, s11, 8
	s_barrier
	buffer_gl0_inv
	s_sub_i32 s11, s8, s20
	s_delay_alu instid0(SALU_CYCLE_1) | instskip(SKIP_4) | instid1(VALU_DEP_1)
	s_add_u32 s11, s11, 0xff
	s_addc_u32 s13, 0, 0
	s_cmp_lt_u32 s7, s6
	v_alignbit_b32 v1, s13, s11, 8
	s_mov_b32 s7, 0
	v_readfirstlane_b32 s11, v1
	s_delay_alu instid0(VALU_DEP_1) | instskip(NEXT) | instid1(SALU_CYCLE_1)
	s_cselect_b32 s5, s5, s11
	s_cmp_eq_u32 s5, 0
	s_cbranch_scc1 .LBB51_49
; %bb.27:
	v_dual_mov_b32 v5, 0 :: v_dual_add_nc_u32 v6, -1, v0
	s_mul_i32 s6, s33, s18
	v_lshrrev_b32_e32 v4, 5, v0
	s_add_i32 s6, s6, s19
	ds_load_b96 v[1:3], v5 offset:1056
	s_clause 0x1
	s_load_b32 s21, s[0:1], 0xe8
	s_load_b32 s11, s[0:1], 0x1c8
	s_mul_i32 s13, s38, s22
	s_mul_i32 s12, s12, s24
	s_lshl_b64 s[0:1], s[6:7], 3
	s_mov_b32 s15, s7
	s_add_i32 s14, s13, s23
	s_add_i32 s34, s12, s25
	s_add_u32 s12, s30, s0
	s_addc_u32 s13, s31, s1
	s_lshl_b64 s[0:1], s[14:15], 3
	v_add_lshl_u32 v9, v4, v0, 2
	v_lshrrev_b32_e32 v4, 2, v0
	s_mov_b32 s35, s7
	s_add_u32 s14, s28, s0
	s_addc_u32 s15, s29, s1
	s_lshl_b64 s[0:1], s[34:35], 3
	v_lshrrev_b32_e32 v7, 5, v6
	v_mbcnt_lo_u32_b32 v10, -1, 0
	s_add_u32 s18, s26, s0
	s_waitcnt lgkmcnt(0)
	v_add_nc_u32_e32 v8, v1, v2
	v_lshlrev_b32_e32 v2, 3, v0
	v_add_nc_u32_e32 v1, s20, v0
	v_cmp_gt_u32_e64 s0, 32, v0
	s_addc_u32 s19, s27, s1
	s_xor_b32 s7, s17, 0x80000000
	v_add_lshl_u32 v0, v4, v2, 2
	v_mul_lo_u32 v4, s21, v1
	v_add_lshl_u32 v11, v7, v6, 2
	v_and_b32_e32 v12, 15, v10
	v_bfe_i32 v13, v10, 4, 1
	v_add_nc_u32_e32 v14, -1, v10
	s_bitcmp1_b32 s10, 0
	s_mov_b32 s6, s16
	s_cselect_b32 s1, -1, 0
	s_lshl_b32 s10, s21, 8
                                        ; implicit-def: $vgpr6_vgpr7
	s_branch .LBB51_30
.LBB51_28:                              ;   in Loop: Header=BB51_30 Depth=1
	s_or_b32 exec_lo, exec_lo, s20
	v_add_nc_u32_e32 v8, v17, v8
.LBB51_29:                              ;   in Loop: Header=BB51_30 Depth=1
	v_add_nc_u32_e32 v3, v16, v3
	v_add_nc_u32_e32 v4, s10, v4
	;; [unrolled: 1-line block ×3, first 2 shown]
	s_add_i32 s5, s5, -1
	s_delay_alu instid0(SALU_CYCLE_1)
	s_cmp_lg_u32 s5, 0
	s_cbranch_scc0 .LBB51_49
.LBB51_30:                              ; =>This Inner Loop Header: Depth=1
	v_dual_mov_b32 v2, 0 :: v_dual_mov_b32 v15, 0
	s_mov_b32 s20, exec_lo
	v_cmpx_gt_u32_e64 s8, v1
	s_cbranch_execz .LBB51_32
; %bb.31:                               ;   in Loop: Header=BB51_30 Depth=1
	v_lshlrev_b64 v[6:7], 3, v[4:5]
	s_delay_alu instid0(VALU_DEP_1) | instskip(NEXT) | instid1(VALU_DEP_2)
	v_add_co_u32 v6, vcc_lo, s12, v6
	v_add_co_ci_u32_e32 v7, vcc_lo, s13, v7, vcc_lo
	global_load_b64 v[6:7], v[6:7], off
	s_waitcnt vmcnt(0)
	v_xor_b32_e32 v16, 0x80000000, v7
	v_mov_b32_e32 v15, v6
	s_delay_alu instid0(VALU_DEP_1) | instskip(SKIP_4) | instid1(VALU_DEP_2)
	v_cmp_lt_u64_e32 vcc_lo, s[6:7], v[15:16]
	v_cndmask_b32_e64 v2, 0, 1, vcc_lo
	v_cmp_gt_u64_e32 vcc_lo, s[6:7], v[15:16]
	v_cndmask_b32_e64 v15, 0, 1, vcc_lo
	v_cmp_eq_u64_e32 vcc_lo, s[16:17], v[6:7]
	v_cndmask_b32_e64 v2, v15, v2, s1
	v_cndmask_b32_e64 v15, 0, 1, vcc_lo
	s_delay_alu instid0(VALU_DEP_2)
	v_and_b32_e32 v2, 1, v2
.LBB51_32:                              ;   in Loop: Header=BB51_30 Depth=1
	s_or_b32 exec_lo, exec_lo, s20
	ds_store_b32 v9, v2
	s_waitcnt lgkmcnt(0)
	s_waitcnt_vscnt null, 0x0
	s_barrier
	buffer_gl0_inv
	s_and_saveexec_b32 s20, s0
	s_cbranch_execz .LBB51_34
; %bb.33:                               ;   in Loop: Header=BB51_30 Depth=1
	ds_load_2addr_b32 v[16:17], v0 offset1:1
	ds_load_2addr_b32 v[18:19], v0 offset0:2 offset1:3
	ds_load_2addr_b32 v[20:21], v0 offset0:4 offset1:5
	;; [unrolled: 1-line block ×3, first 2 shown]
	v_cmp_ne_u32_e32 vcc_lo, 0, v12
	; wave barrier
	s_waitcnt lgkmcnt(3)
	v_add_nc_u32_e32 v17, v17, v16
	s_waitcnt lgkmcnt(2)
	s_delay_alu instid0(VALU_DEP_1) | instskip(SKIP_1) | instid1(VALU_DEP_1)
	v_add3_u32 v17, v17, v18, v19
	s_waitcnt lgkmcnt(1)
	v_add3_u32 v17, v17, v20, v21
	s_waitcnt lgkmcnt(0)
	s_delay_alu instid0(VALU_DEP_1) | instskip(NEXT) | instid1(VALU_DEP_1)
	v_add3_u32 v17, v17, v22, v23
	v_mov_b32_dpp v18, v17 row_shr:1 row_mask:0xf bank_mask:0xf
	s_delay_alu instid0(VALU_DEP_1) | instskip(SKIP_1) | instid1(VALU_DEP_2)
	v_cndmask_b32_e32 v18, 0, v18, vcc_lo
	v_cmp_lt_u32_e32 vcc_lo, 1, v12
	v_add_nc_u32_e32 v17, v18, v17
	s_delay_alu instid0(VALU_DEP_1) | instskip(NEXT) | instid1(VALU_DEP_1)
	v_mov_b32_dpp v18, v17 row_shr:2 row_mask:0xf bank_mask:0xf
	v_cndmask_b32_e32 v18, 0, v18, vcc_lo
	v_cmp_lt_u32_e32 vcc_lo, 3, v12
	s_delay_alu instid0(VALU_DEP_2) | instskip(NEXT) | instid1(VALU_DEP_1)
	v_add_nc_u32_e32 v17, v17, v18
	v_mov_b32_dpp v18, v17 row_shr:4 row_mask:0xf bank_mask:0xf
	s_delay_alu instid0(VALU_DEP_1) | instskip(SKIP_1) | instid1(VALU_DEP_2)
	v_cndmask_b32_e32 v18, 0, v18, vcc_lo
	v_cmp_lt_u32_e32 vcc_lo, 7, v12
	v_add_nc_u32_e32 v17, v17, v18
	s_delay_alu instid0(VALU_DEP_1) | instskip(NEXT) | instid1(VALU_DEP_1)
	v_mov_b32_dpp v18, v17 row_shr:8 row_mask:0xf bank_mask:0xf
	v_cndmask_b32_e32 v18, 0, v18, vcc_lo
	v_cmp_gt_i32_e32 vcc_lo, 0, v14
	s_delay_alu instid0(VALU_DEP_2)
	v_add_nc_u32_e32 v17, v17, v18
	v_cndmask_b32_e32 v19, v14, v10, vcc_lo
	ds_swizzle_b32 v18, v17 offset:swizzle(BROADCAST,32,15)
	v_lshlrev_b32_e32 v19, 2, v19
	s_waitcnt lgkmcnt(0)
	v_and_b32_e32 v18, v13, v18
	s_delay_alu instid0(VALU_DEP_1) | instskip(SKIP_3) | instid1(VALU_DEP_1)
	v_add_nc_u32_e32 v17, v17, v18
	ds_bpermute_b32 v17, v19, v17
	s_waitcnt lgkmcnt(0)
	v_add_nc_u32_e32 v16, v17, v16
	v_cndmask_b32_e64 v22, v16, v2, s3
	ds_store_b32 v0, v22
	; wave barrier
	ds_load_2addr_b32 v[16:17], v0 offset0:1 offset1:2
	ds_load_2addr_b32 v[18:19], v0 offset0:3 offset1:4
	;; [unrolled: 1-line block ×3, first 2 shown]
	ds_load_b32 v23, v0 offset:28
	s_waitcnt lgkmcnt(3)
	v_add_nc_u32_e32 v16, v16, v22
	s_delay_alu instid0(VALU_DEP_1) | instskip(SKIP_1) | instid1(VALU_DEP_1)
	v_add_nc_u32_e32 v17, v17, v16
	s_waitcnt lgkmcnt(2)
	v_add_nc_u32_e32 v18, v18, v17
	s_delay_alu instid0(VALU_DEP_1) | instskip(SKIP_1) | instid1(VALU_DEP_1)
	v_add_nc_u32_e32 v19, v19, v18
	;; [unrolled: 4-line block ×3, first 2 shown]
	s_waitcnt lgkmcnt(0)
	v_add_nc_u32_e32 v22, v23, v21
	ds_store_2addr_b32 v0, v16, v17 offset0:1 offset1:2
	ds_store_2addr_b32 v0, v18, v19 offset0:3 offset1:4
	;; [unrolled: 1-line block ×3, first 2 shown]
	ds_store_b32 v0, v22 offset:28
.LBB51_34:                              ;   in Loop: Header=BB51_30 Depth=1
	s_or_b32 exec_lo, exec_lo, s20
	v_mov_b32_e32 v17, 0
	s_waitcnt lgkmcnt(0)
	s_barrier
	buffer_gl0_inv
	s_and_saveexec_b32 s20, s2
	s_cbranch_execz .LBB51_36
; %bb.35:                               ;   in Loop: Header=BB51_30 Depth=1
	ds_load_b32 v17, v11
.LBB51_36:                              ;   in Loop: Header=BB51_30 Depth=1
	s_or_b32 exec_lo, exec_lo, s20
	ds_load_b32 v16, v5 offset:1048
	s_mov_b32 s20, exec_lo
	s_waitcnt lgkmcnt(0)
	s_barrier
	buffer_gl0_inv
	v_cmpx_ne_u32_e32 0, v2
	s_cbranch_execz .LBB51_38
; %bb.37:                               ;   in Loop: Header=BB51_30 Depth=1
	v_add_nc_u32_e32 v2, v17, v3
	v_mov_b32_e32 v18, v5
	v_mov_b32_e32 v20, v5
	s_delay_alu instid0(VALU_DEP_3) | instskip(SKIP_2) | instid1(VALU_DEP_3)
	v_mul_lo_u32 v17, v2, s11
	v_mul_lo_u32 v19, v2, s4
	v_mov_b32_e32 v2, v5
	v_lshlrev_b64 v[17:18], 3, v[17:18]
	s_delay_alu instid0(VALU_DEP_3) | instskip(NEXT) | instid1(VALU_DEP_2)
	v_lshlrev_b64 v[19:20], 3, v[19:20]
	v_add_co_u32 v17, vcc_lo, s14, v17
	s_delay_alu instid0(VALU_DEP_3) | instskip(NEXT) | instid1(VALU_DEP_3)
	v_add_co_ci_u32_e32 v18, vcc_lo, s15, v18, vcc_lo
	v_add_co_u32 v19, vcc_lo, s18, v19
	s_delay_alu instid0(VALU_DEP_4)
	v_add_co_ci_u32_e32 v20, vcc_lo, s19, v20, vcc_lo
	global_store_b64 v[17:18], v[6:7], off
	global_store_b64 v[19:20], v[1:2], off
.LBB51_38:                              ;   in Loop: Header=BB51_30 Depth=1
	s_or_b32 exec_lo, exec_lo, s20
	v_cmp_le_u32_e32 vcc_lo, s9, v8
	s_cbranch_vccnz .LBB51_29
; %bb.39:                               ;   in Loop: Header=BB51_30 Depth=1
	ds_store_b32 v9, v15
	s_waitcnt lgkmcnt(0)
	s_waitcnt_vscnt null, 0x0
	s_barrier
	buffer_gl0_inv
	s_and_saveexec_b32 s20, s0
	s_cbranch_execz .LBB51_41
; %bb.40:                               ;   in Loop: Header=BB51_30 Depth=1
	ds_load_2addr_b32 v[17:18], v0 offset1:1
	ds_load_2addr_b32 v[19:20], v0 offset0:2 offset1:3
	ds_load_2addr_b32 v[21:22], v0 offset0:4 offset1:5
	;; [unrolled: 1-line block ×3, first 2 shown]
	v_cmp_ne_u32_e32 vcc_lo, 0, v12
	; wave barrier
	s_waitcnt lgkmcnt(3)
	v_add_nc_u32_e32 v2, v18, v17
	s_waitcnt lgkmcnt(2)
	s_delay_alu instid0(VALU_DEP_1) | instskip(SKIP_1) | instid1(VALU_DEP_1)
	v_add3_u32 v2, v2, v19, v20
	s_waitcnt lgkmcnt(1)
	v_add3_u32 v2, v2, v21, v22
	s_waitcnt lgkmcnt(0)
	s_delay_alu instid0(VALU_DEP_1) | instskip(NEXT) | instid1(VALU_DEP_1)
	v_add3_u32 v2, v2, v23, v24
	v_mov_b32_dpp v18, v2 row_shr:1 row_mask:0xf bank_mask:0xf
	s_delay_alu instid0(VALU_DEP_1) | instskip(SKIP_1) | instid1(VALU_DEP_2)
	v_cndmask_b32_e32 v18, 0, v18, vcc_lo
	v_cmp_lt_u32_e32 vcc_lo, 1, v12
	v_add_nc_u32_e32 v2, v18, v2
	s_delay_alu instid0(VALU_DEP_1) | instskip(NEXT) | instid1(VALU_DEP_1)
	v_mov_b32_dpp v18, v2 row_shr:2 row_mask:0xf bank_mask:0xf
	v_cndmask_b32_e32 v18, 0, v18, vcc_lo
	v_cmp_lt_u32_e32 vcc_lo, 3, v12
	s_delay_alu instid0(VALU_DEP_2) | instskip(NEXT) | instid1(VALU_DEP_1)
	v_add_nc_u32_e32 v2, v2, v18
	v_mov_b32_dpp v18, v2 row_shr:4 row_mask:0xf bank_mask:0xf
	s_delay_alu instid0(VALU_DEP_1) | instskip(SKIP_1) | instid1(VALU_DEP_2)
	v_cndmask_b32_e32 v18, 0, v18, vcc_lo
	v_cmp_lt_u32_e32 vcc_lo, 7, v12
	v_add_nc_u32_e32 v2, v2, v18
	s_delay_alu instid0(VALU_DEP_1) | instskip(NEXT) | instid1(VALU_DEP_1)
	v_mov_b32_dpp v18, v2 row_shr:8 row_mask:0xf bank_mask:0xf
	v_cndmask_b32_e32 v18, 0, v18, vcc_lo
	v_cmp_gt_i32_e32 vcc_lo, 0, v14
	s_delay_alu instid0(VALU_DEP_2)
	v_add_nc_u32_e32 v2, v2, v18
	v_cndmask_b32_e32 v19, v14, v10, vcc_lo
	ds_swizzle_b32 v18, v2 offset:swizzle(BROADCAST,32,15)
	v_lshlrev_b32_e32 v19, 2, v19
	s_waitcnt lgkmcnt(0)
	v_and_b32_e32 v18, v13, v18
	s_delay_alu instid0(VALU_DEP_1) | instskip(SKIP_3) | instid1(VALU_DEP_1)
	v_add_nc_u32_e32 v2, v2, v18
	ds_bpermute_b32 v2, v19, v2
	s_waitcnt lgkmcnt(0)
	v_add_nc_u32_e32 v2, v2, v17
	v_cndmask_b32_e64 v2, v2, v15, s3
	ds_store_b32 v0, v2
	; wave barrier
	ds_load_2addr_b32 v[17:18], v0 offset0:1 offset1:2
	ds_load_2addr_b32 v[19:20], v0 offset0:3 offset1:4
	;; [unrolled: 1-line block ×3, first 2 shown]
	ds_load_b32 v23, v0 offset:28
	s_waitcnt lgkmcnt(3)
	v_add_nc_u32_e32 v2, v17, v2
	s_delay_alu instid0(VALU_DEP_1) | instskip(SKIP_1) | instid1(VALU_DEP_1)
	v_add_nc_u32_e32 v17, v18, v2
	s_waitcnt lgkmcnt(2)
	v_add_nc_u32_e32 v18, v19, v17
	s_delay_alu instid0(VALU_DEP_1) | instskip(SKIP_1) | instid1(VALU_DEP_1)
	v_add_nc_u32_e32 v19, v20, v18
	;; [unrolled: 4-line block ×3, first 2 shown]
	s_waitcnt lgkmcnt(0)
	v_add_nc_u32_e32 v22, v23, v21
	ds_store_2addr_b32 v0, v2, v17 offset0:1 offset1:2
	ds_store_2addr_b32 v0, v18, v19 offset0:3 offset1:4
	;; [unrolled: 1-line block ×3, first 2 shown]
	ds_store_b32 v0, v22 offset:28
.LBB51_41:                              ;   in Loop: Header=BB51_30 Depth=1
	s_or_b32 exec_lo, exec_lo, s20
	v_mov_b32_e32 v2, 0
	s_waitcnt lgkmcnt(0)
	s_barrier
	buffer_gl0_inv
	s_and_saveexec_b32 s20, s2
	s_cbranch_execz .LBB51_43
; %bb.42:                               ;   in Loop: Header=BB51_30 Depth=1
	ds_load_b32 v2, v11
.LBB51_43:                              ;   in Loop: Header=BB51_30 Depth=1
	s_or_b32 exec_lo, exec_lo, s20
	ds_load_b32 v17, v5 offset:1048
	s_mov_b32 s20, exec_lo
	s_waitcnt lgkmcnt(0)
	s_barrier
	buffer_gl0_inv
	v_cmpx_ne_u32_e32 0, v15
	s_cbranch_execz .LBB51_28
; %bb.44:                               ;   in Loop: Header=BB51_30 Depth=1
	v_add_nc_u32_e32 v2, v2, v8
	s_delay_alu instid0(VALU_DEP_1)
	v_cmp_gt_u32_e32 vcc_lo, s9, v2
	s_and_b32 exec_lo, exec_lo, vcc_lo
	s_cbranch_execz .LBB51_28
; %bb.45:                               ;   in Loop: Header=BB51_30 Depth=1
	v_mul_lo_u32 v18, v2, s11
	v_mov_b32_e32 v19, v5
	v_mul_lo_u32 v20, v2, s4
	v_mov_b32_e32 v21, v5
	v_mov_b32_e32 v2, v5
	s_delay_alu instid0(VALU_DEP_4) | instskip(NEXT) | instid1(VALU_DEP_3)
	v_lshlrev_b64 v[18:19], 3, v[18:19]
	v_lshlrev_b64 v[20:21], 3, v[20:21]
	s_delay_alu instid0(VALU_DEP_2) | instskip(NEXT) | instid1(VALU_DEP_3)
	v_add_co_u32 v18, vcc_lo, s14, v18
	v_add_co_ci_u32_e32 v19, vcc_lo, s15, v19, vcc_lo
	s_delay_alu instid0(VALU_DEP_3) | instskip(NEXT) | instid1(VALU_DEP_4)
	v_add_co_u32 v20, vcc_lo, s18, v20
	v_add_co_ci_u32_e32 v21, vcc_lo, s19, v21, vcc_lo
	global_store_b64 v[18:19], v[6:7], off
	global_store_b64 v[20:21], v[1:2], off
	s_branch .LBB51_28
	.p2align	6
.LBB51_46:                              ;   in Loop: Header=BB51_47 Depth=1
	s_add_u32 s12, s12, 4
	s_addc_u32 s13, s13, 0
	s_waitcnt lgkmcnt(0)
	s_add_i32 s40, s9, s40
	s_add_u32 s14, s14, 4
	s_addc_u32 s15, s15, 0
	s_add_i32 s8, s8, 1
	s_delay_alu instid0(SALU_CYCLE_1)
	s_cmp_lt_u32 s8, s6
	s_cbranch_scc0 .LBB51_25
.LBB51_47:                              ; =>This Inner Loop Header: Depth=1
	s_load_b32 s9, s[12:13], 0x0
	s_cmp_ge_u32 s8, s7
	s_cbranch_scc1 .LBB51_46
; %bb.48:                               ;   in Loop: Header=BB51_47 Depth=1
	s_load_b32 s10, s[14:15], 0x0
	s_waitcnt lgkmcnt(0)
	s_add_i32 s21, s9, s21
	s_add_i32 s39, s10, s39
	s_branch .LBB51_46
.LBB51_49:
	s_nop 0
	s_sendmsg sendmsg(MSG_DEALLOC_VGPRS)
	s_endpgm
	.section	.rodata,"a",@progbits
	.p2align	6, 0x0
	.amdhsa_kernel _ZN2at6native6mbtopk10gatherTopKIljLin1EEEvNS_4cuda6detail10TensorInfoIKT_T0_EES8_S8_bjS8_NS5_IS6_S8_EES8_NS5_IlS8_EES8_jjPS6_PjSD_j
		.amdhsa_group_segment_fixed_size 1068
		.amdhsa_private_segment_fixed_size 0
		.amdhsa_kernarg_size 984
		.amdhsa_user_sgpr_count 13
		.amdhsa_user_sgpr_dispatch_ptr 0
		.amdhsa_user_sgpr_queue_ptr 0
		.amdhsa_user_sgpr_kernarg_segment_ptr 1
		.amdhsa_user_sgpr_dispatch_id 0
		.amdhsa_user_sgpr_private_segment_size 0
		.amdhsa_wavefront_size32 1
		.amdhsa_uses_dynamic_stack 0
		.amdhsa_enable_private_segment 0
		.amdhsa_system_sgpr_workgroup_id_x 1
		.amdhsa_system_sgpr_workgroup_id_y 1
		.amdhsa_system_sgpr_workgroup_id_z 1
		.amdhsa_system_sgpr_workgroup_info 0
		.amdhsa_system_vgpr_workitem_id 0
		.amdhsa_next_free_vgpr 25
		.amdhsa_next_free_sgpr 44
		.amdhsa_reserve_vcc 1
		.amdhsa_float_round_mode_32 0
		.amdhsa_float_round_mode_16_64 0
		.amdhsa_float_denorm_mode_32 3
		.amdhsa_float_denorm_mode_16_64 3
		.amdhsa_dx10_clamp 1
		.amdhsa_ieee_mode 1
		.amdhsa_fp16_overflow 0
		.amdhsa_workgroup_processor_mode 1
		.amdhsa_memory_ordered 1
		.amdhsa_forward_progress 0
		.amdhsa_shared_vgpr_count 0
		.amdhsa_exception_fp_ieee_invalid_op 0
		.amdhsa_exception_fp_denorm_src 0
		.amdhsa_exception_fp_ieee_div_zero 0
		.amdhsa_exception_fp_ieee_overflow 0
		.amdhsa_exception_fp_ieee_underflow 0
		.amdhsa_exception_fp_ieee_inexact 0
		.amdhsa_exception_int_div_zero 0
	.end_amdhsa_kernel
	.section	.text._ZN2at6native6mbtopk10gatherTopKIljLin1EEEvNS_4cuda6detail10TensorInfoIKT_T0_EES8_S8_bjS8_NS5_IS6_S8_EES8_NS5_IlS8_EES8_jjPS6_PjSD_j,"axG",@progbits,_ZN2at6native6mbtopk10gatherTopKIljLin1EEEvNS_4cuda6detail10TensorInfoIKT_T0_EES8_S8_bjS8_NS5_IS6_S8_EES8_NS5_IlS8_EES8_jjPS6_PjSD_j,comdat
.Lfunc_end51:
	.size	_ZN2at6native6mbtopk10gatherTopKIljLin1EEEvNS_4cuda6detail10TensorInfoIKT_T0_EES8_S8_bjS8_NS5_IS6_S8_EES8_NS5_IlS8_EES8_jjPS6_PjSD_j, .Lfunc_end51-_ZN2at6native6mbtopk10gatherTopKIljLin1EEEvNS_4cuda6detail10TensorInfoIKT_T0_EES8_S8_bjS8_NS5_IS6_S8_EES8_NS5_IlS8_EES8_jjPS6_PjSD_j
                                        ; -- End function
	.section	.AMDGPU.csdata,"",@progbits
; Kernel info:
; codeLenInByte = 3296
; NumSgprs: 46
; NumVgprs: 25
; ScratchSize: 0
; MemoryBound: 0
; FloatMode: 240
; IeeeMode: 1
; LDSByteSize: 1068 bytes/workgroup (compile time only)
; SGPRBlocks: 5
; VGPRBlocks: 3
; NumSGPRsForWavesPerEU: 46
; NumVGPRsForWavesPerEU: 25
; Occupancy: 16
; WaveLimiterHint : 1
; COMPUTE_PGM_RSRC2:SCRATCH_EN: 0
; COMPUTE_PGM_RSRC2:USER_SGPR: 13
; COMPUTE_PGM_RSRC2:TRAP_HANDLER: 0
; COMPUTE_PGM_RSRC2:TGID_X_EN: 1
; COMPUTE_PGM_RSRC2:TGID_Y_EN: 1
; COMPUTE_PGM_RSRC2:TGID_Z_EN: 1
; COMPUTE_PGM_RSRC2:TIDIG_COMP_CNT: 0
	.section	.text._ZN2at6native6sbtopk10gatherTopKIljLin1ELb0EEEvNS_4cuda6detail10TensorInfoIKT_T0_EES8_S8_bS8_S8_NS5_IS6_S8_EES8_NS5_IlS8_EES8_PS6_,"axG",@progbits,_ZN2at6native6sbtopk10gatherTopKIljLin1ELb0EEEvNS_4cuda6detail10TensorInfoIKT_T0_EES8_S8_bS8_S8_NS5_IS6_S8_EES8_NS5_IlS8_EES8_PS6_,comdat
	.protected	_ZN2at6native6sbtopk10gatherTopKIljLin1ELb0EEEvNS_4cuda6detail10TensorInfoIKT_T0_EES8_S8_bS8_S8_NS5_IS6_S8_EES8_NS5_IlS8_EES8_PS6_ ; -- Begin function _ZN2at6native6sbtopk10gatherTopKIljLin1ELb0EEEvNS_4cuda6detail10TensorInfoIKT_T0_EES8_S8_bS8_S8_NS5_IS6_S8_EES8_NS5_IlS8_EES8_PS6_
	.globl	_ZN2at6native6sbtopk10gatherTopKIljLin1ELb0EEEvNS_4cuda6detail10TensorInfoIKT_T0_EES8_S8_bS8_S8_NS5_IS6_S8_EES8_NS5_IlS8_EES8_PS6_
	.p2align	8
	.type	_ZN2at6native6sbtopk10gatherTopKIljLin1ELb0EEEvNS_4cuda6detail10TensorInfoIKT_T0_EES8_S8_bS8_S8_NS5_IS6_S8_EES8_NS5_IlS8_EES8_PS6_,@function
_ZN2at6native6sbtopk10gatherTopKIljLin1ELb0EEEvNS_4cuda6detail10TensorInfoIKT_T0_EES8_S8_bS8_S8_NS5_IS6_S8_EES8_NS5_IlS8_EES8_PS6_: ; @_ZN2at6native6sbtopk10gatherTopKIljLin1ELb0EEEvNS_4cuda6detail10TensorInfoIKT_T0_EES8_S8_bS8_S8_NS5_IS6_S8_EES8_NS5_IlS8_EES8_PS6_
; %bb.0:
	s_clause 0x1
	s_load_b64 s[4:5], s[0:1], 0x2b8
	s_load_b128 s[36:39], s[0:1], 0xd8
	s_add_u32 s6, s0, 0x2b8
	s_addc_u32 s7, s1, 0
	s_waitcnt lgkmcnt(0)
	s_mul_i32 s2, s5, s15
	s_delay_alu instid0(SALU_CYCLE_1) | instskip(NEXT) | instid1(SALU_CYCLE_1)
	s_add_i32 s2, s2, s14
	s_mul_i32 s2, s2, s4
	s_delay_alu instid0(SALU_CYCLE_1) | instskip(NEXT) | instid1(SALU_CYCLE_1)
	s_add_i32 s48, s2, s13
	s_cmp_ge_u32 s48, s39
	s_cbranch_scc1 .LBB52_475
; %bb.1:
	s_clause 0x1
	s_load_b32 s5, s[0:1], 0xd0
	s_load_b32 s30, s[0:1], 0xe8
	s_mov_b32 s3, 0
	s_mov_b32 s2, s48
	s_waitcnt lgkmcnt(0)
	s_cmp_lt_i32 s5, 2
	s_cbranch_scc1 .LBB52_4
; %bb.2:
	s_add_i32 s2, s5, -1
	s_add_i32 s5, s5, 1
	s_lshl_b64 s[8:9], s[2:3], 2
	s_delay_alu instid0(SALU_CYCLE_1)
	s_add_u32 s2, s8, s0
	s_addc_u32 s9, s9, s1
	s_add_u32 s8, s2, 8
	s_addc_u32 s9, s9, 0
	s_mov_b32 s2, s48
	s_set_inst_prefetch_distance 0x1
	.p2align	6
.LBB52_3:                               ; =>This Inner Loop Header: Depth=1
	s_clause 0x1
	s_load_b32 s10, s[8:9], 0x0
	s_load_b32 s11, s[8:9], 0x64
	s_mov_b32 s15, s2
	s_waitcnt lgkmcnt(0)
	v_cvt_f32_u32_e32 v1, s10
	s_sub_i32 s14, 0, s10
	s_waitcnt_depctr 0xfff
	v_rcp_iflag_f32_e32 v1, v1
	s_waitcnt_depctr 0xfff
	v_mul_f32_e32 v1, 0x4f7ffffe, v1
	s_delay_alu instid0(VALU_DEP_1) | instskip(NEXT) | instid1(VALU_DEP_1)
	v_cvt_u32_f32_e32 v1, v1
	v_readfirstlane_b32 s12, v1
	s_delay_alu instid0(VALU_DEP_1) | instskip(NEXT) | instid1(SALU_CYCLE_1)
	s_mul_i32 s14, s14, s12
	s_mul_hi_u32 s14, s12, s14
	s_delay_alu instid0(SALU_CYCLE_1) | instskip(NEXT) | instid1(SALU_CYCLE_1)
	s_add_i32 s12, s12, s14
	s_mul_hi_u32 s2, s2, s12
	s_delay_alu instid0(SALU_CYCLE_1) | instskip(SKIP_2) | instid1(SALU_CYCLE_1)
	s_mul_i32 s12, s2, s10
	s_add_i32 s14, s2, 1
	s_sub_i32 s12, s15, s12
	s_sub_i32 s16, s12, s10
	s_cmp_ge_u32 s12, s10
	s_cselect_b32 s2, s14, s2
	s_cselect_b32 s12, s16, s12
	s_add_i32 s14, s2, 1
	s_cmp_ge_u32 s12, s10
	s_cselect_b32 s2, s14, s2
	s_add_i32 s5, s5, -1
	s_mul_i32 s10, s2, s10
	s_delay_alu instid0(SALU_CYCLE_1) | instskip(NEXT) | instid1(SALU_CYCLE_1)
	s_sub_i32 s10, s15, s10
	s_mul_i32 s10, s11, s10
	s_delay_alu instid0(SALU_CYCLE_1)
	s_add_i32 s3, s10, s3
	s_add_u32 s8, s8, -4
	s_addc_u32 s9, s9, -1
	s_cmp_gt_u32 s5, 2
	s_cbranch_scc1 .LBB52_3
.LBB52_4:
	s_set_inst_prefetch_distance 0x2
	s_load_b32 s5, s[0:1], 0x1c0
	s_add_u32 s8, s0, 0xf0
	s_addc_u32 s9, s1, 0
	s_mov_b32 s35, 0
	s_mov_b32 s49, s48
	s_waitcnt lgkmcnt(0)
	s_cmp_lt_i32 s5, 2
	s_cbranch_scc1 .LBB52_7
; %bb.5:
	s_add_i32 s34, s5, -1
	s_add_i32 s5, s5, 1
	s_lshl_b64 s[10:11], s[34:35], 2
	s_mov_b32 s49, s48
	s_add_u32 s10, s10, s8
	s_addc_u32 s11, s11, s9
	s_add_u32 s10, s10, 8
	s_addc_u32 s11, s11, 0
	s_set_inst_prefetch_distance 0x1
	.p2align	6
.LBB52_6:                               ; =>This Inner Loop Header: Depth=1
	s_clause 0x1
	s_load_b32 s12, s[10:11], 0x0
	s_load_b32 s14, s[10:11], 0x64
	s_mov_b32 s17, s49
	s_waitcnt lgkmcnt(0)
	v_cvt_f32_u32_e32 v1, s12
	s_sub_i32 s16, 0, s12
	s_waitcnt_depctr 0xfff
	v_rcp_iflag_f32_e32 v1, v1
	s_waitcnt_depctr 0xfff
	v_mul_f32_e32 v1, 0x4f7ffffe, v1
	s_delay_alu instid0(VALU_DEP_1) | instskip(NEXT) | instid1(VALU_DEP_1)
	v_cvt_u32_f32_e32 v1, v1
	v_readfirstlane_b32 s15, v1
	s_delay_alu instid0(VALU_DEP_1) | instskip(NEXT) | instid1(SALU_CYCLE_1)
	s_mul_i32 s16, s16, s15
	s_mul_hi_u32 s16, s15, s16
	s_delay_alu instid0(SALU_CYCLE_1) | instskip(NEXT) | instid1(SALU_CYCLE_1)
	s_add_i32 s15, s15, s16
	s_mul_hi_u32 s15, s49, s15
	s_delay_alu instid0(SALU_CYCLE_1) | instskip(SKIP_2) | instid1(SALU_CYCLE_1)
	s_mul_i32 s16, s15, s12
	s_add_i32 s18, s15, 1
	s_sub_i32 s16, s49, s16
	s_sub_i32 s19, s16, s12
	s_cmp_ge_u32 s16, s12
	s_cselect_b32 s15, s18, s15
	s_cselect_b32 s16, s19, s16
	s_add_i32 s18, s15, 1
	s_cmp_ge_u32 s16, s12
	s_cselect_b32 s49, s18, s15
	s_add_i32 s5, s5, -1
	s_mul_i32 s12, s49, s12
	s_delay_alu instid0(SALU_CYCLE_1) | instskip(NEXT) | instid1(SALU_CYCLE_1)
	s_sub_i32 s12, s17, s12
	s_mul_i32 s12, s14, s12
	s_delay_alu instid0(SALU_CYCLE_1)
	s_add_i32 s35, s12, s35
	s_add_u32 s10, s10, -4
	s_addc_u32 s11, s11, -1
	s_cmp_gt_u32 s5, 2
	s_cbranch_scc1 .LBB52_6
.LBB52_7:
	s_set_inst_prefetch_distance 0x2
	s_clause 0x1
	s_load_b32 s12, s[0:1], 0x6c
	s_load_b32 s5, s[0:1], 0x2a0
	s_add_u32 s10, s0, 0x1d0
	s_addc_u32 s11, s1, 0
	s_mov_b32 s41, 0
	s_waitcnt lgkmcnt(0)
	s_cmp_lt_i32 s5, 2
	s_cbranch_scc1 .LBB52_10
; %bb.8:
	s_add_i32 s40, s5, -1
	s_add_i32 s5, s5, 1
	s_lshl_b64 s[14:15], s[40:41], 2
	s_delay_alu instid0(SALU_CYCLE_1)
	s_add_u32 s10, s14, s10
	s_addc_u32 s11, s15, s11
	s_add_u32 s10, s10, 8
	s_addc_u32 s11, s11, 0
	s_set_inst_prefetch_distance 0x1
	.p2align	6
.LBB52_9:                               ; =>This Inner Loop Header: Depth=1
	s_clause 0x1
	s_load_b32 s14, s[10:11], 0x0
	s_load_b32 s15, s[10:11], 0x64
	s_mov_b32 s18, s48
	s_waitcnt lgkmcnt(0)
	v_cvt_f32_u32_e32 v1, s14
	s_sub_i32 s17, 0, s14
	s_waitcnt_depctr 0xfff
	v_rcp_iflag_f32_e32 v1, v1
	s_waitcnt_depctr 0xfff
	v_mul_f32_e32 v1, 0x4f7ffffe, v1
	s_delay_alu instid0(VALU_DEP_1) | instskip(NEXT) | instid1(VALU_DEP_1)
	v_cvt_u32_f32_e32 v1, v1
	v_readfirstlane_b32 s16, v1
	s_delay_alu instid0(VALU_DEP_1) | instskip(NEXT) | instid1(SALU_CYCLE_1)
	s_mul_i32 s17, s17, s16
	s_mul_hi_u32 s17, s16, s17
	s_delay_alu instid0(SALU_CYCLE_1) | instskip(NEXT) | instid1(SALU_CYCLE_1)
	s_add_i32 s16, s16, s17
	s_mul_hi_u32 s16, s48, s16
	s_delay_alu instid0(SALU_CYCLE_1) | instskip(SKIP_2) | instid1(SALU_CYCLE_1)
	s_mul_i32 s17, s16, s14
	s_add_i32 s19, s16, 1
	s_sub_i32 s17, s48, s17
	s_sub_i32 s20, s17, s14
	s_cmp_ge_u32 s17, s14
	s_cselect_b32 s16, s19, s16
	s_cselect_b32 s17, s20, s17
	s_add_i32 s19, s16, 1
	s_cmp_ge_u32 s17, s14
	s_cselect_b32 s48, s19, s16
	s_add_i32 s5, s5, -1
	s_mul_i32 s14, s48, s14
	s_delay_alu instid0(SALU_CYCLE_1) | instskip(NEXT) | instid1(SALU_CYCLE_1)
	s_sub_i32 s14, s18, s14
	s_mul_i32 s14, s15, s14
	s_delay_alu instid0(SALU_CYCLE_1)
	s_add_i32 s41, s14, s41
	s_add_u32 s10, s10, -4
	s_addc_u32 s11, s11, -1
	s_cmp_gt_u32 s5, 2
	s_cbranch_scc1 .LBB52_9
.LBB52_10:
	s_set_inst_prefetch_distance 0x2
	s_clause 0x3
	s_load_b32 s50, s[8:9], 0x6c
	s_load_b64 s[8:9], s[0:1], 0x0
	s_load_b64 s[44:45], s[0:1], 0xf0
	;; [unrolled: 1-line block ×3, first 2 shown]
	v_cmp_eq_u32_e64 s5, 0, v0
	s_mov_b32 s47, 0
	s_delay_alu instid0(VALU_DEP_1)
	s_and_saveexec_b32 s10, s5
	s_cbranch_execz .LBB52_12
; %bb.11:
	v_dual_mov_b32 v1, 0 :: v_dual_mov_b32 v2, s36
	s_delay_alu instid0(VALU_DEP_1)
	v_mov_b32_e32 v3, v1
	ds_store_b96 v1, v[1:3] offset:4096
.LBB52_12:
	s_or_b32 exec_lo, exec_lo, s10
	s_waitcnt lgkmcnt(0)
	s_barrier
	buffer_gl0_inv
	s_load_b32 s14, s[6:7], 0xc
	s_mul_i32 s2, s12, s2
	v_mbcnt_lo_u32_b32 v28, -1, 0
	s_add_i32 s46, s2, s3
	v_cmp_gt_u32_e32 vcc_lo, 32, v0
	s_lshl_b64 s[10:11], s[46:47], 3
	v_mul_lo_u32 v13, v0, s30
	s_add_u32 s31, s8, s10
	s_addc_u32 s33, s9, s11
	s_bitcmp1_b32 s38, 0
	v_cmp_gt_i32_e64 s2, 4, v28
	s_cselect_b32 s3, -1, 0
	v_mov_b32_e32 v5, 0
	s_xor_b32 s52, s3, -1
	v_lshlrev_b32_e32 v36, 2, v13
	s_and_b32 s51, vcc_lo, s2
	s_load_b32 s46, s[0:1], 0x23c
	v_lshlrev_b32_e32 v38, 5, v0
	v_lshl_or_b32 v39, v28, 2, 0xc00
	s_mov_b32 s74, 62
	s_waitcnt lgkmcnt(0)
	s_and_b32 s34, s14, 0xffff
	s_bfe_u32 s2, s14, 0xb0005
	s_lshl_b32 s53, s34, 2
	s_cmpk_gt_u32 s36, 0x180
	v_cvt_f32_u32_e32 v1, s53
	s_cselect_b32 s54, -1, 0
	s_cmp_gt_u32 s34, 31
	v_cvt_f32_u32_e32 v2, s34
	s_cselect_b32 s55, -1, 0
	v_rcp_iflag_f32_e32 v1, v1
	s_add_i32 s56, s34, -1
	s_mul_i32 s40, s30, s34
	s_add_i32 s9, s56, s36
	s_cmp_lt_u32 s13, s4
	v_rcp_iflag_f32_e32 v2, v2
	s_cselect_b32 s8, 12, 18
	v_lshlrev_b32_e32 v30, 3, v0
	s_add_u32 s38, s6, s8
	s_addc_u32 s39, s7, 0
	s_waitcnt_depctr 0xfff
	v_mul_f32_e32 v1, 0x4f7ffffe, v1
	s_add_i32 s6, s2, -1
	s_bfe_u32 s57, s34, 0x30005
	s_cmp_gt_u32 s6, 6
	v_dual_mul_f32 v2, 0x4f7ffffe, v2 :: v_dual_lshlrev_b32 v29, 2, v0
	v_cvt_u32_f32_e32 v1, v1
	s_cselect_b32 s58, -1, 0
	s_and_b32 s59, s2, 0x7f8
	s_cmp_lg_u32 s57, 0
	v_dual_mov_b32 v15, 0 :: v_dual_add_nc_u32 v32, 0xc00, v30
	v_readfirstlane_b32 s2, v1
	s_cselect_b32 s60, -1, 0
	s_sub_i32 s6, 0, s53
	v_cvt_u32_f32_e32 v2, v2
	v_lshrrev_b32_e32 v1, 3, v0
	s_mul_i32 s6, s6, s2
	v_mov_b32_e32 v14, v15
	s_mul_hi_u32 s7, s2, s6
	v_mad_u64_u32 v[18:19], null, s30, v29, s[30:31]
	v_and_b32_e32 v31, 0x7c, v1
	s_add_i32 s61, s2, s7
	v_cmp_gt_u32_e64 s4, s36, v0
	s_mul_hi_u32 s2, s36, s61
	v_cmp_gt_u32_e64 s6, 2, v0
	s_mul_i32 s7, s2, s53
	v_cmp_eq_u32_e64 s2, 0, v28
	s_sub_i32 s7, s36, s7
	s_mov_b32 s69, 0
	s_sub_i32 s8, s7, s53
	s_cmp_ge_u32 s7, s53
                                        ; implicit-def: $sgpr68
                                        ; implicit-def: $sgpr72
                                        ; implicit-def: $sgpr71
                                        ; implicit-def: $sgpr73
                                        ; implicit-def: $sgpr70
                                        ; implicit-def: $sgpr75
                                        ; implicit-def: $sgpr77
                                        ; implicit-def: $sgpr76
                                        ; implicit-def: $sgpr78
                                        ; implicit-def: $sgpr79
	v_mov_b32_e32 v6, 0
	s_cselect_b32 s7, s8, s7
	v_readfirstlane_b32 s8, v2
	s_sub_i32 s10, s7, s53
	s_cmp_ge_u32 s7, s53
	v_lshlrev_b64 v[1:2], v28, -1
	s_cselect_b32 s10, s10, s7
	v_lshlrev_b64 v[2:3], 3, v[13:14]
	s_sub_i32 s62, s36, s10
	s_sub_i32 s7, 0, s34
	v_add_nc_u32_e32 v33, s62, v0
	s_mul_i32 s7, s7, s8
	v_not_b32_e32 v27, v1
	s_mul_hi_u32 s7, s8, s7
	v_add_co_u32 v11, vcc_lo, s31, v2
	v_mul_lo_u32 v14, v33, s30
	s_add_i32 s63, s8, s7
	v_add_co_ci_u32_e32 v12, vcc_lo, s33, v3, vcc_lo
	s_mul_hi_u32 s7, s9, s63
	v_or_b32_e32 v3, 3, v29
	s_mul_i32 s7, s7, s34
	v_mov_b32_e32 v22, v6
	s_delay_alu instid0(VALU_DEP_4)
	v_lshlrev_b64 v[1:2], 3, v[14:15]
	s_sub_i32 s7, s9, s7
	v_mul_lo_u32 v35, s30, v3
	s_sub_i32 s8, s7, s34
	s_cmp_ge_u32 s7, s34
	v_dual_mov_b32 v20, v6 :: v_dual_mov_b32 v19, v5
	v_add_co_u32 v16, vcc_lo, s31, v1
	v_add3_u32 v1, s34, s36, v0
	s_cselect_b32 s8, s8, s7
	v_add_co_ci_u32_e32 v17, vcc_lo, s33, v2, vcc_lo
	v_or_b32_e32 v2, 2, v29
	s_delay_alu instid0(VALU_DEP_3)
	v_subrev_nc_u32_e32 v1, s10, v1
	s_sub_i32 s11, s8, s34
	s_cmp_ge_u32 s8, s34
	v_cmp_gt_u32_e64 s7, s62, v29
	s_cselect_b32 s11, s11, s8
	v_mul_lo_u32 v34, s30, v2
	v_mul_lo_u32 v37, s30, v1
	s_sub_i32 s64, s9, s11
	v_cmp_gt_u32_e64 s8, s36, v33
	v_cmp_gt_u32_e64 s9, s64, v0
	v_dual_mov_b32 v40, s37 :: v_dual_mov_b32 v21, v5
	v_mov_b32_e32 v1, 1
	s_lshl_b32 s65, s40, 2
	s_lshl_b32 s66, s34, 5
	;; [unrolled: 1-line block ×3, first 2 shown]
	s_branch .LBB52_15
.LBB52_13:                              ;   in Loop: Header=BB52_15 Depth=1
	s_or_b32 exec_lo, exec_lo, s13
	v_dual_mov_b32 v19, v25 :: v_dual_mov_b32 v20, v26
	v_dual_mov_b32 v21, v23 :: v_dual_mov_b32 v22, v24
	v_mov_b32_e32 v40, v41
	v_dual_mov_b32 v5, v9 :: v_dual_mov_b32 v6, v10
	s_and_not1_b32 s13, s79, exec_lo
	s_and_b32 s12, s12, exec_lo
	s_and_not1_b32 s78, s78, exec_lo
	s_or_b32 s79, s13, s12
	s_and_not1_b32 s76, s76, exec_lo
	s_and_not1_b32 s77, s77, exec_lo
	;; [unrolled: 1-line block ×3, first 2 shown]
	s_or_not1_b32 s12, s11, exec_lo
.LBB52_14:                              ;   in Loop: Header=BB52_15 Depth=1
	s_or_b32 exec_lo, exec_lo, s10
	s_delay_alu instid0(SALU_CYCLE_1) | instskip(NEXT) | instid1(SALU_CYCLE_1)
	s_and_b32 s10, exec_lo, s12
	s_or_b32 s47, s10, s47
	s_and_not1_b32 s10, s70, exec_lo
	s_and_b32 s11, s79, exec_lo
	s_and_not1_b32 s12, s73, exec_lo
	s_or_b32 s70, s10, s11
	s_and_b32 s10, s78, exec_lo
	s_and_not1_b32 s11, s71, exec_lo
	s_and_b32 s13, s76, exec_lo
	s_or_b32 s73, s12, s10
	s_or_b32 s71, s11, s13
	s_and_not1_b32 s10, s72, exec_lo
	s_and_b32 s11, s77, exec_lo
	s_and_not1_b32 s12, s68, exec_lo
	s_and_b32 s13, s75, exec_lo
	s_or_b32 s72, s10, s11
	s_or_b32 s68, s12, s13
	s_and_not1_b32 exec_lo, exec_lo, s47
	s_cbranch_execz .LBB52_415
.LBB52_15:                              ; =>This Loop Header: Depth=1
                                        ;     Child Loop BB52_23 Depth 2
                                        ;     Child Loop BB52_38 Depth 2
	;; [unrolled: 1-line block ×24, first 2 shown]
	ds_load_b64 v[2:3], v15 offset:4096
	s_waitcnt lgkmcnt(0)
	v_readfirstlane_b32 s80, v2
	s_delay_alu instid0(VALU_DEP_1)
	s_cmp_lg_u32 s80, 0
	s_cbranch_scc1 .LBB52_45
; %bb.16:                               ;   in Loop: Header=BB52_15 Depth=1
	s_and_b32 vcc_lo, exec_lo, s54
	s_cbranch_vccz .LBB52_31
; %bb.17:                               ;   in Loop: Header=BB52_15 Depth=1
	v_cmp_gt_u32_e32 vcc_lo, 0x181, v3
	s_mov_b32 s80, 0
	s_mov_b32 s10, 0
	s_cbranch_vccz .LBB52_32
; %bb.18:                               ;   in Loop: Header=BB52_15 Depth=1
	v_mov_b32_e32 v2, 0
	v_mov_b32_e32 v3, 0
	s_and_saveexec_b32 s10, s4
	s_cbranch_execz .LBB52_20
; %bb.19:                               ;   in Loop: Header=BB52_15 Depth=1
	global_load_b64 v[2:3], v[11:12], off
.LBB52_20:                              ;   in Loop: Header=BB52_15 Depth=1
	s_or_b32 exec_lo, exec_lo, s10
	s_and_saveexec_b32 s12, s4
	s_cbranch_execz .LBB52_96
; %bb.21:                               ;   in Loop: Header=BB52_15 Depth=1
	global_load_u16 v4, v15, s[38:39]
	v_mov_b32_e32 v10, v0
	s_mov_b32 s13, 0
	s_waitcnt vmcnt(0)
	v_add_nc_u32_e32 v7, v0, v4
	v_mul_lo_u32 v9, s30, v4
	s_delay_alu instid0(VALU_DEP_2)
	v_mul_lo_u32 v14, s30, v7
	s_branch .LBB52_23
.LBB52_22:                              ;   in Loop: Header=BB52_23 Depth=2
	s_or_b32 exec_lo, exec_lo, s11
	s_waitcnt vmcnt(0)
	v_mov_b32_e32 v2, v7
	v_dual_mov_b32 v3, v8 :: v_dual_add_nc_u32 v14, v14, v9
	s_and_not1_b32 exec_lo, exec_lo, s13
	s_cbranch_execz .LBB52_96
.LBB52_23:                              ;   Parent Loop BB52_15 Depth=1
                                        ; =>  This Inner Loop Header: Depth=2
	v_dual_mov_b32 v7, 0 :: v_dual_add_nc_u32 v10, v10, v4
	v_mov_b32_e32 v8, 0
	s_mov_b32 s11, exec_lo
	s_delay_alu instid0(VALU_DEP_2)
	v_cmp_le_u32_e32 vcc_lo, s36, v10
	v_cmpx_gt_u32_e64 s36, v10
	s_cbranch_execz .LBB52_25
; %bb.24:                               ;   in Loop: Header=BB52_23 Depth=2
	v_lshlrev_b64 v[7:8], 3, v[14:15]
	s_delay_alu instid0(VALU_DEP_1) | instskip(NEXT) | instid1(VALU_DEP_1)
	v_add_co_u32 v7, s10, s31, v7
	v_add_co_ci_u32_e64 v8, s10, s33, v8, s10
	global_load_b64 v[7:8], v[7:8], off
.LBB52_25:                              ;   in Loop: Header=BB52_23 Depth=2
	s_or_b32 exec_lo, exec_lo, s11
	s_waitcnt lgkmcnt(0)
	v_xor_b32_e32 v23, 0x80000000, v3
	s_delay_alu instid0(VALU_DEP_1) | instskip(SKIP_1) | instid1(VALU_DEP_1)
	v_and_b32_e32 v24, v23, v20
	v_and_b32_e32 v23, v2, v19
	v_cmp_eq_u64_e64 s10, v[23:24], v[21:22]
	v_mov_b32_e32 v23, 0
	s_delay_alu instid0(VALU_DEP_2) | instskip(SKIP_1) | instid1(SALU_CYCLE_1)
	s_cmp_lg_u32 s10, 0
	s_cselect_b32 s11, -1, 0
	s_and_b32 s11, s2, s11
	s_delay_alu instid0(SALU_CYCLE_1)
	s_and_saveexec_b32 s14, s11
	s_cbranch_execz .LBB52_29
; %bb.26:                               ;   in Loop: Header=BB52_23 Depth=2
	s_mov_b32 s17, exec_lo
	s_bcnt1_i32_b32 s15, s10
	v_mbcnt_lo_u32_b32 v23, s17, 0
	s_mov_b32 s16, exec_lo
                                        ; implicit-def: $vgpr24
	s_delay_alu instid0(VALU_DEP_1)
	v_cmpx_eq_u32_e32 0, v23
	s_cbranch_execz .LBB52_28
; %bb.27:                               ;   in Loop: Header=BB52_23 Depth=2
	s_bcnt1_i32_b32 s11, s17
	s_delay_alu instid0(SALU_CYCLE_1) | instskip(NEXT) | instid1(SALU_CYCLE_1)
	s_mul_i32 s11, s15, s11
	v_mov_b32_e32 v24, s11
	ds_add_rtn_u32 v24, v15, v24 offset:4104
.LBB52_28:                              ;   in Loop: Header=BB52_23 Depth=2
	s_or_b32 exec_lo, exec_lo, s16
	s_waitcnt lgkmcnt(0)
	v_readfirstlane_b32 s11, v24
	s_delay_alu instid0(VALU_DEP_1)
	v_mad_u32_u24 v23, s15, v23, s11
.LBB52_29:                              ;   in Loop: Header=BB52_23 Depth=2
	s_or_b32 exec_lo, exec_lo, s14
	ds_bpermute_b32 v23, v15, v23
	s_and_b32 s11, exec_lo, vcc_lo
	s_delay_alu instid0(SALU_CYCLE_1)
	s_or_b32 s13, s11, s13
	s_and_saveexec_b32 s11, s10
	s_cbranch_execz .LBB52_22
; %bb.30:                               ;   in Loop: Header=BB52_23 Depth=2
	v_and_b32_e32 v24, s10, v27
	s_delay_alu instid0(VALU_DEP_1) | instskip(NEXT) | instid1(VALU_DEP_1)
	v_bcnt_u32_b32 v24, v24, 0
	v_lshlrev_b32_e32 v24, 3, v24
	s_waitcnt lgkmcnt(0)
	s_delay_alu instid0(VALU_DEP_1)
	v_lshl_add_u32 v23, v23, 3, v24
	ds_store_b64 v23, v[2:3]
	s_branch .LBB52_22
.LBB52_31:                              ;   in Loop: Header=BB52_15 Depth=1
	s_mov_b32 s80, -1
	s_mov_b32 s10, 0
.LBB52_32:                              ;   in Loop: Header=BB52_15 Depth=1
	s_and_b32 vcc_lo, exec_lo, s80
	s_cbranch_vccz .LBB52_43
.LBB52_33:                              ;   in Loop: Header=BB52_15 Depth=1
	v_mov_b32_e32 v2, 0
	v_mov_b32_e32 v3, 0
	s_and_saveexec_b32 s10, s4
	s_cbranch_execz .LBB52_35
; %bb.34:                               ;   in Loop: Header=BB52_15 Depth=1
	global_load_b64 v[2:3], v[11:12], off
.LBB52_35:                              ;   in Loop: Header=BB52_15 Depth=1
	s_or_b32 exec_lo, exec_lo, s10
	s_and_saveexec_b32 s11, s4
	s_cbranch_execz .LBB52_40
; %bb.36:                               ;   in Loop: Header=BB52_15 Depth=1
	global_load_u16 v4, v15, s[38:39]
	v_mov_b32_e32 v24, v0
	s_mov_b32 s12, 0
	v_mov_b32_e32 v23, v30
	s_waitcnt vmcnt(0)
	v_add_nc_u32_e32 v7, v0, v4
	v_mul_lo_u32 v9, s30, v4
	v_lshlrev_b32_e32 v10, 3, v4
	s_delay_alu instid0(VALU_DEP_3)
	v_mul_lo_u32 v14, s30, v7
	s_set_inst_prefetch_distance 0x1
	s_branch .LBB52_38
	.p2align	6
.LBB52_37:                              ;   in Loop: Header=BB52_38 Depth=2
	s_or_b32 exec_lo, exec_lo, s13
	ds_store_b64 v23, v[2:3]
	s_waitcnt vmcnt(0)
	v_mov_b32_e32 v2, v7
	v_add_nc_u32_e32 v23, v23, v10
	v_dual_mov_b32 v3, v8 :: v_dual_add_nc_u32 v14, v14, v9
	s_and_b32 s10, exec_lo, vcc_lo
	s_delay_alu instid0(SALU_CYCLE_1) | instskip(NEXT) | instid1(SALU_CYCLE_1)
	s_or_b32 s12, s10, s12
	s_and_not1_b32 exec_lo, exec_lo, s12
	s_cbranch_execz .LBB52_40
.LBB52_38:                              ;   Parent Loop BB52_15 Depth=1
                                        ; =>  This Inner Loop Header: Depth=2
	v_dual_mov_b32 v7, 0 :: v_dual_add_nc_u32 v24, v24, v4
	v_mov_b32_e32 v8, 0
	s_mov_b32 s13, exec_lo
	s_delay_alu instid0(VALU_DEP_2)
	v_cmp_le_u32_e32 vcc_lo, s36, v24
	v_cmpx_gt_u32_e64 s36, v24
	s_cbranch_execz .LBB52_37
; %bb.39:                               ;   in Loop: Header=BB52_38 Depth=2
	v_lshlrev_b64 v[7:8], 3, v[14:15]
	s_delay_alu instid0(VALU_DEP_1) | instskip(NEXT) | instid1(VALU_DEP_1)
	v_add_co_u32 v7, s10, s31, v7
	v_add_co_ci_u32_e64 v8, s10, s33, v8, s10
	global_load_b64 v[7:8], v[7:8], off
	s_branch .LBB52_37
.LBB52_40:                              ;   in Loop: Header=BB52_15 Depth=1
	s_set_inst_prefetch_distance 0x2
	s_or_b32 exec_lo, exec_lo, s11
	s_waitcnt vmcnt(0) lgkmcnt(0)
	s_barrier
	buffer_gl0_inv
	s_and_saveexec_b32 s10, s5
	s_cbranch_execz .LBB52_42
; %bb.41:                               ;   in Loop: Header=BB52_15 Depth=1
	v_mov_b32_e32 v2, s36
	ds_store_b32 v15, v2 offset:4096
.LBB52_42:                              ;   in Loop: Header=BB52_15 Depth=1
	s_or_b32 exec_lo, exec_lo, s10
	s_mov_b32 s10, -1
	s_waitcnt lgkmcnt(0)
	s_barrier
                                        ; implicit-def: $sgpr80
.LBB52_43:                              ;   in Loop: Header=BB52_15 Depth=1
	s_and_b32 vcc_lo, exec_lo, s10
	s_cbranch_vccz .LBB52_45
; %bb.44:                               ;   in Loop: Header=BB52_15 Depth=1
	buffer_gl0_inv
	ds_load_b32 v2, v15 offset:4096
	s_waitcnt lgkmcnt(0)
	v_readfirstlane_b32 s80, v2
.LBB52_45:                              ;   in Loop: Header=BB52_15 Depth=1
	s_delay_alu instid0(VALU_DEP_1)
	s_cmp_lt_i32 s80, 1
	s_cbranch_scc0 .LBB52_57
; %bb.46:                               ;   in Loop: Header=BB52_15 Depth=1
	v_dual_mov_b32 v7, 0 :: v_dual_mov_b32 v8, 0
	v_dual_mov_b32 v9, 0 :: v_dual_mov_b32 v10, 0
	s_mov_b32 s25, 0
	s_and_saveexec_b32 s24, s7
	s_cbranch_execz .LBB52_50
; %bb.47:                               ;   in Loop: Header=BB52_15 Depth=1
	v_mov_b32_e32 v2, v29
	s_and_b32 s26, s74, 0xfe
	s_mov_b32 s27, 0
	s_mov_b32 s28, 0
	s_mov_b32 s29, 0
	s_mov_b32 s81, 0
	s_mov_b32 s82, 0
.LBB52_48:                              ;   Parent Loop BB52_15 Depth=1
                                        ; =>  This Inner Loop Header: Depth=2
	v_add_nc_u32_e32 v14, s27, v36
	v_add_nc_u32_e32 v2, s53, v2
	s_delay_alu instid0(VALU_DEP_2) | instskip(SKIP_1) | instid1(VALU_DEP_1)
	v_lshlrev_b64 v[3:4], 3, v[14:15]
	v_add_nc_u32_e32 v14, s27, v18
	v_lshlrev_b64 v[7:8], 3, v[14:15]
	v_add_nc_u32_e32 v14, s27, v34
	s_delay_alu instid0(VALU_DEP_4) | instskip(SKIP_1) | instid1(VALU_DEP_3)
	v_add_co_u32 v3, vcc_lo, s31, v3
	v_add_co_ci_u32_e32 v4, vcc_lo, s33, v4, vcc_lo
	v_lshlrev_b64 v[9:10], 3, v[14:15]
	v_add_co_u32 v7, vcc_lo, s31, v7
	global_load_b64 v[3:4], v[3:4], off
	v_add_nc_u32_e32 v14, s27, v35
	v_add_co_ci_u32_e32 v8, vcc_lo, s33, v8, vcc_lo
	v_add_co_u32 v9, vcc_lo, s31, v9
	v_add_co_ci_u32_e32 v10, vcc_lo, s33, v10, vcc_lo
	s_delay_alu instid0(VALU_DEP_4)
	v_lshlrev_b64 v[23:24], 3, v[14:15]
	s_clause 0x1
	global_load_b64 v[7:8], v[7:8], off
	global_load_b64 v[9:10], v[9:10], off
	v_mov_b32_e32 v26, v15
	s_add_i32 s27, s27, s65
	v_add_co_u32 v23, vcc_lo, s31, v23
	v_add_co_ci_u32_e32 v24, vcc_lo, s33, v24, vcc_lo
	v_cmp_le_u32_e32 vcc_lo, s62, v2
	global_load_b64 v[23:24], v[23:24], off
	s_waitcnt vmcnt(3)
	v_xor_b32_e32 v4, 0x80000000, v4
	v_and_b32_e32 v45, v3, v19
	s_delay_alu instid0(VALU_DEP_2)
	v_and_b32_e32 v46, v4, v20
	v_lshrrev_b64 v[3:4], s26, v[3:4]
	s_waitcnt vmcnt(2)
	v_xor_b32_e32 v8, 0x80000000, v8
	v_and_b32_e32 v47, v7, v19
	s_waitcnt vmcnt(1)
	v_xor_b32_e32 v10, 0x80000000, v10
	v_and_b32_e32 v14, 3, v3
	v_cmp_eq_u64_e64 s10, v[45:46], v[21:22]
	v_and_b32_e32 v48, v8, v20
	v_lshrrev_b64 v[7:8], s26, v[7:8]
	v_and_b32_e32 v45, v9, v19
	v_cmp_eq_u64_e64 s12, 0, v[14:15]
	v_lshrrev_b64 v[8:9], s26, v[9:10]
	v_mov_b32_e32 v42, v15
	v_cmp_eq_u64_e64 s13, 1, v[14:15]
	v_and_b32_e32 v25, 3, v7
	s_waitcnt vmcnt(0)
	v_xor_b32_e32 v24, 0x80000000, v24
	v_cmp_eq_u64_e64 s14, 2, v[14:15]
	v_cmp_eq_u64_e64 s15, 3, v[14:15]
	s_and_b32 s12, s10, s12
	v_dual_mov_b32 v44, v15 :: v_dual_and_b32 v41, 3, v8
	v_cmp_eq_u64_e64 s11, v[47:48], v[21:22]
	v_and_b32_e32 v46, v10, v20
	v_cmp_eq_u64_e64 s17, 0, v[25:26]
	v_cmp_eq_u64_e64 s18, 1, v[25:26]
	;; [unrolled: 1-line block ×3, first 2 shown]
	v_lshrrev_b64 v[9:10], s26, v[23:24]
	v_cndmask_b32_e64 v7, 0, 1, s12
	s_and_b32 s12, s10, s13
	v_cmp_eq_u64_e64 s20, 3, v[25:26]
	v_and_b32_e32 v3, v23, v19
	v_and_b32_e32 v4, v24, v20
	v_cndmask_b32_e64 v8, 0, 1, s12
	s_and_b32 s12, s10, s14
	s_and_b32 s10, s10, s15
	v_cmp_eq_u64_e64 s16, v[45:46], v[21:22]
	v_cndmask_b32_e64 v10, 0, 1, s12
	v_cmp_eq_u64_e64 s12, 0, v[41:42]
	v_cmp_eq_u64_e64 s13, 1, v[41:42]
	v_cndmask_b32_e64 v14, 0, 1, s10
	s_and_b32 s17, s11, s17
	s_and_b32 s18, s11, s18
	;; [unrolled: 1-line block ×3, first 2 shown]
	v_and_b32_e32 v43, 3, v9
	v_cmp_eq_u64_e64 s14, 2, v[41:42]
	v_cmp_eq_u64_e64 s15, 3, v[41:42]
	;; [unrolled: 1-line block ×3, first 2 shown]
	v_cmp_ne_u32_e64 s21, 0, v7
	v_cndmask_b32_e64 v3, 0, 1, s17
	v_cndmask_b32_e64 v4, 0, 1, s18
	;; [unrolled: 1-line block ×3, first 2 shown]
	s_and_b32 s11, s11, s20
	v_cmp_ne_u32_e64 s17, 0, v8
	v_cndmask_b32_e64 v8, 0, 1, s11
	v_cmp_ne_u32_e64 s19, 0, v14
	s_and_b32 s12, s16, s12
	s_and_b32 s13, s16, s13
	v_cmp_eq_u64_e64 s11, 0, v[43:44]
	v_cmp_eq_u64_e64 s20, 1, v[43:44]
	v_cmp_eq_u64_e64 s22, 2, v[43:44]
	v_cmp_eq_u64_e64 s23, 3, v[43:44]
	s_bcnt1_i32_b32 s83, s21
	v_cmp_ne_u32_e64 s21, 0, v3
	v_cndmask_b32_e64 v3, 0, 1, s12
	v_cmp_ne_u32_e64 s12, 0, v4
	v_cndmask_b32_e64 v4, 0, 1, s13
	v_cmp_ne_u32_e64 s13, 0, v7
	s_and_b32 s14, s16, s14
	s_and_b32 s15, s16, s15
	v_cndmask_b32_e64 v7, 0, 1, s14
	v_cmp_ne_u32_e64 s14, 0, v8
	v_cndmask_b32_e64 v8, 0, 1, s15
	v_cmp_ne_u32_e64 s18, 0, v10
	s_bcnt1_i32_b32 s19, s19
	s_and_b32 s11, s10, s11
	s_add_i32 s19, s19, s28
	s_bcnt1_i32_b32 s28, s12
	s_and_b32 s12, s10, s20
	s_bcnt1_i32_b32 s20, s13
	s_and_b32 s13, s10, s22
	s_and_b32 s10, s10, s23
	v_cmp_ne_u32_e64 s15, 0, v3
	v_cndmask_b32_e64 v3, 0, 1, s11
	v_cmp_ne_u32_e64 s11, 0, v4
	v_cndmask_b32_e64 v4, 0, 1, s12
	;; [unrolled: 2-line block ×4, first 2 shown]
	s_bcnt1_i32_b32 s18, s18
	s_add_i32 s16, s83, s82
	s_add_i32 s18, s18, s29
	s_bcnt1_i32_b32 s21, s21
	s_bcnt1_i32_b32 s14, s14
	;; [unrolled: 1-line block ×3, first 2 shown]
	s_add_i32 s16, s16, s21
	s_add_i32 s18, s18, s20
	;; [unrolled: 1-line block ×3, first 2 shown]
	v_cmp_ne_u32_e64 s10, 0, v3
	s_bcnt1_i32_b32 s19, s11
	v_cmp_ne_u32_e64 s11, 0, v4
	s_bcnt1_i32_b32 s20, s12
	;; [unrolled: 2-line block ×3, first 2 shown]
	v_cmp_ne_u32_e64 s13, 0, v8
	s_add_i32 s17, s17, s81
	s_bcnt1_i32_b32 s15, s15
	s_add_i32 s17, s17, s28
	s_add_i32 s15, s16, s15
	;; [unrolled: 1-line block ×5, first 2 shown]
	s_bcnt1_i32_b32 s10, s10
	s_bcnt1_i32_b32 s11, s11
	;; [unrolled: 1-line block ×4, first 2 shown]
	s_add_i32 s82, s15, s10
	s_add_i32 s81, s16, s11
	;; [unrolled: 1-line block ×4, first 2 shown]
	v_dual_mov_b32 v7, s82 :: v_dual_mov_b32 v8, s81
	v_dual_mov_b32 v9, s29 :: v_dual_mov_b32 v10, s28
	s_or_b32 s25, vcc_lo, s25
	s_delay_alu instid0(SALU_CYCLE_1)
	s_and_not1_b32 exec_lo, exec_lo, s25
	s_cbranch_execnz .LBB52_48
; %bb.49:                               ;   in Loop: Header=BB52_15 Depth=1
	s_or_b32 exec_lo, exec_lo, s25
.LBB52_50:                              ;   in Loop: Header=BB52_15 Depth=1
	s_delay_alu instid0(SALU_CYCLE_1)
	s_or_b32 exec_lo, exec_lo, s24
	v_mov_b32_e32 v23, 0
	v_mov_b32_e32 v24, 0
	s_and_saveexec_b32 s10, s8
	s_cbranch_execz .LBB52_52
; %bb.51:                               ;   in Loop: Header=BB52_15 Depth=1
	global_load_b64 v[23:24], v[16:17], off
.LBB52_52:                              ;   in Loop: Header=BB52_15 Depth=1
	s_or_b32 exec_lo, exec_lo, s10
	s_and_saveexec_b32 s14, s8
	s_cbranch_execz .LBB52_59
; %bb.53:                               ;   in Loop: Header=BB52_15 Depth=1
	v_mov_b32_e32 v2, v37
	v_mov_b32_e32 v25, v33
	s_and_b32 s16, s74, 0xfe
	s_mov_b32 s15, 0
	s_branch .LBB52_55
.LBB52_54:                              ;   in Loop: Header=BB52_55 Depth=2
	s_or_b32 exec_lo, exec_lo, s11
	s_waitcnt vmcnt(0)
	v_xor_b32_e32 v24, 0x80000000, v24
	s_and_b32 s12, exec_lo, vcc_lo
	v_add_nc_u32_e32 v2, s40, v2
	s_or_b32 s15, s12, s15
	s_delay_alu instid0(VALU_DEP_2) | instskip(SKIP_2) | instid1(VALU_DEP_3)
	v_lshrrev_b64 v[41:42], s16, v[23:24]
	v_and_b32_e32 v23, v23, v19
	v_and_b32_e32 v24, v24, v20
	;; [unrolled: 1-line block ×3, first 2 shown]
	s_delay_alu instid0(VALU_DEP_2) | instskip(NEXT) | instid1(VALU_DEP_2)
	v_cmp_eq_u64_e64 s10, v[23:24], v[21:22]
	v_cmp_eq_u64_e64 s11, 0, v[14:15]
	v_cmp_eq_u64_e32 vcc_lo, 1, v[14:15]
	v_cmp_eq_u64_e64 s12, 2, v[14:15]
	v_cmp_eq_u64_e64 s13, 3, v[14:15]
	s_delay_alu instid0(VALU_DEP_4) | instskip(NEXT) | instid1(SALU_CYCLE_1)
	s_and_b32 s11, s10, s11
	v_cndmask_b32_e64 v14, 0, 1, s11
	s_and_b32 s11, s10, vcc_lo
	s_delay_alu instid0(SALU_CYCLE_1)
	v_cndmask_b32_e64 v23, 0, 1, s11
	s_and_b32 s11, s10, s12
	s_and_b32 s10, s10, s13
	v_cndmask_b32_e64 v24, 0, 1, s11
	v_cndmask_b32_e64 v26, 0, 1, s10
	v_cmp_ne_u32_e32 vcc_lo, 0, v14
	v_cmp_ne_u32_e64 s10, 0, v23
	s_delay_alu instid0(VALU_DEP_4) | instskip(NEXT) | instid1(VALU_DEP_4)
	v_cmp_ne_u32_e64 s11, 0, v24
	v_cmp_ne_u32_e64 s12, 0, v26
	s_bcnt1_i32_b32 s13, vcc_lo
	s_delay_alu instid0(VALU_DEP_3)
	s_bcnt1_i32_b32 s10, s10
	v_dual_mov_b32 v24, v4 :: v_dual_add_nc_u32 v7, s13, v7
	s_bcnt1_i32_b32 s11, s11
	s_bcnt1_i32_b32 s12, s12
	v_add_nc_u32_e32 v8, s10, v8
	v_add_nc_u32_e32 v9, s11, v9
	v_dual_mov_b32 v23, v3 :: v_dual_add_nc_u32 v10, s12, v10
	s_and_not1_b32 exec_lo, exec_lo, s15
	s_cbranch_execz .LBB52_58
.LBB52_55:                              ;   Parent Loop BB52_15 Depth=1
                                        ; =>  This Inner Loop Header: Depth=2
	s_delay_alu instid0(VALU_DEP_1) | instskip(SKIP_3) | instid1(VALU_DEP_3)
	v_add_nc_u32_e32 v25, s34, v25
	v_mov_b32_e32 v3, 0
	v_mov_b32_e32 v4, 0
	s_mov_b32 s11, exec_lo
	v_cmp_le_u32_e32 vcc_lo, s36, v25
	v_cmpx_gt_u32_e64 s36, v25
	s_cbranch_execz .LBB52_54
; %bb.56:                               ;   in Loop: Header=BB52_55 Depth=2
	v_mov_b32_e32 v3, v15
	s_delay_alu instid0(VALU_DEP_1) | instskip(NEXT) | instid1(VALU_DEP_1)
	v_lshlrev_b64 v[3:4], 3, v[2:3]
	v_add_co_u32 v3, s10, s31, v3
	s_delay_alu instid0(VALU_DEP_1)
	v_add_co_ci_u32_e64 v4, s10, s33, v4, s10
	global_load_b64 v[3:4], v[3:4], off
	s_branch .LBB52_54
.LBB52_57:                              ;   in Loop: Header=BB52_15 Depth=1
                                        ; implicit-def: $vgpr10
	s_cbranch_execnz .LBB52_60
	s_branch .LBB52_69
.LBB52_58:                              ;   in Loop: Header=BB52_15 Depth=1
	s_or_b32 exec_lo, exec_lo, s15
.LBB52_59:                              ;   in Loop: Header=BB52_15 Depth=1
	s_delay_alu instid0(SALU_CYCLE_1)
	s_or_b32 exec_lo, exec_lo, s14
	s_branch .LBB52_69
.LBB52_60:                              ;   in Loop: Header=BB52_15 Depth=1
	s_mul_hi_u32 s10, s80, s61
	v_dual_mov_b32 v7, 0 :: v_dual_mov_b32 v8, 0
	s_mul_i32 s10, s10, s53
	v_dual_mov_b32 v9, 0 :: v_dual_mov_b32 v10, 0
	s_sub_i32 s10, s80, s10
	s_mov_b32 s83, 0
	s_sub_i32 s11, s10, s53
	s_cmp_ge_u32 s10, s53
	s_mov_b32 s82, exec_lo
	s_cselect_b32 s10, s11, s10
	s_delay_alu instid0(SALU_CYCLE_1) | instskip(SKIP_2) | instid1(SALU_CYCLE_1)
	s_sub_i32 s11, s10, s53
	s_cmp_ge_u32 s10, s53
	s_cselect_b32 s10, s11, s10
	s_sub_i32 s81, s80, s10
	s_delay_alu instid0(SALU_CYCLE_1)
	v_cmpx_gt_u32_e64 s81, v29
	s_cbranch_execz .LBB52_64
; %bb.61:                               ;   in Loop: Header=BB52_15 Depth=1
	v_dual_mov_b32 v2, v38 :: v_dual_mov_b32 v3, v29
	s_and_b32 s84, s74, 0xfe
	s_mov_b32 s85, 0
	s_mov_b32 s86, 0
	;; [unrolled: 1-line block ×4, first 2 shown]
.LBB52_62:                              ;   Parent Loop BB52_15 Depth=1
                                        ; =>  This Inner Loop Header: Depth=2
	ds_load_b128 v[7:10], v2
	s_waitcnt vmcnt(0)
	ds_load_b128 v[23:26], v2 offset:16
	v_dual_mov_b32 v44, v15 :: v_dual_add_nc_u32 v3, s53, v3
	v_mov_b32_e32 v42, v15
	v_mov_b32_e32 v46, v15
	s_delay_alu instid0(VALU_DEP_3)
	v_cmp_le_u32_e32 vcc_lo, s81, v3
	s_waitcnt lgkmcnt(1)
	v_xor_b32_e32 v8, 0x80000000, v8
	s_waitcnt lgkmcnt(0)
	v_and_b32_e32 v53, v25, v19
	v_xor_b32_e32 v10, 0x80000000, v10
	v_xor_b32_e32 v24, 0x80000000, v24
	v_and_b32_e32 v47, v7, v19
	v_and_b32_e32 v48, v8, v20
	v_lshrrev_b64 v[7:8], s84, v[7:8]
	v_xor_b32_e32 v26, 0x80000000, v26
	v_and_b32_e32 v49, v9, v19
	v_lshrrev_b64 v[8:9], s84, v[9:10]
	v_and_b32_e32 v50, v10, v20
	v_lshrrev_b64 v[9:10], s84, v[23:24]
	v_and_b32_e32 v51, v23, v19
	v_and_b32_e32 v52, v24, v20
	v_lshrrev_b64 v[23:24], s84, v[25:26]
	v_and_b32_e32 v14, 3, v7
	v_and_b32_e32 v41, 3, v8
	;; [unrolled: 1-line block ×3, first 2 shown]
	v_cmp_eq_u64_e64 s10, v[47:48], v[21:22]
	v_and_b32_e32 v54, v26, v20
	v_cmp_eq_u64_e64 s14, 0, v[14:15]
	v_and_b32_e32 v45, 3, v23
	v_cmp_eq_u64_e64 s11, v[49:50], v[21:22]
	v_cmp_eq_u64_e64 s15, 0, v[41:42]
	;; [unrolled: 1-line block ×6, first 2 shown]
	s_and_b32 s14, s10, s14
	v_cmp_eq_u64_e64 s18, 1, v[14:15]
	v_cndmask_b32_e64 v4, 0, 1, s14
	s_and_b32 s14, s11, s15
	v_cmp_eq_u64_e64 s19, 1, v[41:42]
	v_cndmask_b32_e64 v7, 0, 1, s14
	;; [unrolled: 3-line block ×4, first 2 shown]
	s_and_b32 s14, s10, s18
	v_cmp_eq_u64_e64 s22, 2, v[14:15]
	v_cmp_eq_u64_e64 s26, 3, v[14:15]
	v_cndmask_b32_e64 v10, 0, 1, s14
	s_and_b32 s14, s11, s19
	v_cmp_eq_u64_e64 s23, 2, v[41:42]
	v_cmp_eq_u64_e64 s27, 3, v[41:42]
	v_cndmask_b32_e64 v14, 0, 1, s14
	;; [unrolled: 4-line block ×4, first 2 shown]
	s_and_b32 s14, s10, s22
	s_and_b32 s10, s10, s26
	v_cndmask_b32_e64 v25, 0, 1, s14
	s_and_b32 s14, s11, s23
	v_cndmask_b32_e64 v43, 0, 1, s10
	;; [unrolled: 2-line block ×7, first 2 shown]
	v_cndmask_b32_e64 v46, 0, 1, s10
	v_cmp_ne_u32_e64 s10, 0, v4
	v_cmp_ne_u32_e64 s14, 0, v10
	;; [unrolled: 1-line block ×12, first 2 shown]
	s_bcnt1_i32_b32 s10, s10
	s_bcnt1_i32_b32 s14, s14
	;; [unrolled: 1-line block ×4, first 2 shown]
	v_cmp_ne_u32_e64 s13, 0, v9
	v_cmp_ne_u32_e64 s17, 0, v24
	;; [unrolled: 1-line block ×4, first 2 shown]
	s_bcnt1_i32_b32 s11, s11
	s_bcnt1_i32_b32 s15, s15
	s_bcnt1_i32_b32 s19, s19
	s_bcnt1_i32_b32 s23, s23
	s_add_i32 s10, s10, s88
	s_add_i32 s14, s14, s87
	s_add_i32 s18, s18, s86
	s_add_i32 s22, s22, s85
	s_bcnt1_i32_b32 s12, s12
	s_bcnt1_i32_b32 s16, s16
	s_bcnt1_i32_b32 s20, s20
	s_bcnt1_i32_b32 s24, s24
	s_add_i32 s10, s10, s11
	s_add_i32 s11, s14, s15
	s_add_i32 s14, s18, s19
	s_add_i32 s15, s22, s23
	;; [unrolled: 8-line block ×3, first 2 shown]
	s_add_i32 s88, s10, s13
	s_add_i32 s87, s11, s17
	;; [unrolled: 1-line block ×4, first 2 shown]
	v_dual_mov_b32 v7, s88 :: v_dual_add_nc_u32 v2, s66, v2
	v_dual_mov_b32 v8, s87 :: v_dual_mov_b32 v9, s86
	v_mov_b32_e32 v10, s85
	s_or_b32 s83, vcc_lo, s83
	s_delay_alu instid0(SALU_CYCLE_1)
	s_and_not1_b32 exec_lo, exec_lo, s83
	s_cbranch_execnz .LBB52_62
; %bb.63:                               ;   in Loop: Header=BB52_15 Depth=1
	s_or_b32 exec_lo, exec_lo, s83
.LBB52_64:                              ;   in Loop: Header=BB52_15 Depth=1
	s_delay_alu instid0(SALU_CYCLE_1) | instskip(SKIP_2) | instid1(VALU_DEP_1)
	s_or_b32 exec_lo, exec_lo, s82
	v_add_nc_u32_e32 v2, s81, v0
	s_mov_b32 s15, exec_lo
	v_cmpx_gt_u32_e64 s80, v2
	s_cbranch_execz .LBB52_68
; %bb.65:                               ;   in Loop: Header=BB52_15 Depth=1
	v_lshlrev_b32_e32 v3, 3, v2
	s_and_b32 s17, s74, 0xfe
	s_mov_b32 s16, 0
.LBB52_66:                              ;   Parent Loop BB52_15 Depth=1
                                        ; =>  This Inner Loop Header: Depth=2
	s_waitcnt vmcnt(0)
	ds_load_b64 v[23:24], v3
	v_add_nc_u32_e32 v2, s34, v2
	v_add_nc_u32_e32 v3, s67, v3
	s_delay_alu instid0(VALU_DEP_2) | instskip(SKIP_3) | instid1(VALU_DEP_2)
	v_cmp_le_u32_e32 vcc_lo, s80, v2
	s_waitcnt lgkmcnt(0)
	v_xor_b32_e32 v24, 0x80000000, v24
	v_and_b32_e32 v25, v23, v19
	v_and_b32_e32 v26, v24, v20
	v_lshrrev_b64 v[23:24], s17, v[23:24]
	s_delay_alu instid0(VALU_DEP_2) | instskip(NEXT) | instid1(VALU_DEP_2)
	v_cmp_eq_u64_e64 s10, v[25:26], v[21:22]
	v_and_b32_e32 v14, 3, v23
	s_delay_alu instid0(VALU_DEP_1) | instskip(SKIP_3) | instid1(VALU_DEP_4)
	v_cmp_eq_u64_e64 s11, 0, v[14:15]
	v_cmp_eq_u64_e64 s12, 1, v[14:15]
	;; [unrolled: 1-line block ×4, first 2 shown]
	s_and_b32 s11, s10, s11
	s_delay_alu instid0(SALU_CYCLE_1) | instskip(NEXT) | instid1(VALU_DEP_4)
	v_cndmask_b32_e64 v4, 0, 1, s11
	s_and_b32 s11, s10, s12
	s_delay_alu instid0(SALU_CYCLE_1)
	v_cndmask_b32_e64 v14, 0, 1, s11
	s_and_b32 s11, s10, s13
	s_and_b32 s10, s10, s14
	v_cndmask_b32_e64 v23, 0, 1, s11
	v_cndmask_b32_e64 v24, 0, 1, s10
	v_cmp_ne_u32_e64 s10, 0, v4
	v_cmp_ne_u32_e64 s11, 0, v14
	s_delay_alu instid0(VALU_DEP_4) | instskip(NEXT) | instid1(VALU_DEP_4)
	v_cmp_ne_u32_e64 s12, 0, v23
	v_cmp_ne_u32_e64 s13, 0, v24
	s_delay_alu instid0(VALU_DEP_4) | instskip(NEXT) | instid1(VALU_DEP_3)
	s_bcnt1_i32_b32 s10, s10
	s_bcnt1_i32_b32 s11, s11
	v_add_nc_u32_e32 v7, s10, v7
	s_bcnt1_i32_b32 s12, s12
	s_bcnt1_i32_b32 s13, s13
	v_add_nc_u32_e32 v8, s11, v8
	v_add_nc_u32_e32 v9, s12, v9
	;; [unrolled: 1-line block ×3, first 2 shown]
	s_or_b32 s16, vcc_lo, s16
	s_delay_alu instid0(SALU_CYCLE_1)
	s_and_not1_b32 exec_lo, exec_lo, s16
	s_cbranch_execnz .LBB52_66
; %bb.67:                               ;   in Loop: Header=BB52_15 Depth=1
	s_or_b32 exec_lo, exec_lo, s16
.LBB52_68:                              ;   in Loop: Header=BB52_15 Depth=1
	s_delay_alu instid0(SALU_CYCLE_1)
	s_or_b32 exec_lo, exec_lo, s15
.LBB52_69:                              ;   in Loop: Header=BB52_15 Depth=1
	s_lshl_b32 s10, s69, 7
	s_and_saveexec_b32 s11, s2
	s_cbranch_execz .LBB52_71
; %bb.70:                               ;   in Loop: Header=BB52_15 Depth=1
	v_or_b32_e32 v2, s10, v31
	s_delay_alu instid0(VALU_DEP_1)
	v_lshlrev_b32_e32 v2, 2, v2
	ds_store_b128 v2, v[7:10] offset:3072
.LBB52_71:                              ;   in Loop: Header=BB52_15 Depth=1
	s_or_b32 exec_lo, exec_lo, s11
	s_waitcnt vmcnt(0) lgkmcnt(0)
	s_barrier
	buffer_gl0_inv
	s_and_saveexec_b32 s11, s51
	s_cbranch_execz .LBB52_81
; %bb.72:                               ;   in Loop: Header=BB52_15 Depth=1
	v_mov_b32_e32 v2, 0
	s_and_not1_b32 vcc_lo, exec_lo, s55
	s_cbranch_vccnz .LBB52_80
; %bb.73:                               ;   in Loop: Header=BB52_15 Depth=1
	v_mov_b32_e32 v2, 0
	s_and_not1_b32 vcc_lo, exec_lo, s58
	s_mov_b32 s12, 0
	s_cbranch_vccnz .LBB52_77
; %bb.74:                               ;   in Loop: Header=BB52_15 Depth=1
	v_lshl_add_u32 v3, s69, 9, v39
	v_mov_b32_e32 v2, 0
	.p2align	6
.LBB52_75:                              ;   Parent Loop BB52_15 Depth=1
                                        ; =>  This Inner Loop Header: Depth=2
	ds_load_2addr_b32 v[7:8], v3 offset1:4
	ds_load_2addr_b32 v[9:10], v3 offset0:8 offset1:12
	ds_load_2addr_b32 v[23:24], v3 offset0:16 offset1:20
	;; [unrolled: 1-line block ×3, first 2 shown]
	v_add_nc_u32_e32 v3, 0x80, v3
	s_add_i32 s12, s12, 8
	s_delay_alu instid0(SALU_CYCLE_1) | instskip(SKIP_3) | instid1(VALU_DEP_1)
	s_cmp_eq_u32 s59, s12
	s_waitcnt lgkmcnt(3)
	v_add3_u32 v2, v7, v2, v8
	s_waitcnt lgkmcnt(2)
	v_add3_u32 v2, v9, v2, v10
	s_waitcnt lgkmcnt(1)
	s_delay_alu instid0(VALU_DEP_1) | instskip(SKIP_1) | instid1(VALU_DEP_1)
	v_add3_u32 v2, v23, v2, v24
	s_waitcnt lgkmcnt(0)
	v_add3_u32 v2, v25, v2, v26
	s_cbranch_scc0 .LBB52_75
; %bb.76:                               ;   in Loop: Header=BB52_15 Depth=1
	s_mov_b32 s12, s59
.LBB52_77:                              ;   in Loop: Header=BB52_15 Depth=1
	s_and_not1_b32 vcc_lo, exec_lo, s60
	s_cbranch_vccnz .LBB52_80
; %bb.78:                               ;   in Loop: Header=BB52_15 Depth=1
	s_lshl_b32 s13, s69, 9
	s_lshl_b32 s12, s12, 4
	s_delay_alu instid0(SALU_CYCLE_1)
	v_add3_u32 v3, s13, s12, v39
	s_mov_b32 s12, s57
.LBB52_79:                              ;   Parent Loop BB52_15 Depth=1
                                        ; =>  This Inner Loop Header: Depth=2
	ds_load_b32 v4, v3
	v_add_nc_u32_e32 v3, 16, v3
	s_add_i32 s12, s12, -1
	s_delay_alu instid0(SALU_CYCLE_1)
	s_cmp_lg_u32 s12, 0
	s_waitcnt lgkmcnt(0)
	v_add_nc_u32_e32 v2, v4, v2
	s_cbranch_scc1 .LBB52_79
.LBB52_80:                              ;   in Loop: Header=BB52_15 Depth=1
	v_add_lshl_u32 v3, s10, v28, 2
	ds_store_b32 v3, v2 offset:3072
.LBB52_81:                              ;   in Loop: Header=BB52_15 Depth=1
	s_or_b32 exec_lo, exec_lo, s11
	s_lshl_b32 s10, s10, 2
	s_waitcnt lgkmcnt(0)
	v_mov_b32_e32 v2, s10
	s_barrier
	buffer_gl0_inv
	s_and_b32 s19, s74, 0xfe
	v_cmp_eq_u32_e64 s10, 1, v40
	ds_load_b128 v[7:10], v2 offset:3072
	s_lshl_b64 s[12:13], 3, s19
	s_mov_b32 s22, 0
	s_and_not1_b32 vcc_lo, exec_lo, s52
	s_not_b64 s[14:15], s[12:13]
	s_waitcnt lgkmcnt(0)
	v_readfirstlane_b32 s16, v7
	v_readfirstlane_b32 s18, v8
	;; [unrolled: 1-line block ×4, first 2 shown]
	s_cbranch_vccnz .LBB52_94
; %bb.82:                               ;   in Loop: Header=BB52_15 Depth=1
	s_cmp_eq_u32 s16, 1
	v_dual_mov_b32 v24, v22 :: v_dual_mov_b32 v23, v21
	v_dual_mov_b32 v26, v20 :: v_dual_mov_b32 v25, v19
	;; [unrolled: 1-line block ×3, first 2 shown]
	s_cselect_b32 s11, -1, 0
	s_mov_b32 s28, -1
	s_and_b32 s27, s11, s10
                                        ; implicit-def: $sgpr17
                                        ; implicit-def: $sgpr24
                                        ; implicit-def: $sgpr23
	s_delay_alu instid0(SALU_CYCLE_1)
	s_and_saveexec_b32 s22, s27
	s_cbranch_execz .LBB52_113
; %bb.83:                               ;   in Loop: Header=BB52_15 Depth=1
	ds_load_b32 v2, v15 offset:4096
	s_waitcnt lgkmcnt(0)
	s_barrier
	buffer_gl0_inv
	v_readfirstlane_b32 s11, v2
	s_and_saveexec_b32 s17, s6
	s_cbranch_execz .LBB52_85
; %bb.84:                               ;   in Loop: Header=BB52_15 Depth=1
	v_mov_b32_e32 v14, v15
	ds_store_b64 v32, v[14:15]
.LBB52_85:                              ;   in Loop: Header=BB52_15 Depth=1
	s_or_b32 exec_lo, exec_lo, s17
	v_and_b32_e32 v24, s15, v22
	v_and_b32_e32 v23, s14, v21
	v_or_b32_e32 v26, s13, v20
	v_or_b32_e32 v25, s12, v19
	s_cmp_eq_u32 s11, 0
	s_waitcnt lgkmcnt(0)
	s_barrier
	buffer_gl0_inv
	s_cbranch_scc1 .LBB52_99
; %bb.86:                               ;   in Loop: Header=BB52_15 Depth=1
	s_add_i32 s17, s11, s56
	s_mov_b32 s25, 0
	s_mul_hi_u32 s23, s17, s63
                                        ; implicit-def: $vgpr9_vgpr10
	s_delay_alu instid0(SALU_CYCLE_1) | instskip(NEXT) | instid1(SALU_CYCLE_1)
	s_mul_i32 s23, s23, s34
	s_sub_i32 s23, s17, s23
	s_delay_alu instid0(SALU_CYCLE_1) | instskip(SKIP_2) | instid1(SALU_CYCLE_1)
	s_sub_i32 s24, s23, s34
	s_cmp_ge_u32 s23, s34
	s_cselect_b32 s23, s24, s23
	s_sub_i32 s24, s23, s34
	s_cmp_ge_u32 s23, s34
	s_cselect_b32 s23, s24, s23
	s_delay_alu instid0(SALU_CYCLE_1)
	s_sub_i32 s23, s17, s23
	s_mov_b32 s17, exec_lo
	v_cmpx_gt_u32_e64 s23, v0
	s_cbranch_execz .LBB52_101
; %bb.87:                               ;   in Loop: Header=BB52_15 Depth=1
	v_dual_mov_b32 v14, v30 :: v_dual_mov_b32 v41, v0
                                        ; implicit-def: $sgpr24
	s_set_inst_prefetch_distance 0x1
	s_branch .LBB52_89
	.p2align	6
.LBB52_88:                              ;   in Loop: Header=BB52_89 Depth=2
	s_or_b32 exec_lo, exec_lo, s26
	s_waitcnt lgkmcnt(0)
	s_barrier
	buffer_gl0_inv
	ds_load_b128 v[7:10], v15 offset:3072
	v_add_nc_u32_e32 v41, s34, v41
	v_add_nc_u32_e32 v14, s67, v14
	s_waitcnt lgkmcnt(0)
	s_barrier
	buffer_gl0_inv
	v_cmp_le_u32_e32 vcc_lo, s23, v41
	v_readfirstlane_b32 s29, v8
	v_readfirstlane_b32 s28, v7
	s_delay_alu instid0(VALU_DEP_1) | instskip(SKIP_1) | instid1(SALU_CYCLE_1)
	s_cmp_lg_u64 s[28:29], 0
	s_cselect_b32 s26, -1, 0
	s_or_b32 s28, vcc_lo, s26
	s_delay_alu instid0(SALU_CYCLE_1) | instskip(NEXT) | instid1(SALU_CYCLE_1)
	s_and_b32 s28, exec_lo, s28
	s_or_b32 s25, s28, s25
	s_and_not1_b32 s24, s24, exec_lo
	s_and_b32 s26, s26, exec_lo
	s_delay_alu instid0(SALU_CYCLE_1)
	s_or_b32 s24, s24, s26
	s_and_not1_b32 exec_lo, exec_lo, s25
	s_cbranch_execz .LBB52_100
.LBB52_89:                              ;   Parent Loop BB52_15 Depth=1
                                        ; =>  This Inner Loop Header: Depth=2
	v_mov_b32_e32 v3, 0
	v_mov_b32_e32 v4, 0
	v_cmp_gt_u32_e32 vcc_lo, s11, v41
	s_and_saveexec_b32 s26, vcc_lo
	s_cbranch_execz .LBB52_91
; %bb.90:                               ;   in Loop: Header=BB52_89 Depth=2
	ds_load_b64 v[3:4], v14
.LBB52_91:                              ;   in Loop: Header=BB52_89 Depth=2
	s_or_b32 exec_lo, exec_lo, s26
	s_and_saveexec_b32 s26, vcc_lo
	s_cbranch_execz .LBB52_88
; %bb.92:                               ;   in Loop: Header=BB52_89 Depth=2
	s_waitcnt lgkmcnt(0)
	v_xor_b32_e32 v2, 0x80000000, v4
	v_and_b32_e32 v7, v3, v25
	s_delay_alu instid0(VALU_DEP_2) | instskip(NEXT) | instid1(VALU_DEP_1)
	v_and_b32_e32 v8, v2, v26
	v_cmp_eq_u64_e32 vcc_lo, v[7:8], v[23:24]
	s_and_b32 exec_lo, exec_lo, vcc_lo
	s_cbranch_execz .LBB52_88
; %bb.93:                               ;   in Loop: Header=BB52_89 Depth=2
	v_mov_b32_e32 v2, v15
	ds_store_b128 v15, v[1:4] offset:3072
	s_branch .LBB52_88
.LBB52_94:                              ;   in Loop: Header=BB52_15 Depth=1
	s_mov_b32 s11, 0
                                        ; implicit-def: $sgpr23
                                        ; implicit-def: $sgpr24
                                        ; implicit-def: $sgpr17
                                        ; implicit-def: $vgpr2
                                        ; implicit-def: $vgpr41
                                        ; implicit-def: $vgpr23_vgpr24
                                        ; implicit-def: $vgpr25_vgpr26
                                        ; implicit-def: $vgpr9_vgpr10
	s_cbranch_execnz .LBB52_249
.LBB52_95:                              ;   in Loop: Header=BB52_15 Depth=1
	s_mov_b32 s25, s17
	s_mov_b32 s26, s17
	s_and_saveexec_b32 s10, s22
	s_cbranch_execnz .LBB52_411
	s_branch .LBB52_412
.LBB52_96:                              ;   in Loop: Header=BB52_15 Depth=1
	s_or_b32 exec_lo, exec_lo, s12
	s_waitcnt vmcnt(0) lgkmcnt(0)
	s_barrier
	buffer_gl0_inv
	s_and_saveexec_b32 s10, s5
	s_cbranch_execz .LBB52_98
; %bb.97:                               ;   in Loop: Header=BB52_15 Depth=1
	ds_load_b32 v2, v15 offset:4104
	s_waitcnt lgkmcnt(0)
	ds_store_b32 v15, v2 offset:4096
.LBB52_98:                              ;   in Loop: Header=BB52_15 Depth=1
	s_or_b32 exec_lo, exec_lo, s10
	s_waitcnt lgkmcnt(0)
	s_mov_b32 s10, -1
	s_barrier
	s_and_b32 vcc_lo, exec_lo, s80
	s_cbranch_vccnz .LBB52_33
	s_branch .LBB52_43
.LBB52_99:                              ;   in Loop: Header=BB52_15 Depth=1
	s_mov_b32 s17, -1
	s_mov_b32 s25, 0
                                        ; implicit-def: $sgpr23
                                        ; implicit-def: $vgpr9_vgpr10
	s_mov_b32 s24, s17
	s_cbranch_execnz .LBB52_102
	s_branch .LBB52_112
.LBB52_100:                             ;   in Loop: Header=BB52_15 Depth=1
	s_set_inst_prefetch_distance 0x2
	s_or_b32 exec_lo, exec_lo, s25
	s_delay_alu instid0(SALU_CYCLE_1)
	s_and_b32 s25, s24, exec_lo
.LBB52_101:                             ;   in Loop: Header=BB52_15 Depth=1
	s_or_b32 exec_lo, exec_lo, s17
	s_mov_b32 s23, -1
	s_mov_b32 s17, 0
	s_delay_alu instid0(SALU_CYCLE_1)
	s_mov_b32 s24, s17
	s_branch .LBB52_112
.LBB52_102:                             ;   in Loop: Header=BB52_15 Depth=1
	s_mov_b32 s25, 0
                                        ; implicit-def: $vgpr9_vgpr10
	s_and_saveexec_b32 s17, s9
	s_cbranch_execz .LBB52_111
; %bb.103:                              ;   in Loop: Header=BB52_15 Depth=1
	v_dual_mov_b32 v14, v13 :: v_dual_mov_b32 v41, v0
	s_mov_b32 s24, 0
                                        ; implicit-def: $sgpr23
	s_set_inst_prefetch_distance 0x1
	s_branch .LBB52_105
	.p2align	6
.LBB52_104:                             ;   in Loop: Header=BB52_105 Depth=2
	s_or_b32 exec_lo, exec_lo, s11
	s_waitcnt vmcnt(0) lgkmcnt(0)
	s_barrier
	buffer_gl0_inv
	ds_load_b128 v[7:10], v15 offset:3072
	v_add_nc_u32_e32 v41, s34, v41
	v_add_nc_u32_e32 v14, s40, v14
	s_waitcnt lgkmcnt(0)
	s_barrier
	buffer_gl0_inv
	v_cmp_le_u32_e32 vcc_lo, s64, v41
	v_readfirstlane_b32 s29, v8
	v_readfirstlane_b32 s28, v7
	s_delay_alu instid0(VALU_DEP_1) | instskip(SKIP_1) | instid1(SALU_CYCLE_1)
	s_cmp_lg_u64 s[28:29], 0
	s_cselect_b32 s11, -1, 0
	s_or_b32 s25, vcc_lo, s11
	s_delay_alu instid0(SALU_CYCLE_1) | instskip(NEXT) | instid1(SALU_CYCLE_1)
	s_and_b32 s25, exec_lo, s25
	s_or_b32 s24, s25, s24
	s_and_not1_b32 s23, s23, exec_lo
	s_and_b32 s11, s11, exec_lo
	s_delay_alu instid0(SALU_CYCLE_1)
	s_or_b32 s23, s23, s11
	s_and_not1_b32 exec_lo, exec_lo, s24
	s_cbranch_execz .LBB52_110
.LBB52_105:                             ;   Parent Loop BB52_15 Depth=1
                                        ; =>  This Inner Loop Header: Depth=2
	v_mov_b32_e32 v3, 0
	v_mov_b32_e32 v4, 0
	v_cmp_gt_u32_e32 vcc_lo, s36, v41
	s_and_saveexec_b32 s25, vcc_lo
	s_cbranch_execz .LBB52_107
; %bb.106:                              ;   in Loop: Header=BB52_105 Depth=2
	v_lshlrev_b64 v[2:3], 3, v[14:15]
	s_delay_alu instid0(VALU_DEP_1) | instskip(NEXT) | instid1(VALU_DEP_1)
	v_add_co_u32 v2, s11, s31, v2
	v_add_co_ci_u32_e64 v3, s11, s33, v3, s11
	global_load_b64 v[3:4], v[2:3], off
.LBB52_107:                             ;   in Loop: Header=BB52_105 Depth=2
	s_or_b32 exec_lo, exec_lo, s25
	s_and_saveexec_b32 s11, vcc_lo
	s_cbranch_execz .LBB52_104
; %bb.108:                              ;   in Loop: Header=BB52_105 Depth=2
	s_waitcnt vmcnt(0)
	v_xor_b32_e32 v2, 0x80000000, v4
	v_and_b32_e32 v7, v3, v25
	s_delay_alu instid0(VALU_DEP_2) | instskip(NEXT) | instid1(VALU_DEP_1)
	v_and_b32_e32 v8, v2, v26
	v_cmp_eq_u64_e32 vcc_lo, v[7:8], v[23:24]
	s_and_b32 exec_lo, exec_lo, vcc_lo
	s_cbranch_execz .LBB52_104
; %bb.109:                              ;   in Loop: Header=BB52_105 Depth=2
	v_mov_b32_e32 v2, v15
	ds_store_b128 v15, v[1:4] offset:3072
	s_branch .LBB52_104
.LBB52_110:                             ;   in Loop: Header=BB52_15 Depth=1
	s_set_inst_prefetch_distance 0x2
	s_or_b32 exec_lo, exec_lo, s24
	s_delay_alu instid0(SALU_CYCLE_1)
	s_and_b32 s25, s23, exec_lo
.LBB52_111:                             ;   in Loop: Header=BB52_15 Depth=1
	s_or_b32 exec_lo, exec_lo, s17
	s_mov_b32 s24, -1
	s_mov_b32 s17, 0
	s_mov_b32 s23, 0
.LBB52_112:                             ;   in Loop: Header=BB52_15 Depth=1
	s_or_not1_b32 s28, s25, exec_lo
.LBB52_113:                             ;   in Loop: Header=BB52_15 Depth=1
	s_or_b32 exec_lo, exec_lo, s22
	s_mov_b32 s25, 0
	s_mov_b32 s22, 0
	;; [unrolled: 1-line block ×3, first 2 shown]
                                        ; implicit-def: $vgpr2
                                        ; implicit-def: $vgpr41
	s_and_saveexec_b32 s26, s28
	s_cbranch_execz .LBB52_248
; %bb.114:                              ;   in Loop: Header=BB52_15 Depth=1
	v_dual_mov_b32 v41, 1 :: v_dual_mov_b32 v2, 1
	s_xor_b32 s27, s27, -1
	s_delay_alu instid0(SALU_CYCLE_1)
	s_and_saveexec_b32 s11, s27
	s_cbranch_execz .LBB52_124
; %bb.115:                              ;   in Loop: Header=BB52_15 Depth=1
	s_mov_b32 s27, exec_lo
                                        ; implicit-def: $sgpr28
                                        ; implicit-def: $sgpr22
	v_cmpx_ge_u32_e64 s16, v40
	s_xor_b32 s27, exec_lo, s27
	s_cbranch_execz .LBB52_121
; %bb.116:                              ;   in Loop: Header=BB52_15 Depth=1
	ds_load_b32 v2, v15 offset:4096
	s_waitcnt lgkmcnt(0)
	v_cmp_ne_u32_e32 vcc_lo, 0, v2
	s_cbranch_vccnz .LBB52_120
; %bb.117:                              ;   in Loop: Header=BB52_15 Depth=1
	s_and_saveexec_b32 s22, s5
	s_cbranch_execz .LBB52_119
; %bb.118:                              ;   in Loop: Header=BB52_15 Depth=1
	v_mov_b32_e32 v2, s16
	ds_store_b32 v15, v2 offset:4100
.LBB52_119:                             ;   in Loop: Header=BB52_15 Depth=1
	s_or_b32 exec_lo, exec_lo, s22
	s_waitcnt lgkmcnt(0)
	s_barrier
	buffer_gl0_inv
.LBB52_120:                             ;   in Loop: Header=BB52_15 Depth=1
	v_and_b32_e32 v24, s15, v24
	v_and_b32_e32 v23, s14, v23
	v_or_b32_e32 v26, s13, v26
	v_or_b32_e32 v25, s12, v25
	s_mov_b32 s22, 0
	s_mov_b32 s28, 8
.LBB52_121:                             ;   in Loop: Header=BB52_15 Depth=1
	s_or_saveexec_b32 s27, s27
	v_dual_mov_b32 v2, s28 :: v_dual_mov_b32 v41, v40
	s_xor_b32 exec_lo, exec_lo, s27
; %bb.122:                              ;   in Loop: Header=BB52_15 Depth=1
	v_subrev_nc_u32_e32 v41, s16, v40
	v_mov_b32_e32 v2, 0
	s_or_b32 s22, s22, exec_lo
; %bb.123:                              ;   in Loop: Header=BB52_15 Depth=1
	s_or_b32 exec_lo, exec_lo, s27
	s_delay_alu instid0(SALU_CYCLE_1)
	s_and_b32 s22, s22, exec_lo
.LBB52_124:                             ;   in Loop: Header=BB52_15 Depth=1
	s_or_b32 exec_lo, exec_lo, s11
	s_mov_b32 s11, -1
                                        ; implicit-def: $sgpr27
                                        ; implicit-def: $sgpr29
                                        ; implicit-def: $sgpr80
	s_and_saveexec_b32 s28, s22
	s_delay_alu instid0(SALU_CYCLE_1)
	s_xor_b32 s22, exec_lo, s28
	s_cbranch_execz .LBB52_245
; %bb.125:                              ;   in Loop: Header=BB52_15 Depth=1
	v_cmp_eq_u32_e32 vcc_lo, 1, v41
	s_cmp_eq_u32 s18, 1
                                        ; implicit-def: $sgpr27
                                        ; implicit-def: $sgpr29
                                        ; implicit-def: $sgpr28
	s_cselect_b32 s11, -1, 0
	s_delay_alu instid0(SALU_CYCLE_1)
	s_and_b32 s81, s11, vcc_lo
	s_mov_b32 s11, -1
	s_and_saveexec_b32 s80, s81
	s_cbranch_execz .LBB52_151
; %bb.126:                              ;   in Loop: Header=BB52_15 Depth=1
	ds_load_b32 v2, v15 offset:4096
	s_waitcnt lgkmcnt(0)
	s_barrier
	buffer_gl0_inv
	v_readfirstlane_b32 s11, v2
	s_and_saveexec_b32 s27, s6
	s_cbranch_execz .LBB52_128
; %bb.127:                              ;   in Loop: Header=BB52_15 Depth=1
	v_mov_b32_e32 v14, v15
	ds_store_b64 v32, v[14:15]
.LBB52_128:                             ;   in Loop: Header=BB52_15 Depth=1
	s_or_b32 exec_lo, exec_lo, s27
	v_and_b32_e32 v2, s15, v24
	v_and_b32_e32 v3, s14, v23
	s_lshl_b64 s[28:29], 1, s19
	v_or_b32_e32 v26, s13, v26
	v_or_b32_e32 v25, s12, v25
	;; [unrolled: 1-line block ×4, first 2 shown]
	s_cmp_eq_u32 s11, 0
	s_waitcnt lgkmcnt(0)
	s_barrier
	buffer_gl0_inv
	s_cbranch_scc1 .LBB52_137
; %bb.129:                              ;   in Loop: Header=BB52_15 Depth=1
	s_add_i32 s27, s11, s56
	s_mov_b32 s82, 0
	s_mul_hi_u32 s28, s27, s63
                                        ; implicit-def: $vgpr9_vgpr10
	s_delay_alu instid0(SALU_CYCLE_1) | instskip(NEXT) | instid1(SALU_CYCLE_1)
	s_mul_i32 s28, s28, s34
	s_sub_i32 s28, s27, s28
	s_delay_alu instid0(SALU_CYCLE_1) | instskip(SKIP_2) | instid1(SALU_CYCLE_1)
	s_sub_i32 s29, s28, s34
	s_cmp_ge_u32 s28, s34
	s_cselect_b32 s28, s29, s28
	s_sub_i32 s29, s28, s34
	s_cmp_ge_u32 s28, s34
	s_cselect_b32 s28, s29, s28
	s_delay_alu instid0(SALU_CYCLE_1)
	s_sub_i32 s28, s27, s28
	s_mov_b32 s27, exec_lo
	v_cmpx_gt_u32_e64 s28, v0
	s_cbranch_execz .LBB52_139
; %bb.130:                              ;   in Loop: Header=BB52_15 Depth=1
	v_mov_b32_e32 v14, v30
	v_mov_b32_e32 v42, v0
                                        ; implicit-def: $sgpr29
	s_set_inst_prefetch_distance 0x1
	s_branch .LBB52_132
	.p2align	6
.LBB52_131:                             ;   in Loop: Header=BB52_132 Depth=2
	s_or_b32 exec_lo, exec_lo, s83
	s_waitcnt lgkmcnt(0)
	s_barrier
	buffer_gl0_inv
	ds_load_b128 v[7:10], v15 offset:3072
	v_add_nc_u32_e32 v42, s34, v42
	v_add_nc_u32_e32 v14, s67, v14
	s_waitcnt lgkmcnt(0)
	s_barrier
	buffer_gl0_inv
	v_cmp_le_u32_e32 vcc_lo, s28, v42
	v_readfirstlane_b32 s85, v8
	v_readfirstlane_b32 s84, v7
	s_delay_alu instid0(VALU_DEP_1) | instskip(SKIP_1) | instid1(SALU_CYCLE_1)
	s_cmp_lg_u64 s[84:85], 0
	s_cselect_b32 s83, -1, 0
	s_or_b32 s84, vcc_lo, s83
	s_delay_alu instid0(SALU_CYCLE_1) | instskip(NEXT) | instid1(SALU_CYCLE_1)
	s_and_b32 s84, exec_lo, s84
	s_or_b32 s82, s84, s82
	s_and_not1_b32 s29, s29, exec_lo
	s_and_b32 s83, s83, exec_lo
	s_delay_alu instid0(SALU_CYCLE_1)
	s_or_b32 s29, s29, s83
	s_and_not1_b32 exec_lo, exec_lo, s82
	s_cbranch_execz .LBB52_138
.LBB52_132:                             ;   Parent Loop BB52_15 Depth=1
                                        ; =>  This Inner Loop Header: Depth=2
	v_mov_b32_e32 v3, 0
	v_mov_b32_e32 v4, 0
	v_cmp_gt_u32_e32 vcc_lo, s11, v42
	s_and_saveexec_b32 s83, vcc_lo
	s_cbranch_execz .LBB52_134
; %bb.133:                              ;   in Loop: Header=BB52_132 Depth=2
	ds_load_b64 v[3:4], v14
.LBB52_134:                             ;   in Loop: Header=BB52_132 Depth=2
	s_or_b32 exec_lo, exec_lo, s83
	s_and_saveexec_b32 s83, vcc_lo
	s_cbranch_execz .LBB52_131
; %bb.135:                              ;   in Loop: Header=BB52_132 Depth=2
	s_waitcnt lgkmcnt(0)
	v_xor_b32_e32 v2, 0x80000000, v4
	v_and_b32_e32 v7, v3, v25
	s_delay_alu instid0(VALU_DEP_2) | instskip(NEXT) | instid1(VALU_DEP_1)
	v_and_b32_e32 v8, v2, v26
	v_cmp_eq_u64_e32 vcc_lo, v[7:8], v[23:24]
	s_and_b32 exec_lo, exec_lo, vcc_lo
	s_cbranch_execz .LBB52_131
; %bb.136:                              ;   in Loop: Header=BB52_132 Depth=2
	v_mov_b32_e32 v2, v15
	ds_store_b128 v15, v[1:4] offset:3072
	s_branch .LBB52_131
.LBB52_137:                             ;   in Loop: Header=BB52_15 Depth=1
	s_mov_b32 s27, -1
	s_mov_b32 s82, 0
                                        ; implicit-def: $sgpr28
                                        ; implicit-def: $vgpr9_vgpr10
	s_mov_b32 s29, s27
	s_cbranch_execnz .LBB52_140
	s_branch .LBB52_150
.LBB52_138:                             ;   in Loop: Header=BB52_15 Depth=1
	s_set_inst_prefetch_distance 0x2
	s_or_b32 exec_lo, exec_lo, s82
	s_delay_alu instid0(SALU_CYCLE_1)
	s_and_b32 s82, s29, exec_lo
.LBB52_139:                             ;   in Loop: Header=BB52_15 Depth=1
	s_or_b32 exec_lo, exec_lo, s27
	s_mov_b32 s28, -1
	s_mov_b32 s27, 0
	s_delay_alu instid0(SALU_CYCLE_1)
	s_mov_b32 s29, s27
	s_branch .LBB52_150
.LBB52_140:                             ;   in Loop: Header=BB52_15 Depth=1
	s_mov_b32 s82, 0
                                        ; implicit-def: $vgpr9_vgpr10
	s_and_saveexec_b32 s27, s9
	s_cbranch_execz .LBB52_149
; %bb.141:                              ;   in Loop: Header=BB52_15 Depth=1
	v_mov_b32_e32 v14, v13
	v_mov_b32_e32 v42, v0
	s_mov_b32 s29, 0
                                        ; implicit-def: $sgpr28
	s_set_inst_prefetch_distance 0x1
	s_branch .LBB52_143
	.p2align	6
.LBB52_142:                             ;   in Loop: Header=BB52_143 Depth=2
	s_or_b32 exec_lo, exec_lo, s11
	s_waitcnt vmcnt(0) lgkmcnt(0)
	s_barrier
	buffer_gl0_inv
	ds_load_b128 v[7:10], v15 offset:3072
	v_add_nc_u32_e32 v42, s34, v42
	v_add_nc_u32_e32 v14, s40, v14
	s_waitcnt lgkmcnt(0)
	s_barrier
	buffer_gl0_inv
	v_cmp_le_u32_e32 vcc_lo, s64, v42
	v_readfirstlane_b32 s83, v8
	v_readfirstlane_b32 s82, v7
	s_delay_alu instid0(VALU_DEP_1) | instskip(SKIP_1) | instid1(SALU_CYCLE_1)
	s_cmp_lg_u64 s[82:83], 0
	s_cselect_b32 s11, -1, 0
	s_or_b32 s82, vcc_lo, s11
	s_delay_alu instid0(SALU_CYCLE_1) | instskip(NEXT) | instid1(SALU_CYCLE_1)
	s_and_b32 s82, exec_lo, s82
	s_or_b32 s29, s82, s29
	s_and_not1_b32 s28, s28, exec_lo
	s_and_b32 s11, s11, exec_lo
	s_delay_alu instid0(SALU_CYCLE_1)
	s_or_b32 s28, s28, s11
	s_and_not1_b32 exec_lo, exec_lo, s29
	s_cbranch_execz .LBB52_148
.LBB52_143:                             ;   Parent Loop BB52_15 Depth=1
                                        ; =>  This Inner Loop Header: Depth=2
	v_mov_b32_e32 v3, 0
	v_mov_b32_e32 v4, 0
	v_cmp_gt_u32_e32 vcc_lo, s36, v42
	s_and_saveexec_b32 s82, vcc_lo
	s_cbranch_execz .LBB52_145
; %bb.144:                              ;   in Loop: Header=BB52_143 Depth=2
	v_lshlrev_b64 v[2:3], 3, v[14:15]
	s_delay_alu instid0(VALU_DEP_1) | instskip(NEXT) | instid1(VALU_DEP_1)
	v_add_co_u32 v2, s11, s31, v2
	v_add_co_ci_u32_e64 v3, s11, s33, v3, s11
	global_load_b64 v[3:4], v[2:3], off
.LBB52_145:                             ;   in Loop: Header=BB52_143 Depth=2
	s_or_b32 exec_lo, exec_lo, s82
	s_and_saveexec_b32 s11, vcc_lo
	s_cbranch_execz .LBB52_142
; %bb.146:                              ;   in Loop: Header=BB52_143 Depth=2
	s_waitcnt vmcnt(0)
	v_xor_b32_e32 v2, 0x80000000, v4
	v_and_b32_e32 v7, v3, v25
	s_delay_alu instid0(VALU_DEP_2) | instskip(NEXT) | instid1(VALU_DEP_1)
	v_and_b32_e32 v8, v2, v26
	v_cmp_eq_u64_e32 vcc_lo, v[7:8], v[23:24]
	s_and_b32 exec_lo, exec_lo, vcc_lo
	s_cbranch_execz .LBB52_142
; %bb.147:                              ;   in Loop: Header=BB52_143 Depth=2
	v_mov_b32_e32 v2, v15
	ds_store_b128 v15, v[1:4] offset:3072
	s_branch .LBB52_142
.LBB52_148:                             ;   in Loop: Header=BB52_15 Depth=1
	s_set_inst_prefetch_distance 0x2
	s_or_b32 exec_lo, exec_lo, s29
	s_delay_alu instid0(SALU_CYCLE_1)
	s_and_b32 s82, s28, exec_lo
.LBB52_149:                             ;   in Loop: Header=BB52_15 Depth=1
	s_or_b32 exec_lo, exec_lo, s27
	s_mov_b32 s29, -1
	s_mov_b32 s27, 0
	s_mov_b32 s28, 0
.LBB52_150:                             ;   in Loop: Header=BB52_15 Depth=1
	s_or_not1_b32 s11, s82, exec_lo
.LBB52_151:                             ;   in Loop: Header=BB52_15 Depth=1
	s_or_b32 exec_lo, exec_lo, s80
	s_mov_b32 s82, 0
                                        ; implicit-def: $vgpr2
	s_and_saveexec_b32 s80, s11
	s_cbranch_execz .LBB52_244
; %bb.152:                              ;   in Loop: Header=BB52_15 Depth=1
	v_mov_b32_e32 v42, 1
	v_mov_b32_e32 v2, 1
	s_xor_b32 s81, s81, -1
	s_mov_b32 s83, 0
	s_and_saveexec_b32 s11, s81
	s_cbranch_execz .LBB52_162
; %bb.153:                              ;   in Loop: Header=BB52_15 Depth=1
	s_mov_b32 s82, exec_lo
                                        ; implicit-def: $sgpr83
                                        ; implicit-def: $sgpr81
	v_cmpx_ge_u32_e64 s18, v41
	s_xor_b32 s82, exec_lo, s82
	s_cbranch_execz .LBB52_159
; %bb.154:                              ;   in Loop: Header=BB52_15 Depth=1
	ds_load_b32 v2, v15 offset:4096
	s_waitcnt lgkmcnt(0)
	v_cmp_ne_u32_e32 vcc_lo, 0, v2
	s_cbranch_vccnz .LBB52_158
; %bb.155:                              ;   in Loop: Header=BB52_15 Depth=1
	s_and_saveexec_b32 s81, s5
	s_cbranch_execz .LBB52_157
; %bb.156:                              ;   in Loop: Header=BB52_15 Depth=1
	v_mov_b32_e32 v2, s18
	ds_store_b32 v15, v2 offset:4100
.LBB52_157:                             ;   in Loop: Header=BB52_15 Depth=1
	s_or_b32 exec_lo, exec_lo, s81
	s_waitcnt lgkmcnt(0)
	s_barrier
	buffer_gl0_inv
.LBB52_158:                             ;   in Loop: Header=BB52_15 Depth=1
	v_and_b32_e32 v2, s15, v24
	v_and_b32_e32 v3, s14, v23
	s_lshl_b64 s[84:85], 1, s19
	v_or_b32_e32 v26, s13, v26
	v_or_b32_e32 v25, s12, v25
	;; [unrolled: 1-line block ×4, first 2 shown]
	s_mov_b32 s81, 0
	s_mov_b32 s83, 8
.LBB52_159:                             ;   in Loop: Header=BB52_15 Depth=1
	s_or_saveexec_b32 s82, s82
	v_mov_b32_e32 v2, s83
	s_xor_b32 exec_lo, exec_lo, s82
; %bb.160:                              ;   in Loop: Header=BB52_15 Depth=1
	v_subrev_nc_u32_e32 v41, s18, v41
	v_mov_b32_e32 v2, 0
	s_or_b32 s81, s81, exec_lo
; %bb.161:                              ;   in Loop: Header=BB52_15 Depth=1
	s_or_b32 exec_lo, exec_lo, s82
	s_delay_alu instid0(VALU_DEP_2)
	v_mov_b32_e32 v42, v41
	s_and_b32 s83, s81, exec_lo
.LBB52_162:                             ;   in Loop: Header=BB52_15 Depth=1
	s_or_b32 exec_lo, exec_lo, s11
	s_mov_b32 s11, -1
                                        ; implicit-def: $sgpr82
                                        ; implicit-def: $sgpr84
                                        ; implicit-def: $sgpr85
	s_and_saveexec_b32 s81, s83
	s_cbranch_execz .LBB52_243
; %bb.163:                              ;   in Loop: Header=BB52_15 Depth=1
	v_cmp_eq_u32_e32 vcc_lo, 1, v42
	s_cmp_eq_u32 s20, 1
                                        ; implicit-def: $sgpr82
                                        ; implicit-def: $sgpr84
                                        ; implicit-def: $sgpr83
	s_cselect_b32 s11, -1, 0
	s_delay_alu instid0(SALU_CYCLE_1)
	s_and_b32 s86, s11, vcc_lo
	s_mov_b32 s11, -1
	s_and_saveexec_b32 s85, s86
	s_cbranch_execz .LBB52_189
; %bb.164:                              ;   in Loop: Header=BB52_15 Depth=1
	ds_load_b32 v2, v15 offset:4096
	s_waitcnt lgkmcnt(0)
	s_barrier
	buffer_gl0_inv
	v_readfirstlane_b32 s11, v2
	s_and_saveexec_b32 s82, s6
	s_cbranch_execz .LBB52_166
; %bb.165:                              ;   in Loop: Header=BB52_15 Depth=1
	v_mov_b32_e32 v14, v15
	ds_store_b64 v32, v[14:15]
.LBB52_166:                             ;   in Loop: Header=BB52_15 Depth=1
	s_or_b32 exec_lo, exec_lo, s82
	v_and_b32_e32 v2, s15, v24
	v_and_b32_e32 v3, s14, v23
	s_lshl_b64 s[82:83], 2, s19
	v_or_b32_e32 v26, s13, v26
	v_or_b32_e32 v25, s12, v25
	;; [unrolled: 1-line block ×4, first 2 shown]
	s_cmp_eq_u32 s11, 0
	s_waitcnt lgkmcnt(0)
	s_barrier
	buffer_gl0_inv
	s_cbranch_scc1 .LBB52_175
; %bb.167:                              ;   in Loop: Header=BB52_15 Depth=1
	s_add_i32 s82, s11, s56
	s_mov_b32 s87, 0
	s_mul_hi_u32 s83, s82, s63
                                        ; implicit-def: $vgpr9_vgpr10
	s_delay_alu instid0(SALU_CYCLE_1) | instskip(NEXT) | instid1(SALU_CYCLE_1)
	s_mul_i32 s83, s83, s34
	s_sub_i32 s83, s82, s83
	s_delay_alu instid0(SALU_CYCLE_1) | instskip(SKIP_2) | instid1(SALU_CYCLE_1)
	s_sub_i32 s84, s83, s34
	s_cmp_ge_u32 s83, s34
	s_cselect_b32 s83, s84, s83
	s_sub_i32 s84, s83, s34
	s_cmp_ge_u32 s83, s34
	s_cselect_b32 s83, s84, s83
	s_delay_alu instid0(SALU_CYCLE_1)
	s_sub_i32 s83, s82, s83
	s_mov_b32 s82, exec_lo
	v_cmpx_gt_u32_e64 s83, v0
	s_cbranch_execz .LBB52_177
; %bb.168:                              ;   in Loop: Header=BB52_15 Depth=1
	v_dual_mov_b32 v14, v30 :: v_dual_mov_b32 v41, v0
                                        ; implicit-def: $sgpr84
	s_set_inst_prefetch_distance 0x1
	s_branch .LBB52_170
	.p2align	6
.LBB52_169:                             ;   in Loop: Header=BB52_170 Depth=2
	s_or_b32 exec_lo, exec_lo, s88
	s_waitcnt lgkmcnt(0)
	s_barrier
	buffer_gl0_inv
	ds_load_b128 v[7:10], v15 offset:3072
	v_add_nc_u32_e32 v41, s34, v41
	v_add_nc_u32_e32 v14, s67, v14
	s_waitcnt lgkmcnt(0)
	s_barrier
	buffer_gl0_inv
	v_cmp_le_u32_e32 vcc_lo, s83, v41
	v_readfirstlane_b32 s89, v8
	v_readfirstlane_b32 s88, v7
	s_delay_alu instid0(VALU_DEP_1) | instskip(SKIP_1) | instid1(SALU_CYCLE_1)
	s_cmp_lg_u64 s[88:89], 0
	s_cselect_b32 s88, -1, 0
	s_or_b32 s89, vcc_lo, s88
	s_delay_alu instid0(SALU_CYCLE_1) | instskip(NEXT) | instid1(SALU_CYCLE_1)
	s_and_b32 s89, exec_lo, s89
	s_or_b32 s87, s89, s87
	s_and_not1_b32 s84, s84, exec_lo
	s_and_b32 s88, s88, exec_lo
	s_delay_alu instid0(SALU_CYCLE_1)
	s_or_b32 s84, s84, s88
	s_and_not1_b32 exec_lo, exec_lo, s87
	s_cbranch_execz .LBB52_176
.LBB52_170:                             ;   Parent Loop BB52_15 Depth=1
                                        ; =>  This Inner Loop Header: Depth=2
	v_mov_b32_e32 v3, 0
	v_mov_b32_e32 v4, 0
	v_cmp_gt_u32_e32 vcc_lo, s11, v41
	s_and_saveexec_b32 s88, vcc_lo
	s_cbranch_execz .LBB52_172
; %bb.171:                              ;   in Loop: Header=BB52_170 Depth=2
	ds_load_b64 v[3:4], v14
.LBB52_172:                             ;   in Loop: Header=BB52_170 Depth=2
	s_or_b32 exec_lo, exec_lo, s88
	s_and_saveexec_b32 s88, vcc_lo
	s_cbranch_execz .LBB52_169
; %bb.173:                              ;   in Loop: Header=BB52_170 Depth=2
	s_waitcnt lgkmcnt(0)
	v_xor_b32_e32 v2, 0x80000000, v4
	v_and_b32_e32 v7, v3, v25
	s_delay_alu instid0(VALU_DEP_2) | instskip(NEXT) | instid1(VALU_DEP_1)
	v_and_b32_e32 v8, v2, v26
	v_cmp_eq_u64_e32 vcc_lo, v[7:8], v[23:24]
	s_and_b32 exec_lo, exec_lo, vcc_lo
	s_cbranch_execz .LBB52_169
; %bb.174:                              ;   in Loop: Header=BB52_170 Depth=2
	v_mov_b32_e32 v2, v15
	ds_store_b128 v15, v[1:4] offset:3072
	s_branch .LBB52_169
.LBB52_175:                             ;   in Loop: Header=BB52_15 Depth=1
	s_mov_b32 s82, -1
	s_mov_b32 s87, 0
                                        ; implicit-def: $sgpr83
                                        ; implicit-def: $vgpr9_vgpr10
	s_mov_b32 s84, s82
	s_cbranch_execnz .LBB52_178
	s_branch .LBB52_188
.LBB52_176:                             ;   in Loop: Header=BB52_15 Depth=1
	s_set_inst_prefetch_distance 0x2
	s_or_b32 exec_lo, exec_lo, s87
	s_delay_alu instid0(SALU_CYCLE_1)
	s_and_b32 s87, s84, exec_lo
.LBB52_177:                             ;   in Loop: Header=BB52_15 Depth=1
	s_or_b32 exec_lo, exec_lo, s82
	s_mov_b32 s83, -1
	s_mov_b32 s82, 0
	s_delay_alu instid0(SALU_CYCLE_1)
	s_mov_b32 s84, s82
	s_branch .LBB52_188
.LBB52_178:                             ;   in Loop: Header=BB52_15 Depth=1
	s_mov_b32 s87, 0
                                        ; implicit-def: $vgpr9_vgpr10
	s_and_saveexec_b32 s82, s9
	s_cbranch_execz .LBB52_187
; %bb.179:                              ;   in Loop: Header=BB52_15 Depth=1
	v_dual_mov_b32 v14, v13 :: v_dual_mov_b32 v41, v0
	s_mov_b32 s84, 0
                                        ; implicit-def: $sgpr83
	s_set_inst_prefetch_distance 0x1
	s_branch .LBB52_181
	.p2align	6
.LBB52_180:                             ;   in Loop: Header=BB52_181 Depth=2
	s_or_b32 exec_lo, exec_lo, s11
	s_waitcnt vmcnt(0) lgkmcnt(0)
	s_barrier
	buffer_gl0_inv
	ds_load_b128 v[7:10], v15 offset:3072
	v_add_nc_u32_e32 v41, s34, v41
	v_add_nc_u32_e32 v14, s40, v14
	s_waitcnt lgkmcnt(0)
	s_barrier
	buffer_gl0_inv
	v_cmp_le_u32_e32 vcc_lo, s64, v41
	v_readfirstlane_b32 s89, v8
	v_readfirstlane_b32 s88, v7
	s_delay_alu instid0(VALU_DEP_1) | instskip(SKIP_1) | instid1(SALU_CYCLE_1)
	s_cmp_lg_u64 s[88:89], 0
	s_cselect_b32 s11, -1, 0
	s_or_b32 s87, vcc_lo, s11
	s_delay_alu instid0(SALU_CYCLE_1) | instskip(NEXT) | instid1(SALU_CYCLE_1)
	s_and_b32 s87, exec_lo, s87
	s_or_b32 s84, s87, s84
	s_and_not1_b32 s83, s83, exec_lo
	s_and_b32 s11, s11, exec_lo
	s_delay_alu instid0(SALU_CYCLE_1)
	s_or_b32 s83, s83, s11
	s_and_not1_b32 exec_lo, exec_lo, s84
	s_cbranch_execz .LBB52_186
.LBB52_181:                             ;   Parent Loop BB52_15 Depth=1
                                        ; =>  This Inner Loop Header: Depth=2
	v_mov_b32_e32 v3, 0
	v_mov_b32_e32 v4, 0
	v_cmp_gt_u32_e32 vcc_lo, s36, v41
	s_and_saveexec_b32 s87, vcc_lo
	s_cbranch_execz .LBB52_183
; %bb.182:                              ;   in Loop: Header=BB52_181 Depth=2
	v_lshlrev_b64 v[2:3], 3, v[14:15]
	s_delay_alu instid0(VALU_DEP_1) | instskip(NEXT) | instid1(VALU_DEP_1)
	v_add_co_u32 v2, s11, s31, v2
	v_add_co_ci_u32_e64 v3, s11, s33, v3, s11
	global_load_b64 v[3:4], v[2:3], off
.LBB52_183:                             ;   in Loop: Header=BB52_181 Depth=2
	s_or_b32 exec_lo, exec_lo, s87
	s_and_saveexec_b32 s11, vcc_lo
	s_cbranch_execz .LBB52_180
; %bb.184:                              ;   in Loop: Header=BB52_181 Depth=2
	s_waitcnt vmcnt(0)
	v_xor_b32_e32 v2, 0x80000000, v4
	v_and_b32_e32 v7, v3, v25
	s_delay_alu instid0(VALU_DEP_2) | instskip(NEXT) | instid1(VALU_DEP_1)
	v_and_b32_e32 v8, v2, v26
	v_cmp_eq_u64_e32 vcc_lo, v[7:8], v[23:24]
	s_and_b32 exec_lo, exec_lo, vcc_lo
	s_cbranch_execz .LBB52_180
; %bb.185:                              ;   in Loop: Header=BB52_181 Depth=2
	v_mov_b32_e32 v2, v15
	ds_store_b128 v15, v[1:4] offset:3072
	s_branch .LBB52_180
.LBB52_186:                             ;   in Loop: Header=BB52_15 Depth=1
	s_set_inst_prefetch_distance 0x2
	s_or_b32 exec_lo, exec_lo, s84
	s_delay_alu instid0(SALU_CYCLE_1)
	s_and_b32 s87, s83, exec_lo
.LBB52_187:                             ;   in Loop: Header=BB52_15 Depth=1
	s_or_b32 exec_lo, exec_lo, s82
	s_mov_b32 s84, -1
	s_mov_b32 s82, 0
	s_mov_b32 s83, 0
.LBB52_188:                             ;   in Loop: Header=BB52_15 Depth=1
	s_or_not1_b32 s11, s87, exec_lo
.LBB52_189:                             ;   in Loop: Header=BB52_15 Depth=1
	s_or_b32 exec_lo, exec_lo, s85
	s_mov_b32 s87, 0
                                        ; implicit-def: $vgpr2
	s_and_saveexec_b32 s85, s11
	s_cbranch_execz .LBB52_242
; %bb.190:                              ;   in Loop: Header=BB52_15 Depth=1
	v_dual_mov_b32 v41, 1 :: v_dual_mov_b32 v2, 1
	s_xor_b32 s86, s86, -1
	s_mov_b32 s88, 0
	s_and_saveexec_b32 s11, s86
	s_cbranch_execz .LBB52_200
; %bb.191:                              ;   in Loop: Header=BB52_15 Depth=1
	s_mov_b32 s87, exec_lo
                                        ; implicit-def: $sgpr88
                                        ; implicit-def: $sgpr86
	v_cmpx_ge_u32_e64 s20, v42
	s_xor_b32 s87, exec_lo, s87
	s_cbranch_execz .LBB52_197
; %bb.192:                              ;   in Loop: Header=BB52_15 Depth=1
	ds_load_b32 v2, v15 offset:4096
	s_waitcnt lgkmcnt(0)
	v_cmp_ne_u32_e32 vcc_lo, 0, v2
	s_cbranch_vccnz .LBB52_196
; %bb.193:                              ;   in Loop: Header=BB52_15 Depth=1
	s_and_saveexec_b32 s86, s5
	s_cbranch_execz .LBB52_195
; %bb.194:                              ;   in Loop: Header=BB52_15 Depth=1
	v_mov_b32_e32 v2, s20
	ds_store_b32 v15, v2 offset:4100
.LBB52_195:                             ;   in Loop: Header=BB52_15 Depth=1
	s_or_b32 exec_lo, exec_lo, s86
	s_waitcnt lgkmcnt(0)
	s_barrier
	buffer_gl0_inv
.LBB52_196:                             ;   in Loop: Header=BB52_15 Depth=1
	v_and_b32_e32 v2, s15, v24
	v_and_b32_e32 v3, s14, v23
	s_lshl_b64 s[88:89], 2, s19
	v_or_b32_e32 v26, s13, v26
	v_or_b32_e32 v25, s12, v25
	;; [unrolled: 1-line block ×4, first 2 shown]
	s_mov_b32 s86, 0
	s_mov_b32 s88, 8
.LBB52_197:                             ;   in Loop: Header=BB52_15 Depth=1
	s_or_saveexec_b32 s87, s87
	v_mov_b32_e32 v2, s88
	s_xor_b32 exec_lo, exec_lo, s87
; %bb.198:                              ;   in Loop: Header=BB52_15 Depth=1
	v_subrev_nc_u32_e32 v42, s20, v42
	v_mov_b32_e32 v2, 0
	s_or_b32 s86, s86, exec_lo
; %bb.199:                              ;   in Loop: Header=BB52_15 Depth=1
	s_or_b32 exec_lo, exec_lo, s87
	s_delay_alu instid0(VALU_DEP_2)
	v_mov_b32_e32 v41, v42
	s_and_b32 s88, s86, exec_lo
.LBB52_200:                             ;   in Loop: Header=BB52_15 Depth=1
	s_or_b32 exec_lo, exec_lo, s11
	s_mov_b32 s87, -1
                                        ; implicit-def: $sgpr11
                                        ; implicit-def: $sgpr90
                                        ; implicit-def: $sgpr89
	s_and_saveexec_b32 s86, s88
	s_cbranch_execz .LBB52_241
; %bb.201:                              ;   in Loop: Header=BB52_15 Depth=1
	v_cmp_eq_u32_e32 vcc_lo, 1, v41
	s_cmp_eq_u32 s21, 1
	s_mov_b32 s91, -1
	s_cselect_b32 s11, -1, 0
                                        ; implicit-def: $sgpr90
                                        ; implicit-def: $sgpr89
	s_delay_alu instid0(SALU_CYCLE_1) | instskip(NEXT) | instid1(SALU_CYCLE_1)
	s_and_b32 s87, s11, vcc_lo
                                        ; implicit-def: $sgpr11
	s_and_saveexec_b32 s88, s87
	s_cbranch_execz .LBB52_228
; %bb.202:                              ;   in Loop: Header=BB52_15 Depth=1
	ds_load_b32 v2, v15 offset:4096
	s_waitcnt lgkmcnt(0)
	s_barrier
	buffer_gl0_inv
	v_readfirstlane_b32 s11, v2
	s_and_saveexec_b32 s89, s6
	s_cbranch_execz .LBB52_204
; %bb.203:                              ;   in Loop: Header=BB52_15 Depth=1
	v_mov_b32_e32 v14, v15
	ds_store_b64 v32, v[14:15]
.LBB52_204:                             ;   in Loop: Header=BB52_15 Depth=1
	s_or_b32 exec_lo, exec_lo, s89
	v_or_b32_e32 v24, s13, v24
	v_or_b32_e32 v23, s12, v23
	;; [unrolled: 1-line block ×4, first 2 shown]
	s_cmp_eq_u32 s11, 0
	s_waitcnt lgkmcnt(0)
	s_barrier
	buffer_gl0_inv
	s_cbranch_scc1 .LBB52_213
; %bb.205:                              ;   in Loop: Header=BB52_15 Depth=1
	s_add_i32 s89, s11, s56
                                        ; implicit-def: $vgpr9_vgpr10
	s_delay_alu instid0(SALU_CYCLE_1) | instskip(NEXT) | instid1(SALU_CYCLE_1)
	s_mul_hi_u32 s90, s89, s63
	s_mul_i32 s90, s90, s34
	s_delay_alu instid0(SALU_CYCLE_1) | instskip(NEXT) | instid1(SALU_CYCLE_1)
	s_sub_i32 s90, s89, s90
	s_sub_i32 s91, s90, s34
	s_cmp_ge_u32 s90, s34
	s_cselect_b32 s90, s91, s90
	s_delay_alu instid0(SALU_CYCLE_1)
	s_sub_i32 s91, s90, s34
	s_cmp_ge_u32 s90, s34
	s_cselect_b32 s90, s91, s90
	s_mov_b32 s91, 0
	s_sub_i32 s90, s89, s90
	s_mov_b32 s89, exec_lo
	v_cmpx_gt_u32_e64 s90, v0
	s_cbranch_execz .LBB52_215
; %bb.206:                              ;   in Loop: Header=BB52_15 Depth=1
	v_mov_b32_e32 v14, v30
	v_mov_b32_e32 v42, v0
	s_mov_b32 s92, 0
                                        ; implicit-def: $sgpr91
	s_set_inst_prefetch_distance 0x1
	s_branch .LBB52_208
	.p2align	6
.LBB52_207:                             ;   in Loop: Header=BB52_208 Depth=2
	s_or_b32 exec_lo, exec_lo, s93
	s_waitcnt lgkmcnt(0)
	s_barrier
	buffer_gl0_inv
	ds_load_b128 v[7:10], v15 offset:3072
	v_add_nc_u32_e32 v42, s34, v42
	v_add_nc_u32_e32 v14, s67, v14
	s_waitcnt lgkmcnt(0)
	s_barrier
	buffer_gl0_inv
	v_cmp_le_u32_e32 vcc_lo, s90, v42
	v_readfirstlane_b32 s95, v8
	v_readfirstlane_b32 s94, v7
	s_delay_alu instid0(VALU_DEP_1) | instskip(SKIP_1) | instid1(SALU_CYCLE_1)
	s_cmp_lg_u64 s[94:95], 0
	s_cselect_b32 s93, -1, 0
	s_or_b32 s94, vcc_lo, s93
	s_delay_alu instid0(SALU_CYCLE_1) | instskip(NEXT) | instid1(SALU_CYCLE_1)
	s_and_b32 s94, exec_lo, s94
	s_or_b32 s92, s94, s92
	s_and_not1_b32 s91, s91, exec_lo
	s_and_b32 s93, s93, exec_lo
	s_delay_alu instid0(SALU_CYCLE_1)
	s_or_b32 s91, s91, s93
	s_and_not1_b32 exec_lo, exec_lo, s92
	s_cbranch_execz .LBB52_214
.LBB52_208:                             ;   Parent Loop BB52_15 Depth=1
                                        ; =>  This Inner Loop Header: Depth=2
	v_mov_b32_e32 v3, 0
	v_mov_b32_e32 v4, 0
	v_cmp_gt_u32_e32 vcc_lo, s11, v42
	s_and_saveexec_b32 s93, vcc_lo
	s_cbranch_execz .LBB52_210
; %bb.209:                              ;   in Loop: Header=BB52_208 Depth=2
	ds_load_b64 v[3:4], v14
.LBB52_210:                             ;   in Loop: Header=BB52_208 Depth=2
	s_or_b32 exec_lo, exec_lo, s93
	s_and_saveexec_b32 s93, vcc_lo
	s_cbranch_execz .LBB52_207
; %bb.211:                              ;   in Loop: Header=BB52_208 Depth=2
	s_waitcnt lgkmcnt(0)
	v_xor_b32_e32 v2, 0x80000000, v4
	v_and_b32_e32 v7, v3, v25
	s_delay_alu instid0(VALU_DEP_2) | instskip(NEXT) | instid1(VALU_DEP_1)
	v_and_b32_e32 v8, v2, v26
	v_cmp_eq_u64_e32 vcc_lo, v[7:8], v[23:24]
	s_and_b32 exec_lo, exec_lo, vcc_lo
	s_cbranch_execz .LBB52_207
; %bb.212:                              ;   in Loop: Header=BB52_208 Depth=2
	v_mov_b32_e32 v2, v15
	ds_store_b128 v15, v[1:4] offset:3072
	s_branch .LBB52_207
.LBB52_213:                             ;   in Loop: Header=BB52_15 Depth=1
	s_mov_b32 s11, -1
	s_mov_b32 s91, 0
                                        ; implicit-def: $sgpr89
                                        ; implicit-def: $vgpr9_vgpr10
	s_branch .LBB52_216
.LBB52_214:                             ;   in Loop: Header=BB52_15 Depth=1
	s_set_inst_prefetch_distance 0x2
	s_or_b32 exec_lo, exec_lo, s92
	s_delay_alu instid0(SALU_CYCLE_1)
	s_and_b32 s91, s91, exec_lo
.LBB52_215:                             ;   in Loop: Header=BB52_15 Depth=1
	s_or_b32 exec_lo, exec_lo, s89
	s_mov_b32 s89, -1
	s_mov_b32 s11, 0
.LBB52_216:                             ;   in Loop: Header=BB52_15 Depth=1
	s_delay_alu instid0(SALU_CYCLE_1)
	s_and_b32 vcc_lo, exec_lo, s11
	s_mov_b32 s90, s11
	s_cbranch_vccz .LBB52_227
; %bb.217:                              ;   in Loop: Header=BB52_15 Depth=1
	s_mov_b32 s91, 0
                                        ; implicit-def: $vgpr9_vgpr10
	s_and_saveexec_b32 s89, s9
	s_cbranch_execz .LBB52_226
; %bb.218:                              ;   in Loop: Header=BB52_15 Depth=1
	v_mov_b32_e32 v14, v13
	v_mov_b32_e32 v42, v0
                                        ; implicit-def: $sgpr90
	s_set_inst_prefetch_distance 0x1
	s_branch .LBB52_220
	.p2align	6
.LBB52_219:                             ;   in Loop: Header=BB52_220 Depth=2
	s_or_b32 exec_lo, exec_lo, s11
	s_waitcnt vmcnt(0) lgkmcnt(0)
	s_barrier
	buffer_gl0_inv
	ds_load_b128 v[7:10], v15 offset:3072
	v_add_nc_u32_e32 v42, s34, v42
	v_add_nc_u32_e32 v14, s40, v14
	s_waitcnt lgkmcnt(0)
	s_barrier
	buffer_gl0_inv
	v_cmp_le_u32_e32 vcc_lo, s64, v42
	v_readfirstlane_b32 s93, v8
	v_readfirstlane_b32 s92, v7
	s_delay_alu instid0(VALU_DEP_1) | instskip(SKIP_1) | instid1(SALU_CYCLE_1)
	s_cmp_lg_u64 s[92:93], 0
	s_cselect_b32 s11, -1, 0
	s_or_b32 s92, vcc_lo, s11
	s_delay_alu instid0(SALU_CYCLE_1) | instskip(NEXT) | instid1(SALU_CYCLE_1)
	s_and_b32 s92, exec_lo, s92
	s_or_b32 s91, s92, s91
	s_and_not1_b32 s90, s90, exec_lo
	s_and_b32 s11, s11, exec_lo
	s_delay_alu instid0(SALU_CYCLE_1)
	s_or_b32 s90, s90, s11
	s_and_not1_b32 exec_lo, exec_lo, s91
	s_cbranch_execz .LBB52_225
.LBB52_220:                             ;   Parent Loop BB52_15 Depth=1
                                        ; =>  This Inner Loop Header: Depth=2
	v_mov_b32_e32 v3, 0
	v_mov_b32_e32 v4, 0
	v_cmp_gt_u32_e32 vcc_lo, s36, v42
	s_and_saveexec_b32 s92, vcc_lo
	s_cbranch_execz .LBB52_222
; %bb.221:                              ;   in Loop: Header=BB52_220 Depth=2
	v_lshlrev_b64 v[2:3], 3, v[14:15]
	s_delay_alu instid0(VALU_DEP_1) | instskip(NEXT) | instid1(VALU_DEP_1)
	v_add_co_u32 v2, s11, s31, v2
	v_add_co_ci_u32_e64 v3, s11, s33, v3, s11
	global_load_b64 v[3:4], v[2:3], off
.LBB52_222:                             ;   in Loop: Header=BB52_220 Depth=2
	s_or_b32 exec_lo, exec_lo, s92
	s_and_saveexec_b32 s11, vcc_lo
	s_cbranch_execz .LBB52_219
; %bb.223:                              ;   in Loop: Header=BB52_220 Depth=2
	s_waitcnt vmcnt(0)
	v_xor_b32_e32 v2, 0x80000000, v4
	v_and_b32_e32 v7, v3, v25
	s_delay_alu instid0(VALU_DEP_2) | instskip(NEXT) | instid1(VALU_DEP_1)
	v_and_b32_e32 v8, v2, v26
	v_cmp_eq_u64_e32 vcc_lo, v[7:8], v[23:24]
	s_and_b32 exec_lo, exec_lo, vcc_lo
	s_cbranch_execz .LBB52_219
; %bb.224:                              ;   in Loop: Header=BB52_220 Depth=2
	v_mov_b32_e32 v2, v15
	ds_store_b128 v15, v[1:4] offset:3072
	s_branch .LBB52_219
.LBB52_225:                             ;   in Loop: Header=BB52_15 Depth=1
	s_set_inst_prefetch_distance 0x2
	s_or_b32 exec_lo, exec_lo, s91
	s_delay_alu instid0(SALU_CYCLE_1)
	s_and_b32 s91, s90, exec_lo
.LBB52_226:                             ;   in Loop: Header=BB52_15 Depth=1
	s_or_b32 exec_lo, exec_lo, s89
	s_mov_b32 s90, -1
	s_mov_b32 s11, 0
	s_mov_b32 s89, 0
.LBB52_227:                             ;   in Loop: Header=BB52_15 Depth=1
	s_or_not1_b32 s91, s91, exec_lo
.LBB52_228:                             ;   in Loop: Header=BB52_15 Depth=1
	s_or_b32 exec_lo, exec_lo, s88
	s_mov_b32 s92, 0
                                        ; implicit-def: $vgpr2
                                        ; implicit-def: $vgpr3
	s_and_saveexec_b32 s88, s91
	s_cbranch_execz .LBB52_240
; %bb.229:                              ;   in Loop: Header=BB52_15 Depth=1
	v_dual_mov_b32 v2, 1 :: v_dual_mov_b32 v3, 1
	s_xor_b32 s91, s87, -1
	s_delay_alu instid0(SALU_CYCLE_1)
	s_and_saveexec_b32 s87, s91
	s_cbranch_execz .LBB52_239
; %bb.230:                              ;   in Loop: Header=BB52_15 Depth=1
	s_mov_b32 s91, exec_lo
                                        ; implicit-def: $sgpr92
	v_cmpx_ge_u32_e64 s21, v41
	s_xor_b32 s91, exec_lo, s91
	s_cbranch_execz .LBB52_236
; %bb.231:                              ;   in Loop: Header=BB52_15 Depth=1
	ds_load_b32 v2, v15 offset:4096
	s_waitcnt lgkmcnt(0)
	v_cmp_ne_u32_e32 vcc_lo, 0, v2
	s_cbranch_vccnz .LBB52_235
; %bb.232:                              ;   in Loop: Header=BB52_15 Depth=1
	s_and_saveexec_b32 s92, s5
	s_cbranch_execz .LBB52_234
; %bb.233:                              ;   in Loop: Header=BB52_15 Depth=1
	v_mov_b32_e32 v2, s21
	ds_store_b32 v15, v2 offset:4100
.LBB52_234:                             ;   in Loop: Header=BB52_15 Depth=1
	s_or_b32 exec_lo, exec_lo, s92
	s_waitcnt lgkmcnt(0)
	s_barrier
	buffer_gl0_inv
.LBB52_235:                             ;   in Loop: Header=BB52_15 Depth=1
	v_or_b32_e32 v24, s13, v24
	v_or_b32_e32 v23, s12, v23
	;; [unrolled: 1-line block ×4, first 2 shown]
	s_mov_b32 s92, 8
.LBB52_236:                             ;   in Loop: Header=BB52_15 Depth=1
	s_or_saveexec_b32 s91, s91
	v_mov_b32_e32 v2, s92
	s_xor_b32 exec_lo, exec_lo, s91
; %bb.237:                              ;   in Loop: Header=BB52_15 Depth=1
	v_subrev_nc_u32_e32 v41, s21, v41
	v_mov_b32_e32 v2, 8
; %bb.238:                              ;   in Loop: Header=BB52_15 Depth=1
	s_or_b32 exec_lo, exec_lo, s91
	s_delay_alu instid0(VALU_DEP_2)
	v_mov_b32_e32 v3, v41
.LBB52_239:                             ;   in Loop: Header=BB52_15 Depth=1
	s_or_b32 exec_lo, exec_lo, s87
	s_delay_alu instid0(SALU_CYCLE_1)
	s_mov_b32 s92, exec_lo
.LBB52_240:                             ;   in Loop: Header=BB52_15 Depth=1
	s_or_b32 exec_lo, exec_lo, s88
	s_delay_alu instid0(VALU_DEP_1)
	v_mov_b32_e32 v41, v3
	s_or_not1_b32 s87, s92, exec_lo
.LBB52_241:                             ;   in Loop: Header=BB52_15 Depth=1
	s_or_b32 exec_lo, exec_lo, s86
	s_delay_alu instid0(SALU_CYCLE_1)
	s_and_not1_b32 s82, s82, exec_lo
	s_and_b32 s11, s11, exec_lo
	v_mov_b32_e32 v42, v41
	s_or_b32 s82, s82, s11
	s_and_not1_b32 s11, s84, exec_lo
	s_and_b32 s84, s90, exec_lo
	s_and_not1_b32 s83, s83, exec_lo
	s_and_b32 s86, s89, exec_lo
	s_or_b32 s84, s11, s84
	s_or_b32 s83, s83, s86
	s_and_b32 s87, s87, exec_lo
.LBB52_242:                             ;   in Loop: Header=BB52_15 Depth=1
	s_or_b32 exec_lo, exec_lo, s85
	s_delay_alu instid0(SALU_CYCLE_1)
	s_and_b32 s85, s82, exec_lo
	s_and_b32 s84, s84, exec_lo
	;; [unrolled: 1-line block ×3, first 2 shown]
	s_or_not1_b32 s11, s87, exec_lo
.LBB52_243:                             ;   in Loop: Header=BB52_15 Depth=1
	s_or_b32 exec_lo, exec_lo, s81
	s_delay_alu instid0(SALU_CYCLE_1)
	s_and_not1_b32 s27, s27, exec_lo
	s_and_b32 s81, s85, exec_lo
	v_mov_b32_e32 v41, v42
	s_or_b32 s27, s27, s81
	s_and_not1_b32 s29, s29, exec_lo
	s_and_b32 s81, s84, exec_lo
	s_and_not1_b32 s28, s28, exec_lo
	s_and_b32 s82, s82, exec_lo
	s_or_b32 s29, s29, s81
	s_or_b32 s28, s28, s82
	s_and_b32 s82, s11, exec_lo
.LBB52_244:                             ;   in Loop: Header=BB52_15 Depth=1
	s_or_b32 exec_lo, exec_lo, s80
	s_delay_alu instid0(SALU_CYCLE_1)
	s_and_b32 s80, s27, exec_lo
	s_and_b32 s29, s29, exec_lo
	;; [unrolled: 1-line block ×3, first 2 shown]
	s_or_not1_b32 s11, s82, exec_lo
.LBB52_245:                             ;   in Loop: Header=BB52_15 Depth=1
	s_or_b32 exec_lo, exec_lo, s22
	s_mov_b32 s22, 0
	s_mov_b32 s28, 0
	s_and_saveexec_b32 s81, s11
	s_delay_alu instid0(SALU_CYCLE_1)
	s_xor_b32 s81, exec_lo, s81
; %bb.246:                              ;   in Loop: Header=BB52_15 Depth=1
	v_cmp_ne_u32_e32 vcc_lo, 8, v2
	v_cmp_eq_u32_e64 s11, 8, v2
	s_and_not1_b32 s80, s80, exec_lo
	s_and_not1_b32 s29, s29, exec_lo
	;; [unrolled: 1-line block ×3, first 2 shown]
	s_and_b32 s28, vcc_lo, exec_lo
	s_and_b32 s22, s11, exec_lo
; %bb.247:                              ;   in Loop: Header=BB52_15 Depth=1
	s_or_b32 exec_lo, exec_lo, s81
	s_delay_alu instid0(SALU_CYCLE_1)
	s_and_not1_b32 s11, s17, exec_lo
	s_and_b32 s17, s80, exec_lo
	s_and_not1_b32 s23, s23, exec_lo
	s_or_b32 s17, s11, s17
	s_and_not1_b32 s11, s24, exec_lo
	s_and_b32 s24, s29, exec_lo
	s_and_b32 s27, s27, exec_lo
	s_or_b32 s24, s11, s24
	s_or_b32 s23, s23, s27
	s_and_b32 s11, s28, exec_lo
	s_and_b32 s22, s22, exec_lo
.LBB52_248:                             ;   in Loop: Header=BB52_15 Depth=1
	s_or_b32 exec_lo, exec_lo, s26
	s_delay_alu instid0(SALU_CYCLE_1)
	s_and_b32 vcc_lo, exec_lo, s25
	s_cbranch_vccz .LBB52_95
.LBB52_249:                             ;   in Loop: Header=BB52_15 Depth=1
	s_delay_alu instid0(VALU_DEP_1) | instskip(SKIP_1) | instid1(SALU_CYCLE_1)
	s_cmp_eq_u32 s21, 1
                                        ; implicit-def: $sgpr25
                                        ; implicit-def: $sgpr26
	s_cselect_b32 s17, -1, 0
	s_and_b32 s24, s17, s10
	s_mov_b32 s10, -1
                                        ; implicit-def: $sgpr17
	s_and_saveexec_b32 s23, s24
	s_cbranch_execz .LBB52_275
; %bb.250:                              ;   in Loop: Header=BB52_15 Depth=1
	ds_load_b32 v2, v15 offset:4096
	s_waitcnt lgkmcnt(0)
	s_barrier
	buffer_gl0_inv
	v_readfirstlane_b32 s10, v2
	s_and_saveexec_b32 s17, s6
	s_cbranch_execz .LBB52_252
; %bb.251:                              ;   in Loop: Header=BB52_15 Depth=1
	v_mov_b32_e32 v14, v15
	ds_store_b64 v32, v[14:15]
.LBB52_252:                             ;   in Loop: Header=BB52_15 Depth=1
	s_or_b32 exec_lo, exec_lo, s17
	v_or_b32_e32 v22, s13, v22
	v_or_b32_e32 v21, s12, v21
	;; [unrolled: 1-line block ×4, first 2 shown]
	s_cmp_eq_u32 s10, 0
	s_waitcnt lgkmcnt(0)
	s_barrier
	buffer_gl0_inv
	s_cbranch_scc1 .LBB52_261
; %bb.253:                              ;   in Loop: Header=BB52_15 Depth=1
	s_add_i32 s17, s10, s56
	s_mov_b32 s27, 0
	s_mul_hi_u32 s25, s17, s63
                                        ; implicit-def: $vgpr5_vgpr6
	s_delay_alu instid0(SALU_CYCLE_1) | instskip(NEXT) | instid1(SALU_CYCLE_1)
	s_mul_i32 s25, s25, s34
	s_sub_i32 s25, s17, s25
	s_delay_alu instid0(SALU_CYCLE_1) | instskip(SKIP_2) | instid1(SALU_CYCLE_1)
	s_sub_i32 s26, s25, s34
	s_cmp_ge_u32 s25, s34
	s_cselect_b32 s25, s26, s25
	s_sub_i32 s26, s25, s34
	s_cmp_ge_u32 s25, s34
	s_cselect_b32 s25, s26, s25
	s_delay_alu instid0(SALU_CYCLE_1)
	s_sub_i32 s25, s17, s25
	s_mov_b32 s17, exec_lo
	v_cmpx_gt_u32_e64 s25, v0
	s_cbranch_execz .LBB52_263
; %bb.254:                              ;   in Loop: Header=BB52_15 Depth=1
	v_dual_mov_b32 v7, v30 :: v_dual_mov_b32 v8, v0
                                        ; implicit-def: $sgpr26
	s_set_inst_prefetch_distance 0x1
	s_branch .LBB52_256
	.p2align	6
.LBB52_255:                             ;   in Loop: Header=BB52_256 Depth=2
	s_or_b32 exec_lo, exec_lo, s28
	s_waitcnt lgkmcnt(0)
	s_barrier
	buffer_gl0_inv
	ds_load_b128 v[3:6], v15 offset:3072
	v_add_nc_u32_e32 v8, s34, v8
	v_add_nc_u32_e32 v7, s67, v7
	s_waitcnt lgkmcnt(0)
	s_barrier
	buffer_gl0_inv
	v_cmp_le_u32_e32 vcc_lo, s25, v8
	v_readfirstlane_b32 s29, v4
	v_readfirstlane_b32 s28, v3
	s_delay_alu instid0(VALU_DEP_1) | instskip(SKIP_1) | instid1(SALU_CYCLE_1)
	s_cmp_lg_u64 s[28:29], 0
	s_cselect_b32 s28, -1, 0
	s_or_b32 s29, vcc_lo, s28
	s_delay_alu instid0(SALU_CYCLE_1) | instskip(NEXT) | instid1(SALU_CYCLE_1)
	s_and_b32 s29, exec_lo, s29
	s_or_b32 s27, s29, s27
	s_and_not1_b32 s26, s26, exec_lo
	s_and_b32 s28, s28, exec_lo
	s_delay_alu instid0(SALU_CYCLE_1)
	s_or_b32 s26, s26, s28
	s_and_not1_b32 exec_lo, exec_lo, s27
	s_cbranch_execz .LBB52_262
.LBB52_256:                             ;   Parent Loop BB52_15 Depth=1
                                        ; =>  This Inner Loop Header: Depth=2
	v_mov_b32_e32 v3, 0
	v_mov_b32_e32 v4, 0
	v_cmp_gt_u32_e32 vcc_lo, s10, v8
	s_and_saveexec_b32 s28, vcc_lo
	s_cbranch_execz .LBB52_258
; %bb.257:                              ;   in Loop: Header=BB52_256 Depth=2
	ds_load_b64 v[3:4], v7
.LBB52_258:                             ;   in Loop: Header=BB52_256 Depth=2
	s_or_b32 exec_lo, exec_lo, s28
	s_and_saveexec_b32 s28, vcc_lo
	s_cbranch_execz .LBB52_255
; %bb.259:                              ;   in Loop: Header=BB52_256 Depth=2
	s_waitcnt lgkmcnt(0)
	v_xor_b32_e32 v2, 0x80000000, v4
	v_and_b32_e32 v5, v3, v19
	s_delay_alu instid0(VALU_DEP_2) | instskip(NEXT) | instid1(VALU_DEP_1)
	v_and_b32_e32 v6, v2, v20
	v_cmp_eq_u64_e32 vcc_lo, v[5:6], v[21:22]
	s_and_b32 exec_lo, exec_lo, vcc_lo
	s_cbranch_execz .LBB52_255
; %bb.260:                              ;   in Loop: Header=BB52_256 Depth=2
	v_mov_b32_e32 v2, v15
	ds_store_b128 v15, v[1:4] offset:3072
	s_branch .LBB52_255
.LBB52_261:                             ;   in Loop: Header=BB52_15 Depth=1
	s_mov_b32 s25, -1
	s_mov_b32 s27, 0
                                        ; implicit-def: $sgpr26
                                        ; implicit-def: $vgpr5_vgpr6
	s_mov_b32 s17, s25
	s_cbranch_execnz .LBB52_264
	s_branch .LBB52_274
.LBB52_262:                             ;   in Loop: Header=BB52_15 Depth=1
	s_set_inst_prefetch_distance 0x2
	s_or_b32 exec_lo, exec_lo, s27
	s_delay_alu instid0(SALU_CYCLE_1)
	s_and_b32 s27, s26, exec_lo
.LBB52_263:                             ;   in Loop: Header=BB52_15 Depth=1
	s_or_b32 exec_lo, exec_lo, s17
	s_mov_b32 s25, 0
	s_mov_b32 s26, -1
	s_mov_b32 s17, s25
	s_branch .LBB52_274
.LBB52_264:                             ;   in Loop: Header=BB52_15 Depth=1
	s_mov_b32 s27, 0
                                        ; implicit-def: $vgpr5_vgpr6
	s_and_saveexec_b32 s17, s9
	s_cbranch_execz .LBB52_273
; %bb.265:                              ;   in Loop: Header=BB52_15 Depth=1
	v_dual_mov_b32 v14, v13 :: v_dual_mov_b32 v7, v0
	s_mov_b32 s26, 0
                                        ; implicit-def: $sgpr25
	s_set_inst_prefetch_distance 0x1
	s_branch .LBB52_267
	.p2align	6
.LBB52_266:                             ;   in Loop: Header=BB52_267 Depth=2
	s_or_b32 exec_lo, exec_lo, s10
	s_waitcnt vmcnt(0) lgkmcnt(0)
	s_barrier
	buffer_gl0_inv
	ds_load_b128 v[3:6], v15 offset:3072
	v_add_nc_u32_e32 v7, s34, v7
	v_add_nc_u32_e32 v14, s40, v14
	s_waitcnt lgkmcnt(0)
	s_barrier
	buffer_gl0_inv
	v_cmp_le_u32_e32 vcc_lo, s64, v7
	v_readfirstlane_b32 s29, v4
	v_readfirstlane_b32 s28, v3
	s_delay_alu instid0(VALU_DEP_1) | instskip(SKIP_1) | instid1(SALU_CYCLE_1)
	s_cmp_lg_u64 s[28:29], 0
	s_cselect_b32 s10, -1, 0
	s_or_b32 s27, vcc_lo, s10
	s_delay_alu instid0(SALU_CYCLE_1) | instskip(NEXT) | instid1(SALU_CYCLE_1)
	s_and_b32 s27, exec_lo, s27
	s_or_b32 s26, s27, s26
	s_and_not1_b32 s25, s25, exec_lo
	s_and_b32 s10, s10, exec_lo
	s_delay_alu instid0(SALU_CYCLE_1)
	s_or_b32 s25, s25, s10
	s_and_not1_b32 exec_lo, exec_lo, s26
	s_cbranch_execz .LBB52_272
.LBB52_267:                             ;   Parent Loop BB52_15 Depth=1
                                        ; =>  This Inner Loop Header: Depth=2
	v_mov_b32_e32 v3, 0
	v_mov_b32_e32 v4, 0
	v_cmp_gt_u32_e32 vcc_lo, s36, v7
	s_and_saveexec_b32 s27, vcc_lo
	s_cbranch_execz .LBB52_269
; %bb.268:                              ;   in Loop: Header=BB52_267 Depth=2
	v_lshlrev_b64 v[2:3], 3, v[14:15]
	s_delay_alu instid0(VALU_DEP_1) | instskip(NEXT) | instid1(VALU_DEP_1)
	v_add_co_u32 v2, s10, s31, v2
	v_add_co_ci_u32_e64 v3, s10, s33, v3, s10
	global_load_b64 v[3:4], v[2:3], off
.LBB52_269:                             ;   in Loop: Header=BB52_267 Depth=2
	s_or_b32 exec_lo, exec_lo, s27
	s_and_saveexec_b32 s10, vcc_lo
	s_cbranch_execz .LBB52_266
; %bb.270:                              ;   in Loop: Header=BB52_267 Depth=2
	s_waitcnt vmcnt(0)
	v_xor_b32_e32 v2, 0x80000000, v4
	v_and_b32_e32 v5, v3, v19
	s_delay_alu instid0(VALU_DEP_2) | instskip(NEXT) | instid1(VALU_DEP_1)
	v_and_b32_e32 v6, v2, v20
	v_cmp_eq_u64_e32 vcc_lo, v[5:6], v[21:22]
	s_and_b32 exec_lo, exec_lo, vcc_lo
	s_cbranch_execz .LBB52_266
; %bb.271:                              ;   in Loop: Header=BB52_267 Depth=2
	v_mov_b32_e32 v2, v15
	ds_store_b128 v15, v[1:4] offset:3072
	s_branch .LBB52_266
.LBB52_272:                             ;   in Loop: Header=BB52_15 Depth=1
	s_set_inst_prefetch_distance 0x2
	s_or_b32 exec_lo, exec_lo, s26
	s_delay_alu instid0(SALU_CYCLE_1)
	s_and_b32 s27, s25, exec_lo
.LBB52_273:                             ;   in Loop: Header=BB52_15 Depth=1
	s_or_b32 exec_lo, exec_lo, s17
	s_mov_b32 s26, 0
	s_mov_b32 s25, -1
	s_mov_b32 s17, 0
.LBB52_274:                             ;   in Loop: Header=BB52_15 Depth=1
	s_or_not1_b32 s10, s27, exec_lo
.LBB52_275:                             ;   in Loop: Header=BB52_15 Depth=1
	s_or_b32 exec_lo, exec_lo, s23
                                        ; implicit-def: $vgpr2
                                        ; implicit-def: $vgpr41
                                        ; implicit-def: $vgpr23_vgpr24
                                        ; implicit-def: $vgpr25_vgpr26
                                        ; implicit-def: $vgpr9_vgpr10
	s_and_saveexec_b32 s23, s10
	s_cbranch_execz .LBB52_410
; %bb.276:                              ;   in Loop: Header=BB52_15 Depth=1
	v_dual_mov_b32 v41, 1 :: v_dual_mov_b32 v2, 1
	s_xor_b32 s24, s24, -1
	s_mov_b32 s80, 0
	s_and_saveexec_b32 s10, s24
	s_cbranch_execz .LBB52_286
; %bb.277:                              ;   in Loop: Header=BB52_15 Depth=1
	s_mov_b32 s27, exec_lo
                                        ; implicit-def: $sgpr28
                                        ; implicit-def: $sgpr24
	v_cmpx_ge_u32_e64 s21, v40
	s_xor_b32 s27, exec_lo, s27
	s_cbranch_execz .LBB52_283
; %bb.278:                              ;   in Loop: Header=BB52_15 Depth=1
	ds_load_b32 v2, v15 offset:4096
	s_waitcnt lgkmcnt(0)
	v_cmp_ne_u32_e32 vcc_lo, 0, v2
	s_cbranch_vccnz .LBB52_282
; %bb.279:                              ;   in Loop: Header=BB52_15 Depth=1
	s_and_saveexec_b32 s24, s5
	s_cbranch_execz .LBB52_281
; %bb.280:                              ;   in Loop: Header=BB52_15 Depth=1
	v_mov_b32_e32 v2, s21
	ds_store_b32 v15, v2 offset:4100
.LBB52_281:                             ;   in Loop: Header=BB52_15 Depth=1
	s_or_b32 exec_lo, exec_lo, s24
	s_waitcnt lgkmcnt(0)
	s_barrier
	buffer_gl0_inv
.LBB52_282:                             ;   in Loop: Header=BB52_15 Depth=1
	v_or_b32_e32 v22, s13, v22
	v_or_b32_e32 v21, s12, v21
	v_or_b32_e32 v20, s13, v20
	v_or_b32_e32 v19, s12, v19
	s_mov_b32 s24, 0
	s_mov_b32 s28, 5
.LBB52_283:                             ;   in Loop: Header=BB52_15 Depth=1
	s_or_saveexec_b32 s27, s27
	v_mov_b32_e32 v2, s28
	s_xor_b32 exec_lo, exec_lo, s27
; %bb.284:                              ;   in Loop: Header=BB52_15 Depth=1
	v_subrev_nc_u32_e32 v40, s21, v40
	v_mov_b32_e32 v2, 0
	s_or_b32 s24, s24, exec_lo
; %bb.285:                              ;   in Loop: Header=BB52_15 Depth=1
	s_or_b32 exec_lo, exec_lo, s27
	s_delay_alu instid0(VALU_DEP_2)
	v_mov_b32_e32 v41, v40
	s_and_b32 s80, s24, exec_lo
.LBB52_286:                             ;   in Loop: Header=BB52_15 Depth=1
	s_or_b32 exec_lo, exec_lo, s10
	s_mov_b32 s28, -1
                                        ; implicit-def: $sgpr24
                                        ; implicit-def: $sgpr27
                                        ; implicit-def: $sgpr29
	s_and_saveexec_b32 s10, s80
	s_delay_alu instid0(SALU_CYCLE_1)
	s_xor_b32 s21, exec_lo, s10
	s_cbranch_execz .LBB52_407
; %bb.287:                              ;   in Loop: Header=BB52_15 Depth=1
	v_cmp_eq_u32_e32 vcc_lo, 1, v41
	s_cmp_eq_u32 s20, 1
                                        ; implicit-def: $sgpr24
                                        ; implicit-def: $sgpr27
                                        ; implicit-def: $sgpr28
	s_cselect_b32 s10, -1, 0
	s_delay_alu instid0(SALU_CYCLE_1)
	s_and_b32 s80, s10, vcc_lo
	s_mov_b32 s10, -1
	s_and_saveexec_b32 s29, s80
	s_cbranch_execz .LBB52_313
; %bb.288:                              ;   in Loop: Header=BB52_15 Depth=1
	ds_load_b32 v2, v15 offset:4096
	s_waitcnt lgkmcnt(0)
	s_barrier
	buffer_gl0_inv
	v_readfirstlane_b32 s10, v2
	s_and_saveexec_b32 s24, s6
	s_cbranch_execz .LBB52_290
; %bb.289:                              ;   in Loop: Header=BB52_15 Depth=1
	v_mov_b32_e32 v14, v15
	ds_store_b64 v32, v[14:15]
.LBB52_290:                             ;   in Loop: Header=BB52_15 Depth=1
	s_or_b32 exec_lo, exec_lo, s24
	v_and_b32_e32 v2, s15, v22
	v_and_b32_e32 v3, s14, v21
	s_lshl_b64 s[82:83], 2, s19
	v_or_b32_e32 v20, s13, v20
	v_or_b32_e32 v19, s12, v19
	;; [unrolled: 1-line block ×4, first 2 shown]
	s_cmp_eq_u32 s10, 0
	s_waitcnt lgkmcnt(0)
	s_barrier
	buffer_gl0_inv
	s_cbranch_scc1 .LBB52_299
; %bb.291:                              ;   in Loop: Header=BB52_15 Depth=1
	s_add_i32 s24, s10, s56
	s_mov_b32 s81, 0
	s_mul_hi_u32 s27, s24, s63
                                        ; implicit-def: $vgpr5_vgpr6
	s_delay_alu instid0(SALU_CYCLE_1) | instskip(NEXT) | instid1(SALU_CYCLE_1)
	s_mul_i32 s27, s27, s34
	s_sub_i32 s27, s24, s27
	s_delay_alu instid0(SALU_CYCLE_1) | instskip(SKIP_2) | instid1(SALU_CYCLE_1)
	s_sub_i32 s28, s27, s34
	s_cmp_ge_u32 s27, s34
	s_cselect_b32 s27, s28, s27
	s_sub_i32 s28, s27, s34
	s_cmp_ge_u32 s27, s34
	s_cselect_b32 s27, s28, s27
	s_delay_alu instid0(SALU_CYCLE_1)
	s_sub_i32 s27, s24, s27
	s_mov_b32 s24, exec_lo
	v_cmpx_gt_u32_e64 s27, v0
	s_cbranch_execz .LBB52_301
; %bb.292:                              ;   in Loop: Header=BB52_15 Depth=1
	v_dual_mov_b32 v7, v30 :: v_dual_mov_b32 v8, v0
                                        ; implicit-def: $sgpr28
	s_set_inst_prefetch_distance 0x1
	s_branch .LBB52_294
	.p2align	6
.LBB52_293:                             ;   in Loop: Header=BB52_294 Depth=2
	s_or_b32 exec_lo, exec_lo, s82
	s_waitcnt lgkmcnt(0)
	s_barrier
	buffer_gl0_inv
	ds_load_b128 v[3:6], v15 offset:3072
	v_add_nc_u32_e32 v8, s34, v8
	v_add_nc_u32_e32 v7, s67, v7
	s_waitcnt lgkmcnt(0)
	s_barrier
	buffer_gl0_inv
	v_cmp_le_u32_e32 vcc_lo, s27, v8
	v_readfirstlane_b32 s83, v4
	v_readfirstlane_b32 s82, v3
	s_delay_alu instid0(VALU_DEP_1) | instskip(SKIP_1) | instid1(SALU_CYCLE_1)
	s_cmp_lg_u64 s[82:83], 0
	s_cselect_b32 s82, -1, 0
	s_or_b32 s83, vcc_lo, s82
	s_delay_alu instid0(SALU_CYCLE_1) | instskip(NEXT) | instid1(SALU_CYCLE_1)
	s_and_b32 s83, exec_lo, s83
	s_or_b32 s81, s83, s81
	s_and_not1_b32 s28, s28, exec_lo
	s_and_b32 s82, s82, exec_lo
	s_delay_alu instid0(SALU_CYCLE_1)
	s_or_b32 s28, s28, s82
	s_and_not1_b32 exec_lo, exec_lo, s81
	s_cbranch_execz .LBB52_300
.LBB52_294:                             ;   Parent Loop BB52_15 Depth=1
                                        ; =>  This Inner Loop Header: Depth=2
	v_mov_b32_e32 v3, 0
	v_mov_b32_e32 v4, 0
	v_cmp_gt_u32_e32 vcc_lo, s10, v8
	s_and_saveexec_b32 s82, vcc_lo
	s_cbranch_execz .LBB52_296
; %bb.295:                              ;   in Loop: Header=BB52_294 Depth=2
	ds_load_b64 v[3:4], v7
.LBB52_296:                             ;   in Loop: Header=BB52_294 Depth=2
	s_or_b32 exec_lo, exec_lo, s82
	s_and_saveexec_b32 s82, vcc_lo
	s_cbranch_execz .LBB52_293
; %bb.297:                              ;   in Loop: Header=BB52_294 Depth=2
	s_waitcnt lgkmcnt(0)
	v_xor_b32_e32 v2, 0x80000000, v4
	v_and_b32_e32 v5, v3, v19
	s_delay_alu instid0(VALU_DEP_2) | instskip(NEXT) | instid1(VALU_DEP_1)
	v_and_b32_e32 v6, v2, v20
	v_cmp_eq_u64_e32 vcc_lo, v[5:6], v[21:22]
	s_and_b32 exec_lo, exec_lo, vcc_lo
	s_cbranch_execz .LBB52_293
; %bb.298:                              ;   in Loop: Header=BB52_294 Depth=2
	v_mov_b32_e32 v2, v15
	ds_store_b128 v15, v[1:4] offset:3072
	s_branch .LBB52_293
.LBB52_299:                             ;   in Loop: Header=BB52_15 Depth=1
	s_mov_b32 s24, -1
	s_mov_b32 s81, 0
                                        ; implicit-def: $sgpr27
                                        ; implicit-def: $vgpr5_vgpr6
	s_mov_b32 s28, s24
	s_cbranch_execnz .LBB52_302
	s_branch .LBB52_312
.LBB52_300:                             ;   in Loop: Header=BB52_15 Depth=1
	s_set_inst_prefetch_distance 0x2
	s_or_b32 exec_lo, exec_lo, s81
	s_delay_alu instid0(SALU_CYCLE_1)
	s_and_b32 s81, s28, exec_lo
.LBB52_301:                             ;   in Loop: Header=BB52_15 Depth=1
	s_or_b32 exec_lo, exec_lo, s24
	s_mov_b32 s24, 0
	s_mov_b32 s27, -1
	s_mov_b32 s28, s24
	s_branch .LBB52_312
.LBB52_302:                             ;   in Loop: Header=BB52_15 Depth=1
	s_mov_b32 s81, 0
                                        ; implicit-def: $vgpr5_vgpr6
	s_and_saveexec_b32 s24, s9
	s_cbranch_execz .LBB52_311
; %bb.303:                              ;   in Loop: Header=BB52_15 Depth=1
	v_dual_mov_b32 v14, v13 :: v_dual_mov_b32 v7, v0
	s_mov_b32 s28, 0
                                        ; implicit-def: $sgpr27
	s_set_inst_prefetch_distance 0x1
	s_branch .LBB52_305
	.p2align	6
.LBB52_304:                             ;   in Loop: Header=BB52_305 Depth=2
	s_or_b32 exec_lo, exec_lo, s10
	s_waitcnt vmcnt(0) lgkmcnt(0)
	s_barrier
	buffer_gl0_inv
	ds_load_b128 v[3:6], v15 offset:3072
	v_add_nc_u32_e32 v7, s34, v7
	v_add_nc_u32_e32 v14, s40, v14
	s_waitcnt lgkmcnt(0)
	s_barrier
	buffer_gl0_inv
	v_cmp_le_u32_e32 vcc_lo, s64, v7
	v_readfirstlane_b32 s83, v4
	v_readfirstlane_b32 s82, v3
	s_delay_alu instid0(VALU_DEP_1) | instskip(SKIP_1) | instid1(SALU_CYCLE_1)
	s_cmp_lg_u64 s[82:83], 0
	s_cselect_b32 s10, -1, 0
	s_or_b32 s81, vcc_lo, s10
	s_delay_alu instid0(SALU_CYCLE_1) | instskip(NEXT) | instid1(SALU_CYCLE_1)
	s_and_b32 s81, exec_lo, s81
	s_or_b32 s28, s81, s28
	s_and_not1_b32 s27, s27, exec_lo
	s_and_b32 s10, s10, exec_lo
	s_delay_alu instid0(SALU_CYCLE_1)
	s_or_b32 s27, s27, s10
	s_and_not1_b32 exec_lo, exec_lo, s28
	s_cbranch_execz .LBB52_310
.LBB52_305:                             ;   Parent Loop BB52_15 Depth=1
                                        ; =>  This Inner Loop Header: Depth=2
	v_mov_b32_e32 v3, 0
	v_mov_b32_e32 v4, 0
	v_cmp_gt_u32_e32 vcc_lo, s36, v7
	s_and_saveexec_b32 s81, vcc_lo
	s_cbranch_execz .LBB52_307
; %bb.306:                              ;   in Loop: Header=BB52_305 Depth=2
	v_lshlrev_b64 v[2:3], 3, v[14:15]
	s_delay_alu instid0(VALU_DEP_1) | instskip(NEXT) | instid1(VALU_DEP_1)
	v_add_co_u32 v2, s10, s31, v2
	v_add_co_ci_u32_e64 v3, s10, s33, v3, s10
	global_load_b64 v[3:4], v[2:3], off
.LBB52_307:                             ;   in Loop: Header=BB52_305 Depth=2
	s_or_b32 exec_lo, exec_lo, s81
	s_and_saveexec_b32 s10, vcc_lo
	s_cbranch_execz .LBB52_304
; %bb.308:                              ;   in Loop: Header=BB52_305 Depth=2
	s_waitcnt vmcnt(0)
	v_xor_b32_e32 v2, 0x80000000, v4
	v_and_b32_e32 v5, v3, v19
	s_delay_alu instid0(VALU_DEP_2) | instskip(NEXT) | instid1(VALU_DEP_1)
	v_and_b32_e32 v6, v2, v20
	v_cmp_eq_u64_e32 vcc_lo, v[5:6], v[21:22]
	s_and_b32 exec_lo, exec_lo, vcc_lo
	s_cbranch_execz .LBB52_304
; %bb.309:                              ;   in Loop: Header=BB52_305 Depth=2
	v_mov_b32_e32 v2, v15
	ds_store_b128 v15, v[1:4] offset:3072
	s_branch .LBB52_304
.LBB52_310:                             ;   in Loop: Header=BB52_15 Depth=1
	s_set_inst_prefetch_distance 0x2
	s_or_b32 exec_lo, exec_lo, s28
	s_delay_alu instid0(SALU_CYCLE_1)
	s_and_b32 s81, s27, exec_lo
.LBB52_311:                             ;   in Loop: Header=BB52_15 Depth=1
	s_or_b32 exec_lo, exec_lo, s24
	s_mov_b32 s27, 0
	s_mov_b32 s24, -1
	s_mov_b32 s28, 0
.LBB52_312:                             ;   in Loop: Header=BB52_15 Depth=1
	s_or_not1_b32 s10, s81, exec_lo
.LBB52_313:                             ;   in Loop: Header=BB52_15 Depth=1
	s_or_b32 exec_lo, exec_lo, s29
	s_mov_b32 s81, 0
                                        ; implicit-def: $vgpr2
	s_and_saveexec_b32 s29, s10
	s_cbranch_execz .LBB52_406
; %bb.314:                              ;   in Loop: Header=BB52_15 Depth=1
	v_dual_mov_b32 v7, 1 :: v_dual_mov_b32 v2, 1
	s_xor_b32 s80, s80, -1
	s_mov_b32 s82, 0
	s_and_saveexec_b32 s10, s80
	s_cbranch_execz .LBB52_324
; %bb.315:                              ;   in Loop: Header=BB52_15 Depth=1
	s_mov_b32 s81, exec_lo
                                        ; implicit-def: $sgpr82
                                        ; implicit-def: $sgpr80
	v_cmpx_ge_u32_e64 s20, v41
	s_xor_b32 s81, exec_lo, s81
	s_cbranch_execz .LBB52_321
; %bb.316:                              ;   in Loop: Header=BB52_15 Depth=1
	ds_load_b32 v2, v15 offset:4096
	s_waitcnt lgkmcnt(0)
	v_cmp_ne_u32_e32 vcc_lo, 0, v2
	s_cbranch_vccnz .LBB52_320
; %bb.317:                              ;   in Loop: Header=BB52_15 Depth=1
	s_and_saveexec_b32 s80, s5
	s_cbranch_execz .LBB52_319
; %bb.318:                              ;   in Loop: Header=BB52_15 Depth=1
	v_mov_b32_e32 v2, s20
	ds_store_b32 v15, v2 offset:4100
.LBB52_319:                             ;   in Loop: Header=BB52_15 Depth=1
	s_or_b32 exec_lo, exec_lo, s80
	s_waitcnt lgkmcnt(0)
	s_barrier
	buffer_gl0_inv
.LBB52_320:                             ;   in Loop: Header=BB52_15 Depth=1
	v_and_b32_e32 v2, s15, v22
	v_and_b32_e32 v3, s14, v21
	s_lshl_b64 s[82:83], 2, s19
	v_or_b32_e32 v20, s13, v20
	v_or_b32_e32 v19, s12, v19
	;; [unrolled: 1-line block ×4, first 2 shown]
	s_mov_b32 s80, 0
	s_mov_b32 s82, 5
.LBB52_321:                             ;   in Loop: Header=BB52_15 Depth=1
	s_or_saveexec_b32 s81, s81
	v_mov_b32_e32 v2, s82
	s_xor_b32 exec_lo, exec_lo, s81
; %bb.322:                              ;   in Loop: Header=BB52_15 Depth=1
	v_subrev_nc_u32_e32 v41, s20, v41
	v_mov_b32_e32 v2, 0
	s_or_b32 s80, s80, exec_lo
; %bb.323:                              ;   in Loop: Header=BB52_15 Depth=1
	s_or_b32 exec_lo, exec_lo, s81
	s_delay_alu instid0(VALU_DEP_2)
	v_mov_b32_e32 v7, v41
	s_and_b32 s82, s80, exec_lo
.LBB52_324:                             ;   in Loop: Header=BB52_15 Depth=1
	s_or_b32 exec_lo, exec_lo, s10
	s_mov_b32 s10, -1
                                        ; implicit-def: $sgpr80
                                        ; implicit-def: $sgpr81
                                        ; implicit-def: $sgpr83
	s_and_saveexec_b32 s20, s82
	s_cbranch_execz .LBB52_405
; %bb.325:                              ;   in Loop: Header=BB52_15 Depth=1
	v_cmp_eq_u32_e32 vcc_lo, 1, v7
	s_cmp_eq_u32 s18, 1
                                        ; implicit-def: $sgpr80
                                        ; implicit-def: $sgpr81
                                        ; implicit-def: $sgpr82
	s_cselect_b32 s10, -1, 0
	s_delay_alu instid0(SALU_CYCLE_1)
	s_and_b32 s84, s10, vcc_lo
	s_mov_b32 s10, -1
	s_and_saveexec_b32 s83, s84
	s_cbranch_execz .LBB52_351
; %bb.326:                              ;   in Loop: Header=BB52_15 Depth=1
	ds_load_b32 v2, v15 offset:4096
	s_waitcnt lgkmcnt(0)
	s_barrier
	buffer_gl0_inv
	v_readfirstlane_b32 s10, v2
	s_and_saveexec_b32 s80, s6
	s_cbranch_execz .LBB52_328
; %bb.327:                              ;   in Loop: Header=BB52_15 Depth=1
	v_mov_b32_e32 v14, v15
	ds_store_b64 v32, v[14:15]
.LBB52_328:                             ;   in Loop: Header=BB52_15 Depth=1
	s_or_b32 exec_lo, exec_lo, s80
	v_and_b32_e32 v2, s15, v22
	v_and_b32_e32 v3, s14, v21
	s_lshl_b64 s[80:81], 1, s19
	v_or_b32_e32 v20, s13, v20
	v_or_b32_e32 v19, s12, v19
	;; [unrolled: 1-line block ×4, first 2 shown]
	s_cmp_eq_u32 s10, 0
	s_waitcnt lgkmcnt(0)
	s_barrier
	buffer_gl0_inv
	s_cbranch_scc1 .LBB52_337
; %bb.329:                              ;   in Loop: Header=BB52_15 Depth=1
	s_add_i32 s80, s10, s56
	s_mov_b32 s85, 0
	s_mul_hi_u32 s81, s80, s63
                                        ; implicit-def: $vgpr5_vgpr6
	s_delay_alu instid0(SALU_CYCLE_1) | instskip(NEXT) | instid1(SALU_CYCLE_1)
	s_mul_i32 s81, s81, s34
	s_sub_i32 s81, s80, s81
	s_delay_alu instid0(SALU_CYCLE_1) | instskip(SKIP_2) | instid1(SALU_CYCLE_1)
	s_sub_i32 s82, s81, s34
	s_cmp_ge_u32 s81, s34
	s_cselect_b32 s81, s82, s81
	s_sub_i32 s82, s81, s34
	s_cmp_ge_u32 s81, s34
	s_cselect_b32 s81, s82, s81
	s_delay_alu instid0(SALU_CYCLE_1)
	s_sub_i32 s81, s80, s81
	s_mov_b32 s80, exec_lo
	v_cmpx_gt_u32_e64 s81, v0
	s_cbranch_execz .LBB52_339
; %bb.330:                              ;   in Loop: Header=BB52_15 Depth=1
	v_dual_mov_b32 v8, v30 :: v_dual_mov_b32 v9, v0
                                        ; implicit-def: $sgpr82
	s_set_inst_prefetch_distance 0x1
	s_branch .LBB52_332
	.p2align	6
.LBB52_331:                             ;   in Loop: Header=BB52_332 Depth=2
	s_or_b32 exec_lo, exec_lo, s86
	s_waitcnt lgkmcnt(0)
	s_barrier
	buffer_gl0_inv
	ds_load_b128 v[3:6], v15 offset:3072
	v_add_nc_u32_e32 v9, s34, v9
	v_add_nc_u32_e32 v8, s67, v8
	s_waitcnt lgkmcnt(0)
	s_barrier
	buffer_gl0_inv
	v_cmp_le_u32_e32 vcc_lo, s81, v9
	v_readfirstlane_b32 s87, v4
	v_readfirstlane_b32 s86, v3
	s_delay_alu instid0(VALU_DEP_1) | instskip(SKIP_1) | instid1(SALU_CYCLE_1)
	s_cmp_lg_u64 s[86:87], 0
	s_cselect_b32 s86, -1, 0
	s_or_b32 s87, vcc_lo, s86
	s_delay_alu instid0(SALU_CYCLE_1) | instskip(NEXT) | instid1(SALU_CYCLE_1)
	s_and_b32 s87, exec_lo, s87
	s_or_b32 s85, s87, s85
	s_and_not1_b32 s82, s82, exec_lo
	s_and_b32 s86, s86, exec_lo
	s_delay_alu instid0(SALU_CYCLE_1)
	s_or_b32 s82, s82, s86
	s_and_not1_b32 exec_lo, exec_lo, s85
	s_cbranch_execz .LBB52_338
.LBB52_332:                             ;   Parent Loop BB52_15 Depth=1
                                        ; =>  This Inner Loop Header: Depth=2
	v_mov_b32_e32 v3, 0
	v_mov_b32_e32 v4, 0
	v_cmp_gt_u32_e32 vcc_lo, s10, v9
	s_and_saveexec_b32 s86, vcc_lo
	s_cbranch_execz .LBB52_334
; %bb.333:                              ;   in Loop: Header=BB52_332 Depth=2
	ds_load_b64 v[3:4], v8
.LBB52_334:                             ;   in Loop: Header=BB52_332 Depth=2
	s_or_b32 exec_lo, exec_lo, s86
	s_and_saveexec_b32 s86, vcc_lo
	s_cbranch_execz .LBB52_331
; %bb.335:                              ;   in Loop: Header=BB52_332 Depth=2
	s_waitcnt lgkmcnt(0)
	v_xor_b32_e32 v2, 0x80000000, v4
	v_and_b32_e32 v5, v3, v19
	s_delay_alu instid0(VALU_DEP_2) | instskip(NEXT) | instid1(VALU_DEP_1)
	v_and_b32_e32 v6, v2, v20
	v_cmp_eq_u64_e32 vcc_lo, v[5:6], v[21:22]
	s_and_b32 exec_lo, exec_lo, vcc_lo
	s_cbranch_execz .LBB52_331
; %bb.336:                              ;   in Loop: Header=BB52_332 Depth=2
	v_mov_b32_e32 v2, v15
	ds_store_b128 v15, v[1:4] offset:3072
	s_branch .LBB52_331
.LBB52_337:                             ;   in Loop: Header=BB52_15 Depth=1
	s_mov_b32 s80, -1
	s_mov_b32 s85, 0
                                        ; implicit-def: $sgpr81
                                        ; implicit-def: $vgpr5_vgpr6
	s_mov_b32 s82, s80
	s_cbranch_execnz .LBB52_340
	s_branch .LBB52_350
.LBB52_338:                             ;   in Loop: Header=BB52_15 Depth=1
	s_set_inst_prefetch_distance 0x2
	s_or_b32 exec_lo, exec_lo, s85
	s_delay_alu instid0(SALU_CYCLE_1)
	s_and_b32 s85, s82, exec_lo
.LBB52_339:                             ;   in Loop: Header=BB52_15 Depth=1
	s_or_b32 exec_lo, exec_lo, s80
	s_mov_b32 s80, 0
	s_mov_b32 s81, -1
	s_mov_b32 s82, s80
	s_branch .LBB52_350
.LBB52_340:                             ;   in Loop: Header=BB52_15 Depth=1
	s_mov_b32 s85, 0
                                        ; implicit-def: $vgpr5_vgpr6
	s_and_saveexec_b32 s80, s9
	s_cbranch_execz .LBB52_349
; %bb.341:                              ;   in Loop: Header=BB52_15 Depth=1
	v_mov_b32_e32 v14, v13
	v_mov_b32_e32 v8, v0
	s_mov_b32 s82, 0
                                        ; implicit-def: $sgpr81
	s_set_inst_prefetch_distance 0x1
	s_branch .LBB52_343
	.p2align	6
.LBB52_342:                             ;   in Loop: Header=BB52_343 Depth=2
	s_or_b32 exec_lo, exec_lo, s10
	s_waitcnt vmcnt(0) lgkmcnt(0)
	s_barrier
	buffer_gl0_inv
	ds_load_b128 v[3:6], v15 offset:3072
	v_add_nc_u32_e32 v8, s34, v8
	v_add_nc_u32_e32 v14, s40, v14
	s_waitcnt lgkmcnt(0)
	s_barrier
	buffer_gl0_inv
	v_cmp_le_u32_e32 vcc_lo, s64, v8
	v_readfirstlane_b32 s87, v4
	v_readfirstlane_b32 s86, v3
	s_delay_alu instid0(VALU_DEP_1) | instskip(SKIP_1) | instid1(SALU_CYCLE_1)
	s_cmp_lg_u64 s[86:87], 0
	s_cselect_b32 s10, -1, 0
	s_or_b32 s85, vcc_lo, s10
	s_delay_alu instid0(SALU_CYCLE_1) | instskip(NEXT) | instid1(SALU_CYCLE_1)
	s_and_b32 s85, exec_lo, s85
	s_or_b32 s82, s85, s82
	s_and_not1_b32 s81, s81, exec_lo
	s_and_b32 s10, s10, exec_lo
	s_delay_alu instid0(SALU_CYCLE_1)
	s_or_b32 s81, s81, s10
	s_and_not1_b32 exec_lo, exec_lo, s82
	s_cbranch_execz .LBB52_348
.LBB52_343:                             ;   Parent Loop BB52_15 Depth=1
                                        ; =>  This Inner Loop Header: Depth=2
	v_mov_b32_e32 v3, 0
	v_mov_b32_e32 v4, 0
	v_cmp_gt_u32_e32 vcc_lo, s36, v8
	s_and_saveexec_b32 s85, vcc_lo
	s_cbranch_execz .LBB52_345
; %bb.344:                              ;   in Loop: Header=BB52_343 Depth=2
	v_lshlrev_b64 v[2:3], 3, v[14:15]
	s_delay_alu instid0(VALU_DEP_1) | instskip(NEXT) | instid1(VALU_DEP_1)
	v_add_co_u32 v2, s10, s31, v2
	v_add_co_ci_u32_e64 v3, s10, s33, v3, s10
	global_load_b64 v[3:4], v[2:3], off
.LBB52_345:                             ;   in Loop: Header=BB52_343 Depth=2
	s_or_b32 exec_lo, exec_lo, s85
	s_and_saveexec_b32 s10, vcc_lo
	s_cbranch_execz .LBB52_342
; %bb.346:                              ;   in Loop: Header=BB52_343 Depth=2
	s_waitcnt vmcnt(0)
	v_xor_b32_e32 v2, 0x80000000, v4
	v_and_b32_e32 v5, v3, v19
	s_delay_alu instid0(VALU_DEP_2) | instskip(NEXT) | instid1(VALU_DEP_1)
	v_and_b32_e32 v6, v2, v20
	v_cmp_eq_u64_e32 vcc_lo, v[5:6], v[21:22]
	s_and_b32 exec_lo, exec_lo, vcc_lo
	s_cbranch_execz .LBB52_342
; %bb.347:                              ;   in Loop: Header=BB52_343 Depth=2
	v_mov_b32_e32 v2, v15
	ds_store_b128 v15, v[1:4] offset:3072
	s_branch .LBB52_342
.LBB52_348:                             ;   in Loop: Header=BB52_15 Depth=1
	s_set_inst_prefetch_distance 0x2
	s_or_b32 exec_lo, exec_lo, s82
	s_delay_alu instid0(SALU_CYCLE_1)
	s_and_b32 s85, s81, exec_lo
.LBB52_349:                             ;   in Loop: Header=BB52_15 Depth=1
	s_or_b32 exec_lo, exec_lo, s80
	s_mov_b32 s81, 0
	s_mov_b32 s80, -1
	s_mov_b32 s82, 0
.LBB52_350:                             ;   in Loop: Header=BB52_15 Depth=1
	s_or_not1_b32 s10, s85, exec_lo
.LBB52_351:                             ;   in Loop: Header=BB52_15 Depth=1
	s_or_b32 exec_lo, exec_lo, s83
	s_mov_b32 s85, 0
                                        ; implicit-def: $vgpr2
	s_and_saveexec_b32 s83, s10
	s_cbranch_execz .LBB52_404
; %bb.352:                              ;   in Loop: Header=BB52_15 Depth=1
	v_mov_b32_e32 v8, 1
	v_mov_b32_e32 v2, 1
	s_xor_b32 s85, s84, -1
	s_mov_b32 s84, 0
	s_and_saveexec_b32 s10, s85
	s_cbranch_execz .LBB52_362
; %bb.353:                              ;   in Loop: Header=BB52_15 Depth=1
	s_mov_b32 s85, exec_lo
                                        ; implicit-def: $sgpr86
                                        ; implicit-def: $sgpr84
	v_cmpx_ge_u32_e64 s18, v7
	s_xor_b32 s85, exec_lo, s85
	s_cbranch_execz .LBB52_359
; %bb.354:                              ;   in Loop: Header=BB52_15 Depth=1
	ds_load_b32 v2, v15 offset:4096
	s_waitcnt lgkmcnt(0)
	v_cmp_ne_u32_e32 vcc_lo, 0, v2
	s_cbranch_vccnz .LBB52_358
; %bb.355:                              ;   in Loop: Header=BB52_15 Depth=1
	s_and_saveexec_b32 s84, s5
	s_cbranch_execz .LBB52_357
; %bb.356:                              ;   in Loop: Header=BB52_15 Depth=1
	v_mov_b32_e32 v2, s18
	ds_store_b32 v15, v2 offset:4100
.LBB52_357:                             ;   in Loop: Header=BB52_15 Depth=1
	s_or_b32 exec_lo, exec_lo, s84
	s_waitcnt lgkmcnt(0)
	s_barrier
	buffer_gl0_inv
.LBB52_358:                             ;   in Loop: Header=BB52_15 Depth=1
	v_and_b32_e32 v2, s15, v22
	v_and_b32_e32 v3, s14, v21
	s_lshl_b64 s[86:87], 1, s19
	v_or_b32_e32 v20, s13, v20
	v_or_b32_e32 v19, s12, v19
	v_or_b32_e32 v22, s87, v2
	v_or_b32_e32 v21, s86, v3
	s_mov_b32 s84, 0
	s_mov_b32 s86, 5
.LBB52_359:                             ;   in Loop: Header=BB52_15 Depth=1
	s_or_saveexec_b32 s19, s85
	v_mov_b32_e32 v2, s86
	s_xor_b32 exec_lo, exec_lo, s19
; %bb.360:                              ;   in Loop: Header=BB52_15 Depth=1
	v_subrev_nc_u32_e32 v7, s18, v7
	v_mov_b32_e32 v2, 0
	s_or_b32 s84, s84, exec_lo
; %bb.361:                              ;   in Loop: Header=BB52_15 Depth=1
	s_or_b32 exec_lo, exec_lo, s19
	s_delay_alu instid0(VALU_DEP_2)
	v_mov_b32_e32 v8, v7
	s_and_b32 s84, s84, exec_lo
.LBB52_362:                             ;   in Loop: Header=BB52_15 Depth=1
	s_or_b32 exec_lo, exec_lo, s10
	s_mov_b32 s19, -1
                                        ; implicit-def: $sgpr10
                                        ; implicit-def: $sgpr85
                                        ; implicit-def: $sgpr86
	s_and_saveexec_b32 s18, s84
	s_cbranch_execz .LBB52_403
; %bb.363:                              ;   in Loop: Header=BB52_15 Depth=1
	v_cmp_eq_u32_e32 vcc_lo, 1, v8
	s_cmp_eq_u32 s16, 1
	s_mov_b32 s87, -1
	s_cselect_b32 s10, -1, 0
                                        ; implicit-def: $sgpr85
                                        ; implicit-def: $sgpr86
	s_delay_alu instid0(SALU_CYCLE_1) | instskip(NEXT) | instid1(SALU_CYCLE_1)
	s_and_b32 s19, s10, vcc_lo
                                        ; implicit-def: $sgpr10
	s_and_saveexec_b32 s84, s19
	s_cbranch_execz .LBB52_390
; %bb.364:                              ;   in Loop: Header=BB52_15 Depth=1
	ds_load_b32 v2, v15 offset:4096
	s_waitcnt lgkmcnt(0)
	s_barrier
	buffer_gl0_inv
	v_readfirstlane_b32 s10, v2
	s_and_saveexec_b32 s85, s6
	s_cbranch_execz .LBB52_366
; %bb.365:                              ;   in Loop: Header=BB52_15 Depth=1
	v_mov_b32_e32 v14, v15
	ds_store_b64 v32, v[14:15]
.LBB52_366:                             ;   in Loop: Header=BB52_15 Depth=1
	s_or_b32 exec_lo, exec_lo, s85
	v_and_b32_e32 v22, s15, v22
	v_and_b32_e32 v21, s14, v21
	v_or_b32_e32 v20, s13, v20
	v_or_b32_e32 v19, s12, v19
	s_cmp_eq_u32 s10, 0
	s_waitcnt lgkmcnt(0)
	s_barrier
	buffer_gl0_inv
	s_cbranch_scc1 .LBB52_375
; %bb.367:                              ;   in Loop: Header=BB52_15 Depth=1
	s_add_i32 s85, s10, s56
                                        ; implicit-def: $vgpr5_vgpr6
	s_delay_alu instid0(SALU_CYCLE_1) | instskip(NEXT) | instid1(SALU_CYCLE_1)
	s_mul_hi_u32 s86, s85, s63
	s_mul_i32 s86, s86, s34
	s_delay_alu instid0(SALU_CYCLE_1) | instskip(NEXT) | instid1(SALU_CYCLE_1)
	s_sub_i32 s86, s85, s86
	s_sub_i32 s87, s86, s34
	s_cmp_ge_u32 s86, s34
	s_cselect_b32 s86, s87, s86
	s_delay_alu instid0(SALU_CYCLE_1)
	s_sub_i32 s87, s86, s34
	s_cmp_ge_u32 s86, s34
	s_cselect_b32 s86, s87, s86
	s_mov_b32 s87, 0
	s_sub_i32 s86, s85, s86
	s_mov_b32 s85, exec_lo
	v_cmpx_gt_u32_e64 s86, v0
	s_cbranch_execz .LBB52_377
; %bb.368:                              ;   in Loop: Header=BB52_15 Depth=1
	v_mov_b32_e32 v7, v30
	v_mov_b32_e32 v9, v0
	s_mov_b32 s88, 0
                                        ; implicit-def: $sgpr87
	s_set_inst_prefetch_distance 0x1
	s_branch .LBB52_370
	.p2align	6
.LBB52_369:                             ;   in Loop: Header=BB52_370 Depth=2
	s_or_b32 exec_lo, exec_lo, s89
	s_waitcnt lgkmcnt(0)
	s_barrier
	buffer_gl0_inv
	ds_load_b128 v[3:6], v15 offset:3072
	v_add_nc_u32_e32 v9, s34, v9
	v_add_nc_u32_e32 v7, s67, v7
	s_waitcnt lgkmcnt(0)
	s_barrier
	buffer_gl0_inv
	v_cmp_le_u32_e32 vcc_lo, s86, v9
	v_readfirstlane_b32 s91, v4
	v_readfirstlane_b32 s90, v3
	s_delay_alu instid0(VALU_DEP_1) | instskip(SKIP_1) | instid1(SALU_CYCLE_1)
	s_cmp_lg_u64 s[90:91], 0
	s_cselect_b32 s89, -1, 0
	s_or_b32 s90, vcc_lo, s89
	s_delay_alu instid0(SALU_CYCLE_1) | instskip(NEXT) | instid1(SALU_CYCLE_1)
	s_and_b32 s90, exec_lo, s90
	s_or_b32 s88, s90, s88
	s_and_not1_b32 s87, s87, exec_lo
	s_and_b32 s89, s89, exec_lo
	s_delay_alu instid0(SALU_CYCLE_1)
	s_or_b32 s87, s87, s89
	s_and_not1_b32 exec_lo, exec_lo, s88
	s_cbranch_execz .LBB52_376
.LBB52_370:                             ;   Parent Loop BB52_15 Depth=1
                                        ; =>  This Inner Loop Header: Depth=2
	v_mov_b32_e32 v3, 0
	v_mov_b32_e32 v4, 0
	v_cmp_gt_u32_e32 vcc_lo, s10, v9
	s_and_saveexec_b32 s89, vcc_lo
	s_cbranch_execz .LBB52_372
; %bb.371:                              ;   in Loop: Header=BB52_370 Depth=2
	ds_load_b64 v[3:4], v7
.LBB52_372:                             ;   in Loop: Header=BB52_370 Depth=2
	s_or_b32 exec_lo, exec_lo, s89
	s_and_saveexec_b32 s89, vcc_lo
	s_cbranch_execz .LBB52_369
; %bb.373:                              ;   in Loop: Header=BB52_370 Depth=2
	s_waitcnt lgkmcnt(0)
	v_xor_b32_e32 v2, 0x80000000, v4
	v_and_b32_e32 v5, v3, v19
	s_delay_alu instid0(VALU_DEP_2) | instskip(NEXT) | instid1(VALU_DEP_1)
	v_and_b32_e32 v6, v2, v20
	v_cmp_eq_u64_e32 vcc_lo, v[5:6], v[21:22]
	s_and_b32 exec_lo, exec_lo, vcc_lo
	s_cbranch_execz .LBB52_369
; %bb.374:                              ;   in Loop: Header=BB52_370 Depth=2
	v_mov_b32_e32 v2, v15
	ds_store_b128 v15, v[1:4] offset:3072
	s_branch .LBB52_369
.LBB52_375:                             ;   in Loop: Header=BB52_15 Depth=1
	s_mov_b32 s10, -1
	s_mov_b32 s87, 0
                                        ; implicit-def: $sgpr85
                                        ; implicit-def: $vgpr5_vgpr6
	s_branch .LBB52_378
.LBB52_376:                             ;   in Loop: Header=BB52_15 Depth=1
	s_set_inst_prefetch_distance 0x2
	s_or_b32 exec_lo, exec_lo, s88
	s_delay_alu instid0(SALU_CYCLE_1)
	s_and_b32 s87, s87, exec_lo
.LBB52_377:                             ;   in Loop: Header=BB52_15 Depth=1
	s_or_b32 exec_lo, exec_lo, s85
	s_mov_b32 s10, 0
	s_mov_b32 s85, -1
.LBB52_378:                             ;   in Loop: Header=BB52_15 Depth=1
	s_and_b32 vcc_lo, exec_lo, s10
	s_mov_b32 s86, s10
	s_cbranch_vccz .LBB52_389
; %bb.379:                              ;   in Loop: Header=BB52_15 Depth=1
	s_mov_b32 s87, 0
                                        ; implicit-def: $vgpr5_vgpr6
	s_and_saveexec_b32 s85, s9
	s_cbranch_execz .LBB52_388
; %bb.380:                              ;   in Loop: Header=BB52_15 Depth=1
	v_dual_mov_b32 v14, v13 :: v_dual_mov_b32 v7, v0
                                        ; implicit-def: $sgpr86
	s_set_inst_prefetch_distance 0x1
	s_branch .LBB52_382
	.p2align	6
.LBB52_381:                             ;   in Loop: Header=BB52_382 Depth=2
	s_or_b32 exec_lo, exec_lo, s10
	s_waitcnt vmcnt(0) lgkmcnt(0)
	s_barrier
	buffer_gl0_inv
	ds_load_b128 v[3:6], v15 offset:3072
	v_add_nc_u32_e32 v7, s34, v7
	v_add_nc_u32_e32 v14, s40, v14
	s_waitcnt lgkmcnt(0)
	s_barrier
	buffer_gl0_inv
	v_cmp_le_u32_e32 vcc_lo, s64, v7
	v_readfirstlane_b32 s89, v4
	v_readfirstlane_b32 s88, v3
	s_delay_alu instid0(VALU_DEP_1) | instskip(SKIP_1) | instid1(SALU_CYCLE_1)
	s_cmp_lg_u64 s[88:89], 0
	s_cselect_b32 s10, -1, 0
	s_or_b32 s88, vcc_lo, s10
	s_delay_alu instid0(SALU_CYCLE_1) | instskip(NEXT) | instid1(SALU_CYCLE_1)
	s_and_b32 s88, exec_lo, s88
	s_or_b32 s87, s88, s87
	s_and_not1_b32 s86, s86, exec_lo
	s_and_b32 s10, s10, exec_lo
	s_delay_alu instid0(SALU_CYCLE_1)
	s_or_b32 s86, s86, s10
	s_and_not1_b32 exec_lo, exec_lo, s87
	s_cbranch_execz .LBB52_387
.LBB52_382:                             ;   Parent Loop BB52_15 Depth=1
                                        ; =>  This Inner Loop Header: Depth=2
	v_mov_b32_e32 v3, 0
	v_mov_b32_e32 v4, 0
	v_cmp_gt_u32_e32 vcc_lo, s36, v7
	s_and_saveexec_b32 s88, vcc_lo
	s_cbranch_execz .LBB52_384
; %bb.383:                              ;   in Loop: Header=BB52_382 Depth=2
	v_lshlrev_b64 v[2:3], 3, v[14:15]
	s_delay_alu instid0(VALU_DEP_1) | instskip(NEXT) | instid1(VALU_DEP_1)
	v_add_co_u32 v2, s10, s31, v2
	v_add_co_ci_u32_e64 v3, s10, s33, v3, s10
	global_load_b64 v[3:4], v[2:3], off
.LBB52_384:                             ;   in Loop: Header=BB52_382 Depth=2
	s_or_b32 exec_lo, exec_lo, s88
	s_and_saveexec_b32 s10, vcc_lo
	s_cbranch_execz .LBB52_381
; %bb.385:                              ;   in Loop: Header=BB52_382 Depth=2
	s_waitcnt vmcnt(0)
	v_xor_b32_e32 v2, 0x80000000, v4
	v_and_b32_e32 v5, v3, v19
	s_delay_alu instid0(VALU_DEP_2) | instskip(NEXT) | instid1(VALU_DEP_1)
	v_and_b32_e32 v6, v2, v20
	v_cmp_eq_u64_e32 vcc_lo, v[5:6], v[21:22]
	s_and_b32 exec_lo, exec_lo, vcc_lo
	s_cbranch_execz .LBB52_381
; %bb.386:                              ;   in Loop: Header=BB52_382 Depth=2
	v_mov_b32_e32 v2, v15
	ds_store_b128 v15, v[1:4] offset:3072
	s_branch .LBB52_381
.LBB52_387:                             ;   in Loop: Header=BB52_15 Depth=1
	s_set_inst_prefetch_distance 0x2
	s_or_b32 exec_lo, exec_lo, s87
	s_delay_alu instid0(SALU_CYCLE_1)
	s_and_b32 s87, s86, exec_lo
.LBB52_388:                             ;   in Loop: Header=BB52_15 Depth=1
	s_or_b32 exec_lo, exec_lo, s85
	s_mov_b32 s85, 0
	s_mov_b32 s10, -1
	s_mov_b32 s86, 0
.LBB52_389:                             ;   in Loop: Header=BB52_15 Depth=1
	s_or_not1_b32 s87, s87, exec_lo
.LBB52_390:                             ;   in Loop: Header=BB52_15 Depth=1
	s_or_b32 exec_lo, exec_lo, s84
	s_mov_b32 s88, 0
                                        ; implicit-def: $vgpr2
                                        ; implicit-def: $vgpr3
	s_and_saveexec_b32 s84, s87
	s_cbranch_execz .LBB52_402
; %bb.391:                              ;   in Loop: Header=BB52_15 Depth=1
	v_dual_mov_b32 v2, 1 :: v_dual_mov_b32 v3, 1
	s_xor_b32 s87, s19, -1
	s_delay_alu instid0(SALU_CYCLE_1)
	s_and_saveexec_b32 s19, s87
	s_cbranch_execz .LBB52_401
; %bb.392:                              ;   in Loop: Header=BB52_15 Depth=1
	s_mov_b32 s87, exec_lo
                                        ; implicit-def: $sgpr88
	v_cmpx_ge_u32_e64 s16, v8
	s_xor_b32 s87, exec_lo, s87
	s_cbranch_execz .LBB52_398
; %bb.393:                              ;   in Loop: Header=BB52_15 Depth=1
	ds_load_b32 v2, v15 offset:4096
	s_waitcnt lgkmcnt(0)
	v_cmp_ne_u32_e32 vcc_lo, 0, v2
	s_cbranch_vccnz .LBB52_397
; %bb.394:                              ;   in Loop: Header=BB52_15 Depth=1
	s_and_saveexec_b32 s88, s5
	s_cbranch_execz .LBB52_396
; %bb.395:                              ;   in Loop: Header=BB52_15 Depth=1
	v_mov_b32_e32 v2, s16
	ds_store_b32 v15, v2 offset:4100
.LBB52_396:                             ;   in Loop: Header=BB52_15 Depth=1
	s_or_b32 exec_lo, exec_lo, s88
	s_waitcnt lgkmcnt(0)
	s_barrier
	buffer_gl0_inv
.LBB52_397:                             ;   in Loop: Header=BB52_15 Depth=1
	v_and_b32_e32 v22, s15, v22
	v_and_b32_e32 v21, s14, v21
	v_or_b32_e32 v20, s13, v20
	v_or_b32_e32 v19, s12, v19
	s_mov_b32 s88, 5
.LBB52_398:                             ;   in Loop: Header=BB52_15 Depth=1
	s_or_saveexec_b32 s12, s87
	v_mov_b32_e32 v2, s88
	s_xor_b32 exec_lo, exec_lo, s12
; %bb.399:                              ;   in Loop: Header=BB52_15 Depth=1
	v_subrev_nc_u32_e32 v8, s16, v8
	v_mov_b32_e32 v2, 5
; %bb.400:                              ;   in Loop: Header=BB52_15 Depth=1
	s_or_b32 exec_lo, exec_lo, s12
	s_delay_alu instid0(VALU_DEP_2)
	v_mov_b32_e32 v3, v8
.LBB52_401:                             ;   in Loop: Header=BB52_15 Depth=1
	s_or_b32 exec_lo, exec_lo, s19
	s_delay_alu instid0(SALU_CYCLE_1)
	s_mov_b32 s88, exec_lo
.LBB52_402:                             ;   in Loop: Header=BB52_15 Depth=1
	s_or_b32 exec_lo, exec_lo, s84
	s_delay_alu instid0(VALU_DEP_1)
	v_mov_b32_e32 v8, v3
	s_or_not1_b32 s19, s88, exec_lo
.LBB52_403:                             ;   in Loop: Header=BB52_15 Depth=1
	s_or_b32 exec_lo, exec_lo, s18
	s_delay_alu instid0(SALU_CYCLE_1)
	s_and_not1_b32 s12, s80, exec_lo
	s_and_b32 s10, s10, exec_lo
	s_and_not1_b32 s13, s82, exec_lo
	s_or_b32 s80, s12, s10
	s_and_not1_b32 s10, s81, exec_lo
	s_and_b32 s12, s85, exec_lo
	s_and_b32 s14, s86, exec_lo
	v_mov_b32_e32 v7, v8
	s_or_b32 s81, s10, s12
	s_or_b32 s82, s13, s14
	s_and_b32 s85, s19, exec_lo
.LBB52_404:                             ;   in Loop: Header=BB52_15 Depth=1
	s_or_b32 exec_lo, exec_lo, s83
	s_delay_alu instid0(SALU_CYCLE_1)
	s_and_b32 s83, s80, exec_lo
	s_and_b32 s81, s81, exec_lo
	;; [unrolled: 1-line block ×3, first 2 shown]
	s_or_not1_b32 s10, s85, exec_lo
.LBB52_405:                             ;   in Loop: Header=BB52_15 Depth=1
	s_or_b32 exec_lo, exec_lo, s20
	s_delay_alu instid0(SALU_CYCLE_1)
	s_and_not1_b32 s12, s24, exec_lo
	s_and_b32 s13, s83, exec_lo
	s_and_not1_b32 s14, s28, exec_lo
	s_or_b32 s24, s12, s13
	s_and_not1_b32 s12, s27, exec_lo
	s_and_b32 s13, s81, exec_lo
	s_and_b32 s15, s80, exec_lo
	v_mov_b32_e32 v41, v7
	s_or_b32 s27, s12, s13
	s_or_b32 s28, s14, s15
	s_and_b32 s81, s10, exec_lo
.LBB52_406:                             ;   in Loop: Header=BB52_15 Depth=1
	s_or_b32 exec_lo, exec_lo, s29
	s_delay_alu instid0(SALU_CYCLE_1)
	s_and_b32 s29, s24, exec_lo
	s_and_b32 s27, s27, exec_lo
	s_and_b32 s24, s28, exec_lo
	s_or_not1_b32 s28, s81, exec_lo
.LBB52_407:                             ;   in Loop: Header=BB52_15 Depth=1
	s_or_b32 exec_lo, exec_lo, s21
	s_mov_b32 s10, s22
	s_mov_b32 s12, s11
	s_and_saveexec_b32 s13, s28
; %bb.408:                              ;   in Loop: Header=BB52_15 Depth=1
	v_cmp_eq_u32_e32 vcc_lo, 5, v2
	v_cmp_ne_u32_e64 s10, 5, v2
	s_and_not1_b32 s12, s11, exec_lo
	s_and_not1_b32 s14, s22, exec_lo
	;; [unrolled: 1-line block ×3, first 2 shown]
	s_and_b32 s15, vcc_lo, exec_lo
	s_and_b32 s10, s10, exec_lo
	s_and_not1_b32 s27, s27, exec_lo
	s_and_not1_b32 s24, s24, exec_lo
	s_or_b32 s12, s12, s10
	s_or_b32 s10, s14, s15
; %bb.409:                              ;   in Loop: Header=BB52_15 Depth=1
	s_or_b32 exec_lo, exec_lo, s13
	s_delay_alu instid0(SALU_CYCLE_1)
	s_and_not1_b32 s13, s25, exec_lo
	s_and_b32 s14, s29, exec_lo
	v_dual_mov_b32 v24, v22 :: v_dual_mov_b32 v23, v21
	s_or_b32 s25, s13, s14
	s_and_not1_b32 s13, s26, exec_lo
	s_and_b32 s14, s27, exec_lo
	v_dual_mov_b32 v26, v20 :: v_dual_mov_b32 v25, v19
	v_dual_mov_b32 v10, v6 :: v_dual_mov_b32 v9, v5
	s_and_not1_b32 s15, s17, exec_lo
	s_and_b32 s16, s24, exec_lo
	s_or_b32 s26, s13, s14
	s_and_not1_b32 s11, s11, exec_lo
	s_and_b32 s12, s12, exec_lo
	s_and_not1_b32 s13, s22, exec_lo
	s_and_b32 s10, s10, exec_lo
	s_or_b32 s17, s15, s16
	s_or_b32 s11, s11, s12
	;; [unrolled: 1-line block ×3, first 2 shown]
.LBB52_410:                             ;   in Loop: Header=BB52_15 Depth=1
	s_or_b32 exec_lo, exec_lo, s23
	s_mov_b32 s24, s17
	s_mov_b32 s23, s17
	s_and_saveexec_b32 s10, s22
.LBB52_411:                             ;   in Loop: Header=BB52_15 Depth=1
	v_mov_b32_e32 v2, 0
	s_and_not1_b32 s17, s17, exec_lo
	s_and_not1_b32 s25, s25, exec_lo
	s_and_not1_b32 s26, s26, exec_lo
	s_and_not1_b32 s24, s24, exec_lo
	s_and_not1_b32 s23, s23, exec_lo
	s_or_b32 s11, s11, exec_lo
.LBB52_412:                             ;   in Loop: Header=BB52_15 Depth=1
	s_or_b32 exec_lo, exec_lo, s10
	s_delay_alu instid0(SALU_CYCLE_1)
	s_and_not1_b32 s10, s79, exec_lo
	s_and_b32 s13, s17, exec_lo
	s_and_not1_b32 s14, s76, exec_lo
	s_or_b32 s79, s10, s13
	s_and_not1_b32 s10, s78, exec_lo
	s_and_b32 s13, s25, exec_lo
	s_and_b32 s15, s26, exec_lo
	s_or_b32 s78, s10, s13
	s_or_b32 s76, s14, s15
	s_and_not1_b32 s10, s77, exec_lo
	s_and_b32 s13, s24, exec_lo
	s_and_not1_b32 s14, s75, exec_lo
	s_and_b32 s15, s23, exec_lo
	s_mov_b32 s12, -1
	s_or_b32 s77, s10, s13
	s_or_b32 s75, s14, s15
                                        ; implicit-def: $vgpr19_vgpr20
                                        ; implicit-def: $vgpr21_vgpr22
                                        ; implicit-def: $vgpr40
                                        ; implicit-def: $vgpr5_vgpr6
	s_and_saveexec_b32 s10, s11
	s_delay_alu instid0(SALU_CYCLE_1)
	s_xor_b32 s10, exec_lo, s10
	s_cbranch_execz .LBB52_14
; %bb.413:                              ;   in Loop: Header=BB52_15 Depth=1
	s_mov_b32 s11, -1
	s_mov_b32 s13, exec_lo
	v_cmpx_eq_u32_e32 0, v2
	s_cbranch_execz .LBB52_13
; %bb.414:                              ;   in Loop: Header=BB52_15 Depth=1
	s_xor_b32 s69, s69, 1
	s_add_i32 s14, s74, -2
	s_cmp_eq_u32 s74, 0
	s_mov_b32 s74, s14
	s_cselect_b32 s11, -1, 0
	s_xor_b32 s12, exec_lo, -1
	s_or_not1_b32 s11, s11, exec_lo
	s_branch .LBB52_13
.LBB52_415:
	s_or_b32 exec_lo, exec_lo, s47
	s_xor_b32 s9, s73, -1
	s_xor_b32 s12, s71, -1
	;; [unrolled: 1-line block ×5, first 2 shown]
	s_mov_b32 s7, 0
	s_and_saveexec_b32 s8, s6
	s_delay_alu instid0(SALU_CYCLE_1)
	s_xor_b32 s6, exec_lo, s8
	s_cbranch_execz .LBB52_472
; %bb.416:
	s_mov_b32 s8, 0
	s_and_saveexec_b32 s7, s11
	s_delay_alu instid0(SALU_CYCLE_1)
	s_xor_b32 s7, exec_lo, s7
	s_cbranch_execz .LBB52_470
; %bb.417:
	;; [unrolled: 6-line block ×3, first 2 shown]
	s_and_saveexec_b32 s12, s9
	s_delay_alu instid0(SALU_CYCLE_1)
	s_xor_b32 s9, exec_lo, s12
	s_cbranch_execz .LBB52_466
; %bb.419:
	s_and_saveexec_b32 s11, s10
	s_delay_alu instid0(SALU_CYCLE_1)
	s_xor_b32 s10, exec_lo, s11
; %bb.420:
	v_xor_b32_e32 v24, 0x80000000, v24
	s_delay_alu instid0(VALU_DEP_1)
	v_dual_mov_b32 v9, v23 :: v_dual_mov_b32 v10, v24
; %bb.421:
	s_or_b32 exec_lo, exec_lo, s10
	s_and_saveexec_b32 s10, s5
	s_cbranch_execz .LBB52_423
; %bb.422:
	v_mov_b32_e32 v1, 0
	ds_store_b32 v1, v1 offset:4108
.LBB52_423:
	s_or_b32 exec_lo, exec_lo, s10
	v_mov_b32_e32 v5, 0
	v_mov_b32_e32 v6, 0
	s_waitcnt lgkmcnt(0)
	s_barrier
	buffer_gl0_inv
	s_and_saveexec_b32 s5, s4
	s_cbranch_execz .LBB52_425
; %bb.424:
	global_load_b64 v[5:6], v[11:12], off
.LBB52_425:
	s_or_b32 exec_lo, exec_lo, s5
	s_clause 0x1
	s_load_b32 s5, s[0:1], 0x1c8
	s_load_b32 s10, s[0:1], 0x2a8
	v_add_nc_u32_e32 v1, s34, v0
	s_mul_i32 s12, s50, s49
	s_mov_b32 s1, 0
	s_add_i32 s0, s12, s35
	s_mul_i32 s12, s46, s48
	s_add_i32 s11, s36, 31
	s_add_i32 s14, s12, s41
	s_lshl_b64 s[12:13], s[0:1], 3
	v_mul_lo_u32 v2, s30, v1
	s_and_not1_b32 s11, s11, 31
	s_mov_b32 s15, s1
	s_add_u32 s12, s44, s12
	s_addc_u32 s13, s45, s13
	s_lshl_b64 s[14:15], s[14:15], 3
	s_mov_b32 s0, -1
	s_add_u32 s14, s42, s14
	s_addc_u32 s15, s43, s15
	s_mov_b32 s16, 0
	s_mov_b32 s17, exec_lo
	v_cmpx_gt_u32_e64 s11, v0
	s_cbranch_execz .LBB52_441
; %bb.426:
	v_mul_lo_u32 v7, s30, v1
	v_xor_b32_e32 v4, 0x80000000, v10
	v_dual_mov_b32 v3, v9 :: v_dual_mov_b32 v8, 0
	v_mov_b32_e32 v15, v0
                                        ; implicit-def: $sgpr18
                                        ; implicit-def: $vgpr17
	s_branch .LBB52_428
.LBB52_427:                             ;   in Loop: Header=BB52_428 Depth=1
	s_or_b32 exec_lo, exec_lo, s19
	s_xor_b32 s19, s21, -1
	s_and_b32 s0, exec_lo, s0
	v_dual_mov_b32 v5, v13 :: v_dual_mov_b32 v6, v14
	s_or_b32 s16, s0, s16
	v_mov_b32_e32 v15, v1
	s_and_not1_b32 s0, s18, exec_lo
	s_and_b32 s18, s19, exec_lo
	s_delay_alu instid0(SALU_CYCLE_1)
	s_or_b32 s18, s0, s18
	s_and_not1_b32 exec_lo, exec_lo, s16
	s_cbranch_execz .LBB52_440
.LBB52_428:                             ; =>This Inner Loop Header: Depth=1
	v_mov_b32_e32 v13, 0
	s_delay_alu instid0(VALU_DEP_2) | instskip(SKIP_1) | instid1(VALU_DEP_1)
	v_dual_mov_b32 v14, 0 :: v_dual_add_nc_u32 v1, s34, v15
	s_mov_b32 s0, exec_lo
	v_cmpx_gt_u32_e64 s36, v1
	s_cbranch_execz .LBB52_430
; %bb.429:                              ;   in Loop: Header=BB52_428 Depth=1
	v_lshlrev_b64 v[13:14], 3, v[7:8]
	s_delay_alu instid0(VALU_DEP_1) | instskip(NEXT) | instid1(VALU_DEP_2)
	v_add_co_u32 v13, vcc_lo, s31, v13
	v_add_co_ci_u32_e32 v14, vcc_lo, s33, v14, vcc_lo
	global_load_b64 v[13:14], v[13:14], off
.LBB52_430:                             ;   in Loop: Header=BB52_428 Depth=1
	s_or_b32 exec_lo, exec_lo, s0
	s_waitcnt vmcnt(0)
	v_xor_b32_e32 v19, 0x80000000, v6
	v_mov_b32_e32 v18, v5
	s_delay_alu instid0(VALU_DEP_1) | instskip(SKIP_4) | instid1(VALU_DEP_2)
	v_cmp_gt_u64_e32 vcc_lo, v[18:19], v[3:4]
	v_cndmask_b32_e64 v16, 0, 1, vcc_lo
	v_cmp_lt_u64_e32 vcc_lo, v[18:19], v[3:4]
	v_cndmask_b32_e64 v18, 0, 1, vcc_lo
	v_cmp_gt_u32_e32 vcc_lo, s36, v15
	v_cndmask_b32_e64 v16, v18, v16, s3
	s_delay_alu instid0(VALU_DEP_1) | instskip(NEXT) | instid1(VALU_DEP_1)
	v_and_b32_e32 v16, 1, v16
	v_cmp_eq_u32_e64 s0, 1, v16
	s_delay_alu instid0(VALU_DEP_1) | instskip(NEXT) | instid1(SALU_CYCLE_1)
	s_and_b32 s20, vcc_lo, s0
	v_cndmask_b32_e64 v16, 0, 1, s20
	s_delay_alu instid0(VALU_DEP_1) | instskip(SKIP_2) | instid1(SALU_CYCLE_1)
	v_cmp_ne_u32_e32 vcc_lo, 0, v16
	s_cmp_lg_u32 vcc_lo, 0
	s_cselect_b32 s0, -1, 0
	s_and_b32 s0, s2, s0
	s_delay_alu instid0(SALU_CYCLE_1)
	s_and_saveexec_b32 s19, s0
	s_cbranch_execz .LBB52_434
; %bb.431:                              ;   in Loop: Header=BB52_428 Depth=1
	s_mov_b32 s23, exec_lo
	s_bcnt1_i32_b32 s21, vcc_lo
	v_mbcnt_lo_u32_b32 v16, s23, 0
	s_mov_b32 s22, exec_lo
                                        ; implicit-def: $vgpr17
	s_delay_alu instid0(VALU_DEP_1)
	v_cmpx_eq_u32_e32 0, v16
	s_cbranch_execz .LBB52_433
; %bb.432:                              ;   in Loop: Header=BB52_428 Depth=1
	s_bcnt1_i32_b32 s0, s23
	s_delay_alu instid0(SALU_CYCLE_1)
	s_mul_i32 s0, s21, s0
	s_waitcnt lgkmcnt(0)
	v_mov_b32_e32 v17, s0
	ds_add_rtn_u32 v17, v8, v17 offset:4108
.LBB52_433:                             ;   in Loop: Header=BB52_428 Depth=1
	s_or_b32 exec_lo, exec_lo, s22
	s_waitcnt lgkmcnt(0)
	v_readfirstlane_b32 s0, v17
	s_delay_alu instid0(VALU_DEP_1)
	v_mad_u32_u24 v17, s21, v16, s0
.LBB52_434:                             ;   in Loop: Header=BB52_428 Depth=1
	s_or_b32 exec_lo, exec_lo, s19
	s_waitcnt lgkmcnt(0)
	ds_bpermute_b32 v17, v8, v17
	s_mov_b32 s0, -1
	s_mov_b32 s22, -1
                                        ; implicit-def: $sgpr21
	s_and_saveexec_b32 s19, s20
	s_cbranch_execz .LBB52_438
; %bb.435:                              ;   in Loop: Header=BB52_428 Depth=1
	v_and_b32_e32 v16, vcc_lo, v27
	s_mov_b32 s20, 0
	s_mov_b32 s21, exec_lo
	s_waitcnt lgkmcnt(0)
	s_delay_alu instid0(VALU_DEP_1) | instskip(NEXT) | instid1(VALU_DEP_1)
	v_bcnt_u32_b32 v16, v16, v17
	v_cmpx_gt_u32_e64 s37, v16
	s_cbranch_execz .LBB52_437
; %bb.436:                              ;   in Loop: Header=BB52_428 Depth=1
	v_mul_lo_u32 v18, v16, s5
	v_mov_b32_e32 v19, v8
	v_mul_lo_u32 v20, v16, s10
	v_mov_b32_e32 v21, v8
	v_mov_b32_e32 v16, v8
	s_mov_b32 s20, exec_lo
	v_lshlrev_b64 v[18:19], 3, v[18:19]
	s_delay_alu instid0(VALU_DEP_3) | instskip(NEXT) | instid1(VALU_DEP_2)
	v_lshlrev_b64 v[20:21], 3, v[20:21]
	v_add_co_u32 v18, vcc_lo, s12, v18
	s_delay_alu instid0(VALU_DEP_3) | instskip(NEXT) | instid1(VALU_DEP_3)
	v_add_co_ci_u32_e32 v19, vcc_lo, s13, v19, vcc_lo
	v_add_co_u32 v20, vcc_lo, s14, v20
	s_delay_alu instid0(VALU_DEP_4)
	v_add_co_ci_u32_e32 v21, vcc_lo, s15, v21, vcc_lo
	global_store_b64 v[18:19], v[5:6], off
	global_store_b64 v[20:21], v[15:16], off
.LBB52_437:                             ;   in Loop: Header=BB52_428 Depth=1
	s_or_b32 exec_lo, exec_lo, s21
	s_mov_b32 s21, -1
	s_or_not1_b32 s22, s20, exec_lo
.LBB52_438:                             ;   in Loop: Header=BB52_428 Depth=1
	s_or_b32 exec_lo, exec_lo, s19
	s_and_saveexec_b32 s19, s22
	s_cbranch_execz .LBB52_427
; %bb.439:                              ;   in Loop: Header=BB52_428 Depth=1
	v_cmp_le_u32_e32 vcc_lo, s11, v1
	v_add_nc_u32_e32 v7, s40, v7
	s_and_not1_b32 s21, s21, exec_lo
	s_or_not1_b32 s0, vcc_lo, exec_lo
	s_branch .LBB52_427
.LBB52_440:
	s_or_b32 exec_lo, exec_lo, s16
	s_delay_alu instid0(SALU_CYCLE_1)
	s_mov_b32 s16, exec_lo
	s_or_not1_b32 s0, s18, exec_lo
.LBB52_441:
	s_or_b32 exec_lo, exec_lo, s17
	s_and_saveexec_b32 s3, s0
	s_cbranch_execz .LBB52_464
; %bb.442:
	s_waitcnt vmcnt(0)
	v_mov_b32_e32 v4, 0
	v_mov_b32_e32 v5, 0
	s_waitcnt lgkmcnt(0)
	s_waitcnt_vscnt null, 0x0
	s_barrier
	buffer_gl0_inv
	s_and_saveexec_b32 s0, s4
	s_cbranch_execz .LBB52_444
; %bb.443:
	global_load_b64 v[4:5], v[11:12], off
.LBB52_444:
	s_or_b32 exec_lo, exec_lo, s0
	v_mov_b32_e32 v3, 0
	s_mov_b32 s4, 0
                                        ; implicit-def: $sgpr1
                                        ; implicit-def: $sgpr17
                                        ; implicit-def: $sgpr18
                                        ; implicit-def: $vgpr8
	s_branch .LBB52_447
.LBB52_445:                             ;   in Loop: Header=BB52_447 Depth=1
	s_or_b32 exec_lo, exec_lo, s21
	v_mov_b32_e32 v0, v11
	s_and_not1_b32 s18, s18, exec_lo
	s_and_b32 s20, s23, exec_lo
	s_and_not1_b32 s17, s17, exec_lo
	s_and_b32 s0, s0, exec_lo
	s_or_b32 s18, s18, s20
	s_or_b32 s17, s17, s0
.LBB52_446:                             ;   in Loop: Header=BB52_447 Depth=1
	s_or_b32 exec_lo, exec_lo, s19
	s_xor_b32 s0, s18, -1
	s_and_b32 s19, exec_lo, s17
	s_delay_alu instid0(SALU_CYCLE_1) | instskip(SKIP_2) | instid1(SALU_CYCLE_1)
	s_or_b32 s4, s19, s4
	s_and_not1_b32 s1, s1, exec_lo
	s_and_b32 s0, s0, exec_lo
	s_or_b32 s1, s1, s0
	s_and_not1_b32 exec_lo, exec_lo, s4
	s_cbranch_execz .LBB52_462
.LBB52_447:                             ; =>This Inner Loop Header: Depth=1
	s_or_b32 s18, s18, exec_lo
	s_or_b32 s17, s17, exec_lo
	s_mov_b32 s19, exec_lo
	v_cmpx_gt_u32_e64 s11, v0
	s_cbranch_execz .LBB52_446
; %bb.448:                              ;   in Loop: Header=BB52_447 Depth=1
	v_dual_mov_b32 v6, 0 :: v_dual_add_nc_u32 v11, s34, v0
	v_mov_b32_e32 v7, 0
	s_mov_b32 s0, exec_lo
	s_delay_alu instid0(VALU_DEP_2)
	v_cmpx_gt_u32_e64 s36, v11
	s_cbranch_execz .LBB52_450
; %bb.449:                              ;   in Loop: Header=BB52_447 Depth=1
	v_lshlrev_b64 v[6:7], 3, v[2:3]
	s_delay_alu instid0(VALU_DEP_1) | instskip(NEXT) | instid1(VALU_DEP_2)
	v_add_co_u32 v6, vcc_lo, s31, v6
	v_add_co_ci_u32_e32 v7, vcc_lo, s33, v7, vcc_lo
	global_load_b64 v[6:7], v[6:7], off
.LBB52_450:                             ;   in Loop: Header=BB52_447 Depth=1
	s_or_b32 exec_lo, exec_lo, s0
	s_waitcnt vmcnt(0)
	v_cmp_eq_u64_e32 vcc_lo, v[4:5], v[9:10]
	v_cmp_gt_u32_e64 s0, s36, v0
	s_delay_alu instid0(VALU_DEP_1) | instskip(NEXT) | instid1(SALU_CYCLE_1)
	s_and_b32 s21, s0, vcc_lo
	v_cndmask_b32_e64 v1, 0, 1, s21
	s_delay_alu instid0(VALU_DEP_1) | instskip(SKIP_2) | instid1(SALU_CYCLE_1)
	v_cmp_ne_u32_e32 vcc_lo, 0, v1
	s_cmp_lg_u32 vcc_lo, 0
	s_cselect_b32 s0, -1, 0
	s_and_b32 s0, s2, s0
	s_delay_alu instid0(SALU_CYCLE_1)
	s_and_saveexec_b32 s20, s0
	s_cbranch_execz .LBB52_454
; %bb.451:                              ;   in Loop: Header=BB52_447 Depth=1
	s_mov_b32 s24, exec_lo
	s_bcnt1_i32_b32 s22, vcc_lo
	v_mbcnt_lo_u32_b32 v1, s24, 0
	s_mov_b32 s23, exec_lo
                                        ; implicit-def: $vgpr8
	s_delay_alu instid0(VALU_DEP_1)
	v_cmpx_eq_u32_e32 0, v1
	s_cbranch_execz .LBB52_453
; %bb.452:                              ;   in Loop: Header=BB52_447 Depth=1
	s_bcnt1_i32_b32 s0, s24
	s_delay_alu instid0(SALU_CYCLE_1) | instskip(NEXT) | instid1(SALU_CYCLE_1)
	s_mul_i32 s0, s22, s0
	v_mov_b32_e32 v8, s0
	ds_add_rtn_u32 v8, v3, v8 offset:4108
.LBB52_453:                             ;   in Loop: Header=BB52_447 Depth=1
	s_or_b32 exec_lo, exec_lo, s23
	s_waitcnt lgkmcnt(0)
	v_readfirstlane_b32 s0, v8
	s_delay_alu instid0(VALU_DEP_1)
	v_mad_u32_u24 v8, s22, v1, s0
.LBB52_454:                             ;   in Loop: Header=BB52_447 Depth=1
	s_or_b32 exec_lo, exec_lo, s20
	ds_bpermute_b32 v8, v3, v8
	s_cmp_eq_u32 vcc_lo, 0
	s_mov_b32 s22, -1
	s_cselect_b32 s20, -1, 0
	s_mov_b32 s23, -1
	s_waitcnt lgkmcnt(0)
	v_cmp_gt_u32_e64 s0, s37, v8
	s_delay_alu instid0(VALU_DEP_1) | instskip(SKIP_4) | instid1(SALU_CYCLE_1)
	s_or_b32 s20, s20, s0
	s_mov_b32 s0, -1
	v_cndmask_b32_e64 v5, v5, v7, s20
	v_cndmask_b32_e64 v4, v4, v6, s20
	s_and_b32 s24, s21, s20
	s_and_saveexec_b32 s21, s24
	s_cbranch_execz .LBB52_460
; %bb.455:                              ;   in Loop: Header=BB52_447 Depth=1
	v_and_b32_e32 v1, vcc_lo, v27
	v_sub_nc_u32_e32 v4, s37, v8
	s_mov_b32 s24, -1
	s_mov_b32 s23, exec_lo
	s_delay_alu instid0(VALU_DEP_2) | instskip(NEXT) | instid1(VALU_DEP_1)
	v_bcnt_u32_b32 v1, v1, 0
	v_cmp_le_u32_e64 s22, v4, v1
	v_cmpx_gt_u32_e64 v4, v1
	s_cbranch_execz .LBB52_459
; %bb.456:                              ;   in Loop: Header=BB52_447 Depth=1
	v_add_nc_u32_e32 v1, v8, v1
	s_delay_alu instid0(VALU_DEP_3) | instskip(SKIP_1) | instid1(VALU_DEP_1)
	s_mov_b32 s25, s22
	s_mov_b32 s24, exec_lo
	v_cmpx_gt_u32_e64 s37, v1
	s_cbranch_execz .LBB52_458
; %bb.457:                              ;   in Loop: Header=BB52_447 Depth=1
	v_mul_lo_u32 v4, v1, s5
	v_mov_b32_e32 v5, v3
	v_mul_lo_u32 v12, v1, s10
	v_mov_b32_e32 v13, v3
	v_mov_b32_e32 v1, v3
	s_or_b32 s25, s22, exec_lo
	v_lshlrev_b64 v[4:5], 3, v[4:5]
	s_delay_alu instid0(VALU_DEP_3) | instskip(NEXT) | instid1(VALU_DEP_2)
	v_lshlrev_b64 v[12:13], 3, v[12:13]
	v_add_co_u32 v4, vcc_lo, s12, v4
	s_delay_alu instid0(VALU_DEP_3) | instskip(NEXT) | instid1(VALU_DEP_3)
	v_add_co_ci_u32_e32 v5, vcc_lo, s13, v5, vcc_lo
	v_add_co_u32 v12, vcc_lo, s14, v12
	s_delay_alu instid0(VALU_DEP_4)
	v_add_co_ci_u32_e32 v13, vcc_lo, s15, v13, vcc_lo
	global_store_b64 v[4:5], v[9:10], off
	global_store_b64 v[12:13], v[0:1], off
.LBB52_458:                             ;   in Loop: Header=BB52_447 Depth=1
	s_or_b32 exec_lo, exec_lo, s24
	s_delay_alu instid0(SALU_CYCLE_1)
	s_and_not1_b32 s22, s22, exec_lo
	s_and_b32 s25, s25, exec_lo
	s_xor_b32 s24, exec_lo, -1
	s_or_b32 s22, s22, s25
.LBB52_459:                             ;   in Loop: Header=BB52_447 Depth=1
	s_or_b32 exec_lo, exec_lo, s23
	v_dual_mov_b32 v4, v6 :: v_dual_mov_b32 v5, v7
	s_or_not1_b32 s23, s24, exec_lo
	s_or_b32 s20, s20, exec_lo
	s_or_not1_b32 s22, s22, exec_lo
.LBB52_460:                             ;   in Loop: Header=BB52_447 Depth=1
	s_or_b32 exec_lo, exec_lo, s21
	s_and_saveexec_b32 s21, s22
	s_cbranch_execz .LBB52_445
; %bb.461:                              ;   in Loop: Header=BB52_447 Depth=1
	v_add_nc_u32_e32 v2, s40, v2
	s_xor_b32 s0, s20, -1
	s_or_b32 s23, s23, exec_lo
	s_or_not1_b32 s0, s0, exec_lo
	s_branch .LBB52_445
.LBB52_462:
	s_or_b32 exec_lo, exec_lo, s4
	s_mov_b32 s0, 0
	s_and_saveexec_b32 s2, s1
	s_delay_alu instid0(SALU_CYCLE_1)
	s_xor_b32 s1, exec_lo, s2
	s_cbranch_execnz .LBB52_494
.LBB52_463:
	s_or_b32 exec_lo, exec_lo, s1
	s_delay_alu instid0(SALU_CYCLE_1)
	s_and_b32 s1, s0, exec_lo
	s_and_not1_b32 s16, s16, exec_lo
.LBB52_464:
	s_or_b32 exec_lo, exec_lo, s3
	s_and_saveexec_b32 s0, s16
	s_delay_alu instid0(SALU_CYCLE_1)
	s_xor_b32 s0, exec_lo, s0
	s_cbranch_execnz .LBB52_490
.LBB52_465:
	s_or_b32 exec_lo, exec_lo, s0
	s_delay_alu instid0(SALU_CYCLE_1)
	s_and_b32 s11, s1, exec_lo
.LBB52_466:
	s_and_not1_saveexec_b32 s0, s9
	s_cbranch_execnz .LBB52_486
.LBB52_467:
	s_or_b32 exec_lo, exec_lo, s0
	s_delay_alu instid0(SALU_CYCLE_1)
	s_and_b32 s11, s11, exec_lo
.LBB52_468:
	s_and_not1_saveexec_b32 s0, s8
	s_cbranch_execnz .LBB52_482
.LBB52_469:
	s_or_b32 exec_lo, exec_lo, s0
	s_delay_alu instid0(SALU_CYCLE_1)
	s_and_b32 s8, s11, exec_lo
.LBB52_470:
	s_and_not1_saveexec_b32 s0, s7
	s_cbranch_execnz .LBB52_478
.LBB52_471:
	s_or_b32 exec_lo, exec_lo, s0
	s_delay_alu instid0(SALU_CYCLE_1)
	s_and_b32 s7, s8, exec_lo
.LBB52_472:
	s_and_not1_saveexec_b32 s0, s6
	s_cbranch_execnz .LBB52_476
; %bb.473:
	s_or_b32 exec_lo, exec_lo, s0
	s_and_saveexec_b32 s0, s7
.LBB52_474:
	; divergent unreachable
.LBB52_475:
	s_nop 0
	s_sendmsg sendmsg(MSG_DEALLOC_VGPRS)
	s_endpgm
.LBB52_476:
	s_cbranch_execnz .LBB52_480
; %bb.477:
	s_or_b32 s7, s7, exec_lo
	s_or_b32 exec_lo, exec_lo, s0
	s_and_saveexec_b32 s0, s7
	s_cbranch_execnz .LBB52_474
	s_branch .LBB52_475
.LBB52_478:
	s_cbranch_execnz .LBB52_484
; %bb.479:
	s_or_b32 s8, s8, exec_lo
	s_branch .LBB52_471
.LBB52_480:
	s_trap 2
	s_sendmsg_rtn_b32 s0, sendmsg(MSG_RTN_GET_DOORBELL)
	s_mov_b32 ttmp2, m0
	s_waitcnt lgkmcnt(0)
	s_and_b32 s0, s0, 0x3ff
	s_delay_alu instid0(SALU_CYCLE_1) | instskip(NEXT) | instid1(SALU_CYCLE_1)
	s_bitset1_b32 s0, 10
	s_mov_b32 m0, s0
	s_sendmsg sendmsg(MSG_INTERRUPT)
	s_mov_b32 m0, ttmp2
.LBB52_481:                             ; =>This Inner Loop Header: Depth=1
	s_sethalt 5
	s_branch .LBB52_481
.LBB52_482:
	s_cbranch_execnz .LBB52_488
; %bb.483:
	s_or_b32 s11, s11, exec_lo
	s_branch .LBB52_469
.LBB52_484:
	s_trap 2
	s_sendmsg_rtn_b32 s0, sendmsg(MSG_RTN_GET_DOORBELL)
	s_mov_b32 ttmp2, m0
	s_waitcnt lgkmcnt(0)
	s_and_b32 s0, s0, 0x3ff
	s_delay_alu instid0(SALU_CYCLE_1) | instskip(NEXT) | instid1(SALU_CYCLE_1)
	s_bitset1_b32 s0, 10
	s_mov_b32 m0, s0
	s_sendmsg sendmsg(MSG_INTERRUPT)
	s_mov_b32 m0, ttmp2
.LBB52_485:                             ; =>This Inner Loop Header: Depth=1
	s_sethalt 5
	s_branch .LBB52_485
.LBB52_486:
	s_cbranch_execnz .LBB52_492
; %bb.487:
	s_or_b32 s11, s11, exec_lo
	s_branch .LBB52_467
.LBB52_488:
	s_trap 2
	s_sendmsg_rtn_b32 s0, sendmsg(MSG_RTN_GET_DOORBELL)
	s_mov_b32 ttmp2, m0
	s_waitcnt lgkmcnt(0)
	s_and_b32 s0, s0, 0x3ff
	s_delay_alu instid0(SALU_CYCLE_1) | instskip(NEXT) | instid1(SALU_CYCLE_1)
	s_bitset1_b32 s0, 10
	s_mov_b32 m0, s0
	s_sendmsg sendmsg(MSG_INTERRUPT)
	s_mov_b32 m0, ttmp2
.LBB52_489:                             ; =>This Inner Loop Header: Depth=1
	s_sethalt 5
	s_branch .LBB52_489
.LBB52_490:
	s_cbranch_execnz .LBB52_496
; %bb.491:
	s_or_b32 s1, s1, exec_lo
	s_branch .LBB52_465
.LBB52_492:
	s_trap 2
	s_sendmsg_rtn_b32 s0, sendmsg(MSG_RTN_GET_DOORBELL)
	s_mov_b32 ttmp2, m0
	s_waitcnt lgkmcnt(0)
	s_and_b32 s0, s0, 0x3ff
	s_delay_alu instid0(SALU_CYCLE_1) | instskip(NEXT) | instid1(SALU_CYCLE_1)
	s_bitset1_b32 s0, 10
	s_mov_b32 m0, s0
	s_sendmsg sendmsg(MSG_INTERRUPT)
	s_mov_b32 m0, ttmp2
.LBB52_493:                             ; =>This Inner Loop Header: Depth=1
	s_sethalt 5
	s_branch .LBB52_493
.LBB52_494:
	s_cbranch_execnz .LBB52_498
; %bb.495:
	s_mov_b32 s0, exec_lo
	s_branch .LBB52_463
.LBB52_496:
	s_trap 2
	s_sendmsg_rtn_b32 s0, sendmsg(MSG_RTN_GET_DOORBELL)
	s_mov_b32 ttmp2, m0
	s_waitcnt lgkmcnt(0)
	s_and_b32 s0, s0, 0x3ff
	s_delay_alu instid0(SALU_CYCLE_1) | instskip(NEXT) | instid1(SALU_CYCLE_1)
	s_bitset1_b32 s0, 10
	s_mov_b32 m0, s0
	s_sendmsg sendmsg(MSG_INTERRUPT)
	s_mov_b32 m0, ttmp2
.LBB52_497:                             ; =>This Inner Loop Header: Depth=1
	s_sethalt 5
	s_branch .LBB52_497
.LBB52_498:
	s_trap 2
	s_sendmsg_rtn_b32 s0, sendmsg(MSG_RTN_GET_DOORBELL)
	s_mov_b32 ttmp2, m0
	s_waitcnt lgkmcnt(0)
	s_and_b32 s0, s0, 0x3ff
	s_delay_alu instid0(SALU_CYCLE_1) | instskip(NEXT) | instid1(SALU_CYCLE_1)
	s_bitset1_b32 s0, 10
	s_mov_b32 m0, s0
	s_sendmsg sendmsg(MSG_INTERRUPT)
	s_mov_b32 m0, ttmp2
.LBB52_499:                             ; =>This Inner Loop Header: Depth=1
	s_sethalt 5
	s_branch .LBB52_499
	.section	.rodata,"a",@progbits
	.p2align	6, 0x0
	.amdhsa_kernel _ZN2at6native6sbtopk10gatherTopKIljLin1ELb0EEEvNS_4cuda6detail10TensorInfoIKT_T0_EES8_S8_bS8_S8_NS5_IS6_S8_EES8_NS5_IlS8_EES8_PS6_
		.amdhsa_group_segment_fixed_size 4112
		.amdhsa_private_segment_fixed_size 0
		.amdhsa_kernarg_size 952
		.amdhsa_user_sgpr_count 13
		.amdhsa_user_sgpr_dispatch_ptr 0
		.amdhsa_user_sgpr_queue_ptr 0
		.amdhsa_user_sgpr_kernarg_segment_ptr 1
		.amdhsa_user_sgpr_dispatch_id 0
		.amdhsa_user_sgpr_private_segment_size 0
		.amdhsa_wavefront_size32 1
		.amdhsa_uses_dynamic_stack 0
		.amdhsa_enable_private_segment 0
		.amdhsa_system_sgpr_workgroup_id_x 1
		.amdhsa_system_sgpr_workgroup_id_y 1
		.amdhsa_system_sgpr_workgroup_id_z 1
		.amdhsa_system_sgpr_workgroup_info 0
		.amdhsa_system_vgpr_workitem_id 0
		.amdhsa_next_free_vgpr 55
		.amdhsa_next_free_sgpr 96
		.amdhsa_reserve_vcc 1
		.amdhsa_float_round_mode_32 0
		.amdhsa_float_round_mode_16_64 0
		.amdhsa_float_denorm_mode_32 3
		.amdhsa_float_denorm_mode_16_64 3
		.amdhsa_dx10_clamp 1
		.amdhsa_ieee_mode 1
		.amdhsa_fp16_overflow 0
		.amdhsa_workgroup_processor_mode 1
		.amdhsa_memory_ordered 1
		.amdhsa_forward_progress 0
		.amdhsa_shared_vgpr_count 0
		.amdhsa_exception_fp_ieee_invalid_op 0
		.amdhsa_exception_fp_denorm_src 0
		.amdhsa_exception_fp_ieee_div_zero 0
		.amdhsa_exception_fp_ieee_overflow 0
		.amdhsa_exception_fp_ieee_underflow 0
		.amdhsa_exception_fp_ieee_inexact 0
		.amdhsa_exception_int_div_zero 0
	.end_amdhsa_kernel
	.section	.text._ZN2at6native6sbtopk10gatherTopKIljLin1ELb0EEEvNS_4cuda6detail10TensorInfoIKT_T0_EES8_S8_bS8_S8_NS5_IS6_S8_EES8_NS5_IlS8_EES8_PS6_,"axG",@progbits,_ZN2at6native6sbtopk10gatherTopKIljLin1ELb0EEEvNS_4cuda6detail10TensorInfoIKT_T0_EES8_S8_bS8_S8_NS5_IS6_S8_EES8_NS5_IlS8_EES8_PS6_,comdat
.Lfunc_end52:
	.size	_ZN2at6native6sbtopk10gatherTopKIljLin1ELb0EEEvNS_4cuda6detail10TensorInfoIKT_T0_EES8_S8_bS8_S8_NS5_IS6_S8_EES8_NS5_IlS8_EES8_PS6_, .Lfunc_end52-_ZN2at6native6sbtopk10gatherTopKIljLin1ELb0EEEvNS_4cuda6detail10TensorInfoIKT_T0_EES8_S8_bS8_S8_NS5_IS6_S8_EES8_NS5_IlS8_EES8_PS6_
                                        ; -- End function
	.section	.AMDGPU.csdata,"",@progbits
; Kernel info:
; codeLenInByte = 16652
; NumSgprs: 98
; NumVgprs: 55
; ScratchSize: 0
; MemoryBound: 0
; FloatMode: 240
; IeeeMode: 1
; LDSByteSize: 4112 bytes/workgroup (compile time only)
; SGPRBlocks: 12
; VGPRBlocks: 6
; NumSGPRsForWavesPerEU: 98
; NumVGPRsForWavesPerEU: 55
; Occupancy: 16
; WaveLimiterHint : 1
; COMPUTE_PGM_RSRC2:SCRATCH_EN: 0
; COMPUTE_PGM_RSRC2:USER_SGPR: 13
; COMPUTE_PGM_RSRC2:TRAP_HANDLER: 0
; COMPUTE_PGM_RSRC2:TGID_X_EN: 1
; COMPUTE_PGM_RSRC2:TGID_Y_EN: 1
; COMPUTE_PGM_RSRC2:TGID_Z_EN: 1
; COMPUTE_PGM_RSRC2:TIDIG_COMP_CNT: 0
	.section	.text._ZN2at6native6mbtopk23computeBlockDigitCountsIsjjLi1EEEvNS_4cuda6detail10TensorInfoIKT_T0_EEjPjjS8_iijT1_PSB_Ps,"axG",@progbits,_ZN2at6native6mbtopk23computeBlockDigitCountsIsjjLi1EEEvNS_4cuda6detail10TensorInfoIKT_T0_EEjPjjS8_iijT1_PSB_Ps,comdat
	.protected	_ZN2at6native6mbtopk23computeBlockDigitCountsIsjjLi1EEEvNS_4cuda6detail10TensorInfoIKT_T0_EEjPjjS8_iijT1_PSB_Ps ; -- Begin function _ZN2at6native6mbtopk23computeBlockDigitCountsIsjjLi1EEEvNS_4cuda6detail10TensorInfoIKT_T0_EEjPjjS8_iijT1_PSB_Ps
	.globl	_ZN2at6native6mbtopk23computeBlockDigitCountsIsjjLi1EEEvNS_4cuda6detail10TensorInfoIKT_T0_EEjPjjS8_iijT1_PSB_Ps
	.p2align	8
	.type	_ZN2at6native6mbtopk23computeBlockDigitCountsIsjjLi1EEEvNS_4cuda6detail10TensorInfoIKT_T0_EEjPjjS8_iijT1_PSB_Ps,@function
_ZN2at6native6mbtopk23computeBlockDigitCountsIsjjLi1EEEvNS_4cuda6detail10TensorInfoIKT_T0_EEjPjjS8_iijT1_PSB_Ps: ; @_ZN2at6native6mbtopk23computeBlockDigitCountsIsjjLi1EEEvNS_4cuda6detail10TensorInfoIKT_T0_EEjPjjS8_iijT1_PSB_Ps
; %bb.0:
	s_clause 0x2
	s_load_b64 s[2:3], s[0:1], 0xf8
	s_load_b128 s[8:11], s[0:1], 0xe8
	s_load_b64 s[4:5], s[0:1], 0x110
	s_waitcnt lgkmcnt(0)
	v_cvt_f32_u32_e32 v1, s2
	s_sub_i32 s7, 0, s2
	s_mul_i32 s5, s5, s15
	s_delay_alu instid0(SALU_CYCLE_1) | instskip(NEXT) | instid1(VALU_DEP_1)
	s_add_i32 s5, s5, s14
	v_rcp_iflag_f32_e32 v1, v1
	s_mul_i32 s16, s5, s4
	s_delay_alu instid0(SALU_CYCLE_1) | instskip(SKIP_3) | instid1(VALU_DEP_1)
	s_add_i32 s16, s16, s13
	s_mov_b32 s13, 0
	s_waitcnt_depctr 0xfff
	v_mul_f32_e32 v1, 0x4f7ffffe, v1
	v_cvt_u32_f32_e32 v1, v1
	s_delay_alu instid0(VALU_DEP_1) | instskip(NEXT) | instid1(VALU_DEP_1)
	v_readfirstlane_b32 s6, v1
	s_mul_i32 s7, s7, s6
	s_delay_alu instid0(SALU_CYCLE_1) | instskip(NEXT) | instid1(SALU_CYCLE_1)
	s_mul_hi_u32 s4, s6, s7
	s_add_i32 s6, s6, s4
	s_delay_alu instid0(SALU_CYCLE_1) | instskip(NEXT) | instid1(SALU_CYCLE_1)
	s_mul_hi_u32 s4, s16, s6
	s_mul_i32 s5, s4, s2
	s_add_i32 s6, s4, 1
	s_sub_i32 s5, s16, s5
	s_delay_alu instid0(SALU_CYCLE_1)
	s_sub_i32 s7, s5, s2
	s_cmp_ge_u32 s5, s2
	s_cselect_b32 s4, s6, s4
	s_cselect_b32 s5, s7, s5
	s_add_i32 s6, s4, 1
	s_cmp_ge_u32 s5, s2
	s_cselect_b32 s12, s6, s4
	s_delay_alu instid0(SALU_CYCLE_1)
	s_cmp_ge_u32 s12, s8
	s_cbranch_scc1 .LBB53_29
; %bb.1:
	s_load_b128 s[4:7], s[0:1], 0x100
	s_lshl_b64 s[14:15], s[12:13], 2
	v_cmp_gt_u32_e32 vcc_lo, 0x100, v0
	v_lshlrev_b32_e32 v3, 2, v0
	s_waitcnt lgkmcnt(0)
	s_add_u32 s14, s4, s14
	s_addc_u32 s15, s5, s15
	s_and_saveexec_b32 s4, vcc_lo
	s_cbranch_execz .LBB53_3
; %bb.2:
	v_mov_b32_e32 v1, 0
	ds_store_b32 v3, v1
.LBB53_3:
	s_or_b32 exec_lo, exec_lo, s4
	s_load_b32 s8, s[0:1], 0xd8
	s_mul_i32 s4, s12, s2
	s_waitcnt lgkmcnt(0)
	s_sub_i32 s4, s16, s4
	s_barrier
	s_mul_i32 s5, s11, s4
	s_add_i32 s4, s4, 1
	s_lshl_b32 s13, s5, 8
	buffer_gl0_inv
	s_sub_i32 s5, s8, s13
	s_delay_alu instid0(SALU_CYCLE_1) | instskip(SKIP_3) | instid1(VALU_DEP_1)
	s_add_u32 s5, s5, 0xff
	s_addc_u32 s17, 0, 0
	s_cmp_lt_u32 s4, s2
	v_alignbit_b32 v1, s17, s5, 8
	v_readfirstlane_b32 s5, v1
	s_delay_alu instid0(VALU_DEP_1)
	s_cselect_b32 s11, s11, s5
	s_mov_b32 s5, 0
	s_cmp_lt_i32 s11, 1
	s_cbranch_scc1 .LBB53_25
; %bb.4:
	s_clause 0x1
	s_load_b32 s2, s[0:1], 0x6c
	s_load_b64 s[18:19], s[0:1], 0x0
	s_load_b32 s1, s[14:15], 0x0
	s_waitcnt lgkmcnt(0)
	s_mul_i32 s4, s2, s12
	s_delay_alu instid0(SALU_CYCLE_1) | instskip(NEXT) | instid1(SALU_CYCLE_1)
	s_lshl_b64 s[14:15], s[4:5], 1
	s_add_u32 s2, s18, s14
	s_addc_u32 s4, s19, s15
	s_and_b32 s10, s10, 0xff
	s_cmp_lt_u32 s11, 4
	s_cbranch_scc1 .LBB53_19
; %bb.5:
	v_add_nc_u32_e32 v1, s13, v0
	s_and_b32 s5, s11, 0x7ffffffc
	s_lshl_b32 s12, s9, 10
	s_mov_b32 s14, 0
	s_mov_b32 s15, 0
	v_dual_mov_b32 v9, 1 :: v_dual_add_nc_u32 v2, 0x200, v1
	s_delay_alu instid0(VALU_DEP_1) | instskip(SKIP_4) | instid1(VALU_DEP_3)
	v_mul_lo_u32 v6, s9, v2
	v_mov_b32_e32 v2, 0
	v_add_nc_u32_e32 v4, 0x300, v1
	v_add_nc_u32_e32 v7, 0x100, v1
	v_mul_lo_u32 v8, s9, v1
	v_mul_lo_u32 v5, s9, v4
	s_delay_alu instid0(VALU_DEP_3)
	v_mul_lo_u32 v7, s9, v7
	s_branch .LBB53_7
.LBB53_6:                               ;   in Loop: Header=BB53_7 Depth=1
	s_or_b32 exec_lo, exec_lo, s17
	v_add_nc_u32_e32 v4, 0x400, v4
	s_add_i32 s15, s15, 4
	s_add_i32 s14, s14, s12
	s_cmp_eq_u32 s5, s15
	s_cbranch_scc1 .LBB53_19
.LBB53_7:                               ; =>This Inner Loop Header: Depth=1
	v_add_nc_u32_e32 v1, 0xfffffd00, v4
	s_mov_b32 s17, exec_lo
	s_delay_alu instid0(VALU_DEP_1)
	v_cmpx_gt_u32_e64 s8, v1
	s_cbranch_execz .LBB53_10
; %bb.8:                                ;   in Loop: Header=BB53_7 Depth=1
	v_add_nc_u32_e32 v1, s14, v8
	s_delay_alu instid0(VALU_DEP_1) | instskip(NEXT) | instid1(VALU_DEP_1)
	v_lshlrev_b64 v[10:11], 1, v[1:2]
	v_add_co_u32 v10, s0, s2, v10
	s_delay_alu instid0(VALU_DEP_1) | instskip(SKIP_3) | instid1(VALU_DEP_1)
	v_add_co_ci_u32_e64 v11, s0, s4, v11, s0
	global_load_i16 v1, v[10:11], off
	s_waitcnt vmcnt(0)
	v_add_nc_u32_e32 v1, 0x8000, v1
	v_xor_b32_e32 v10, s1, v1
	s_delay_alu instid0(VALU_DEP_1) | instskip(NEXT) | instid1(VALU_DEP_1)
	v_and_b32_e32 v10, s3, v10
	v_cmp_eq_u32_e64 s0, 0, v10
	s_delay_alu instid0(VALU_DEP_1)
	s_and_b32 exec_lo, exec_lo, s0
	s_cbranch_execz .LBB53_10
; %bb.9:                                ;   in Loop: Header=BB53_7 Depth=1
	v_bfe_u32 v1, v1, s10, 8
	s_delay_alu instid0(VALU_DEP_1)
	v_lshlrev_b32_e32 v1, 2, v1
	ds_add_u32 v1, v9
.LBB53_10:                              ;   in Loop: Header=BB53_7 Depth=1
	s_or_b32 exec_lo, exec_lo, s17
	v_add_nc_u32_e32 v1, 0xfffffe00, v4
	s_mov_b32 s17, exec_lo
	s_delay_alu instid0(VALU_DEP_1)
	v_cmpx_gt_u32_e64 s8, v1
	s_cbranch_execz .LBB53_13
; %bb.11:                               ;   in Loop: Header=BB53_7 Depth=1
	v_add_nc_u32_e32 v1, s14, v7
	s_delay_alu instid0(VALU_DEP_1) | instskip(NEXT) | instid1(VALU_DEP_1)
	v_lshlrev_b64 v[10:11], 1, v[1:2]
	v_add_co_u32 v10, s0, s2, v10
	s_delay_alu instid0(VALU_DEP_1) | instskip(SKIP_3) | instid1(VALU_DEP_1)
	v_add_co_ci_u32_e64 v11, s0, s4, v11, s0
	global_load_i16 v1, v[10:11], off
	s_waitcnt vmcnt(0)
	v_add_nc_u32_e32 v1, 0x8000, v1
	v_xor_b32_e32 v10, s1, v1
	s_delay_alu instid0(VALU_DEP_1) | instskip(NEXT) | instid1(VALU_DEP_1)
	v_and_b32_e32 v10, s3, v10
	v_cmp_eq_u32_e64 s0, 0, v10
	s_delay_alu instid0(VALU_DEP_1)
	s_and_b32 exec_lo, exec_lo, s0
	s_cbranch_execz .LBB53_13
; %bb.12:                               ;   in Loop: Header=BB53_7 Depth=1
	v_bfe_u32 v1, v1, s10, 8
	s_delay_alu instid0(VALU_DEP_1)
	v_lshlrev_b32_e32 v1, 2, v1
	ds_add_u32 v1, v9
.LBB53_13:                              ;   in Loop: Header=BB53_7 Depth=1
	s_or_b32 exec_lo, exec_lo, s17
	v_add_nc_u32_e32 v1, 0xffffff00, v4
	s_mov_b32 s17, exec_lo
	s_delay_alu instid0(VALU_DEP_1)
	v_cmpx_gt_u32_e64 s8, v1
	s_cbranch_execz .LBB53_16
; %bb.14:                               ;   in Loop: Header=BB53_7 Depth=1
	v_add_nc_u32_e32 v1, s14, v6
	s_delay_alu instid0(VALU_DEP_1) | instskip(NEXT) | instid1(VALU_DEP_1)
	v_lshlrev_b64 v[10:11], 1, v[1:2]
	v_add_co_u32 v10, s0, s2, v10
	s_delay_alu instid0(VALU_DEP_1) | instskip(SKIP_3) | instid1(VALU_DEP_1)
	v_add_co_ci_u32_e64 v11, s0, s4, v11, s0
	global_load_i16 v1, v[10:11], off
	s_waitcnt vmcnt(0)
	v_add_nc_u32_e32 v1, 0x8000, v1
	v_xor_b32_e32 v10, s1, v1
	s_delay_alu instid0(VALU_DEP_1) | instskip(NEXT) | instid1(VALU_DEP_1)
	v_and_b32_e32 v10, s3, v10
	v_cmp_eq_u32_e64 s0, 0, v10
	s_delay_alu instid0(VALU_DEP_1)
	s_and_b32 exec_lo, exec_lo, s0
	s_cbranch_execz .LBB53_16
; %bb.15:                               ;   in Loop: Header=BB53_7 Depth=1
	v_bfe_u32 v1, v1, s10, 8
	s_delay_alu instid0(VALU_DEP_1)
	v_lshlrev_b32_e32 v1, 2, v1
	ds_add_u32 v1, v9
.LBB53_16:                              ;   in Loop: Header=BB53_7 Depth=1
	s_or_b32 exec_lo, exec_lo, s17
	s_delay_alu instid0(SALU_CYCLE_1)
	s_mov_b32 s17, exec_lo
	v_cmpx_gt_u32_e64 s8, v4
	s_cbranch_execz .LBB53_6
; %bb.17:                               ;   in Loop: Header=BB53_7 Depth=1
	v_add_nc_u32_e32 v1, s14, v5
	s_delay_alu instid0(VALU_DEP_1) | instskip(NEXT) | instid1(VALU_DEP_1)
	v_lshlrev_b64 v[10:11], 1, v[1:2]
	v_add_co_u32 v10, s0, s2, v10
	s_delay_alu instid0(VALU_DEP_1) | instskip(SKIP_3) | instid1(VALU_DEP_1)
	v_add_co_ci_u32_e64 v11, s0, s4, v11, s0
	global_load_i16 v1, v[10:11], off
	s_waitcnt vmcnt(0)
	v_add_nc_u32_e32 v1, 0x8000, v1
	v_xor_b32_e32 v10, s1, v1
	s_delay_alu instid0(VALU_DEP_1) | instskip(NEXT) | instid1(VALU_DEP_1)
	v_and_b32_e32 v10, s3, v10
	v_cmp_eq_u32_e64 s0, 0, v10
	s_delay_alu instid0(VALU_DEP_1)
	s_and_b32 exec_lo, exec_lo, s0
	s_cbranch_execz .LBB53_6
; %bb.18:                               ;   in Loop: Header=BB53_7 Depth=1
	v_bfe_u32 v1, v1, s10, 8
	s_delay_alu instid0(VALU_DEP_1)
	v_lshlrev_b32_e32 v1, 2, v1
	ds_add_u32 v1, v9
	s_branch .LBB53_6
.LBB53_19:
	s_and_b32 s11, s11, 3
	s_delay_alu instid0(SALU_CYCLE_1)
	s_cmp_eq_u32 s11, 0
	s_cbranch_scc1 .LBB53_25
; %bb.20:
	s_lshl_b32 s0, s5, 8
	v_dual_mov_b32 v2, 0 :: v_dual_mov_b32 v5, 1
	v_add3_u32 v4, s0, s13, v0
	s_lshl_b32 s5, s9, 8
	s_delay_alu instid0(VALU_DEP_1)
	v_mul_lo_u32 v1, s9, v4
	s_set_inst_prefetch_distance 0x1
	s_branch .LBB53_22
	.p2align	6
.LBB53_21:                              ;   in Loop: Header=BB53_22 Depth=1
	s_or_b32 exec_lo, exec_lo, s9
	s_delay_alu instid0(VALU_DEP_2) | instskip(SKIP_2) | instid1(SALU_CYCLE_1)
	v_add_nc_u32_e32 v1, s5, v1
	v_add_nc_u32_e32 v4, 0x100, v4
	s_add_i32 s11, s11, -1
	s_cmp_lg_u32 s11, 0
	s_cbranch_scc0 .LBB53_25
.LBB53_22:                              ; =>This Inner Loop Header: Depth=1
	s_mov_b32 s9, exec_lo
	v_cmpx_gt_u32_e64 s8, v4
	s_cbranch_execz .LBB53_21
; %bb.23:                               ;   in Loop: Header=BB53_22 Depth=1
	s_delay_alu instid0(VALU_DEP_2) | instskip(NEXT) | instid1(VALU_DEP_1)
	v_lshlrev_b64 v[6:7], 1, v[1:2]
	v_add_co_u32 v6, s0, s2, v6
	s_delay_alu instid0(VALU_DEP_1) | instskip(SKIP_3) | instid1(VALU_DEP_1)
	v_add_co_ci_u32_e64 v7, s0, s4, v7, s0
	global_load_i16 v6, v[6:7], off
	s_waitcnt vmcnt(0)
	v_add_nc_u32_e32 v6, 0x8000, v6
	v_xor_b32_e32 v7, s1, v6
	s_delay_alu instid0(VALU_DEP_1) | instskip(NEXT) | instid1(VALU_DEP_1)
	v_and_b32_e32 v7, s3, v7
	v_cmp_eq_u32_e64 s0, 0, v7
	s_delay_alu instid0(VALU_DEP_1)
	s_and_b32 exec_lo, exec_lo, s0
	s_cbranch_execz .LBB53_21
; %bb.24:                               ;   in Loop: Header=BB53_22 Depth=1
	v_bfe_u32 v6, v6, s10, 8
	s_delay_alu instid0(VALU_DEP_1)
	v_lshlrev_b32_e32 v6, 2, v6
	ds_add_u32 v6, v5
	s_branch .LBB53_21
.LBB53_25:
	s_set_inst_prefetch_distance 0x2
	v_mov_b32_e32 v1, 0
	s_waitcnt lgkmcnt(0)
	s_barrier
	buffer_gl0_inv
	s_and_saveexec_b32 s0, vcc_lo
	s_cbranch_execz .LBB53_27
; %bb.26:
	ds_load_b32 v1, v3
.LBB53_27:
	s_or_b32 exec_lo, exec_lo, s0
	s_and_saveexec_b32 s0, vcc_lo
	s_cbranch_execz .LBB53_29
; %bb.28:
	v_lshl_or_b32 v2, s16, 8, v0
	v_mov_b32_e32 v3, 0
	s_delay_alu instid0(VALU_DEP_1) | instskip(NEXT) | instid1(VALU_DEP_1)
	v_lshlrev_b64 v[2:3], 1, v[2:3]
	v_add_co_u32 v2, vcc_lo, s6, v2
	s_delay_alu instid0(VALU_DEP_2)
	v_add_co_ci_u32_e32 v3, vcc_lo, s7, v3, vcc_lo
	s_waitcnt lgkmcnt(0)
	global_store_b16 v[2:3], v1, off
.LBB53_29:
	s_nop 0
	s_sendmsg sendmsg(MSG_DEALLOC_VGPRS)
	s_endpgm
	.section	.rodata,"a",@progbits
	.p2align	6, 0x0
	.amdhsa_kernel _ZN2at6native6mbtopk23computeBlockDigitCountsIsjjLi1EEEvNS_4cuda6detail10TensorInfoIKT_T0_EEjPjjS8_iijT1_PSB_Ps
		.amdhsa_group_segment_fixed_size 1024
		.amdhsa_private_segment_fixed_size 0
		.amdhsa_kernarg_size 528
		.amdhsa_user_sgpr_count 13
		.amdhsa_user_sgpr_dispatch_ptr 0
		.amdhsa_user_sgpr_queue_ptr 0
		.amdhsa_user_sgpr_kernarg_segment_ptr 1
		.amdhsa_user_sgpr_dispatch_id 0
		.amdhsa_user_sgpr_private_segment_size 0
		.amdhsa_wavefront_size32 1
		.amdhsa_uses_dynamic_stack 0
		.amdhsa_enable_private_segment 0
		.amdhsa_system_sgpr_workgroup_id_x 1
		.amdhsa_system_sgpr_workgroup_id_y 1
		.amdhsa_system_sgpr_workgroup_id_z 1
		.amdhsa_system_sgpr_workgroup_info 0
		.amdhsa_system_vgpr_workitem_id 0
		.amdhsa_next_free_vgpr 12
		.amdhsa_next_free_sgpr 20
		.amdhsa_reserve_vcc 1
		.amdhsa_float_round_mode_32 0
		.amdhsa_float_round_mode_16_64 0
		.amdhsa_float_denorm_mode_32 3
		.amdhsa_float_denorm_mode_16_64 3
		.amdhsa_dx10_clamp 1
		.amdhsa_ieee_mode 1
		.amdhsa_fp16_overflow 0
		.amdhsa_workgroup_processor_mode 1
		.amdhsa_memory_ordered 1
		.amdhsa_forward_progress 0
		.amdhsa_shared_vgpr_count 0
		.amdhsa_exception_fp_ieee_invalid_op 0
		.amdhsa_exception_fp_denorm_src 0
		.amdhsa_exception_fp_ieee_div_zero 0
		.amdhsa_exception_fp_ieee_overflow 0
		.amdhsa_exception_fp_ieee_underflow 0
		.amdhsa_exception_fp_ieee_inexact 0
		.amdhsa_exception_int_div_zero 0
	.end_amdhsa_kernel
	.section	.text._ZN2at6native6mbtopk23computeBlockDigitCountsIsjjLi1EEEvNS_4cuda6detail10TensorInfoIKT_T0_EEjPjjS8_iijT1_PSB_Ps,"axG",@progbits,_ZN2at6native6mbtopk23computeBlockDigitCountsIsjjLi1EEEvNS_4cuda6detail10TensorInfoIKT_T0_EEjPjjS8_iijT1_PSB_Ps,comdat
.Lfunc_end53:
	.size	_ZN2at6native6mbtopk23computeBlockDigitCountsIsjjLi1EEEvNS_4cuda6detail10TensorInfoIKT_T0_EEjPjjS8_iijT1_PSB_Ps, .Lfunc_end53-_ZN2at6native6mbtopk23computeBlockDigitCountsIsjjLi1EEEvNS_4cuda6detail10TensorInfoIKT_T0_EEjPjjS8_iijT1_PSB_Ps
                                        ; -- End function
	.section	.AMDGPU.csdata,"",@progbits
; Kernel info:
; codeLenInByte = 1436
; NumSgprs: 22
; NumVgprs: 12
; ScratchSize: 0
; MemoryBound: 0
; FloatMode: 240
; IeeeMode: 1
; LDSByteSize: 1024 bytes/workgroup (compile time only)
; SGPRBlocks: 2
; VGPRBlocks: 1
; NumSGPRsForWavesPerEU: 22
; NumVGPRsForWavesPerEU: 12
; Occupancy: 16
; WaveLimiterHint : 1
; COMPUTE_PGM_RSRC2:SCRATCH_EN: 0
; COMPUTE_PGM_RSRC2:USER_SGPR: 13
; COMPUTE_PGM_RSRC2:TRAP_HANDLER: 0
; COMPUTE_PGM_RSRC2:TGID_X_EN: 1
; COMPUTE_PGM_RSRC2:TGID_Y_EN: 1
; COMPUTE_PGM_RSRC2:TGID_Z_EN: 1
; COMPUTE_PGM_RSRC2:TIDIG_COMP_CNT: 0
	.section	.text._ZN2at6native6mbtopk29computeBlockwiseWithinKCountsIjsEEvPT_PsPjjibS6_PT0_S6_S4_S6_j,"axG",@progbits,_ZN2at6native6mbtopk29computeBlockwiseWithinKCountsIjsEEvPT_PsPjjibS6_PT0_S6_S4_S6_j,comdat
	.protected	_ZN2at6native6mbtopk29computeBlockwiseWithinKCountsIjsEEvPT_PsPjjibS6_PT0_S6_S4_S6_j ; -- Begin function _ZN2at6native6mbtopk29computeBlockwiseWithinKCountsIjsEEvPT_PsPjjibS6_PT0_S6_S4_S6_j
	.globl	_ZN2at6native6mbtopk29computeBlockwiseWithinKCountsIjsEEvPT_PsPjjibS6_PT0_S6_S4_S6_j
	.p2align	8
	.type	_ZN2at6native6mbtopk29computeBlockwiseWithinKCountsIjsEEvPT_PsPjjibS6_PT0_S6_S4_S6_j,@function
_ZN2at6native6mbtopk29computeBlockwiseWithinKCountsIjsEEvPT_PsPjjibS6_PT0_S6_S4_S6_j: ; @_ZN2at6native6mbtopk29computeBlockwiseWithinKCountsIjsEEvPT_PsPjjibS6_PT0_S6_S4_S6_j
; %bb.0:
	s_clause 0x2
	s_load_b128 s[16:19], s[0:1], 0x18
	s_load_b64 s[2:3], s[0:1], 0x58
	s_load_b32 s4, s[0:1], 0x50
	s_waitcnt lgkmcnt(0)
	v_cvt_f32_u32_e32 v1, s16
	s_mul_i32 s3, s3, s15
	s_delay_alu instid0(SALU_CYCLE_1) | instskip(NEXT) | instid1(VALU_DEP_1)
	s_add_i32 s3, s3, s14
	v_rcp_iflag_f32_e32 v1, v1
	s_mul_i32 s2, s3, s2
	s_delay_alu instid0(SALU_CYCLE_1) | instskip(NEXT) | instid1(SALU_CYCLE_1)
	s_add_i32 s20, s2, s13
	s_cmp_ge_u32 s20, s4
	s_waitcnt_depctr 0xfff
	v_mul_f32_e32 v1, 0x4f7ffffe, v1
	s_delay_alu instid0(VALU_DEP_1) | instskip(NEXT) | instid1(VALU_DEP_1)
	v_cvt_u32_f32_e32 v1, v1
	v_readfirstlane_b32 s2, v1
	s_cbranch_scc1 .LBB54_40
; %bb.1:
	s_sub_i32 s3, 0, s16
	s_mov_b32 s21, 0
	s_delay_alu instid0(VALU_DEP_1)
	s_mul_i32 s3, s3, s2
	s_mov_b32 s27, s21
	s_mul_hi_u32 s3, s2, s3
	v_cmp_gt_u32_e32 vcc_lo, 0x100, v0
	s_add_i32 s4, s2, s3
	s_clause 0x1
	s_load_b64 s[2:3], s[0:1], 0x10
	s_load_b128 s[12:15], s[0:1], 0x0
	s_mul_hi_u32 s4, s20, s4
	s_delay_alu instid0(SALU_CYCLE_1) | instskip(SKIP_2) | instid1(SALU_CYCLE_1)
	s_mul_i32 s5, s4, s16
	s_add_i32 s6, s4, 1
	s_sub_i32 s5, s20, s5
	s_sub_i32 s7, s5, s16
	s_cmp_ge_u32 s5, s16
	s_cselect_b32 s4, s6, s4
	s_cselect_b32 s5, s7, s5
	s_add_i32 s6, s4, 1
	s_cmp_ge_u32 s5, s16
	s_cselect_b32 s26, s6, s4
	s_delay_alu instid0(SALU_CYCLE_1)
	s_lshl_b64 s[22:23], s[26:27], 2
	s_waitcnt lgkmcnt(0)
	s_add_u32 s4, s2, s22
	s_addc_u32 s5, s3, s23
	s_and_saveexec_b32 s3, vcc_lo
	s_cbranch_execz .LBB54_8
; %bb.2:
	s_mul_i32 s2, s26, s16
	s_mov_b32 s7, s21
	s_lshl_b32 s6, s2, 8
	v_lshlrev_b32_e32 v1, 1, v0
	s_lshl_b64 s[6:7], s[6:7], 1
	v_mov_b32_e32 v3, 0
	s_add_u32 s2, s14, s6
	s_addc_u32 s6, s15, s7
	v_add_co_u32 v1, s2, s2, v1
	s_delay_alu instid0(VALU_DEP_1)
	v_add_co_ci_u32_e64 v2, null, s6, 0, s2
	s_cmp_lt_u32 s16, 4
	s_cbranch_scc1 .LBB54_41
; %bb.3:
	v_mov_b32_e32 v3, 0
	s_mov_b32 s6, 0
	.p2align	6
.LBB54_4:                               ; =>This Inner Loop Header: Depth=1
	s_clause 0x3
	global_load_i16 v4, v[1:2], off
	global_load_i16 v5, v[1:2], off offset:512
	global_load_i16 v6, v[1:2], off offset:1024
	;; [unrolled: 1-line block ×3, first 2 shown]
	v_add_co_u32 v1, s2, 0x800, v1
	s_delay_alu instid0(VALU_DEP_1)
	v_add_co_ci_u32_e64 v2, s2, 0, v2, s2
	s_add_i32 s2, s6, 7
	s_add_i32 s6, s6, 4
	s_cmp_ge_u32 s2, s16
	s_waitcnt vmcnt(2)
	v_add3_u32 v3, v3, v4, v5
	s_waitcnt vmcnt(0)
	s_delay_alu instid0(VALU_DEP_1)
	v_add3_u32 v3, v3, v6, v7
	s_cbranch_scc0 .LBB54_4
; %bb.5:
	s_cmp_ge_u32 s6, s16
	s_cbranch_scc1 .LBB54_7
.LBB54_6:                               ; =>This Inner Loop Header: Depth=1
	global_load_i16 v4, v[1:2], off
	v_add_co_u32 v1, s2, 0x200, v1
	s_delay_alu instid0(VALU_DEP_1) | instskip(SKIP_1) | instid1(SALU_CYCLE_1)
	v_add_co_ci_u32_e64 v2, s2, 0, v2, s2
	s_add_i32 s6, s6, 1
	s_cmp_lt_u32 s6, s16
	s_waitcnt vmcnt(0)
	v_add_nc_u32_e32 v3, v3, v4
	s_cbranch_scc1 .LBB54_6
.LBB54_7:
	v_lshlrev_b32_e32 v1, 2, v0
	ds_store_b32 v1, v3 offset:1056
.LBB54_8:
	s_or_b32 exec_lo, exec_lo, s3
	s_load_b32 s19, s[4:5], 0x0
	v_mov_b32_e32 v4, 0
	s_waitcnt lgkmcnt(0)
	s_barrier
	buffer_gl0_inv
	s_and_saveexec_b32 s2, vcc_lo
	s_cbranch_execz .LBB54_10
; %bb.9:
	v_lshlrev_b32_e32 v1, 2, v0
	ds_load_b32 v4, v1 offset:1056
.LBB54_10:
	s_or_b32 exec_lo, exec_lo, s2
	v_lshrrev_b32_e32 v2, 5, v0
	v_cmp_gt_u32_e64 s2, 32, v0
	v_mbcnt_lo_u32_b32 v1, -1, 0
	s_delay_alu instid0(VALU_DEP_3)
	v_add_lshl_u32 v3, v2, v0, 2
	s_waitcnt lgkmcnt(0)
	ds_store_b32 v3, v4
	s_waitcnt lgkmcnt(0)
	s_barrier
	buffer_gl0_inv
	s_and_saveexec_b32 s4, s2
	s_cbranch_execz .LBB54_12
; %bb.11:
	v_and_b32_e32 v5, 0xfc, v0
	s_delay_alu instid0(VALU_DEP_1)
	v_lshl_or_b32 v13, v0, 5, v5
	ds_load_2addr_b32 v[5:6], v13 offset1:1
	ds_load_2addr_b32 v[7:8], v13 offset0:2 offset1:3
	ds_load_2addr_b32 v[9:10], v13 offset0:4 offset1:5
	;; [unrolled: 1-line block ×3, first 2 shown]
	; wave barrier
	s_waitcnt lgkmcnt(3)
	v_add_nc_u32_e32 v6, v6, v5
	s_waitcnt lgkmcnt(2)
	s_delay_alu instid0(VALU_DEP_1) | instskip(SKIP_2) | instid1(VALU_DEP_2)
	v_add3_u32 v6, v6, v7, v8
	v_and_b32_e32 v7, 15, v1
	s_waitcnt lgkmcnt(1)
	v_add3_u32 v6, v6, v9, v10
	s_delay_alu instid0(VALU_DEP_2) | instskip(SKIP_2) | instid1(VALU_DEP_3)
	v_cmp_ne_u32_e64 s3, 0, v7
	v_bfe_i32 v9, v1, 4, 1
	s_waitcnt lgkmcnt(0)
	v_add3_u32 v6, v6, v11, v12
	s_delay_alu instid0(VALU_DEP_1) | instskip(NEXT) | instid1(VALU_DEP_1)
	v_mov_b32_dpp v8, v6 row_shr:1 row_mask:0xf bank_mask:0xf
	v_cndmask_b32_e64 v8, 0, v8, s3
	v_cmp_lt_u32_e64 s3, 1, v7
	s_delay_alu instid0(VALU_DEP_2) | instskip(NEXT) | instid1(VALU_DEP_1)
	v_add_nc_u32_e32 v6, v8, v6
	v_mov_b32_dpp v8, v6 row_shr:2 row_mask:0xf bank_mask:0xf
	s_delay_alu instid0(VALU_DEP_1) | instskip(SKIP_1) | instid1(VALU_DEP_2)
	v_cndmask_b32_e64 v8, 0, v8, s3
	v_cmp_lt_u32_e64 s3, 3, v7
	v_add_nc_u32_e32 v6, v6, v8
	s_delay_alu instid0(VALU_DEP_1) | instskip(NEXT) | instid1(VALU_DEP_1)
	v_mov_b32_dpp v8, v6 row_shr:4 row_mask:0xf bank_mask:0xf
	v_cndmask_b32_e64 v8, 0, v8, s3
	v_cmp_lt_u32_e64 s3, 7, v7
	s_delay_alu instid0(VALU_DEP_2) | instskip(NEXT) | instid1(VALU_DEP_1)
	v_add_nc_u32_e32 v6, v6, v8
	v_mov_b32_dpp v8, v6 row_shr:8 row_mask:0xf bank_mask:0xf
	s_delay_alu instid0(VALU_DEP_1) | instskip(SKIP_1) | instid1(VALU_DEP_2)
	v_cndmask_b32_e64 v7, 0, v8, s3
	v_add_nc_u32_e32 v8, -1, v1
	v_add_nc_u32_e32 v6, v6, v7
	s_delay_alu instid0(VALU_DEP_2) | instskip(SKIP_3) | instid1(VALU_DEP_2)
	v_cmp_gt_i32_e64 s3, 0, v8
	ds_swizzle_b32 v7, v6 offset:swizzle(BROADCAST,32,15)
	v_cndmask_b32_e64 v8, v8, v1, s3
	v_cmp_eq_u32_e64 s3, 0, v0
	v_lshlrev_b32_e32 v8, 2, v8
	s_waitcnt lgkmcnt(0)
	v_and_b32_e32 v7, v9, v7
	s_delay_alu instid0(VALU_DEP_1) | instskip(SKIP_3) | instid1(VALU_DEP_1)
	v_add_nc_u32_e32 v6, v6, v7
	ds_bpermute_b32 v6, v8, v6
	s_waitcnt lgkmcnt(0)
	v_add_nc_u32_e32 v5, v6, v5
	v_cndmask_b32_e64 v10, v5, v4, s3
	ds_store_b32 v13, v10
	; wave barrier
	ds_load_2addr_b32 v[4:5], v13 offset0:1 offset1:2
	ds_load_2addr_b32 v[6:7], v13 offset0:3 offset1:4
	;; [unrolled: 1-line block ×3, first 2 shown]
	ds_load_b32 v11, v13 offset:28
	s_waitcnt lgkmcnt(3)
	v_add_nc_u32_e32 v4, v4, v10
	s_delay_alu instid0(VALU_DEP_1) | instskip(SKIP_1) | instid1(VALU_DEP_1)
	v_add_nc_u32_e32 v5, v5, v4
	s_waitcnt lgkmcnt(2)
	v_add_nc_u32_e32 v6, v6, v5
	s_delay_alu instid0(VALU_DEP_1) | instskip(SKIP_1) | instid1(VALU_DEP_1)
	v_add_nc_u32_e32 v7, v7, v6
	;; [unrolled: 4-line block ×3, first 2 shown]
	s_waitcnt lgkmcnt(0)
	v_add_nc_u32_e32 v10, v11, v9
	ds_store_2addr_b32 v13, v4, v5 offset0:1 offset1:2
	ds_store_2addr_b32 v13, v6, v7 offset0:3 offset1:4
	;; [unrolled: 1-line block ×3, first 2 shown]
	ds_store_b32 v13, v10 offset:28
.LBB54_12:
	s_or_b32 exec_lo, exec_lo, s4
	s_waitcnt lgkmcnt(0)
	s_barrier
	buffer_gl0_inv
	ds_load_b32 v4, v3
	s_waitcnt lgkmcnt(0)
	s_barrier
	buffer_gl0_inv
	s_and_saveexec_b32 s3, vcc_lo
	s_cbranch_execz .LBB54_14
; %bb.13:
	v_lshlrev_b32_e32 v3, 2, v0
	ds_store_b32 v3, v4 offset:1056
.LBB54_14:
	s_or_b32 exec_lo, exec_lo, s3
	s_clause 0x1
	s_load_b256 s[4:11], s[0:1], 0x28
	s_load_b64 s[24:25], s[0:1], 0x48
	s_waitcnt lgkmcnt(0)
	s_barrier
	buffer_gl0_inv
	s_and_saveexec_b32 s1, vcc_lo
	s_cbranch_execz .LBB54_23
; %bb.15:
	v_mov_b32_e32 v3, 0
	s_mov_b32 s0, exec_lo
	v_cmpx_ne_u32_e32 0, v0
	s_cbranch_execz .LBB54_17
; %bb.16:
	v_lshlrev_b32_e32 v3, 2, v0
	ds_load_b32 v3, v3 offset:1052
.LBB54_17:
	s_or_b32 exec_lo, exec_lo, s0
	s_waitcnt lgkmcnt(0)
	v_cmp_gt_u32_e32 vcc_lo, s19, v3
	v_cmp_le_u32_e64 s0, s19, v4
	s_delay_alu instid0(VALU_DEP_1) | instskip(NEXT) | instid1(SALU_CYCLE_1)
	s_and_b32 s0, vcc_lo, s0
	s_and_b32 exec_lo, exec_lo, s0
	s_cbranch_execz .LBB54_23
; %bb.18:
	s_add_u32 s12, s12, s22
	s_addc_u32 s13, s13, s23
	s_lshl_b32 s0, 0xff, s17
	s_delay_alu instid0(SALU_CYCLE_1) | instskip(SKIP_2) | instid1(SALU_CYCLE_1)
	v_not_b32_e32 v6, s0
	v_mov_b32_e32 v4, 0
	s_mul_i32 s0, s26, s16
	s_cmp_lg_u32 s20, s0
	global_load_b32 v5, v4, s[12:13]
	s_waitcnt vmcnt(0)
	v_and_b32_e32 v5, v5, v6
	s_delay_alu instid0(VALU_DEP_1)
	v_lshl_or_b32 v5, v0, s17, v5
	ds_store_b32 v4, v5 offset:2112
	s_cbranch_scc1 .LBB54_23
; %bb.19:
	s_add_u32 s10, s10, s22
	s_addc_u32 s11, s11, s23
	s_cmp_lt_i32 s17, 1
	s_mov_b32 s0, -1
	global_store_b32 v4, v5, s[10:11]
	s_cbranch_scc0 .LBB54_21
; %bb.20:
	v_xor_b32_e32 v4, 0xffff8000, v5
	s_lshl_b64 s[10:11], s[26:27], 1
	v_mov_b32_e32 v5, 0
	s_add_u32 s6, s6, s10
	s_addc_u32 s7, s7, s11
	s_mov_b32 s0, 0
	global_store_b16 v5, v4, s[6:7]
.LBB54_21:
	s_and_not1_b32 vcc_lo, exec_lo, s0
	s_cbranch_vccnz .LBB54_23
; %bb.22:
	v_sub_nc_u32_e32 v3, s19, v3
	v_mov_b32_e32 v4, 0
	s_add_u32 s6, s8, s22
	s_addc_u32 s7, s9, s23
	global_store_b32 v4, v3, s[6:7]
.LBB54_23:
	s_or_b32 exec_lo, exec_lo, s1
	v_mov_b32_e32 v3, 0
	s_waitcnt lgkmcnt(0)
	s_waitcnt_vscnt null, 0x0
	s_barrier
	buffer_gl0_inv
	s_bitcmp0_b32 s18, 0
	ds_load_b32 v3, v3 offset:2112
	s_mov_b32 s6, 0
	s_waitcnt lgkmcnt(0)
	v_lshrrev_b32_e32 v3, s17, v3
	s_delay_alu instid0(VALU_DEP_1)
	v_and_b32_e32 v3, 0xff, v3
	s_cbranch_scc0 .LBB54_25
; %bb.24:
	v_and_b32_e32 v4, 0xe0, v0
	s_delay_alu instid0(VALU_DEP_2) | instskip(NEXT) | instid1(VALU_DEP_2)
	v_cmp_lt_u32_e64 s0, v0, v3
	v_cmp_lt_u32_e32 vcc_lo, v4, v3
	s_delay_alu instid0(VALU_DEP_2)
	s_and_b32 s1, s0, exec_lo
	s_and_b32 s3, vcc_lo, exec_lo
	s_and_not1_b32 vcc_lo, exec_lo, s6
	s_cbranch_vccz .LBB54_26
	s_branch .LBB54_27
.LBB54_25:
                                        ; implicit-def: $sgpr1
                                        ; implicit-def: $sgpr3
.LBB54_26:
	v_or_b32_e32 v4, 31, v0
	s_delay_alu instid0(VALU_DEP_2) | instskip(SKIP_2) | instid1(VALU_DEP_2)
	v_cmp_gt_u32_e32 vcc_lo, v0, v3
	s_and_not1_b32 s1, s1, exec_lo
	s_and_not1_b32 s3, s3, exec_lo
	v_cmp_gt_u32_e64 s0, v4, v3
	s_and_b32 s6, vcc_lo, exec_lo
	s_delay_alu instid0(SALU_CYCLE_1) | instskip(NEXT) | instid1(VALU_DEP_1)
	s_or_b32 s1, s1, s6
	s_and_b32 s0, s0, exec_lo
	s_delay_alu instid0(SALU_CYCLE_1)
	s_or_b32 s3, s3, s0
.LBB54_27:
	v_mov_b32_e32 v3, 0
	s_and_saveexec_b32 s0, s3
	s_cbranch_execz .LBB54_31
; %bb.28:
	v_mov_b32_e32 v3, 0
	s_and_saveexec_b32 s3, s1
	s_cbranch_execz .LBB54_30
; %bb.29:
	s_lshl_b32 s6, s20, 8
	s_mov_b32 s7, 0
	v_lshlrev_b32_e32 v3, 1, v0
	s_lshl_b64 s[6:7], s[6:7], 1
	s_delay_alu instid0(SALU_CYCLE_1)
	s_add_u32 s6, s14, s6
	s_addc_u32 s7, s15, s7
	global_load_i16 v3, v3, s[6:7]
.LBB54_30:
	s_or_b32 exec_lo, exec_lo, s3
	v_cmp_gt_u32_e32 vcc_lo, 16, v1
	v_cndmask_b32_e64 v4, 0, 1, vcc_lo
	v_cmp_gt_u32_e32 vcc_lo, 24, v1
	s_delay_alu instid0(VALU_DEP_2) | instskip(SKIP_2) | instid1(VALU_DEP_3)
	v_lshlrev_b32_e32 v4, 4, v4
	v_cndmask_b32_e64 v5, 0, 1, vcc_lo
	v_cmp_gt_u32_e32 vcc_lo, 28, v1
	v_add_lshl_u32 v4, v4, v1, 2
	s_delay_alu instid0(VALU_DEP_3)
	v_lshlrev_b32_e32 v5, 3, v5
	s_waitcnt vmcnt(0)
	ds_bpermute_b32 v4, v4, v3
	v_add_lshl_u32 v5, v5, v1, 2
	s_waitcnt lgkmcnt(0)
	v_add_nc_u32_e32 v3, v4, v3
	ds_bpermute_b32 v4, v5, v3
	v_cndmask_b32_e64 v5, 0, 1, vcc_lo
	v_cmp_gt_u32_e32 vcc_lo, 30, v1
	s_delay_alu instid0(VALU_DEP_2) | instskip(NEXT) | instid1(VALU_DEP_1)
	v_lshlrev_b32_e32 v5, 2, v5
	v_add_lshl_u32 v5, v5, v1, 2
	s_waitcnt lgkmcnt(0)
	v_add_nc_u32_e32 v3, v4, v3
	ds_bpermute_b32 v4, v5, v3
	v_cndmask_b32_e64 v5, 0, 1, vcc_lo
	v_cmp_ne_u32_e32 vcc_lo, 31, v1
	s_delay_alu instid0(VALU_DEP_2) | instskip(NEXT) | instid1(VALU_DEP_1)
	v_lshlrev_b32_e32 v5, 1, v5
	v_add_lshl_u32 v5, v5, v1, 2
	s_waitcnt lgkmcnt(0)
	v_add_nc_u32_e32 v3, v4, v3
	ds_bpermute_b32 v4, v5, v3
	v_add_co_ci_u32_e32 v5, vcc_lo, 0, v1, vcc_lo
	s_waitcnt lgkmcnt(0)
	v_add_nc_u32_e32 v3, v4, v3
	s_delay_alu instid0(VALU_DEP_2)
	v_lshlrev_b32_e32 v4, 2, v5
	ds_bpermute_b32 v4, v4, v3
	s_waitcnt lgkmcnt(0)
	v_add_nc_u32_e32 v3, v4, v3
.LBB54_31:
	s_or_b32 exec_lo, exec_lo, s0
	v_and_b32_e32 v4, 31, v0
	s_mov_b32 s0, exec_lo
	s_delay_alu instid0(VALU_DEP_1)
	v_cmpx_eq_u32_e32 0, v4
	s_cbranch_execz .LBB54_33
; %bb.32:
	v_lshlrev_b32_e32 v2, 2, v2
	ds_store_b32 v2, v3 offset:2080
.LBB54_33:
	s_or_b32 exec_lo, exec_lo, s0
	s_waitcnt lgkmcnt(0)
	s_barrier
	buffer_gl0_inv
	s_and_saveexec_b32 s0, s2
	s_cbranch_execz .LBB54_40
; %bb.34:
	v_mov_b32_e32 v2, 0
	s_mov_b32 s0, exec_lo
	v_cmpx_gt_u32_e32 8, v0
	s_cbranch_execz .LBB54_36
; %bb.35:
	v_lshlrev_b32_e32 v2, 2, v0
	ds_load_b32 v2, v2 offset:2080
.LBB54_36:
	s_or_b32 exec_lo, exec_lo, s0
	v_cmp_gt_u32_e32 vcc_lo, 28, v1
	s_mov_b32 s0, exec_lo
	v_cndmask_b32_e64 v3, 0, 1, vcc_lo
	v_cmp_gt_u32_e32 vcc_lo, 30, v1
	s_delay_alu instid0(VALU_DEP_2) | instskip(SKIP_2) | instid1(VALU_DEP_3)
	v_lshlrev_b32_e32 v3, 2, v3
	v_cndmask_b32_e64 v4, 0, 1, vcc_lo
	v_cmp_ne_u32_e32 vcc_lo, 31, v1
	v_add_lshl_u32 v3, v3, v1, 2
	s_delay_alu instid0(VALU_DEP_3)
	v_lshlrev_b32_e32 v4, 1, v4
	s_waitcnt lgkmcnt(0)
	ds_bpermute_b32 v3, v3, v2
	v_add_lshl_u32 v4, v4, v1, 2
	s_waitcnt lgkmcnt(0)
	v_add_nc_u32_e32 v2, v3, v2
	ds_bpermute_b32 v3, v4, v2
	v_add_co_ci_u32_e32 v4, vcc_lo, 0, v1, vcc_lo
	s_waitcnt lgkmcnt(0)
	v_add_nc_u32_e32 v1, v3, v2
	s_delay_alu instid0(VALU_DEP_2)
	v_lshlrev_b32_e32 v2, 2, v4
	ds_bpermute_b32 v2, v2, v1
	v_cmpx_eq_u32_e32 0, v0
	s_cbranch_execz .LBB54_38
; %bb.37:
	s_lshl_b64 s[2:3], s[20:21], 2
	v_mov_b32_e32 v3, 0
	s_add_u32 s2, s4, s2
	s_addc_u32 s3, s5, s3
	global_load_b32 v4, v3, s[2:3]
	s_waitcnt vmcnt(0) lgkmcnt(0)
	v_add3_u32 v1, v2, v1, v4
	global_store_b32 v3, v1, s[2:3]
.LBB54_38:
	s_or_b32 exec_lo, exec_lo, s0
	v_or_b32_e32 v0, s17, v0
	s_delay_alu instid0(VALU_DEP_1)
	v_cmp_eq_u32_e32 vcc_lo, 0, v0
	s_and_b32 exec_lo, exec_lo, vcc_lo
	s_cbranch_execz .LBB54_40
; %bb.39:
	v_mov_b32_e32 v0, 0
	s_lshl_b32 s0, s20, 8
	s_mov_b32 s1, 0
	s_delay_alu instid0(SALU_CYCLE_1)
	s_lshl_b64 s[0:1], s[0:1], 1
	ds_load_b32 v1, v0 offset:2112
	s_add_u32 s0, s14, s0
	s_addc_u32 s1, s15, s1
	s_waitcnt lgkmcnt(0)
	v_and_b32_e32 v1, 0xff, v1
	s_delay_alu instid0(VALU_DEP_1) | instskip(SKIP_2) | instid1(SALU_CYCLE_1)
	v_lshlrev_b32_e32 v1, 1, v1
	global_load_i16 v1, v1, s[0:1]
	s_lshl_b64 s[0:1], s[20:21], 2
	s_add_u32 s0, s24, s0
	s_addc_u32 s1, s25, s1
	s_waitcnt vmcnt(0)
	global_store_b32 v0, v1, s[0:1]
.LBB54_40:
	s_nop 0
	s_sendmsg sendmsg(MSG_DEALLOC_VGPRS)
	s_endpgm
.LBB54_41:
	s_mov_b32 s6, s21
	s_delay_alu instid0(SALU_CYCLE_1)
	s_cmp_ge_u32 s6, s16
	s_cbranch_scc0 .LBB54_6
	s_branch .LBB54_7
	.section	.rodata,"a",@progbits
	.p2align	6, 0x0
	.amdhsa_kernel _ZN2at6native6mbtopk29computeBlockwiseWithinKCountsIjsEEvPT_PsPjjibS6_PT0_S6_S4_S6_j
		.amdhsa_group_segment_fixed_size 2116
		.amdhsa_private_segment_fixed_size 0
		.amdhsa_kernarg_size 344
		.amdhsa_user_sgpr_count 13
		.amdhsa_user_sgpr_dispatch_ptr 0
		.amdhsa_user_sgpr_queue_ptr 0
		.amdhsa_user_sgpr_kernarg_segment_ptr 1
		.amdhsa_user_sgpr_dispatch_id 0
		.amdhsa_user_sgpr_private_segment_size 0
		.amdhsa_wavefront_size32 1
		.amdhsa_uses_dynamic_stack 0
		.amdhsa_enable_private_segment 0
		.amdhsa_system_sgpr_workgroup_id_x 1
		.amdhsa_system_sgpr_workgroup_id_y 1
		.amdhsa_system_sgpr_workgroup_id_z 1
		.amdhsa_system_sgpr_workgroup_info 0
		.amdhsa_system_vgpr_workitem_id 0
		.amdhsa_next_free_vgpr 14
		.amdhsa_next_free_sgpr 28
		.amdhsa_reserve_vcc 1
		.amdhsa_float_round_mode_32 0
		.amdhsa_float_round_mode_16_64 0
		.amdhsa_float_denorm_mode_32 3
		.amdhsa_float_denorm_mode_16_64 3
		.amdhsa_dx10_clamp 1
		.amdhsa_ieee_mode 1
		.amdhsa_fp16_overflow 0
		.amdhsa_workgroup_processor_mode 1
		.amdhsa_memory_ordered 1
		.amdhsa_forward_progress 0
		.amdhsa_shared_vgpr_count 0
		.amdhsa_exception_fp_ieee_invalid_op 0
		.amdhsa_exception_fp_denorm_src 0
		.amdhsa_exception_fp_ieee_div_zero 0
		.amdhsa_exception_fp_ieee_overflow 0
		.amdhsa_exception_fp_ieee_underflow 0
		.amdhsa_exception_fp_ieee_inexact 0
		.amdhsa_exception_int_div_zero 0
	.end_amdhsa_kernel
	.section	.text._ZN2at6native6mbtopk29computeBlockwiseWithinKCountsIjsEEvPT_PsPjjibS6_PT0_S6_S4_S6_j,"axG",@progbits,_ZN2at6native6mbtopk29computeBlockwiseWithinKCountsIjsEEvPT_PsPjjibS6_PT0_S6_S4_S6_j,comdat
.Lfunc_end54:
	.size	_ZN2at6native6mbtopk29computeBlockwiseWithinKCountsIjsEEvPT_PsPjjibS6_PT0_S6_S4_S6_j, .Lfunc_end54-_ZN2at6native6mbtopk29computeBlockwiseWithinKCountsIjsEEvPT_PsPjjibS6_PT0_S6_S4_S6_j
                                        ; -- End function
	.section	.AMDGPU.csdata,"",@progbits
; Kernel info:
; codeLenInByte = 2264
; NumSgprs: 30
; NumVgprs: 14
; ScratchSize: 0
; MemoryBound: 0
; FloatMode: 240
; IeeeMode: 1
; LDSByteSize: 2116 bytes/workgroup (compile time only)
; SGPRBlocks: 3
; VGPRBlocks: 1
; NumSGPRsForWavesPerEU: 30
; NumVGPRsForWavesPerEU: 14
; Occupancy: 16
; WaveLimiterHint : 1
; COMPUTE_PGM_RSRC2:SCRATCH_EN: 0
; COMPUTE_PGM_RSRC2:USER_SGPR: 13
; COMPUTE_PGM_RSRC2:TRAP_HANDLER: 0
; COMPUTE_PGM_RSRC2:TGID_X_EN: 1
; COMPUTE_PGM_RSRC2:TGID_Y_EN: 1
; COMPUTE_PGM_RSRC2:TGID_Z_EN: 1
; COMPUTE_PGM_RSRC2:TIDIG_COMP_CNT: 0
	.section	.text._ZN2at6native6mbtopk10gatherTopKIsjLi1EEEvNS_4cuda6detail10TensorInfoIKT_T0_EES8_S8_bjS8_NS5_IS6_S8_EES8_NS5_IlS8_EES8_jjPS6_PjSD_j,"axG",@progbits,_ZN2at6native6mbtopk10gatherTopKIsjLi1EEEvNS_4cuda6detail10TensorInfoIKT_T0_EES8_S8_bjS8_NS5_IS6_S8_EES8_NS5_IlS8_EES8_jjPS6_PjSD_j,comdat
	.protected	_ZN2at6native6mbtopk10gatherTopKIsjLi1EEEvNS_4cuda6detail10TensorInfoIKT_T0_EES8_S8_bjS8_NS5_IS6_S8_EES8_NS5_IlS8_EES8_jjPS6_PjSD_j ; -- Begin function _ZN2at6native6mbtopk10gatherTopKIsjLi1EEEvNS_4cuda6detail10TensorInfoIKT_T0_EES8_S8_bjS8_NS5_IS6_S8_EES8_NS5_IlS8_EES8_jjPS6_PjSD_j
	.globl	_ZN2at6native6mbtopk10gatherTopKIsjLi1EEEvNS_4cuda6detail10TensorInfoIKT_T0_EES8_S8_bjS8_NS5_IS6_S8_EES8_NS5_IlS8_EES8_jjPS6_PjSD_j
	.p2align	8
	.type	_ZN2at6native6mbtopk10gatherTopKIsjLi1EEEvNS_4cuda6detail10TensorInfoIKT_T0_EES8_S8_bjS8_NS5_IS6_S8_EES8_NS5_IlS8_EES8_jjPS6_PjSD_j,@function
_ZN2at6native6mbtopk10gatherTopKIsjLi1EEEvNS_4cuda6detail10TensorInfoIKT_T0_EES8_S8_bjS8_NS5_IS6_S8_EES8_NS5_IlS8_EES8_jjPS6_PjSD_j: ; @_ZN2at6native6mbtopk10gatherTopKIsjLi1EEEvNS_4cuda6detail10TensorInfoIKT_T0_EES8_S8_bjS8_NS5_IS6_S8_EES8_NS5_IlS8_EES8_jjPS6_PjSD_j
; %bb.0:
	s_clause 0x1
	s_load_b64 s[2:3], s[0:1], 0x2d8
	s_load_b32 s4, s[0:1], 0x2d0
	s_waitcnt lgkmcnt(0)
	s_mul_i32 s3, s3, s15
	s_delay_alu instid0(SALU_CYCLE_1) | instskip(NEXT) | instid1(SALU_CYCLE_1)
	s_add_i32 s3, s3, s14
	s_mul_i32 s2, s3, s2
	s_delay_alu instid0(SALU_CYCLE_1) | instskip(NEXT) | instid1(SALU_CYCLE_1)
	s_add_i32 s2, s2, s13
	s_cmp_ge_u32 s2, s4
	s_cbranch_scc1 .LBB55_40
; %bb.1:
	s_load_b256 s[4:11], s[0:1], 0x2a8
	s_mov_b32 s23, 0
	s_waitcnt lgkmcnt(0)
	v_cvt_f32_u32_e32 v1, s6
	s_sub_i32 s7, 0, s6
	s_delay_alu instid0(VALU_DEP_1) | instskip(SKIP_2) | instid1(VALU_DEP_1)
	v_rcp_iflag_f32_e32 v1, v1
	s_waitcnt_depctr 0xfff
	v_mul_f32_e32 v1, 0x4f7ffffe, v1
	v_cvt_u32_f32_e32 v1, v1
	s_delay_alu instid0(VALU_DEP_1) | instskip(SKIP_1) | instid1(VALU_DEP_2)
	v_readfirstlane_b32 s3, v1
	v_mov_b32_e32 v1, 0
	s_mul_i32 s7, s7, s3
	s_delay_alu instid0(SALU_CYCLE_1) | instskip(NEXT) | instid1(SALU_CYCLE_1)
	s_mul_hi_u32 s7, s3, s7
	s_add_i32 s3, s3, s7
	s_delay_alu instid0(SALU_CYCLE_1) | instskip(NEXT) | instid1(SALU_CYCLE_1)
	s_mul_hi_u32 s3, s2, s3
	s_mul_i32 s7, s3, s6
	s_add_i32 s12, s3, 1
	s_sub_i32 s7, s2, s7
	s_delay_alu instid0(SALU_CYCLE_1)
	s_sub_i32 s13, s7, s6
	s_cmp_ge_u32 s7, s6
	s_cselect_b32 s3, s12, s3
	s_cselect_b32 s7, s13, s7
	s_add_i32 s12, s3, 1
	s_cmp_ge_u32 s7, s6
	s_cselect_b32 s22, s12, s3
	s_delay_alu instid0(SALU_CYCLE_1)
	s_mul_i32 s12, s22, s6
	s_lshl_b64 s[14:15], s[22:23], 1
	s_sub_i32 s7, s2, s12
	s_add_u32 s2, s8, s14
	s_addc_u32 s3, s9, s15
	global_load_u16 v6, v1, s[2:3]
	s_clause 0x2
	s_load_b64 s[16:17], s[0:1], 0x1d0
	s_load_b64 s[18:19], s[0:1], 0xf0
	s_load_b64 s[20:21], s[0:1], 0x0
	v_cmp_ne_u32_e64 s2, 0, v0
	v_cmp_eq_u32_e64 s3, 0, v0
	s_delay_alu instid0(VALU_DEP_1)
	s_and_saveexec_b32 s28, s3
	s_cbranch_execz .LBB55_17
; %bb.2:
	s_load_b64 s[8:9], s[0:1], 0x2c8
	s_mov_b32 s13, s23
	s_delay_alu instid0(SALU_CYCLE_1) | instskip(NEXT) | instid1(SALU_CYCLE_1)
	s_lshl_b64 s[24:25], s[12:13], 2
	s_add_u32 s12, s10, s24
	s_addc_u32 s13, s11, s25
	s_waitcnt lgkmcnt(0)
	s_add_u32 s14, s8, s24
	s_addc_u32 s15, s9, s25
	s_cmp_lt_u32 s6, 4
	s_cbranch_scc1 .LBB55_14
; %bb.3:
	s_mov_b32 s29, s23
	s_mov_b32 s30, s23
	;; [unrolled: 1-line block ×3, first 2 shown]
.LBB55_4:                               ; =>This Inner Loop Header: Depth=1
	s_add_u32 s12, s10, s24
	s_addc_u32 s13, s11, s25
	s_add_u32 s26, s8, s24
	s_load_b128 s[12:15], s[12:13], 0x0
	s_addc_u32 s27, s9, s25
	s_cmp_ge_u32 s31, s7
	s_cbranch_scc0 .LBB55_11
; %bb.5:                                ;   in Loop: Header=BB55_4 Depth=1
	s_add_i32 s33, s31, 1
	s_delay_alu instid0(SALU_CYCLE_1)
	s_cmp_ge_u32 s33, s7
	s_cbranch_scc0 .LBB55_12
.LBB55_6:                               ;   in Loop: Header=BB55_4 Depth=1
	s_add_i32 s33, s33, 1
	s_delay_alu instid0(SALU_CYCLE_1)
	s_cmp_ge_u32 s33, s7
	s_cbranch_scc0 .LBB55_13
.LBB55_7:                               ;   in Loop: Header=BB55_4 Depth=1
	s_add_i32 s33, s33, 1
	s_delay_alu instid0(SALU_CYCLE_1)
	s_cmp_ge_u32 s33, s7
	s_cbranch_scc1 .LBB55_9
.LBB55_8:                               ;   in Loop: Header=BB55_4 Depth=1
	s_load_b32 s26, s[26:27], 0xc
	s_waitcnt lgkmcnt(0)
	s_add_i32 s23, s23, s15
	s_add_i32 s29, s26, s29
.LBB55_9:                               ;   in Loop: Header=BB55_4 Depth=1
	s_waitcnt lgkmcnt(0)
	s_add_i32 s12, s12, s30
	s_delay_alu instid0(SALU_CYCLE_1) | instskip(NEXT) | instid1(SALU_CYCLE_1)
	s_add_i32 s12, s12, s13
	s_add_i32 s12, s12, s14
	s_delay_alu instid0(SALU_CYCLE_1)
	s_add_i32 s30, s12, s15
	s_add_u32 s10, s10, 16
	s_addc_u32 s11, s11, 0
	s_add_u32 s8, s8, 16
	s_addc_u32 s9, s9, 0
	s_add_i32 s27, s33, 4
	s_add_u32 s14, s8, s24
	s_addc_u32 s15, s9, s25
	s_add_u32 s12, s10, s24
	s_addc_u32 s13, s11, s25
	s_add_i32 s26, s33, 1
	s_cmp_ge_u32 s27, s6
	s_cbranch_scc1 .LBB55_15
; %bb.10:                               ;   in Loop: Header=BB55_4 Depth=1
	s_mov_b32 s31, s26
	s_branch .LBB55_4
.LBB55_11:                              ;   in Loop: Header=BB55_4 Depth=1
	s_load_b32 s33, s[26:27], 0x0
	s_waitcnt lgkmcnt(0)
	s_add_i32 s23, s12, s23
	s_add_i32 s29, s33, s29
	;; [unrolled: 1-line block ×3, first 2 shown]
	s_delay_alu instid0(SALU_CYCLE_1)
	s_cmp_ge_u32 s33, s7
	s_cbranch_scc1 .LBB55_6
.LBB55_12:                              ;   in Loop: Header=BB55_4 Depth=1
	s_load_b32 s34, s[26:27], 0x4
	s_waitcnt lgkmcnt(0)
	s_add_i32 s23, s23, s13
	s_add_i32 s29, s34, s29
	;; [unrolled: 1-line block ×3, first 2 shown]
	s_delay_alu instid0(SALU_CYCLE_1)
	s_cmp_ge_u32 s33, s7
	s_cbranch_scc1 .LBB55_7
.LBB55_13:                              ;   in Loop: Header=BB55_4 Depth=1
	s_load_b32 s34, s[26:27], 0x8
	s_waitcnt lgkmcnt(0)
	s_add_i32 s23, s23, s14
	s_add_i32 s29, s34, s29
	;; [unrolled: 1-line block ×3, first 2 shown]
	s_delay_alu instid0(SALU_CYCLE_1)
	s_cmp_ge_u32 s33, s7
	s_cbranch_scc0 .LBB55_8
	s_branch .LBB55_9
.LBB55_14:
	s_mov_b32 s29, 0
	s_mov_b32 s30, 0
	s_mov_b32 s8, 0
	s_delay_alu instid0(SALU_CYCLE_1)
	s_cmp_ge_u32 s8, s6
	s_cbranch_scc0 .LBB55_38
	s_branch .LBB55_16
.LBB55_15:
	s_add_i32 s8, s31, 4
	s_delay_alu instid0(SALU_CYCLE_1)
	s_cmp_ge_u32 s8, s6
	s_cbranch_scc0 .LBB55_38
.LBB55_16:
	v_dual_mov_b32 v1, s29 :: v_dual_mov_b32 v2, s30
	v_dual_mov_b32 v3, s23 :: v_dual_mov_b32 v4, 0
	ds_store_b96 v4, v[1:3] offset:1056
.LBB55_17:
	s_or_b32 exec_lo, exec_lo, s28
	s_clause 0x3
	s_load_b32 s12, s[0:1], 0x23c
	s_load_b32 s13, s[0:1], 0x15c
	;; [unrolled: 1-line block ×3, first 2 shown]
	s_load_b128 s[8:11], s[0:1], 0xd8
	s_waitcnt lgkmcnt(0)
	s_mul_i32 s11, s5, s7
	s_add_i32 s7, s7, 1
	s_lshl_b32 s23, s11, 8
	s_waitcnt vmcnt(0)
	s_barrier
	buffer_gl0_inv
	s_sub_i32 s11, s8, s23
	s_delay_alu instid0(SALU_CYCLE_1) | instskip(SKIP_4) | instid1(VALU_DEP_1)
	s_add_u32 s11, s11, 0xff
	s_addc_u32 s15, 0, 0
	s_cmp_lt_u32 s7, s6
	v_alignbit_b32 v1, s15, s11, 8
	s_mov_b32 s7, 0
	v_readfirstlane_b32 s11, v1
	s_delay_alu instid0(VALU_DEP_1) | instskip(NEXT) | instid1(SALU_CYCLE_1)
	s_cselect_b32 s5, s5, s11
	s_cmp_eq_u32 s5, 0
	s_cbranch_scc1 .LBB55_40
; %bb.18:
	v_dual_mov_b32 v5, 0 :: v_dual_add_nc_u32 v12, -1, v0
	s_mul_i32 s6, s22, s14
	s_mul_i32 s14, s22, s13
	;; [unrolled: 1-line block ×3, first 2 shown]
	ds_load_b96 v[1:3], v5 offset:1056
	s_clause 0x1
	s_load_b32 s22, s[0:1], 0xe8
	s_load_b32 s11, s[0:1], 0x1c8
	v_bfe_i32 v4, v6, 0, 16
	s_lshl_b64 s[0:1], s[6:7], 1
	s_mov_b32 s15, s7
	s_add_u32 s6, s20, s0
	s_mov_b32 s25, s7
	v_lshrrev_b32_e32 v8, 5, v0
	v_lshlrev_b32_e32 v11, 3, v0
	s_addc_u32 s7, s21, s1
	s_lshl_b64 s[0:1], s[14:15], 1
	v_add_nc_u32_e32 v7, 0x8000, v4
	v_lshrrev_b32_e32 v4, 5, v12
	s_add_u32 s12, s18, s0
	s_addc_u32 s13, s19, s1
	s_lshl_b64 s[0:1], s[24:25], 3
	v_mbcnt_lo_u32_b32 v10, -1, 0
	v_add_lshl_u32 v8, v8, v0, 2
	s_add_u32 s14, s16, s0
	v_cmp_gt_u32_e64 s0, 32, v0
	s_waitcnt lgkmcnt(0)
	v_add_nc_u32_e32 v9, v1, v2
	v_lshrrev_b32_e32 v2, 2, v0
	v_add_nc_u32_e32 v1, s23, v0
	s_addc_u32 s15, s17, s1
	v_bfe_i32 v13, v10, 4, 1
	v_add_nc_u32_e32 v14, -1, v10
	v_add_lshl_u32 v0, v2, v11, 2
	v_add_lshl_u32 v11, v4, v12, 2
	v_mul_lo_u32 v4, s22, v1
	v_and_b32_e32 v12, 15, v10
	s_bitcmp1_b32 s10, 0
                                        ; implicit-def: $vgpr15
	s_cselect_b32 s1, -1, 0
	s_lshl_b32 s10, s22, 8
	s_branch .LBB55_21
.LBB55_19:                              ;   in Loop: Header=BB55_21 Depth=1
	s_or_b32 exec_lo, exec_lo, s16
	v_add_nc_u32_e32 v9, v18, v9
.LBB55_20:                              ;   in Loop: Header=BB55_21 Depth=1
	v_add_nc_u32_e32 v3, v17, v3
	v_add_nc_u32_e32 v4, s10, v4
	v_add_nc_u32_e32 v1, 0x100, v1
	s_add_i32 s5, s5, -1
	s_delay_alu instid0(SALU_CYCLE_1)
	s_cmp_lg_u32 s5, 0
	s_cbranch_scc0 .LBB55_40
.LBB55_21:                              ; =>This Inner Loop Header: Depth=1
	v_mov_b32_e32 v2, 0
	v_mov_b32_e32 v16, 0
	s_mov_b32 s16, exec_lo
	v_cmpx_gt_u32_e64 s8, v1
	s_cbranch_execz .LBB55_23
; %bb.22:                               ;   in Loop: Header=BB55_21 Depth=1
	v_lshlrev_b64 v[15:16], 1, v[4:5]
	s_delay_alu instid0(VALU_DEP_1) | instskip(NEXT) | instid1(VALU_DEP_2)
	v_add_co_u32 v15, vcc_lo, s6, v15
	v_add_co_ci_u32_e32 v16, vcc_lo, s7, v16, vcc_lo
	global_load_u16 v15, v[15:16], off
	s_waitcnt vmcnt(0)
	v_bfe_i32 v2, v15, 0, 16
	s_delay_alu instid0(VALU_DEP_1) | instskip(NEXT) | instid1(VALU_DEP_1)
	v_add_nc_u32_e32 v2, 0x8000, v2
	v_cmp_gt_u32_e32 vcc_lo, v2, v7
	v_cndmask_b32_e64 v16, 0, 1, vcc_lo
	v_cmp_lt_u32_e32 vcc_lo, v2, v7
	v_cndmask_b32_e64 v2, 0, 1, vcc_lo
	v_cmp_eq_u16_e32 vcc_lo, v15, v6
	s_delay_alu instid0(VALU_DEP_2) | instskip(SKIP_1) | instid1(VALU_DEP_2)
	v_cndmask_b32_e64 v2, v2, v16, s1
	v_cndmask_b32_e64 v16, 0, 1, vcc_lo
	v_and_b32_e32 v2, 1, v2
.LBB55_23:                              ;   in Loop: Header=BB55_21 Depth=1
	s_or_b32 exec_lo, exec_lo, s16
	ds_store_b32 v8, v2
	s_waitcnt lgkmcnt(0)
	s_waitcnt_vscnt null, 0x0
	s_barrier
	buffer_gl0_inv
	s_and_saveexec_b32 s16, s0
	s_cbranch_execz .LBB55_25
; %bb.24:                               ;   in Loop: Header=BB55_21 Depth=1
	ds_load_2addr_b32 v[17:18], v0 offset1:1
	ds_load_2addr_b32 v[19:20], v0 offset0:2 offset1:3
	ds_load_2addr_b32 v[21:22], v0 offset0:4 offset1:5
	;; [unrolled: 1-line block ×3, first 2 shown]
	v_cmp_ne_u32_e32 vcc_lo, 0, v12
	; wave barrier
	s_waitcnt lgkmcnt(3)
	v_add_nc_u32_e32 v18, v18, v17
	s_waitcnt lgkmcnt(2)
	s_delay_alu instid0(VALU_DEP_1) | instskip(SKIP_1) | instid1(VALU_DEP_1)
	v_add3_u32 v18, v18, v19, v20
	s_waitcnt lgkmcnt(1)
	v_add3_u32 v18, v18, v21, v22
	s_waitcnt lgkmcnt(0)
	s_delay_alu instid0(VALU_DEP_1) | instskip(NEXT) | instid1(VALU_DEP_1)
	v_add3_u32 v18, v18, v23, v24
	v_mov_b32_dpp v19, v18 row_shr:1 row_mask:0xf bank_mask:0xf
	s_delay_alu instid0(VALU_DEP_1) | instskip(SKIP_1) | instid1(VALU_DEP_2)
	v_cndmask_b32_e32 v19, 0, v19, vcc_lo
	v_cmp_lt_u32_e32 vcc_lo, 1, v12
	v_add_nc_u32_e32 v18, v19, v18
	s_delay_alu instid0(VALU_DEP_1) | instskip(NEXT) | instid1(VALU_DEP_1)
	v_mov_b32_dpp v19, v18 row_shr:2 row_mask:0xf bank_mask:0xf
	v_cndmask_b32_e32 v19, 0, v19, vcc_lo
	v_cmp_lt_u32_e32 vcc_lo, 3, v12
	s_delay_alu instid0(VALU_DEP_2) | instskip(NEXT) | instid1(VALU_DEP_1)
	v_add_nc_u32_e32 v18, v18, v19
	v_mov_b32_dpp v19, v18 row_shr:4 row_mask:0xf bank_mask:0xf
	s_delay_alu instid0(VALU_DEP_1) | instskip(SKIP_1) | instid1(VALU_DEP_2)
	v_cndmask_b32_e32 v19, 0, v19, vcc_lo
	v_cmp_lt_u32_e32 vcc_lo, 7, v12
	v_add_nc_u32_e32 v18, v18, v19
	s_delay_alu instid0(VALU_DEP_1) | instskip(NEXT) | instid1(VALU_DEP_1)
	v_mov_b32_dpp v19, v18 row_shr:8 row_mask:0xf bank_mask:0xf
	v_cndmask_b32_e32 v19, 0, v19, vcc_lo
	v_cmp_gt_i32_e32 vcc_lo, 0, v14
	v_cndmask_b32_e32 v20, v14, v10, vcc_lo
	s_delay_alu instid0(VALU_DEP_1) | instskip(NEXT) | instid1(VALU_DEP_4)
	v_lshlrev_b32_e32 v20, 2, v20
	v_add_nc_u32_e32 v18, v18, v19
	ds_swizzle_b32 v19, v18 offset:swizzle(BROADCAST,32,15)
	s_waitcnt lgkmcnt(0)
	v_and_b32_e32 v19, v13, v19
	s_delay_alu instid0(VALU_DEP_1) | instskip(SKIP_3) | instid1(VALU_DEP_1)
	v_add_nc_u32_e32 v18, v18, v19
	ds_bpermute_b32 v18, v20, v18
	s_waitcnt lgkmcnt(0)
	v_add_nc_u32_e32 v17, v18, v17
	v_cndmask_b32_e64 v23, v17, v2, s3
	ds_store_b32 v0, v23
	; wave barrier
	ds_load_2addr_b32 v[17:18], v0 offset0:1 offset1:2
	ds_load_2addr_b32 v[19:20], v0 offset0:3 offset1:4
	;; [unrolled: 1-line block ×3, first 2 shown]
	ds_load_b32 v24, v0 offset:28
	s_waitcnt lgkmcnt(3)
	v_add_nc_u32_e32 v17, v17, v23
	s_delay_alu instid0(VALU_DEP_1) | instskip(SKIP_1) | instid1(VALU_DEP_1)
	v_add_nc_u32_e32 v18, v18, v17
	s_waitcnt lgkmcnt(2)
	v_add_nc_u32_e32 v19, v19, v18
	s_delay_alu instid0(VALU_DEP_1) | instskip(SKIP_1) | instid1(VALU_DEP_1)
	v_add_nc_u32_e32 v20, v20, v19
	;; [unrolled: 4-line block ×3, first 2 shown]
	s_waitcnt lgkmcnt(0)
	v_add_nc_u32_e32 v23, v24, v22
	ds_store_2addr_b32 v0, v17, v18 offset0:1 offset1:2
	ds_store_2addr_b32 v0, v19, v20 offset0:3 offset1:4
	;; [unrolled: 1-line block ×3, first 2 shown]
	ds_store_b32 v0, v23 offset:28
.LBB55_25:                              ;   in Loop: Header=BB55_21 Depth=1
	s_or_b32 exec_lo, exec_lo, s16
	v_mov_b32_e32 v18, 0
	s_waitcnt lgkmcnt(0)
	s_barrier
	buffer_gl0_inv
	s_and_saveexec_b32 s16, s2
	s_cbranch_execz .LBB55_27
; %bb.26:                               ;   in Loop: Header=BB55_21 Depth=1
	ds_load_b32 v18, v11
.LBB55_27:                              ;   in Loop: Header=BB55_21 Depth=1
	s_or_b32 exec_lo, exec_lo, s16
	ds_load_b32 v17, v5 offset:1048
	s_mov_b32 s16, exec_lo
	s_waitcnt lgkmcnt(0)
	s_barrier
	buffer_gl0_inv
	v_cmpx_ne_u32_e32 0, v2
	s_cbranch_execz .LBB55_29
; %bb.28:                               ;   in Loop: Header=BB55_21 Depth=1
	v_dual_mov_b32 v19, v5 :: v_dual_add_nc_u32 v2, v18, v3
	v_mov_b32_e32 v21, v5
	s_delay_alu instid0(VALU_DEP_2) | instskip(SKIP_2) | instid1(VALU_DEP_3)
	v_mul_lo_u32 v18, v2, s11
	v_mul_lo_u32 v20, v2, s4
	v_mov_b32_e32 v2, v5
	v_lshlrev_b64 v[18:19], 1, v[18:19]
	s_delay_alu instid0(VALU_DEP_3) | instskip(NEXT) | instid1(VALU_DEP_2)
	v_lshlrev_b64 v[20:21], 3, v[20:21]
	v_add_co_u32 v18, vcc_lo, s12, v18
	s_delay_alu instid0(VALU_DEP_3) | instskip(NEXT) | instid1(VALU_DEP_3)
	v_add_co_ci_u32_e32 v19, vcc_lo, s13, v19, vcc_lo
	v_add_co_u32 v20, vcc_lo, s14, v20
	s_delay_alu instid0(VALU_DEP_4)
	v_add_co_ci_u32_e32 v21, vcc_lo, s15, v21, vcc_lo
	global_store_b16 v[18:19], v15, off
	global_store_b64 v[20:21], v[1:2], off
.LBB55_29:                              ;   in Loop: Header=BB55_21 Depth=1
	s_or_b32 exec_lo, exec_lo, s16
	v_cmp_le_u32_e32 vcc_lo, s9, v9
	s_cbranch_vccnz .LBB55_20
; %bb.30:                               ;   in Loop: Header=BB55_21 Depth=1
	ds_store_b32 v8, v16
	s_waitcnt lgkmcnt(0)
	s_waitcnt_vscnt null, 0x0
	s_barrier
	buffer_gl0_inv
	s_and_saveexec_b32 s16, s0
	s_cbranch_execz .LBB55_32
; %bb.31:                               ;   in Loop: Header=BB55_21 Depth=1
	ds_load_2addr_b32 v[18:19], v0 offset1:1
	ds_load_2addr_b32 v[20:21], v0 offset0:2 offset1:3
	ds_load_2addr_b32 v[22:23], v0 offset0:4 offset1:5
	;; [unrolled: 1-line block ×3, first 2 shown]
	v_cmp_ne_u32_e32 vcc_lo, 0, v12
	; wave barrier
	s_waitcnt lgkmcnt(3)
	v_add_nc_u32_e32 v2, v19, v18
	s_waitcnt lgkmcnt(2)
	s_delay_alu instid0(VALU_DEP_1) | instskip(SKIP_1) | instid1(VALU_DEP_1)
	v_add3_u32 v2, v2, v20, v21
	s_waitcnt lgkmcnt(1)
	v_add3_u32 v2, v2, v22, v23
	s_waitcnt lgkmcnt(0)
	s_delay_alu instid0(VALU_DEP_1) | instskip(NEXT) | instid1(VALU_DEP_1)
	v_add3_u32 v2, v2, v24, v25
	v_mov_b32_dpp v19, v2 row_shr:1 row_mask:0xf bank_mask:0xf
	s_delay_alu instid0(VALU_DEP_1) | instskip(SKIP_1) | instid1(VALU_DEP_2)
	v_cndmask_b32_e32 v19, 0, v19, vcc_lo
	v_cmp_lt_u32_e32 vcc_lo, 1, v12
	v_add_nc_u32_e32 v2, v19, v2
	s_delay_alu instid0(VALU_DEP_1) | instskip(NEXT) | instid1(VALU_DEP_1)
	v_mov_b32_dpp v19, v2 row_shr:2 row_mask:0xf bank_mask:0xf
	v_cndmask_b32_e32 v19, 0, v19, vcc_lo
	v_cmp_lt_u32_e32 vcc_lo, 3, v12
	s_delay_alu instid0(VALU_DEP_2) | instskip(NEXT) | instid1(VALU_DEP_1)
	v_add_nc_u32_e32 v2, v2, v19
	v_mov_b32_dpp v19, v2 row_shr:4 row_mask:0xf bank_mask:0xf
	s_delay_alu instid0(VALU_DEP_1) | instskip(SKIP_1) | instid1(VALU_DEP_2)
	v_cndmask_b32_e32 v19, 0, v19, vcc_lo
	v_cmp_lt_u32_e32 vcc_lo, 7, v12
	v_add_nc_u32_e32 v2, v2, v19
	s_delay_alu instid0(VALU_DEP_1) | instskip(NEXT) | instid1(VALU_DEP_1)
	v_mov_b32_dpp v19, v2 row_shr:8 row_mask:0xf bank_mask:0xf
	v_cndmask_b32_e32 v19, 0, v19, vcc_lo
	v_cmp_gt_i32_e32 vcc_lo, 0, v14
	v_cndmask_b32_e32 v20, v14, v10, vcc_lo
	s_delay_alu instid0(VALU_DEP_1) | instskip(NEXT) | instid1(VALU_DEP_4)
	v_lshlrev_b32_e32 v20, 2, v20
	v_add_nc_u32_e32 v2, v2, v19
	ds_swizzle_b32 v19, v2 offset:swizzle(BROADCAST,32,15)
	s_waitcnt lgkmcnt(0)
	v_and_b32_e32 v19, v13, v19
	s_delay_alu instid0(VALU_DEP_1) | instskip(SKIP_3) | instid1(VALU_DEP_1)
	v_add_nc_u32_e32 v2, v2, v19
	ds_bpermute_b32 v2, v20, v2
	s_waitcnt lgkmcnt(0)
	v_add_nc_u32_e32 v2, v2, v18
	v_cndmask_b32_e64 v2, v2, v16, s3
	ds_store_b32 v0, v2
	; wave barrier
	ds_load_2addr_b32 v[18:19], v0 offset0:1 offset1:2
	ds_load_2addr_b32 v[20:21], v0 offset0:3 offset1:4
	;; [unrolled: 1-line block ×3, first 2 shown]
	ds_load_b32 v24, v0 offset:28
	s_waitcnt lgkmcnt(3)
	v_add_nc_u32_e32 v2, v18, v2
	s_delay_alu instid0(VALU_DEP_1) | instskip(SKIP_1) | instid1(VALU_DEP_1)
	v_add_nc_u32_e32 v18, v19, v2
	s_waitcnt lgkmcnt(2)
	v_add_nc_u32_e32 v19, v20, v18
	s_delay_alu instid0(VALU_DEP_1) | instskip(SKIP_1) | instid1(VALU_DEP_1)
	v_add_nc_u32_e32 v20, v21, v19
	;; [unrolled: 4-line block ×3, first 2 shown]
	s_waitcnt lgkmcnt(0)
	v_add_nc_u32_e32 v23, v24, v22
	ds_store_2addr_b32 v0, v2, v18 offset0:1 offset1:2
	ds_store_2addr_b32 v0, v19, v20 offset0:3 offset1:4
	;; [unrolled: 1-line block ×3, first 2 shown]
	ds_store_b32 v0, v23 offset:28
.LBB55_32:                              ;   in Loop: Header=BB55_21 Depth=1
	s_or_b32 exec_lo, exec_lo, s16
	v_mov_b32_e32 v2, 0
	s_waitcnt lgkmcnt(0)
	s_barrier
	buffer_gl0_inv
	s_and_saveexec_b32 s16, s2
	s_cbranch_execz .LBB55_34
; %bb.33:                               ;   in Loop: Header=BB55_21 Depth=1
	ds_load_b32 v2, v11
.LBB55_34:                              ;   in Loop: Header=BB55_21 Depth=1
	s_or_b32 exec_lo, exec_lo, s16
	ds_load_b32 v18, v5 offset:1048
	s_mov_b32 s16, exec_lo
	s_waitcnt lgkmcnt(0)
	s_barrier
	buffer_gl0_inv
	v_cmpx_ne_u32_e32 0, v16
	s_cbranch_execz .LBB55_19
; %bb.35:                               ;   in Loop: Header=BB55_21 Depth=1
	v_add_nc_u32_e32 v2, v2, v9
	s_delay_alu instid0(VALU_DEP_1)
	v_cmp_gt_u32_e32 vcc_lo, s9, v2
	s_and_b32 exec_lo, exec_lo, vcc_lo
	s_cbranch_execz .LBB55_19
; %bb.36:                               ;   in Loop: Header=BB55_21 Depth=1
	v_mul_lo_u32 v19, v2, s11
	v_mov_b32_e32 v20, v5
	v_mul_lo_u32 v21, v2, s4
	v_mov_b32_e32 v22, v5
	v_mov_b32_e32 v2, v5
	s_delay_alu instid0(VALU_DEP_4) | instskip(NEXT) | instid1(VALU_DEP_3)
	v_lshlrev_b64 v[19:20], 1, v[19:20]
	v_lshlrev_b64 v[21:22], 3, v[21:22]
	s_delay_alu instid0(VALU_DEP_2) | instskip(NEXT) | instid1(VALU_DEP_3)
	v_add_co_u32 v19, vcc_lo, s12, v19
	v_add_co_ci_u32_e32 v20, vcc_lo, s13, v20, vcc_lo
	s_delay_alu instid0(VALU_DEP_3) | instskip(NEXT) | instid1(VALU_DEP_4)
	v_add_co_u32 v21, vcc_lo, s14, v21
	v_add_co_ci_u32_e32 v22, vcc_lo, s15, v22, vcc_lo
	global_store_b16 v[19:20], v15, off
	global_store_b64 v[21:22], v[1:2], off
	s_branch .LBB55_19
	.p2align	6
.LBB55_37:                              ;   in Loop: Header=BB55_38 Depth=1
	s_add_u32 s12, s12, 4
	s_addc_u32 s13, s13, 0
	s_waitcnt lgkmcnt(0)
	s_add_i32 s30, s9, s30
	s_add_u32 s14, s14, 4
	s_addc_u32 s15, s15, 0
	s_add_i32 s8, s8, 1
	s_delay_alu instid0(SALU_CYCLE_1)
	s_cmp_lt_u32 s8, s6
	s_cbranch_scc0 .LBB55_16
.LBB55_38:                              ; =>This Inner Loop Header: Depth=1
	s_load_b32 s9, s[12:13], 0x0
	s_cmp_ge_u32 s8, s7
	s_cbranch_scc1 .LBB55_37
; %bb.39:                               ;   in Loop: Header=BB55_38 Depth=1
	s_load_b32 s10, s[14:15], 0x0
	s_waitcnt lgkmcnt(0)
	s_add_i32 s23, s9, s23
	s_add_i32 s29, s10, s29
	s_branch .LBB55_37
.LBB55_40:
	s_nop 0
	s_sendmsg sendmsg(MSG_DEALLOC_VGPRS)
	s_endpgm
	.section	.rodata,"a",@progbits
	.p2align	6, 0x0
	.amdhsa_kernel _ZN2at6native6mbtopk10gatherTopKIsjLi1EEEvNS_4cuda6detail10TensorInfoIKT_T0_EES8_S8_bjS8_NS5_IS6_S8_EES8_NS5_IlS8_EES8_jjPS6_PjSD_j
		.amdhsa_group_segment_fixed_size 1068
		.amdhsa_private_segment_fixed_size 0
		.amdhsa_kernarg_size 984
		.amdhsa_user_sgpr_count 13
		.amdhsa_user_sgpr_dispatch_ptr 0
		.amdhsa_user_sgpr_queue_ptr 0
		.amdhsa_user_sgpr_kernarg_segment_ptr 1
		.amdhsa_user_sgpr_dispatch_id 0
		.amdhsa_user_sgpr_private_segment_size 0
		.amdhsa_wavefront_size32 1
		.amdhsa_uses_dynamic_stack 0
		.amdhsa_enable_private_segment 0
		.amdhsa_system_sgpr_workgroup_id_x 1
		.amdhsa_system_sgpr_workgroup_id_y 1
		.amdhsa_system_sgpr_workgroup_id_z 1
		.amdhsa_system_sgpr_workgroup_info 0
		.amdhsa_system_vgpr_workitem_id 0
		.amdhsa_next_free_vgpr 26
		.amdhsa_next_free_sgpr 35
		.amdhsa_reserve_vcc 1
		.amdhsa_float_round_mode_32 0
		.amdhsa_float_round_mode_16_64 0
		.amdhsa_float_denorm_mode_32 3
		.amdhsa_float_denorm_mode_16_64 3
		.amdhsa_dx10_clamp 1
		.amdhsa_ieee_mode 1
		.amdhsa_fp16_overflow 0
		.amdhsa_workgroup_processor_mode 1
		.amdhsa_memory_ordered 1
		.amdhsa_forward_progress 0
		.amdhsa_shared_vgpr_count 0
		.amdhsa_exception_fp_ieee_invalid_op 0
		.amdhsa_exception_fp_denorm_src 0
		.amdhsa_exception_fp_ieee_div_zero 0
		.amdhsa_exception_fp_ieee_overflow 0
		.amdhsa_exception_fp_ieee_underflow 0
		.amdhsa_exception_fp_ieee_inexact 0
		.amdhsa_exception_int_div_zero 0
	.end_amdhsa_kernel
	.section	.text._ZN2at6native6mbtopk10gatherTopKIsjLi1EEEvNS_4cuda6detail10TensorInfoIKT_T0_EES8_S8_bjS8_NS5_IS6_S8_EES8_NS5_IlS8_EES8_jjPS6_PjSD_j,"axG",@progbits,_ZN2at6native6mbtopk10gatherTopKIsjLi1EEEvNS_4cuda6detail10TensorInfoIKT_T0_EES8_S8_bjS8_NS5_IS6_S8_EES8_NS5_IlS8_EES8_jjPS6_PjSD_j,comdat
.Lfunc_end55:
	.size	_ZN2at6native6mbtopk10gatherTopKIsjLi1EEEvNS_4cuda6detail10TensorInfoIKT_T0_EES8_S8_bjS8_NS5_IS6_S8_EES8_NS5_IlS8_EES8_jjPS6_PjSD_j, .Lfunc_end55-_ZN2at6native6mbtopk10gatherTopKIsjLi1EEEvNS_4cuda6detail10TensorInfoIKT_T0_EES8_S8_bjS8_NS5_IS6_S8_EES8_NS5_IlS8_EES8_jjPS6_PjSD_j
                                        ; -- End function
	.section	.AMDGPU.csdata,"",@progbits
; Kernel info:
; codeLenInByte = 2528
; NumSgprs: 37
; NumVgprs: 26
; ScratchSize: 0
; MemoryBound: 0
; FloatMode: 240
; IeeeMode: 1
; LDSByteSize: 1068 bytes/workgroup (compile time only)
; SGPRBlocks: 4
; VGPRBlocks: 3
; NumSGPRsForWavesPerEU: 37
; NumVGPRsForWavesPerEU: 26
; Occupancy: 16
; WaveLimiterHint : 1
; COMPUTE_PGM_RSRC2:SCRATCH_EN: 0
; COMPUTE_PGM_RSRC2:USER_SGPR: 13
; COMPUTE_PGM_RSRC2:TRAP_HANDLER: 0
; COMPUTE_PGM_RSRC2:TGID_X_EN: 1
; COMPUTE_PGM_RSRC2:TGID_Y_EN: 1
; COMPUTE_PGM_RSRC2:TGID_Z_EN: 1
; COMPUTE_PGM_RSRC2:TIDIG_COMP_CNT: 0
	.section	.text._ZN2at6native6sbtopk10gatherTopKIsjLi1ELb0EEEvNS_4cuda6detail10TensorInfoIKT_T0_EES8_S8_bS8_S8_NS5_IS6_S8_EES8_NS5_IlS8_EES8_PS6_,"axG",@progbits,_ZN2at6native6sbtopk10gatherTopKIsjLi1ELb0EEEvNS_4cuda6detail10TensorInfoIKT_T0_EES8_S8_bS8_S8_NS5_IS6_S8_EES8_NS5_IlS8_EES8_PS6_,comdat
	.protected	_ZN2at6native6sbtopk10gatherTopKIsjLi1ELb0EEEvNS_4cuda6detail10TensorInfoIKT_T0_EES8_S8_bS8_S8_NS5_IS6_S8_EES8_NS5_IlS8_EES8_PS6_ ; -- Begin function _ZN2at6native6sbtopk10gatherTopKIsjLi1ELb0EEEvNS_4cuda6detail10TensorInfoIKT_T0_EES8_S8_bS8_S8_NS5_IS6_S8_EES8_NS5_IlS8_EES8_PS6_
	.globl	_ZN2at6native6sbtopk10gatherTopKIsjLi1ELb0EEEvNS_4cuda6detail10TensorInfoIKT_T0_EES8_S8_bS8_S8_NS5_IS6_S8_EES8_NS5_IlS8_EES8_PS6_
	.p2align	8
	.type	_ZN2at6native6sbtopk10gatherTopKIsjLi1ELb0EEEvNS_4cuda6detail10TensorInfoIKT_T0_EES8_S8_bS8_S8_NS5_IS6_S8_EES8_NS5_IlS8_EES8_PS6_,@function
_ZN2at6native6sbtopk10gatherTopKIsjLi1ELb0EEEvNS_4cuda6detail10TensorInfoIKT_T0_EES8_S8_bS8_S8_NS5_IS6_S8_EES8_NS5_IlS8_EES8_PS6_: ; @_ZN2at6native6sbtopk10gatherTopKIsjLi1ELb0EEEvNS_4cuda6detail10TensorInfoIKT_T0_EES8_S8_bS8_S8_NS5_IS6_S8_EES8_NS5_IlS8_EES8_PS6_
; %bb.0:
	s_clause 0x1
	s_load_b64 s[4:5], s[0:1], 0x2b8
	s_load_b128 s[36:39], s[0:1], 0xd8
	s_add_u32 s6, s0, 0x2b8
	s_addc_u32 s7, s1, 0
	s_waitcnt lgkmcnt(0)
	s_mul_i32 s2, s5, s15
	s_delay_alu instid0(SALU_CYCLE_1) | instskip(NEXT) | instid1(SALU_CYCLE_1)
	s_add_i32 s2, s2, s14
	s_mul_i32 s45, s2, s4
	s_delay_alu instid0(SALU_CYCLE_1) | instskip(NEXT) | instid1(SALU_CYCLE_1)
	s_add_i32 s45, s45, s13
	s_cmp_ge_u32 s45, s39
	s_cbranch_scc1 .LBB56_463
; %bb.1:
	s_clause 0x4
	s_load_b64 s[34:35], s[0:1], 0x1d0
	s_load_b64 s[40:41], s[0:1], 0xf0
	s_load_b32 s30, s[0:1], 0xe8
	s_load_b32 s8, s[0:1], 0x6c
	s_load_b64 s[2:3], s[0:1], 0x0
	v_cmp_eq_u32_e64 s5, 0, v0
	s_mov_b32 s43, 0
	s_delay_alu instid0(VALU_DEP_1)
	s_and_saveexec_b32 s9, s5
	s_cbranch_execz .LBB56_3
; %bb.2:
	v_dual_mov_b32 v1, 0 :: v_dual_mov_b32 v2, s36
	s_delay_alu instid0(VALU_DEP_1)
	v_mov_b32_e32 v3, v1
	ds_store_b96 v1, v[1:3] offset:4096
.LBB56_3:
	s_or_b32 exec_lo, exec_lo, s9
	s_waitcnt lgkmcnt(0)
	s_barrier
	buffer_gl0_inv
	s_load_b32 s10, s[6:7], 0xc
	s_mul_i32 s42, s8, s45
	v_mbcnt_lo_u32_b32 v15, -1, 0
	s_lshl_b64 s[8:9], s[42:43], 1
	v_cmp_gt_u32_e32 vcc_lo, 32, v0
	s_add_u32 s31, s2, s8
	s_addc_u32 s33, s3, s9
	s_bitcmp1_b32 s38, 0
	v_cmp_gt_i32_e64 s2, 4, v15
	s_cselect_b32 s3, -1, 0
	v_mul_lo_u32 v7, v0, s30
	s_xor_b32 s48, s3, -1
	s_clause 0x1
	s_load_b32 s46, s[0:1], 0x23c
	s_load_b32 s47, s[0:1], 0x15c
	s_and_b32 s49, vcc_lo, s2
	v_lshlrev_b32_e32 v24, 3, v0
	v_lshl_or_b32 v25, v15, 2, 0xc00
	v_mov_b32_e32 v26, 0
	s_mov_b32 s71, 14
	v_lshlrev_b32_e32 v22, 2, v7
	s_mov_b32 s66, 0
	s_waitcnt lgkmcnt(0)
	s_and_b32 s42, s10, 0xffff
	s_bfe_u32 s2, s10, 0xb0005
	s_lshl_b32 s50, s42, 2
	s_cmpk_gt_u32 s36, 0x600
	v_cvt_f32_u32_e32 v1, s50
	s_cselect_b32 s51, -1, 0
	s_cmp_gt_u32 s42, 31
	v_cvt_f32_u32_e32 v2, s42
	s_cselect_b32 s52, -1, 0
	v_rcp_iflag_f32_e32 v1, v1
	s_add_i32 s53, s42, -1
	v_lshlrev_b32_e32 v16, 2, v0
	s_add_i32 s9, s53, s36
	s_cmp_lt_u32 s13, s4
	v_rcp_iflag_f32_e32 v2, v2
	s_cselect_b32 s4, 12, 18
	v_mov_b32_e32 v9, 0
	s_add_u32 s38, s6, s4
	s_addc_u32 s39, s7, 0
	s_waitcnt_depctr 0xfff
	v_mul_f32_e32 v1, 0x4f7ffffe, v1
	s_add_i32 s4, s2, -1
	s_bfe_u32 s54, s42, 0x30005
	s_cmp_gt_u32 s4, 6
	v_mad_u64_u32 v[12:13], null, s30, v16, s[30:31]
	v_mul_f32_e32 v2, 0x4f7ffffe, v2
	v_cvt_u32_f32_e32 v1, v1
	s_cselect_b32 s55, -1, 0
	s_and_b32 s56, s2, 0x7f8
	s_cmp_lg_u32 s54, 0
	v_cvt_u32_f32_e32 v2, v2
	v_readfirstlane_b32 s2, v1
	s_cselect_b32 s57, -1, 0
	s_sub_i32 s6, 0, s50
	v_lshrrev_b32_e32 v1, 3, v0
	v_dual_mov_b32 v8, v9 :: v_dual_lshlrev_b32 v17, 1, v0
	s_mul_i32 s6, s6, s2
	v_cmp_gt_u32_e64 s4, s36, v0
	s_mul_hi_u32 s7, s2, s6
	v_dual_mov_b32 v29, s37 :: v_dual_and_b32 v18, 0x7c, v1
	s_add_i32 s58, s2, s7
	v_cmp_gt_u32_e64 s6, 2, v0
	s_mul_hi_u32 s2, s36, s58
	v_dual_mov_b32 v28, 0 :: v_dual_add_nc_u32 v19, 0xc00, v17
	s_mul_i32 s7, s2, s50
	v_cmp_eq_u32_e64 s2, 0, v15
	s_sub_i32 s7, s36, s7
	s_mul_i32 s44, s30, s42
	s_sub_i32 s8, s7, s50
	s_cmp_ge_u32 s7, s50
                                        ; implicit-def: $sgpr65
                                        ; implicit-def: $sgpr69
                                        ; implicit-def: $sgpr68
                                        ; implicit-def: $sgpr70
                                        ; implicit-def: $sgpr67
                                        ; implicit-def: $sgpr72
                                        ; implicit-def: $sgpr74
                                        ; implicit-def: $sgpr73
                                        ; implicit-def: $sgpr75
                                        ; implicit-def: $sgpr76
	v_mov_b32_e32 v27, 0
	s_cselect_b32 s7, s8, s7
	v_readfirstlane_b32 s8, v2
	s_sub_i32 s10, s7, s50
	s_cmp_ge_u32 s7, s50
	v_lshlrev_b64 v[1:2], v15, -1
	s_cselect_b32 s10, s10, s7
	v_lshlrev_b64 v[2:3], 1, v[7:8]
	s_sub_i32 s59, s36, s10
	s_sub_i32 s7, 0, s42
	v_add_nc_u32_e32 v20, s59, v0
	s_mul_i32 s7, s7, s8
	v_not_b32_e32 v14, v1
	s_mul_hi_u32 s7, s8, s7
	v_add_co_u32 v5, vcc_lo, s31, v2
	v_mul_lo_u32 v8, v20, s30
	s_add_i32 s60, s8, s7
	v_add_co_ci_u32_e32 v6, vcc_lo, s33, v3, vcc_lo
	s_mul_hi_u32 s7, s9, s60
	v_or_b32_e32 v3, 3, v16
	s_mul_i32 s7, s7, s42
	s_delay_alu instid0(VALU_DEP_3) | instskip(SKIP_1) | instid1(VALU_DEP_2)
	v_lshlrev_b64 v[1:2], 1, v[8:9]
	s_sub_i32 s7, s9, s7
	v_mul_lo_u32 v21, s30, v3
	s_sub_i32 s8, s7, s42
	s_cmp_ge_u32 s7, s42
	s_delay_alu instid0(VALU_DEP_2) | instskip(SKIP_4) | instid1(VALU_DEP_3)
	v_add_co_u32 v10, vcc_lo, s31, v1
	v_add3_u32 v1, s42, s36, v0
	s_cselect_b32 s8, s8, s7
	v_add_co_ci_u32_e32 v11, vcc_lo, s33, v2, vcc_lo
	v_or_b32_e32 v2, 2, v16
	v_subrev_nc_u32_e32 v1, s10, v1
	s_sub_i32 s11, s8, s42
	s_cmp_ge_u32 s8, s42
	v_cmp_gt_u32_e64 s7, s59, v16
	s_cselect_b32 s11, s11, s8
	v_mul_lo_u32 v13, s30, v2
	v_mul_lo_u32 v23, s30, v1
	s_sub_i32 s61, s9, s11
	v_cmp_gt_u32_e64 s8, s36, v20
	v_cmp_gt_u32_e64 s9, s61, v0
	s_lshl_b32 s62, s44, 2
	s_lshl_b32 s63, s42, 3
	;; [unrolled: 1-line block ×3, first 2 shown]
	s_branch .LBB56_6
.LBB56_4:                               ;   in Loop: Header=BB56_6 Depth=1
	s_or_b32 exec_lo, exec_lo, s13
	v_dual_mov_b32 v26, v2 :: v_dual_mov_b32 v27, v1
	v_dual_mov_b32 v29, v3 :: v_dual_mov_b32 v28, v30
	s_and_not1_b32 s13, s76, exec_lo
	s_and_b32 s12, s12, exec_lo
	s_and_not1_b32 s75, s75, exec_lo
	s_or_b32 s76, s13, s12
	s_and_not1_b32 s73, s73, exec_lo
	s_and_not1_b32 s74, s74, exec_lo
	;; [unrolled: 1-line block ×3, first 2 shown]
	s_or_not1_b32 s12, s11, exec_lo
.LBB56_5:                               ;   in Loop: Header=BB56_6 Depth=1
	s_or_b32 exec_lo, exec_lo, s10
	s_delay_alu instid0(SALU_CYCLE_1) | instskip(NEXT) | instid1(SALU_CYCLE_1)
	s_and_b32 s10, exec_lo, s12
	s_or_b32 s43, s10, s43
	s_and_not1_b32 s10, s67, exec_lo
	s_and_b32 s11, s76, exec_lo
	s_and_not1_b32 s12, s70, exec_lo
	s_or_b32 s67, s10, s11
	s_and_b32 s10, s75, exec_lo
	s_and_not1_b32 s11, s68, exec_lo
	s_and_b32 s13, s73, exec_lo
	s_or_b32 s70, s12, s10
	s_or_b32 s68, s11, s13
	s_and_not1_b32 s10, s69, exec_lo
	s_and_b32 s11, s74, exec_lo
	s_and_not1_b32 s12, s65, exec_lo
	s_and_b32 s13, s72, exec_lo
	s_or_b32 s69, s10, s11
	s_or_b32 s65, s12, s13
	s_and_not1_b32 exec_lo, exec_lo, s43
	s_cbranch_execz .LBB56_403
.LBB56_6:                               ; =>This Loop Header: Depth=1
                                        ;     Child Loop BB56_11 Depth 2
                                        ;     Child Loop BB56_26 Depth 2
	;; [unrolled: 1-line block ×24, first 2 shown]
	ds_load_b64 v[1:2], v9 offset:4096
	s_waitcnt lgkmcnt(0)
	v_readfirstlane_b32 s77, v1
	s_delay_alu instid0(VALU_DEP_1)
	s_cmp_lg_u32 s77, 0
	s_cbranch_scc1 .LBB56_33
; %bb.7:                                ;   in Loop: Header=BB56_6 Depth=1
	s_and_b32 vcc_lo, exec_lo, s51
	s_cbranch_vccz .LBB56_19
; %bb.8:                                ;   in Loop: Header=BB56_6 Depth=1
	v_cmp_gt_u32_e32 vcc_lo, 0x601, v2
	s_mov_b32 s77, 0
	s_mov_b32 s10, 0
	s_cbranch_vccz .LBB56_20
; %bb.9:                                ;   in Loop: Header=BB56_6 Depth=1
	global_load_u16 v1, v9, s[38:39]
	global_load_u16 v3, v[5:6], off
	v_mov_b32_e32 v4, v0
	s_mov_b32 s12, 0
	s_waitcnt vmcnt(1)
	v_add_nc_u32_e32 v2, v0, v1
	s_delay_alu instid0(VALU_DEP_1)
	v_mul_lo_u32 v8, s30, v2
	v_mul_lo_u32 v2, s30, v1
	s_branch .LBB56_11
.LBB56_10:                              ;   in Loop: Header=BB56_11 Depth=2
	s_or_b32 exec_lo, exec_lo, s11
	v_dual_mov_b32 v3, v30 :: v_dual_add_nc_u32 v8, v8, v2
	s_and_not1_b32 exec_lo, exec_lo, s12
	s_cbranch_execz .LBB56_84
.LBB56_11:                              ;   Parent Loop BB56_6 Depth=1
                                        ; =>  This Inner Loop Header: Depth=2
	s_waitcnt lgkmcnt(0)
	v_dual_mov_b32 v31, 0 :: v_dual_add_nc_u32 v4, v4, v1
	v_mov_b32_e32 v30, 0
	s_mov_b32 s11, exec_lo
	s_delay_alu instid0(VALU_DEP_2)
	v_cmp_le_u32_e32 vcc_lo, s36, v4
	v_cmpx_gt_u32_e64 s36, v4
	s_cbranch_execz .LBB56_13
; %bb.12:                               ;   in Loop: Header=BB56_11 Depth=2
	v_lshlrev_b64 v[32:33], 1, v[8:9]
	s_delay_alu instid0(VALU_DEP_1) | instskip(NEXT) | instid1(VALU_DEP_1)
	v_add_co_u32 v32, s10, s31, v32
	v_add_co_ci_u32_e64 v33, s10, s33, v33, s10
	global_load_u16 v30, v[32:33], off
.LBB56_13:                              ;   in Loop: Header=BB56_11 Depth=2
	s_or_b32 exec_lo, exec_lo, s11
	s_waitcnt vmcnt(0)
	v_bfe_i32 v32, v3, 0, 16
	s_delay_alu instid0(VALU_DEP_1) | instskip(NEXT) | instid1(VALU_DEP_1)
	v_add_nc_u32_e32 v32, 0x8000, v32
	v_and_b32_e32 v32, v32, v26
	s_delay_alu instid0(VALU_DEP_1) | instskip(NEXT) | instid1(VALU_DEP_1)
	v_cmp_eq_u32_e64 s10, v32, v27
	s_cmp_lg_u32 s10, 0
	s_cselect_b32 s11, -1, 0
	s_delay_alu instid0(SALU_CYCLE_1) | instskip(NEXT) | instid1(SALU_CYCLE_1)
	s_and_b32 s11, s2, s11
	s_and_saveexec_b32 s13, s11
	s_cbranch_execz .LBB56_17
; %bb.14:                               ;   in Loop: Header=BB56_11 Depth=2
	s_mov_b32 s16, exec_lo
	s_bcnt1_i32_b32 s14, s10
	v_mbcnt_lo_u32_b32 v31, s16, 0
	s_mov_b32 s15, exec_lo
                                        ; implicit-def: $vgpr32
	s_delay_alu instid0(VALU_DEP_1)
	v_cmpx_eq_u32_e32 0, v31
	s_cbranch_execz .LBB56_16
; %bb.15:                               ;   in Loop: Header=BB56_11 Depth=2
	s_bcnt1_i32_b32 s11, s16
	s_delay_alu instid0(SALU_CYCLE_1) | instskip(NEXT) | instid1(SALU_CYCLE_1)
	s_mul_i32 s11, s14, s11
	v_mov_b32_e32 v32, s11
	ds_add_rtn_u32 v32, v9, v32 offset:4104
.LBB56_16:                              ;   in Loop: Header=BB56_11 Depth=2
	s_or_b32 exec_lo, exec_lo, s15
	s_waitcnt lgkmcnt(0)
	v_readfirstlane_b32 s11, v32
	s_delay_alu instid0(VALU_DEP_1)
	v_mad_u32_u24 v31, s14, v31, s11
.LBB56_17:                              ;   in Loop: Header=BB56_11 Depth=2
	s_or_b32 exec_lo, exec_lo, s13
	ds_bpermute_b32 v31, v9, v31
	s_and_b32 s11, exec_lo, vcc_lo
	s_delay_alu instid0(SALU_CYCLE_1)
	s_or_b32 s12, s11, s12
	s_and_saveexec_b32 s11, s10
	s_cbranch_execz .LBB56_10
; %bb.18:                               ;   in Loop: Header=BB56_11 Depth=2
	v_and_b32_e32 v32, s10, v14
	s_delay_alu instid0(VALU_DEP_1) | instskip(NEXT) | instid1(VALU_DEP_1)
	v_bcnt_u32_b32 v32, v32, 0
	v_lshlrev_b32_e32 v32, 1, v32
	s_waitcnt lgkmcnt(0)
	s_delay_alu instid0(VALU_DEP_1)
	v_lshl_add_u32 v31, v31, 1, v32
	ds_store_b16 v31, v3
	s_branch .LBB56_10
.LBB56_19:                              ;   in Loop: Header=BB56_6 Depth=1
	s_mov_b32 s77, -1
	s_mov_b32 s10, 0
.LBB56_20:                              ;   in Loop: Header=BB56_6 Depth=1
	s_and_b32 vcc_lo, exec_lo, s77
	s_cbranch_vccz .LBB56_31
.LBB56_21:                              ;   in Loop: Header=BB56_6 Depth=1
	v_mov_b32_e32 v1, 0
	s_and_saveexec_b32 s10, s4
	s_cbranch_execz .LBB56_23
; %bb.22:                               ;   in Loop: Header=BB56_6 Depth=1
	global_load_u16 v1, v[5:6], off
.LBB56_23:                              ;   in Loop: Header=BB56_6 Depth=1
	s_or_b32 exec_lo, exec_lo, s10
	s_and_saveexec_b32 s11, s4
	s_cbranch_execz .LBB56_28
; %bb.24:                               ;   in Loop: Header=BB56_6 Depth=1
	global_load_u16 v2, v9, s[38:39]
	s_mov_b32 s12, 0
	v_dual_mov_b32 v30, v17 :: v_dual_mov_b32 v31, v0
	s_waitcnt vmcnt(0)
	v_add_nc_u32_e32 v3, v0, v2
	v_lshlrev_b32_e32 v4, 1, v2
	s_delay_alu instid0(VALU_DEP_2)
	v_mul_lo_u32 v8, s30, v3
	v_mul_lo_u32 v3, s30, v2
	s_set_inst_prefetch_distance 0x1
	s_branch .LBB56_26
	.p2align	6
.LBB56_25:                              ;   in Loop: Header=BB56_26 Depth=2
	s_or_b32 exec_lo, exec_lo, s13
	ds_store_b16 v30, v1
	s_waitcnt vmcnt(0)
	v_dual_mov_b32 v1, v32 :: v_dual_add_nc_u32 v30, v30, v4
	v_add_nc_u32_e32 v8, v8, v3
	s_and_b32 s10, exec_lo, vcc_lo
	s_delay_alu instid0(SALU_CYCLE_1) | instskip(NEXT) | instid1(SALU_CYCLE_1)
	s_or_b32 s12, s10, s12
	s_and_not1_b32 exec_lo, exec_lo, s12
	s_cbranch_execz .LBB56_28
.LBB56_26:                              ;   Parent Loop BB56_6 Depth=1
                                        ; =>  This Inner Loop Header: Depth=2
	v_dual_mov_b32 v32, 0 :: v_dual_add_nc_u32 v31, v31, v2
	s_mov_b32 s13, exec_lo
	s_delay_alu instid0(VALU_DEP_1)
	v_cmp_le_u32_e32 vcc_lo, s36, v31
	v_cmpx_gt_u32_e64 s36, v31
	s_cbranch_execz .LBB56_25
; %bb.27:                               ;   in Loop: Header=BB56_26 Depth=2
	v_lshlrev_b64 v[32:33], 1, v[8:9]
	s_delay_alu instid0(VALU_DEP_1) | instskip(NEXT) | instid1(VALU_DEP_1)
	v_add_co_u32 v32, s10, s31, v32
	v_add_co_ci_u32_e64 v33, s10, s33, v33, s10
	global_load_u16 v32, v[32:33], off
	s_branch .LBB56_25
.LBB56_28:                              ;   in Loop: Header=BB56_6 Depth=1
	s_set_inst_prefetch_distance 0x2
	s_or_b32 exec_lo, exec_lo, s11
	s_waitcnt vmcnt(0) lgkmcnt(0)
	s_barrier
	buffer_gl0_inv
	s_and_saveexec_b32 s10, s5
	s_cbranch_execz .LBB56_30
; %bb.29:                               ;   in Loop: Header=BB56_6 Depth=1
	v_mov_b32_e32 v1, s36
	ds_store_b32 v9, v1 offset:4096
.LBB56_30:                              ;   in Loop: Header=BB56_6 Depth=1
	s_or_b32 exec_lo, exec_lo, s10
	s_mov_b32 s10, -1
	s_waitcnt lgkmcnt(0)
	s_barrier
                                        ; implicit-def: $sgpr77
.LBB56_31:                              ;   in Loop: Header=BB56_6 Depth=1
	s_and_b32 vcc_lo, exec_lo, s10
	s_cbranch_vccz .LBB56_33
; %bb.32:                               ;   in Loop: Header=BB56_6 Depth=1
	buffer_gl0_inv
	ds_load_b32 v1, v9 offset:4096
	s_waitcnt lgkmcnt(0)
	v_readfirstlane_b32 s77, v1
.LBB56_33:                              ;   in Loop: Header=BB56_6 Depth=1
	s_delay_alu instid0(VALU_DEP_1)
	s_cmp_lt_i32 s77, 1
	s_cbranch_scc0 .LBB56_37
; %bb.34:                               ;   in Loop: Header=BB56_6 Depth=1
	v_dual_mov_b32 v1, 0 :: v_dual_mov_b32 v2, 0
	v_dual_mov_b32 v3, 0 :: v_dual_mov_b32 v4, 0
	s_mov_b32 s22, 0
	s_and_saveexec_b32 s21, s7
	s_cbranch_execnz .LBB56_38
; %bb.35:                               ;   in Loop: Header=BB56_6 Depth=1
	s_or_b32 exec_lo, exec_lo, s21
	v_mov_b32_e32 v31, 0
	s_and_saveexec_b32 s10, s8
	s_cbranch_execnz .LBB56_41
.LBB56_36:                              ;   in Loop: Header=BB56_6 Depth=1
	s_or_b32 exec_lo, exec_lo, s10
	s_and_saveexec_b32 s14, s8
	s_cbranch_execnz .LBB56_42
	s_branch .LBB56_47
.LBB56_37:                              ;   in Loop: Header=BB56_6 Depth=1
                                        ; implicit-def: $vgpr4
	s_cbranch_execnz .LBB56_48
	s_branch .LBB56_57
.LBB56_38:                              ;   in Loop: Header=BB56_6 Depth=1
	v_mov_b32_e32 v30, v16
	s_and_b32 s23, s71, 0xfe
	s_mov_b32 s24, 0
	s_mov_b32 s25, 0
	;; [unrolled: 1-line block ×5, first 2 shown]
.LBB56_39:                              ;   Parent Loop BB56_6 Depth=1
                                        ; =>  This Inner Loop Header: Depth=2
	v_add_nc_u32_e32 v8, s24, v22
	v_add_nc_u32_e32 v30, s50, v30
	s_delay_alu instid0(VALU_DEP_2) | instskip(SKIP_1) | instid1(VALU_DEP_1)
	v_lshlrev_b64 v[1:2], 1, v[8:9]
	v_add_nc_u32_e32 v8, s24, v12
	v_lshlrev_b64 v[3:4], 1, v[8:9]
	v_add_nc_u32_e32 v8, s24, v13
	s_delay_alu instid0(VALU_DEP_4) | instskip(SKIP_1) | instid1(VALU_DEP_3)
	v_add_co_u32 v1, vcc_lo, s31, v1
	v_add_co_ci_u32_e32 v2, vcc_lo, s33, v2, vcc_lo
	v_lshlrev_b64 v[31:32], 1, v[8:9]
	v_add_nc_u32_e32 v8, s24, v21
	s_add_i32 s24, s24, s62
	global_load_i16 v33, v[1:2], off
	v_add_co_u32 v1, vcc_lo, s31, v3
	v_add_co_ci_u32_e32 v2, vcc_lo, s33, v4, vcc_lo
	v_add_co_u32 v31, vcc_lo, s31, v31
	v_add_co_ci_u32_e32 v32, vcc_lo, s33, v32, vcc_lo
	v_lshlrev_b64 v[3:4], 1, v[8:9]
	s_clause 0x1
	global_load_i16 v8, v[1:2], off
	global_load_i16 v31, v[31:32], off
	v_add_co_u32 v1, vcc_lo, s31, v3
	v_add_co_ci_u32_e32 v2, vcc_lo, s33, v4, vcc_lo
	v_cmp_le_u32_e32 vcc_lo, s59, v30
	global_load_i16 v1, v[1:2], off
	s_waitcnt vmcnt(3)
	v_add_nc_u32_e32 v2, 0x8000, v33
	s_delay_alu instid0(VALU_DEP_1) | instskip(SKIP_3) | instid1(VALU_DEP_3)
	v_and_b32_e32 v3, v2, v26
	v_bfe_u32 v2, v2, s23, 2
	s_waitcnt vmcnt(2)
	v_add_nc_u32_e32 v4, 0x8000, v8
	v_cmp_eq_u32_e64 s10, v3, v27
	s_delay_alu instid0(VALU_DEP_3)
	v_cmp_eq_u32_e64 s11, 0, v2
	s_waitcnt vmcnt(1)
	v_add_nc_u32_e32 v8, 0x8000, v31
	v_cmp_eq_u32_e64 s12, 1, v2
	v_and_b32_e32 v3, v4, v26
	v_bfe_u32 v4, v4, s23, 2
	v_cmp_eq_u32_e64 s13, 2, v2
	s_and_b32 s11, s10, s11
	v_cmp_eq_u32_e64 s14, 3, v2
	v_cmp_eq_u32_e64 s15, v3, v27
	v_and_b32_e32 v2, v8, v26
	v_bfe_u32 v3, v8, s23, 2
	v_cmp_eq_u32_e64 s16, 0, v4
	v_cndmask_b32_e64 v8, 0, 1, s11
	v_cmp_eq_u32_e64 s11, 1, v4
	s_and_b32 s12, s10, s12
	s_and_b32 s13, s10, s13
	v_cndmask_b32_e64 v31, 0, 1, s12
	v_cmp_eq_u32_e64 s12, 2, v4
	s_waitcnt vmcnt(0)
	v_add_nc_u32_e32 v1, 0x8000, v1
	v_cndmask_b32_e64 v32, 0, 1, s13
	s_and_b32 s10, s10, s14
	s_and_b32 s16, s15, s16
	;; [unrolled: 1-line block ×3, first 2 shown]
	v_cmp_eq_u32_e64 s13, 3, v4
	v_cndmask_b32_e64 v4, 0, 1, s10
	v_cmp_eq_u32_e64 s10, v2, v27
	v_cmp_eq_u32_e64 s14, 0, v3
	v_cmp_ne_u32_e64 s17, 0, v8
	v_cndmask_b32_e64 v8, 0, 1, s16
	v_cmp_eq_u32_e64 s16, 1, v3
	v_cmp_ne_u32_e64 s18, 0, v31
	v_cndmask_b32_e64 v31, 0, 1, s11
	v_cmp_eq_u32_e64 s11, 2, v3
	s_and_b32 s12, s15, s12
	v_and_b32_e32 v2, v1, v26
	v_bfe_u32 v1, v1, s23, 2
	v_cmp_ne_u32_e64 s19, 0, v32
	v_cndmask_b32_e64 v32, 0, 1, s12
	v_cmp_eq_u32_e64 s12, 3, v3
	s_and_b32 s13, s15, s13
	s_and_b32 s14, s10, s14
	;; [unrolled: 1-line block ×4, first 2 shown]
	v_cmp_ne_u32_e64 s20, 0, v4
	v_cndmask_b32_e64 v3, 0, 1, s13
	v_cmp_eq_u32_e64 s13, v2, v27
	v_cmp_eq_u32_e64 s15, 0, v1
	s_bcnt1_i32_b32 s29, s17
	v_cmp_ne_u32_e64 s17, 0, v8
	v_cndmask_b32_e64 v2, 0, 1, s14
	v_cmp_eq_u32_e64 s14, 1, v1
	v_cndmask_b32_e64 v4, 0, 1, s16
	v_cmp_eq_u32_e64 s16, 2, v1
	;; [unrolled: 2-line block ×3, first 2 shown]
	s_and_b32 s10, s10, s12
	s_bcnt1_i32_b32 s80, s20
	v_cndmask_b32_e64 v1, 0, 1, s10
	v_cmp_ne_u32_e64 s20, 0, v3
	s_and_b32 s12, s13, s15
	s_and_b32 s14, s13, s14
	;; [unrolled: 1-line block ×4, first 2 shown]
	v_cmp_ne_u32_e64 s10, 0, v2
	v_cndmask_b32_e64 v2, 0, 1, s12
	v_cmp_ne_u32_e64 s12, 0, v4
	v_cndmask_b32_e64 v3, 0, 1, s14
	v_cndmask_b32_e64 v4, 0, 1, s15
	v_cmp_ne_u32_e64 s15, 0, v1
	v_cndmask_b32_e64 v1, 0, 1, s11
	s_bcnt1_i32_b32 s78, s18
	v_cmp_ne_u32_e64 s18, 0, v31
	s_bcnt1_i32_b32 s79, s19
	v_cmp_ne_u32_e64 s19, 0, v32
	s_add_i32 s25, s80, s25
	v_cmp_ne_u32_e64 s14, 0, v8
	s_bcnt1_i32_b32 s16, s20
	s_bcnt1_i32_b32 s20, s10
	s_add_i32 s16, s25, s16
	v_cmp_ne_u32_e64 s10, 0, v2
	s_bcnt1_i32_b32 s25, s12
	v_cmp_ne_u32_e64 s11, 0, v3
	v_cmp_ne_u32_e64 s12, 0, v4
	;; [unrolled: 1-line block ×3, first 2 shown]
	s_add_i32 s28, s29, s28
	s_add_i32 s27, s78, s27
	;; [unrolled: 1-line block ×3, first 2 shown]
	s_bcnt1_i32_b32 s17, s17
	s_bcnt1_i32_b32 s18, s18
	;; [unrolled: 1-line block ×3, first 2 shown]
	s_add_i32 s17, s28, s17
	s_add_i32 s18, s27, s18
	;; [unrolled: 1-line block ×3, first 2 shown]
	s_bcnt1_i32_b32 s14, s14
	s_bcnt1_i32_b32 s15, s15
	s_add_i32 s17, s17, s20
	s_add_i32 s18, s18, s25
	;; [unrolled: 1-line block ×4, first 2 shown]
	s_bcnt1_i32_b32 s10, s10
	s_bcnt1_i32_b32 s11, s11
	;; [unrolled: 1-line block ×4, first 2 shown]
	s_add_i32 s28, s17, s10
	s_add_i32 s27, s18, s11
	;; [unrolled: 1-line block ×4, first 2 shown]
	s_delay_alu instid0(SALU_CYCLE_1) | instskip(SKIP_2) | instid1(SALU_CYCLE_1)
	v_dual_mov_b32 v1, s28 :: v_dual_mov_b32 v4, s25
	v_dual_mov_b32 v2, s27 :: v_dual_mov_b32 v3, s26
	s_or_b32 s22, vcc_lo, s22
	s_and_not1_b32 exec_lo, exec_lo, s22
	s_cbranch_execnz .LBB56_39
; %bb.40:                               ;   in Loop: Header=BB56_6 Depth=1
	s_or_b32 exec_lo, exec_lo, s22
	s_delay_alu instid0(SALU_CYCLE_1)
	s_or_b32 exec_lo, exec_lo, s21
	v_mov_b32_e32 v31, 0
	s_and_saveexec_b32 s10, s8
	s_cbranch_execz .LBB56_36
.LBB56_41:                              ;   in Loop: Header=BB56_6 Depth=1
	global_load_u16 v31, v[10:11], off
	s_or_b32 exec_lo, exec_lo, s10
	s_and_saveexec_b32 s14, s8
	s_cbranch_execz .LBB56_47
.LBB56_42:                              ;   in Loop: Header=BB56_6 Depth=1
	v_mov_b32_e32 v8, v23
	v_mov_b32_e32 v30, v20
	s_and_b32 s16, s71, 0xfe
	s_mov_b32 s15, 0
	s_branch .LBB56_44
.LBB56_43:                              ;   in Loop: Header=BB56_44 Depth=2
	s_or_b32 exec_lo, exec_lo, s11
	s_waitcnt vmcnt(0)
	v_bfe_i32 v31, v31, 0, 16
	s_and_b32 s11, exec_lo, vcc_lo
	v_add_nc_u32_e32 v8, s44, v8
	s_or_b32 s15, s11, s15
	s_delay_alu instid0(VALU_DEP_2) | instskip(NEXT) | instid1(VALU_DEP_1)
	v_add_nc_u32_e32 v31, 0x8000, v31
	v_and_b32_e32 v33, v31, v26
	v_bfe_u32 v31, v31, s16, 2
	s_delay_alu instid0(VALU_DEP_2) | instskip(NEXT) | instid1(VALU_DEP_2)
	v_cmp_eq_u32_e32 vcc_lo, v33, v27
	v_cmp_eq_u32_e64 s10, 0, v31
	v_cmp_eq_u32_e64 s11, 1, v31
	;; [unrolled: 1-line block ×4, first 2 shown]
	s_delay_alu instid0(VALU_DEP_4) | instskip(NEXT) | instid1(SALU_CYCLE_1)
	s_and_b32 s10, vcc_lo, s10
	v_cndmask_b32_e64 v31, 0, 1, s10
	s_and_b32 s10, vcc_lo, s11
	s_delay_alu instid0(SALU_CYCLE_1) | instskip(SKIP_1) | instid1(SALU_CYCLE_1)
	v_cndmask_b32_e64 v33, 0, 1, s10
	s_and_b32 s10, vcc_lo, s12
	v_cndmask_b32_e64 v34, 0, 1, s10
	s_and_b32 s10, vcc_lo, s13
	v_cmp_ne_u32_e32 vcc_lo, 0, v31
	v_mov_b32_e32 v31, v32
	v_cndmask_b32_e64 v35, 0, 1, s10
	v_cmp_ne_u32_e64 s10, 0, v33
	v_cmp_ne_u32_e64 s11, 0, v34
	s_bcnt1_i32_b32 s13, vcc_lo
	s_delay_alu instid0(VALU_DEP_3) | instskip(NEXT) | instid1(VALU_DEP_3)
	v_cmp_ne_u32_e64 s12, 0, v35
	s_bcnt1_i32_b32 s10, s10
	s_delay_alu instid0(VALU_DEP_2)
	s_bcnt1_i32_b32 s11, s11
	v_add_nc_u32_e32 v1, s13, v1
	v_add_nc_u32_e32 v2, s10, v2
	s_bcnt1_i32_b32 s12, s12
	v_add_nc_u32_e32 v3, s11, v3
	v_add_nc_u32_e32 v4, s12, v4
	s_and_not1_b32 exec_lo, exec_lo, s15
	s_cbranch_execz .LBB56_46
.LBB56_44:                              ;   Parent Loop BB56_6 Depth=1
                                        ; =>  This Inner Loop Header: Depth=2
	s_delay_alu instid0(VALU_DEP_1) | instskip(SKIP_2) | instid1(VALU_DEP_2)
	v_add_nc_u32_e32 v30, s42, v30
	v_mov_b32_e32 v32, 0
	s_mov_b32 s11, exec_lo
	v_cmp_le_u32_e32 vcc_lo, s36, v30
	v_cmpx_gt_u32_e64 s36, v30
	s_cbranch_execz .LBB56_43
; %bb.45:                               ;   in Loop: Header=BB56_44 Depth=2
	v_lshlrev_b64 v[32:33], 1, v[8:9]
	s_delay_alu instid0(VALU_DEP_1) | instskip(NEXT) | instid1(VALU_DEP_1)
	v_add_co_u32 v32, s10, s31, v32
	v_add_co_ci_u32_e64 v33, s10, s33, v33, s10
	global_load_u16 v32, v[32:33], off
	s_branch .LBB56_43
.LBB56_46:                              ;   in Loop: Header=BB56_6 Depth=1
	s_or_b32 exec_lo, exec_lo, s15
.LBB56_47:                              ;   in Loop: Header=BB56_6 Depth=1
	s_delay_alu instid0(SALU_CYCLE_1)
	s_or_b32 exec_lo, exec_lo, s14
	s_branch .LBB56_57
.LBB56_48:                              ;   in Loop: Header=BB56_6 Depth=1
	s_mul_hi_u32 s10, s77, s58
	v_dual_mov_b32 v1, 0 :: v_dual_mov_b32 v2, 0
	s_mul_i32 s10, s10, s50
	v_dual_mov_b32 v3, 0 :: v_dual_mov_b32 v4, 0
	s_sub_i32 s10, s77, s10
	s_mov_b32 s80, 0
	s_sub_i32 s11, s10, s50
	s_cmp_ge_u32 s10, s50
	s_mov_b32 s79, exec_lo
	s_cselect_b32 s10, s11, s10
	s_delay_alu instid0(SALU_CYCLE_1) | instskip(SKIP_2) | instid1(SALU_CYCLE_1)
	s_sub_i32 s11, s10, s50
	s_cmp_ge_u32 s10, s50
	s_cselect_b32 s10, s11, s10
	s_sub_i32 s78, s77, s10
	s_delay_alu instid0(SALU_CYCLE_1)
	v_cmpx_gt_u32_e64 s78, v16
	s_cbranch_execz .LBB56_52
; %bb.49:                               ;   in Loop: Header=BB56_6 Depth=1
	v_mov_b32_e32 v8, v24
	v_mov_b32_e32 v30, v16
	s_and_b32 s81, s71, 0xfe
	s_mov_b32 s82, 0
	s_mov_b32 s83, 0
	s_mov_b32 s84, 0
	s_mov_b32 s85, 0
.LBB56_50:                              ;   Parent Loop BB56_6 Depth=1
                                        ; =>  This Inner Loop Header: Depth=2
	ds_load_b64 v[1:2], v8
	s_waitcnt lgkmcnt(0)
	v_bfe_i32 v3, v1, 0, 16
	v_ashrrev_i32_e32 v1, 16, v1
	v_bfe_i32 v4, v2, 0, 16
	v_ashrrev_i32_e32 v2, 16, v2
	s_delay_alu instid0(VALU_DEP_4) | instskip(NEXT) | instid1(VALU_DEP_4)
	v_add_nc_u32_e32 v3, 0x8000, v3
	v_add_nc_u32_e32 v1, 0x8000, v1
	s_delay_alu instid0(VALU_DEP_4) | instskip(NEXT) | instid1(VALU_DEP_4)
	v_add_nc_u32_e32 v4, 0x8000, v4
	v_add_nc_u32_e32 v2, 0x8000, v2
	s_waitcnt vmcnt(0)
	v_and_b32_e32 v31, v3, v26
	v_bfe_u32 v3, v3, s81, 2
	v_and_b32_e32 v32, v1, v26
	v_bfe_u32 v1, v1, s81, 2
	;; [unrolled: 2-line block ×3, first 2 shown]
	v_cmp_eq_u32_e64 s10, v31, v27
	v_cmp_eq_u32_e64 s14, 0, v3
	v_and_b32_e32 v34, v2, v26
	v_bfe_u32 v2, v2, s81, 2
	v_cmp_eq_u32_e64 s11, v32, v27
	v_cmp_eq_u32_e64 s15, 0, v1
	;; [unrolled: 1-line block ×4, first 2 shown]
	s_and_b32 s14, s10, s14
	v_cmp_eq_u32_e64 s13, v34, v27
	v_cmp_eq_u32_e64 s17, 0, v2
	;; [unrolled: 1-line block ×5, first 2 shown]
	v_cndmask_b32_e64 v1, 0, 1, s14
	s_and_b32 s14, s11, s15
	v_cmp_eq_u32_e64 s18, 1, v3
	v_cmp_eq_u32_e64 s21, 1, v2
	;; [unrolled: 1-line block ×4, first 2 shown]
	v_cndmask_b32_e64 v2, 0, 1, s14
	s_and_b32 s14, s12, s16
	v_cmp_eq_u32_e64 s22, 2, v3
	v_cmp_eq_u32_e64 s26, 3, v3
	v_cndmask_b32_e64 v3, 0, 1, s14
	s_and_b32 s14, s13, s17
	v_cmp_eq_u32_e64 s20, 1, v4
	v_cmp_eq_u32_e64 s24, 2, v4
	;; [unrolled: 1-line block ×3, first 2 shown]
	v_cndmask_b32_e64 v4, 0, 1, s14
	s_and_b32 s14, s10, s18
	s_delay_alu instid0(SALU_CYCLE_1) | instskip(SKIP_1) | instid1(SALU_CYCLE_1)
	v_cndmask_b32_e64 v31, 0, 1, s14
	s_and_b32 s14, s11, s19
	v_cndmask_b32_e64 v32, 0, 1, s14
	s_and_b32 s14, s12, s20
	s_delay_alu instid0(SALU_CYCLE_1) | instskip(SKIP_1) | instid1(VALU_DEP_2)
	v_cndmask_b32_e64 v33, 0, 1, s14
	s_and_b32 s14, s13, s21
	v_cmp_ne_u32_e64 s15, 0, v32
	v_cndmask_b32_e64 v34, 0, 1, s14
	s_and_b32 s14, s10, s22
	s_and_b32 s10, s10, s26
	v_cndmask_b32_e64 v35, 0, 1, s14
	v_cndmask_b32_e64 v39, 0, 1, s10
	s_and_b32 s10, s11, s27
	s_and_b32 s14, s11, s23
	v_cndmask_b32_e64 v40, 0, 1, s10
	s_and_b32 s10, s12, s28
	v_cndmask_b32_e64 v36, 0, 1, s14
	v_cndmask_b32_e64 v41, 0, 1, s10
	s_and_b32 s10, s13, s29
	s_and_b32 s14, s12, s24
	v_cndmask_b32_e64 v42, 0, 1, s10
	v_cmp_ne_u32_e64 s10, 0, v1
	v_cmp_ne_u32_e64 s11, 0, v2
	v_cndmask_b32_e64 v37, 0, 1, s14
	s_and_b32 s14, s13, s25
	v_cmp_ne_u32_e64 s12, 0, v3
	v_cndmask_b32_e64 v38, 0, 1, s14
	v_cmp_ne_u32_e64 s14, 0, v31
	v_cmp_ne_u32_e64 s18, 0, v35
	;; [unrolled: 1-line block ×3, first 2 shown]
	s_bcnt1_i32_b32 s10, s10
	v_cmp_ne_u32_e64 s13, 0, v4
	v_cmp_ne_u32_e64 s19, 0, v36
	;; [unrolled: 1-line block ×3, first 2 shown]
	s_bcnt1_i32_b32 s11, s11
	s_add_i32 s10, s10, s85
	v_cmp_ne_u32_e64 s16, 0, v33
	v_cmp_ne_u32_e64 s20, 0, v37
	;; [unrolled: 1-line block ×3, first 2 shown]
	s_bcnt1_i32_b32 s12, s12
	s_add_i32 s10, s10, s11
	s_bcnt1_i32_b32 s14, s14
	s_bcnt1_i32_b32 s18, s18
	;; [unrolled: 1-line block ×3, first 2 shown]
	v_cmp_ne_u32_e64 s17, 0, v34
	v_cmp_ne_u32_e64 s21, 0, v38
	;; [unrolled: 1-line block ×3, first 2 shown]
	s_bcnt1_i32_b32 s13, s13
	s_add_i32 s10, s10, s12
	s_bcnt1_i32_b32 s15, s15
	s_bcnt1_i32_b32 s19, s19
	;; [unrolled: 1-line block ×3, first 2 shown]
	s_add_i32 s14, s14, s84
	s_add_i32 s18, s18, s83
	;; [unrolled: 1-line block ×4, first 2 shown]
	s_delay_alu instid0(SALU_CYCLE_1)
	v_dual_mov_b32 v1, s85 :: v_dual_add_nc_u32 v30, s50, v30
	s_bcnt1_i32_b32 s16, s16
	s_bcnt1_i32_b32 s20, s20
	;; [unrolled: 1-line block ×3, first 2 shown]
	s_add_i32 s11, s14, s15
	s_add_i32 s14, s18, s19
	;; [unrolled: 1-line block ×3, first 2 shown]
	s_bcnt1_i32_b32 s17, s17
	s_bcnt1_i32_b32 s21, s21
	;; [unrolled: 1-line block ×3, first 2 shown]
	s_add_i32 s11, s11, s16
	s_add_i32 s12, s14, s20
	;; [unrolled: 1-line block ×3, first 2 shown]
	v_cmp_le_u32_e32 vcc_lo, s78, v30
	s_add_i32 s84, s11, s17
	s_add_i32 s83, s12, s21
	;; [unrolled: 1-line block ×3, first 2 shown]
	v_dual_mov_b32 v3, s83 :: v_dual_add_nc_u32 v8, s63, v8
	v_mov_b32_e32 v2, s84
	v_mov_b32_e32 v4, s82
	s_or_b32 s80, vcc_lo, s80
	s_delay_alu instid0(SALU_CYCLE_1)
	s_and_not1_b32 exec_lo, exec_lo, s80
	s_cbranch_execnz .LBB56_50
; %bb.51:                               ;   in Loop: Header=BB56_6 Depth=1
	s_or_b32 exec_lo, exec_lo, s80
.LBB56_52:                              ;   in Loop: Header=BB56_6 Depth=1
	s_delay_alu instid0(SALU_CYCLE_1) | instskip(SKIP_2) | instid1(VALU_DEP_1)
	s_or_b32 exec_lo, exec_lo, s79
	v_add_nc_u32_e32 v8, s78, v0
	s_mov_b32 s15, exec_lo
	v_cmpx_gt_u32_e64 s77, v8
	s_cbranch_execz .LBB56_56
; %bb.53:                               ;   in Loop: Header=BB56_6 Depth=1
	v_lshlrev_b32_e32 v30, 1, v8
	s_and_b32 s17, s71, 0xfe
	s_mov_b32 s16, 0
.LBB56_54:                              ;   Parent Loop BB56_6 Depth=1
                                        ; =>  This Inner Loop Header: Depth=2
	s_waitcnt vmcnt(0)
	ds_load_i16 v31, v30
	v_add_nc_u32_e32 v8, s42, v8
	v_add_nc_u32_e32 v30, s64, v30
	s_delay_alu instid0(VALU_DEP_2) | instskip(SKIP_2) | instid1(VALU_DEP_1)
	v_cmp_le_u32_e32 vcc_lo, s77, v8
	s_waitcnt lgkmcnt(0)
	v_add_nc_u32_e32 v31, 0x8000, v31
	v_and_b32_e32 v32, v31, v26
	v_bfe_u32 v31, v31, s17, 2
	s_delay_alu instid0(VALU_DEP_2) | instskip(NEXT) | instid1(VALU_DEP_2)
	v_cmp_eq_u32_e64 s10, v32, v27
	v_cmp_eq_u32_e64 s11, 0, v31
	;; [unrolled: 1-line block ×5, first 2 shown]
	s_delay_alu instid0(VALU_DEP_4) | instskip(NEXT) | instid1(SALU_CYCLE_1)
	s_and_b32 s11, s10, s11
	v_cndmask_b32_e64 v31, 0, 1, s11
	s_and_b32 s11, s10, s12
	s_delay_alu instid0(SALU_CYCLE_1)
	v_cndmask_b32_e64 v32, 0, 1, s11
	s_and_b32 s11, s10, s13
	s_and_b32 s10, s10, s14
	v_cndmask_b32_e64 v33, 0, 1, s11
	v_cndmask_b32_e64 v34, 0, 1, s10
	v_cmp_ne_u32_e64 s10, 0, v31
	v_cmp_ne_u32_e64 s11, 0, v32
	s_delay_alu instid0(VALU_DEP_4) | instskip(NEXT) | instid1(VALU_DEP_4)
	v_cmp_ne_u32_e64 s12, 0, v33
	v_cmp_ne_u32_e64 s13, 0, v34
	s_delay_alu instid0(VALU_DEP_4) | instskip(NEXT) | instid1(VALU_DEP_3)
	s_bcnt1_i32_b32 s10, s10
	s_bcnt1_i32_b32 s11, s11
	v_add_nc_u32_e32 v1, s10, v1
	s_bcnt1_i32_b32 s12, s12
	s_bcnt1_i32_b32 s13, s13
	v_add_nc_u32_e32 v2, s11, v2
	v_add_nc_u32_e32 v3, s12, v3
	;; [unrolled: 1-line block ×3, first 2 shown]
	s_or_b32 s16, vcc_lo, s16
	s_delay_alu instid0(SALU_CYCLE_1)
	s_and_not1_b32 exec_lo, exec_lo, s16
	s_cbranch_execnz .LBB56_54
; %bb.55:                               ;   in Loop: Header=BB56_6 Depth=1
	s_or_b32 exec_lo, exec_lo, s16
.LBB56_56:                              ;   in Loop: Header=BB56_6 Depth=1
	s_delay_alu instid0(SALU_CYCLE_1)
	s_or_b32 exec_lo, exec_lo, s15
.LBB56_57:                              ;   in Loop: Header=BB56_6 Depth=1
	s_lshl_b32 s10, s66, 7
	s_and_saveexec_b32 s11, s2
	s_cbranch_execz .LBB56_59
; %bb.58:                               ;   in Loop: Header=BB56_6 Depth=1
	v_or_b32_e32 v8, s10, v18
	s_delay_alu instid0(VALU_DEP_1)
	v_lshlrev_b32_e32 v8, 2, v8
	ds_store_b128 v8, v[1:4] offset:3072
.LBB56_59:                              ;   in Loop: Header=BB56_6 Depth=1
	s_or_b32 exec_lo, exec_lo, s11
	s_waitcnt vmcnt(0) lgkmcnt(0)
	s_barrier
	buffer_gl0_inv
	s_and_saveexec_b32 s11, s49
	s_cbranch_execz .LBB56_69
; %bb.60:                               ;   in Loop: Header=BB56_6 Depth=1
	v_mov_b32_e32 v1, 0
	s_and_not1_b32 vcc_lo, exec_lo, s52
	s_cbranch_vccnz .LBB56_68
; %bb.61:                               ;   in Loop: Header=BB56_6 Depth=1
	v_mov_b32_e32 v1, 0
	s_and_not1_b32 vcc_lo, exec_lo, s55
	s_mov_b32 s12, 0
	s_cbranch_vccnz .LBB56_65
; %bb.62:                               ;   in Loop: Header=BB56_6 Depth=1
	v_lshl_add_u32 v2, s66, 9, v25
	v_mov_b32_e32 v1, 0
	.p2align	6
.LBB56_63:                              ;   Parent Loop BB56_6 Depth=1
                                        ; =>  This Inner Loop Header: Depth=2
	ds_load_2addr_b32 v[3:4], v2 offset1:4
	ds_load_2addr_b32 v[30:31], v2 offset0:8 offset1:12
	ds_load_2addr_b32 v[32:33], v2 offset0:16 offset1:20
	;; [unrolled: 1-line block ×3, first 2 shown]
	v_add_nc_u32_e32 v2, 0x80, v2
	s_add_i32 s12, s12, 8
	s_delay_alu instid0(SALU_CYCLE_1) | instskip(SKIP_3) | instid1(VALU_DEP_1)
	s_cmp_eq_u32 s56, s12
	s_waitcnt lgkmcnt(3)
	v_add3_u32 v1, v3, v1, v4
	s_waitcnt lgkmcnt(2)
	v_add3_u32 v1, v30, v1, v31
	s_waitcnt lgkmcnt(1)
	s_delay_alu instid0(VALU_DEP_1) | instskip(SKIP_1) | instid1(VALU_DEP_1)
	v_add3_u32 v1, v32, v1, v33
	s_waitcnt lgkmcnt(0)
	v_add3_u32 v1, v34, v1, v35
	s_cbranch_scc0 .LBB56_63
; %bb.64:                               ;   in Loop: Header=BB56_6 Depth=1
	s_mov_b32 s12, s56
.LBB56_65:                              ;   in Loop: Header=BB56_6 Depth=1
	s_and_not1_b32 vcc_lo, exec_lo, s57
	s_cbranch_vccnz .LBB56_68
; %bb.66:                               ;   in Loop: Header=BB56_6 Depth=1
	s_lshl_b32 s13, s66, 9
	s_lshl_b32 s12, s12, 4
	s_delay_alu instid0(SALU_CYCLE_1)
	v_add3_u32 v2, s13, s12, v25
	s_mov_b32 s12, s54
.LBB56_67:                              ;   Parent Loop BB56_6 Depth=1
                                        ; =>  This Inner Loop Header: Depth=2
	ds_load_b32 v3, v2
	v_add_nc_u32_e32 v2, 16, v2
	s_add_i32 s12, s12, -1
	s_delay_alu instid0(SALU_CYCLE_1)
	s_cmp_lg_u32 s12, 0
	s_waitcnt lgkmcnt(0)
	v_add_nc_u32_e32 v1, v3, v1
	s_cbranch_scc1 .LBB56_67
.LBB56_68:                              ;   in Loop: Header=BB56_6 Depth=1
	v_add_lshl_u32 v2, s10, v15, 2
	ds_store_b32 v2, v1 offset:3072
.LBB56_69:                              ;   in Loop: Header=BB56_6 Depth=1
	s_or_b32 exec_lo, exec_lo, s11
	s_lshl_b32 s10, s10, 2
	s_waitcnt lgkmcnt(0)
	v_mov_b32_e32 v1, s10
	s_barrier
	buffer_gl0_inv
	s_and_b32 s17, s71, 0xfe
	v_cmp_eq_u32_e64 s10, 1, v29
	ds_load_b128 v[1:4], v1 offset:3072
	s_lshl_b32 s13, 3, s17
	s_and_not1_b32 vcc_lo, exec_lo, s48
	s_not_b32 s14, s13
	s_waitcnt lgkmcnt(0)
	v_readfirstlane_b32 s12, v1
	v_readfirstlane_b32 s16, v2
	;; [unrolled: 1-line block ×4, first 2 shown]
	s_cbranch_vccnz .LBB56_82
; %bb.70:                               ;   in Loop: Header=BB56_6 Depth=1
	s_cmp_eq_u32 s12, 1
	v_dual_mov_b32 v1, v27 :: v_dual_mov_b32 v2, v26
	v_mov_b32_e32 v30, v28
	s_cselect_b32 s11, -1, 0
	s_mov_b32 s26, -1
	s_and_b32 s25, s11, s10
                                        ; implicit-def: $sgpr15
                                        ; implicit-def: $sgpr22
                                        ; implicit-def: $sgpr21
	s_delay_alu instid0(SALU_CYCLE_1)
	s_and_saveexec_b32 s20, s25
	s_cbranch_execz .LBB56_101
; %bb.71:                               ;   in Loop: Header=BB56_6 Depth=1
	ds_load_b32 v1, v9 offset:4096
	s_waitcnt lgkmcnt(0)
	s_barrier
	buffer_gl0_inv
	v_readfirstlane_b32 s15, v1
	s_and_saveexec_b32 s11, s6
	s_cbranch_execz .LBB56_73
; %bb.72:                               ;   in Loop: Header=BB56_6 Depth=1
	ds_store_b16 v19, v9
.LBB56_73:                              ;   in Loop: Header=BB56_6 Depth=1
	s_or_b32 exec_lo, exec_lo, s11
	v_and_b32_e32 v1, s14, v27
	v_or_b32_e32 v2, s13, v26
	s_cmp_eq_u32 s15, 0
	s_waitcnt lgkmcnt(0)
	s_barrier
	buffer_gl0_inv
	s_cbranch_scc1 .LBB56_87
; %bb.74:                               ;   in Loop: Header=BB56_6 Depth=1
	s_add_i32 s11, s15, s53
                                        ; implicit-def: $vgpr30
	s_delay_alu instid0(SALU_CYCLE_1) | instskip(NEXT) | instid1(SALU_CYCLE_1)
	s_mul_hi_u32 s21, s11, s60
	s_mul_i32 s21, s21, s42
	s_delay_alu instid0(SALU_CYCLE_1) | instskip(NEXT) | instid1(SALU_CYCLE_1)
	s_sub_i32 s21, s11, s21
	s_sub_i32 s22, s21, s42
	s_cmp_ge_u32 s21, s42
	s_cselect_b32 s21, s22, s21
	s_delay_alu instid0(SALU_CYCLE_1) | instskip(SKIP_2) | instid1(SALU_CYCLE_1)
	s_sub_i32 s22, s21, s42
	s_cmp_ge_u32 s21, s42
	s_cselect_b32 s21, s22, s21
	s_sub_i32 s22, s11, s21
	s_mov_b32 s11, 0
	s_mov_b32 s21, exec_lo
	v_cmpx_gt_u32_e64 s22, v0
	s_cbranch_execz .LBB56_89
; %bb.75:                               ;   in Loop: Header=BB56_6 Depth=1
	v_dual_mov_b32 v3, v17 :: v_dual_mov_b32 v4, v0
	s_mov_b32 s23, 0
                                        ; implicit-def: $sgpr24
	s_set_inst_prefetch_distance 0x1
	s_branch .LBB56_77
	.p2align	6
.LBB56_76:                              ;   in Loop: Header=BB56_77 Depth=2
	s_or_b32 exec_lo, exec_lo, s11
	s_waitcnt lgkmcnt(0)
	s_barrier
	buffer_gl0_inv
	ds_load_b32 v8, v9 offset:3072
	v_add_nc_u32_e32 v4, s42, v4
	v_add_nc_u32_e32 v3, s64, v3
	s_waitcnt lgkmcnt(0)
	s_barrier
	buffer_gl0_inv
	v_cmp_le_u32_e32 vcc_lo, s22, v4
	v_cmp_ne_u16_e64 s11, 0, v8
	s_delay_alu instid0(VALU_DEP_1) | instskip(NEXT) | instid1(SALU_CYCLE_1)
	s_or_b32 s26, vcc_lo, s11
	s_and_b32 s26, exec_lo, s26
	s_delay_alu instid0(SALU_CYCLE_1) | instskip(SKIP_2) | instid1(SALU_CYCLE_1)
	s_or_b32 s23, s26, s23
	s_and_not1_b32 s24, s24, exec_lo
	s_and_b32 s11, s11, exec_lo
	s_or_b32 s24, s24, s11
	s_and_not1_b32 exec_lo, exec_lo, s23
	s_cbranch_execz .LBB56_88
.LBB56_77:                              ;   Parent Loop BB56_6 Depth=1
                                        ; =>  This Inner Loop Header: Depth=2
	s_delay_alu instid0(VALU_DEP_1)
	v_cmp_gt_u32_e32 vcc_lo, s15, v4
	v_mov_b32_e32 v8, 0
	s_and_saveexec_b32 s11, vcc_lo
	s_cbranch_execz .LBB56_79
; %bb.78:                               ;   in Loop: Header=BB56_77 Depth=2
	ds_load_u16 v8, v3
.LBB56_79:                              ;   in Loop: Header=BB56_77 Depth=2
	s_or_b32 exec_lo, exec_lo, s11
	s_and_saveexec_b32 s11, vcc_lo
	s_cbranch_execz .LBB56_76
; %bb.80:                               ;   in Loop: Header=BB56_77 Depth=2
	s_waitcnt lgkmcnt(0)
	v_bfe_i32 v30, v8, 0, 16
	s_delay_alu instid0(VALU_DEP_1) | instskip(NEXT) | instid1(VALU_DEP_1)
	v_add_nc_u32_e32 v30, 0x8000, v30
	v_and_b32_e32 v30, v30, v2
	s_delay_alu instid0(VALU_DEP_1)
	v_cmp_eq_u32_e32 vcc_lo, v30, v1
	s_and_b32 exec_lo, exec_lo, vcc_lo
	s_cbranch_execz .LBB56_76
; %bb.81:                               ;   in Loop: Header=BB56_77 Depth=2
	v_perm_b32 v8, v8, 1, 0x5040100
	ds_store_b32 v9, v8 offset:3072
	s_branch .LBB56_76
.LBB56_82:                              ;   in Loop: Header=BB56_6 Depth=1
	s_mov_b32 s20, 0
	s_mov_b32 s11, 0
                                        ; implicit-def: $sgpr21
                                        ; implicit-def: $sgpr22
                                        ; implicit-def: $sgpr15
                                        ; implicit-def: $vgpr4
                                        ; implicit-def: $vgpr3
                                        ; implicit-def: $vgpr1
                                        ; implicit-def: $vgpr2
                                        ; implicit-def: $vgpr30
	s_cbranch_execnz .LBB56_237
.LBB56_83:                              ;   in Loop: Header=BB56_6 Depth=1
	s_mov_b32 s23, s15
	s_mov_b32 s24, s15
	s_and_saveexec_b32 s10, s20
	s_cbranch_execnz .LBB56_399
	s_branch .LBB56_400
.LBB56_84:                              ;   in Loop: Header=BB56_6 Depth=1
	s_or_b32 exec_lo, exec_lo, s12
	s_waitcnt lgkmcnt(0)
	s_barrier
	buffer_gl0_inv
	s_and_saveexec_b32 s10, s5
	s_cbranch_execz .LBB56_86
; %bb.85:                               ;   in Loop: Header=BB56_6 Depth=1
	ds_load_b32 v1, v9 offset:4104
	s_waitcnt lgkmcnt(0)
	ds_store_b32 v9, v1 offset:4096
.LBB56_86:                              ;   in Loop: Header=BB56_6 Depth=1
	s_or_b32 exec_lo, exec_lo, s10
	s_waitcnt lgkmcnt(0)
	s_mov_b32 s10, -1
	s_barrier
	s_and_b32 vcc_lo, exec_lo, s77
	s_cbranch_vccnz .LBB56_21
	s_branch .LBB56_31
.LBB56_87:                              ;   in Loop: Header=BB56_6 Depth=1
	s_mov_b32 s15, -1
	s_mov_b32 s11, 0
                                        ; implicit-def: $sgpr21
                                        ; implicit-def: $vgpr30
	s_mov_b32 s22, s15
	s_cbranch_execnz .LBB56_90
	s_branch .LBB56_100
.LBB56_88:                              ;   in Loop: Header=BB56_6 Depth=1
	s_set_inst_prefetch_distance 0x2
	s_or_b32 exec_lo, exec_lo, s23
	v_lshrrev_b32_e32 v30, 16, v8
	s_and_b32 s11, s24, exec_lo
.LBB56_89:                              ;   in Loop: Header=BB56_6 Depth=1
	s_or_b32 exec_lo, exec_lo, s21
	s_mov_b32 s21, -1
	s_mov_b32 s15, 0
	s_delay_alu instid0(SALU_CYCLE_1)
	s_mov_b32 s22, s15
	s_branch .LBB56_100
.LBB56_90:                              ;   in Loop: Header=BB56_6 Depth=1
	s_mov_b32 s11, 0
                                        ; implicit-def: $vgpr30
	s_and_saveexec_b32 s15, s9
	s_cbranch_execz .LBB56_99
; %bb.91:                               ;   in Loop: Header=BB56_6 Depth=1
	v_dual_mov_b32 v8, v7 :: v_dual_mov_b32 v3, v0
	s_mov_b32 s21, 0
                                        ; implicit-def: $sgpr22
	s_set_inst_prefetch_distance 0x1
	s_branch .LBB56_93
	.p2align	6
.LBB56_92:                              ;   in Loop: Header=BB56_93 Depth=2
	s_or_b32 exec_lo, exec_lo, s11
	s_waitcnt vmcnt(0) lgkmcnt(0)
	s_barrier
	buffer_gl0_inv
	ds_load_b32 v4, v9 offset:3072
	v_add_nc_u32_e32 v3, s42, v3
	v_add_nc_u32_e32 v8, s44, v8
	s_waitcnt lgkmcnt(0)
	s_barrier
	buffer_gl0_inv
	v_cmp_le_u32_e32 vcc_lo, s61, v3
	v_cmp_ne_u16_e64 s11, 0, v4
	s_delay_alu instid0(VALU_DEP_1) | instskip(NEXT) | instid1(SALU_CYCLE_1)
	s_or_b32 s23, vcc_lo, s11
	s_and_b32 s23, exec_lo, s23
	s_delay_alu instid0(SALU_CYCLE_1) | instskip(SKIP_2) | instid1(SALU_CYCLE_1)
	s_or_b32 s21, s23, s21
	s_and_not1_b32 s22, s22, exec_lo
	s_and_b32 s11, s11, exec_lo
	s_or_b32 s22, s22, s11
	s_and_not1_b32 exec_lo, exec_lo, s21
	s_cbranch_execz .LBB56_98
.LBB56_93:                              ;   Parent Loop BB56_6 Depth=1
                                        ; =>  This Inner Loop Header: Depth=2
	s_delay_alu instid0(VALU_DEP_1)
	v_cmp_gt_u32_e32 vcc_lo, s36, v3
	v_mov_b32_e32 v4, 0
	s_and_saveexec_b32 s23, vcc_lo
	s_cbranch_execz .LBB56_95
; %bb.94:                               ;   in Loop: Header=BB56_93 Depth=2
	v_lshlrev_b64 v[30:31], 1, v[8:9]
	s_delay_alu instid0(VALU_DEP_1) | instskip(NEXT) | instid1(VALU_DEP_1)
	v_add_co_u32 v30, s11, s31, v30
	v_add_co_ci_u32_e64 v31, s11, s33, v31, s11
	global_load_u16 v4, v[30:31], off
.LBB56_95:                              ;   in Loop: Header=BB56_93 Depth=2
	s_or_b32 exec_lo, exec_lo, s23
	s_and_saveexec_b32 s11, vcc_lo
	s_cbranch_execz .LBB56_92
; %bb.96:                               ;   in Loop: Header=BB56_93 Depth=2
	s_waitcnt vmcnt(0)
	v_bfe_i32 v30, v4, 0, 16
	s_delay_alu instid0(VALU_DEP_1) | instskip(NEXT) | instid1(VALU_DEP_1)
	v_add_nc_u32_e32 v30, 0x8000, v30
	v_and_b32_e32 v30, v30, v2
	s_delay_alu instid0(VALU_DEP_1)
	v_cmp_eq_u32_e32 vcc_lo, v30, v1
	s_and_b32 exec_lo, exec_lo, vcc_lo
	s_cbranch_execz .LBB56_92
; %bb.97:                               ;   in Loop: Header=BB56_93 Depth=2
	v_perm_b32 v4, v4, 1, 0x5040100
	ds_store_b32 v9, v4 offset:3072
	s_branch .LBB56_92
.LBB56_98:                              ;   in Loop: Header=BB56_6 Depth=1
	s_set_inst_prefetch_distance 0x2
	s_or_b32 exec_lo, exec_lo, s21
	v_lshrrev_b32_e32 v30, 16, v4
	s_and_b32 s11, s22, exec_lo
.LBB56_99:                              ;   in Loop: Header=BB56_6 Depth=1
	s_or_b32 exec_lo, exec_lo, s15
	s_mov_b32 s22, -1
	s_mov_b32 s15, 0
	s_mov_b32 s21, 0
.LBB56_100:                             ;   in Loop: Header=BB56_6 Depth=1
	s_or_not1_b32 s26, s11, exec_lo
.LBB56_101:                             ;   in Loop: Header=BB56_6 Depth=1
	s_or_b32 exec_lo, exec_lo, s20
	s_mov_b32 s23, 0
	s_mov_b32 s20, 0
	;; [unrolled: 1-line block ×3, first 2 shown]
                                        ; implicit-def: $vgpr4
                                        ; implicit-def: $vgpr3
	s_and_saveexec_b32 s24, s26
	s_cbranch_execz .LBB56_236
; %bb.102:                              ;   in Loop: Header=BB56_6 Depth=1
	v_dual_mov_b32 v3, 1 :: v_dual_mov_b32 v4, 1
	s_xor_b32 s25, s25, -1
	s_delay_alu instid0(SALU_CYCLE_1)
	s_and_saveexec_b32 s11, s25
	s_cbranch_execz .LBB56_112
; %bb.103:                              ;   in Loop: Header=BB56_6 Depth=1
	s_mov_b32 s25, exec_lo
                                        ; implicit-def: $sgpr26
                                        ; implicit-def: $sgpr20
	v_cmpx_ge_u32_e64 s12, v29
	s_xor_b32 s25, exec_lo, s25
	s_cbranch_execz .LBB56_109
; %bb.104:                              ;   in Loop: Header=BB56_6 Depth=1
	ds_load_b32 v3, v9 offset:4096
	s_waitcnt lgkmcnt(0)
	v_cmp_ne_u32_e32 vcc_lo, 0, v3
	s_cbranch_vccnz .LBB56_108
; %bb.105:                              ;   in Loop: Header=BB56_6 Depth=1
	s_and_saveexec_b32 s20, s5
	s_cbranch_execz .LBB56_107
; %bb.106:                              ;   in Loop: Header=BB56_6 Depth=1
	v_mov_b32_e32 v3, s12
	ds_store_b32 v9, v3 offset:4100
.LBB56_107:                             ;   in Loop: Header=BB56_6 Depth=1
	s_or_b32 exec_lo, exec_lo, s20
	s_waitcnt lgkmcnt(0)
	s_barrier
	buffer_gl0_inv
.LBB56_108:                             ;   in Loop: Header=BB56_6 Depth=1
	v_and_b32_e32 v1, s14, v1
	v_or_b32_e32 v2, s13, v2
	s_mov_b32 s20, 0
	s_mov_b32 s26, 8
.LBB56_109:                             ;   in Loop: Header=BB56_6 Depth=1
	s_or_saveexec_b32 s25, s25
	v_dual_mov_b32 v4, s26 :: v_dual_mov_b32 v3, v29
	s_xor_b32 exec_lo, exec_lo, s25
; %bb.110:                              ;   in Loop: Header=BB56_6 Depth=1
	v_subrev_nc_u32_e32 v3, s12, v29
	v_mov_b32_e32 v4, 0
	s_or_b32 s20, s20, exec_lo
; %bb.111:                              ;   in Loop: Header=BB56_6 Depth=1
	s_or_b32 exec_lo, exec_lo, s25
	s_delay_alu instid0(SALU_CYCLE_1)
	s_and_b32 s20, s20, exec_lo
.LBB56_112:                             ;   in Loop: Header=BB56_6 Depth=1
	s_or_b32 exec_lo, exec_lo, s11
	s_mov_b32 s11, -1
                                        ; implicit-def: $sgpr25
                                        ; implicit-def: $sgpr27
                                        ; implicit-def: $sgpr28
	s_and_saveexec_b32 s26, s20
	s_delay_alu instid0(SALU_CYCLE_1)
	s_xor_b32 s20, exec_lo, s26
	s_cbranch_execz .LBB56_233
; %bb.113:                              ;   in Loop: Header=BB56_6 Depth=1
	v_cmp_eq_u32_e32 vcc_lo, 1, v3
	s_cmp_eq_u32 s16, 1
                                        ; implicit-def: $sgpr25
                                        ; implicit-def: $sgpr27
                                        ; implicit-def: $sgpr26
	s_cselect_b32 s11, -1, 0
	s_delay_alu instid0(SALU_CYCLE_1)
	s_and_b32 s29, s11, vcc_lo
	s_mov_b32 s11, -1
	s_and_saveexec_b32 s28, s29
	s_cbranch_execz .LBB56_139
; %bb.114:                              ;   in Loop: Header=BB56_6 Depth=1
	ds_load_b32 v4, v9 offset:4096
	s_waitcnt lgkmcnt(0)
	s_barrier
	buffer_gl0_inv
	v_readfirstlane_b32 s25, v4
	s_and_saveexec_b32 s11, s6
	s_cbranch_execz .LBB56_116
; %bb.115:                              ;   in Loop: Header=BB56_6 Depth=1
	ds_store_b16 v19, v9
.LBB56_116:                             ;   in Loop: Header=BB56_6 Depth=1
	s_or_b32 exec_lo, exec_lo, s11
	s_lshl_b32 s11, 1, s17
	v_or_b32_e32 v2, s13, v2
	v_and_or_b32 v1, v1, s14, s11
	s_cmp_eq_u32 s25, 0
	s_waitcnt lgkmcnt(0)
	s_barrier
	buffer_gl0_inv
	s_cbranch_scc1 .LBB56_125
; %bb.117:                              ;   in Loop: Header=BB56_6 Depth=1
	s_add_i32 s11, s25, s53
                                        ; implicit-def: $vgpr30
	s_delay_alu instid0(SALU_CYCLE_1) | instskip(NEXT) | instid1(SALU_CYCLE_1)
	s_mul_hi_u32 s26, s11, s60
	s_mul_i32 s26, s26, s42
	s_delay_alu instid0(SALU_CYCLE_1) | instskip(NEXT) | instid1(SALU_CYCLE_1)
	s_sub_i32 s26, s11, s26
	s_sub_i32 s27, s26, s42
	s_cmp_ge_u32 s26, s42
	s_cselect_b32 s26, s27, s26
	s_delay_alu instid0(SALU_CYCLE_1) | instskip(SKIP_2) | instid1(SALU_CYCLE_1)
	s_sub_i32 s27, s26, s42
	s_cmp_ge_u32 s26, s42
	s_cselect_b32 s26, s27, s26
	s_sub_i32 s27, s11, s26
	s_mov_b32 s11, 0
	s_mov_b32 s26, exec_lo
	v_cmpx_gt_u32_e64 s27, v0
	s_cbranch_execz .LBB56_127
; %bb.118:                              ;   in Loop: Header=BB56_6 Depth=1
	v_mov_b32_e32 v4, v17
	v_mov_b32_e32 v8, v0
	s_mov_b32 s77, 0
                                        ; implicit-def: $sgpr78
	s_set_inst_prefetch_distance 0x1
	s_branch .LBB56_120
	.p2align	6
.LBB56_119:                             ;   in Loop: Header=BB56_120 Depth=2
	s_or_b32 exec_lo, exec_lo, s11
	s_waitcnt lgkmcnt(0)
	s_barrier
	buffer_gl0_inv
	ds_load_b32 v30, v9 offset:3072
	v_add_nc_u32_e32 v8, s42, v8
	v_add_nc_u32_e32 v4, s64, v4
	s_waitcnt lgkmcnt(0)
	s_barrier
	buffer_gl0_inv
	v_cmp_le_u32_e32 vcc_lo, s27, v8
	v_cmp_ne_u16_e64 s11, 0, v30
	s_delay_alu instid0(VALU_DEP_1) | instskip(NEXT) | instid1(SALU_CYCLE_1)
	s_or_b32 s79, vcc_lo, s11
	s_and_b32 s79, exec_lo, s79
	s_delay_alu instid0(SALU_CYCLE_1) | instskip(SKIP_2) | instid1(SALU_CYCLE_1)
	s_or_b32 s77, s79, s77
	s_and_not1_b32 s78, s78, exec_lo
	s_and_b32 s11, s11, exec_lo
	s_or_b32 s78, s78, s11
	s_and_not1_b32 exec_lo, exec_lo, s77
	s_cbranch_execz .LBB56_126
.LBB56_120:                             ;   Parent Loop BB56_6 Depth=1
                                        ; =>  This Inner Loop Header: Depth=2
	s_delay_alu instid0(VALU_DEP_1)
	v_cmp_gt_u32_e32 vcc_lo, s25, v8
	v_mov_b32_e32 v30, 0
	s_and_saveexec_b32 s11, vcc_lo
	s_cbranch_execz .LBB56_122
; %bb.121:                              ;   in Loop: Header=BB56_120 Depth=2
	ds_load_u16 v30, v4
.LBB56_122:                             ;   in Loop: Header=BB56_120 Depth=2
	s_or_b32 exec_lo, exec_lo, s11
	s_and_saveexec_b32 s11, vcc_lo
	s_cbranch_execz .LBB56_119
; %bb.123:                              ;   in Loop: Header=BB56_120 Depth=2
	s_waitcnt lgkmcnt(0)
	v_bfe_i32 v31, v30, 0, 16
	s_delay_alu instid0(VALU_DEP_1) | instskip(NEXT) | instid1(VALU_DEP_1)
	v_add_nc_u32_e32 v31, 0x8000, v31
	v_and_b32_e32 v31, v31, v2
	s_delay_alu instid0(VALU_DEP_1)
	v_cmp_eq_u32_e32 vcc_lo, v31, v1
	s_and_b32 exec_lo, exec_lo, vcc_lo
	s_cbranch_execz .LBB56_119
; %bb.124:                              ;   in Loop: Header=BB56_120 Depth=2
	v_perm_b32 v30, v30, 1, 0x5040100
	ds_store_b32 v9, v30 offset:3072
	s_branch .LBB56_119
.LBB56_125:                             ;   in Loop: Header=BB56_6 Depth=1
	s_mov_b32 s25, -1
	s_mov_b32 s11, 0
                                        ; implicit-def: $sgpr26
                                        ; implicit-def: $vgpr30
	s_mov_b32 s27, s25
	s_cbranch_execnz .LBB56_128
	s_branch .LBB56_138
.LBB56_126:                             ;   in Loop: Header=BB56_6 Depth=1
	s_set_inst_prefetch_distance 0x2
	s_or_b32 exec_lo, exec_lo, s77
	v_lshrrev_b32_e32 v30, 16, v30
	s_and_b32 s11, s78, exec_lo
.LBB56_127:                             ;   in Loop: Header=BB56_6 Depth=1
	s_or_b32 exec_lo, exec_lo, s26
	s_mov_b32 s26, -1
	s_mov_b32 s25, 0
	s_delay_alu instid0(SALU_CYCLE_1)
	s_mov_b32 s27, s25
	s_branch .LBB56_138
.LBB56_128:                             ;   in Loop: Header=BB56_6 Depth=1
	s_mov_b32 s11, 0
                                        ; implicit-def: $vgpr30
	s_and_saveexec_b32 s25, s9
	s_cbranch_execz .LBB56_137
; %bb.129:                              ;   in Loop: Header=BB56_6 Depth=1
	v_mov_b32_e32 v8, v7
	v_mov_b32_e32 v4, v0
	s_mov_b32 s26, 0
                                        ; implicit-def: $sgpr27
	s_set_inst_prefetch_distance 0x1
	s_branch .LBB56_131
	.p2align	6
.LBB56_130:                             ;   in Loop: Header=BB56_131 Depth=2
	s_or_b32 exec_lo, exec_lo, s11
	s_waitcnt vmcnt(0) lgkmcnt(0)
	s_barrier
	buffer_gl0_inv
	ds_load_b32 v30, v9 offset:3072
	v_add_nc_u32_e32 v4, s42, v4
	v_add_nc_u32_e32 v8, s44, v8
	s_waitcnt lgkmcnt(0)
	s_barrier
	buffer_gl0_inv
	v_cmp_le_u32_e32 vcc_lo, s61, v4
	v_cmp_ne_u16_e64 s11, 0, v30
	s_delay_alu instid0(VALU_DEP_1) | instskip(NEXT) | instid1(SALU_CYCLE_1)
	s_or_b32 s77, vcc_lo, s11
	s_and_b32 s77, exec_lo, s77
	s_delay_alu instid0(SALU_CYCLE_1) | instskip(SKIP_2) | instid1(SALU_CYCLE_1)
	s_or_b32 s26, s77, s26
	s_and_not1_b32 s27, s27, exec_lo
	s_and_b32 s11, s11, exec_lo
	s_or_b32 s27, s27, s11
	s_and_not1_b32 exec_lo, exec_lo, s26
	s_cbranch_execz .LBB56_136
.LBB56_131:                             ;   Parent Loop BB56_6 Depth=1
                                        ; =>  This Inner Loop Header: Depth=2
	s_delay_alu instid0(VALU_DEP_1)
	v_cmp_gt_u32_e32 vcc_lo, s36, v4
	v_mov_b32_e32 v30, 0
	s_and_saveexec_b32 s77, vcc_lo
	s_cbranch_execz .LBB56_133
; %bb.132:                              ;   in Loop: Header=BB56_131 Depth=2
	v_lshlrev_b64 v[30:31], 1, v[8:9]
	s_delay_alu instid0(VALU_DEP_1) | instskip(NEXT) | instid1(VALU_DEP_1)
	v_add_co_u32 v30, s11, s31, v30
	v_add_co_ci_u32_e64 v31, s11, s33, v31, s11
	global_load_u16 v30, v[30:31], off
.LBB56_133:                             ;   in Loop: Header=BB56_131 Depth=2
	s_or_b32 exec_lo, exec_lo, s77
	s_and_saveexec_b32 s11, vcc_lo
	s_cbranch_execz .LBB56_130
; %bb.134:                              ;   in Loop: Header=BB56_131 Depth=2
	s_waitcnt vmcnt(0)
	v_bfe_i32 v31, v30, 0, 16
	s_delay_alu instid0(VALU_DEP_1) | instskip(NEXT) | instid1(VALU_DEP_1)
	v_add_nc_u32_e32 v31, 0x8000, v31
	v_and_b32_e32 v31, v31, v2
	s_delay_alu instid0(VALU_DEP_1)
	v_cmp_eq_u32_e32 vcc_lo, v31, v1
	s_and_b32 exec_lo, exec_lo, vcc_lo
	s_cbranch_execz .LBB56_130
; %bb.135:                              ;   in Loop: Header=BB56_131 Depth=2
	v_perm_b32 v30, v30, 1, 0x5040100
	ds_store_b32 v9, v30 offset:3072
	s_branch .LBB56_130
.LBB56_136:                             ;   in Loop: Header=BB56_6 Depth=1
	s_set_inst_prefetch_distance 0x2
	s_or_b32 exec_lo, exec_lo, s26
	v_lshrrev_b32_e32 v30, 16, v30
	s_and_b32 s11, s27, exec_lo
.LBB56_137:                             ;   in Loop: Header=BB56_6 Depth=1
	s_or_b32 exec_lo, exec_lo, s25
	s_mov_b32 s27, -1
	s_mov_b32 s25, 0
	s_mov_b32 s26, 0
.LBB56_138:                             ;   in Loop: Header=BB56_6 Depth=1
	s_or_not1_b32 s11, s11, exec_lo
.LBB56_139:                             ;   in Loop: Header=BB56_6 Depth=1
	s_or_b32 exec_lo, exec_lo, s28
	s_mov_b32 s77, 0
                                        ; implicit-def: $vgpr4
	s_and_saveexec_b32 s28, s11
	s_cbranch_execz .LBB56_232
; %bb.140:                              ;   in Loop: Header=BB56_6 Depth=1
	v_dual_mov_b32 v31, 1 :: v_dual_mov_b32 v4, 1
	s_xor_b32 s29, s29, -1
	s_mov_b32 s78, 0
	s_and_saveexec_b32 s11, s29
	s_cbranch_execz .LBB56_150
; %bb.141:                              ;   in Loop: Header=BB56_6 Depth=1
	s_mov_b32 s77, exec_lo
                                        ; implicit-def: $sgpr78
                                        ; implicit-def: $sgpr29
	v_cmpx_ge_u32_e64 s16, v3
	s_xor_b32 s77, exec_lo, s77
	s_cbranch_execz .LBB56_147
; %bb.142:                              ;   in Loop: Header=BB56_6 Depth=1
	ds_load_b32 v4, v9 offset:4096
	s_waitcnt lgkmcnt(0)
	v_cmp_ne_u32_e32 vcc_lo, 0, v4
	s_cbranch_vccnz .LBB56_146
; %bb.143:                              ;   in Loop: Header=BB56_6 Depth=1
	s_and_saveexec_b32 s29, s5
	s_cbranch_execz .LBB56_145
; %bb.144:                              ;   in Loop: Header=BB56_6 Depth=1
	v_mov_b32_e32 v4, s16
	ds_store_b32 v9, v4 offset:4100
.LBB56_145:                             ;   in Loop: Header=BB56_6 Depth=1
	s_or_b32 exec_lo, exec_lo, s29
	s_waitcnt lgkmcnt(0)
	s_barrier
	buffer_gl0_inv
.LBB56_146:                             ;   in Loop: Header=BB56_6 Depth=1
	s_lshl_b32 s29, 1, s17
	v_or_b32_e32 v2, s13, v2
	v_and_or_b32 v1, v1, s14, s29
	s_mov_b32 s29, 0
	s_mov_b32 s78, 8
.LBB56_147:                             ;   in Loop: Header=BB56_6 Depth=1
	s_or_saveexec_b32 s77, s77
	v_mov_b32_e32 v4, s78
	s_xor_b32 exec_lo, exec_lo, s77
; %bb.148:                              ;   in Loop: Header=BB56_6 Depth=1
	v_subrev_nc_u32_e32 v3, s16, v3
	v_mov_b32_e32 v4, 0
	s_or_b32 s29, s29, exec_lo
; %bb.149:                              ;   in Loop: Header=BB56_6 Depth=1
	s_or_b32 exec_lo, exec_lo, s77
	s_delay_alu instid0(VALU_DEP_2)
	v_mov_b32_e32 v31, v3
	s_and_b32 s78, s29, exec_lo
.LBB56_150:                             ;   in Loop: Header=BB56_6 Depth=1
	s_or_b32 exec_lo, exec_lo, s11
	s_mov_b32 s11, -1
                                        ; implicit-def: $sgpr77
                                        ; implicit-def: $sgpr79
                                        ; implicit-def: $sgpr80
	s_and_saveexec_b32 s29, s78
	s_cbranch_execz .LBB56_231
; %bb.151:                              ;   in Loop: Header=BB56_6 Depth=1
	v_cmp_eq_u32_e32 vcc_lo, 1, v31
	s_cmp_eq_u32 s18, 1
                                        ; implicit-def: $sgpr77
                                        ; implicit-def: $sgpr79
                                        ; implicit-def: $sgpr78
	s_cselect_b32 s11, -1, 0
	s_delay_alu instid0(SALU_CYCLE_1)
	s_and_b32 s81, s11, vcc_lo
	s_mov_b32 s11, -1
	s_and_saveexec_b32 s80, s81
	s_cbranch_execz .LBB56_177
; %bb.152:                              ;   in Loop: Header=BB56_6 Depth=1
	ds_load_b32 v3, v9 offset:4096
	s_waitcnt lgkmcnt(0)
	s_barrier
	buffer_gl0_inv
	v_readfirstlane_b32 s77, v3
	s_and_saveexec_b32 s11, s6
	s_cbranch_execz .LBB56_154
; %bb.153:                              ;   in Loop: Header=BB56_6 Depth=1
	ds_store_b16 v19, v9
.LBB56_154:                             ;   in Loop: Header=BB56_6 Depth=1
	s_or_b32 exec_lo, exec_lo, s11
	s_lshl_b32 s11, 2, s17
	v_or_b32_e32 v2, s13, v2
	v_and_or_b32 v1, v1, s14, s11
	s_cmp_eq_u32 s77, 0
	s_waitcnt lgkmcnt(0)
	s_barrier
	buffer_gl0_inv
	s_cbranch_scc1 .LBB56_163
; %bb.155:                              ;   in Loop: Header=BB56_6 Depth=1
	s_add_i32 s11, s77, s53
                                        ; implicit-def: $vgpr30
	s_delay_alu instid0(SALU_CYCLE_1) | instskip(NEXT) | instid1(SALU_CYCLE_1)
	s_mul_hi_u32 s78, s11, s60
	s_mul_i32 s78, s78, s42
	s_delay_alu instid0(SALU_CYCLE_1) | instskip(NEXT) | instid1(SALU_CYCLE_1)
	s_sub_i32 s78, s11, s78
	s_sub_i32 s79, s78, s42
	s_cmp_ge_u32 s78, s42
	s_cselect_b32 s78, s79, s78
	s_delay_alu instid0(SALU_CYCLE_1) | instskip(SKIP_2) | instid1(SALU_CYCLE_1)
	s_sub_i32 s79, s78, s42
	s_cmp_ge_u32 s78, s42
	s_cselect_b32 s78, s79, s78
	s_sub_i32 s79, s11, s78
	s_mov_b32 s11, 0
	s_mov_b32 s78, exec_lo
	v_cmpx_gt_u32_e64 s79, v0
	s_cbranch_execz .LBB56_165
; %bb.156:                              ;   in Loop: Header=BB56_6 Depth=1
	v_dual_mov_b32 v3, v17 :: v_dual_mov_b32 v4, v0
	s_mov_b32 s82, 0
                                        ; implicit-def: $sgpr83
	s_set_inst_prefetch_distance 0x1
	s_branch .LBB56_158
	.p2align	6
.LBB56_157:                             ;   in Loop: Header=BB56_158 Depth=2
	s_or_b32 exec_lo, exec_lo, s11
	s_waitcnt lgkmcnt(0)
	s_barrier
	buffer_gl0_inv
	ds_load_b32 v8, v9 offset:3072
	v_add_nc_u32_e32 v4, s42, v4
	v_add_nc_u32_e32 v3, s64, v3
	s_waitcnt lgkmcnt(0)
	s_barrier
	buffer_gl0_inv
	v_cmp_le_u32_e32 vcc_lo, s79, v4
	v_cmp_ne_u16_e64 s11, 0, v8
	s_delay_alu instid0(VALU_DEP_1) | instskip(NEXT) | instid1(SALU_CYCLE_1)
	s_or_b32 s84, vcc_lo, s11
	s_and_b32 s84, exec_lo, s84
	s_delay_alu instid0(SALU_CYCLE_1) | instskip(SKIP_2) | instid1(SALU_CYCLE_1)
	s_or_b32 s82, s84, s82
	s_and_not1_b32 s83, s83, exec_lo
	s_and_b32 s11, s11, exec_lo
	s_or_b32 s83, s83, s11
	s_and_not1_b32 exec_lo, exec_lo, s82
	s_cbranch_execz .LBB56_164
.LBB56_158:                             ;   Parent Loop BB56_6 Depth=1
                                        ; =>  This Inner Loop Header: Depth=2
	s_delay_alu instid0(VALU_DEP_1)
	v_cmp_gt_u32_e32 vcc_lo, s77, v4
	v_mov_b32_e32 v8, 0
	s_and_saveexec_b32 s11, vcc_lo
	s_cbranch_execz .LBB56_160
; %bb.159:                              ;   in Loop: Header=BB56_158 Depth=2
	ds_load_u16 v8, v3
.LBB56_160:                             ;   in Loop: Header=BB56_158 Depth=2
	s_or_b32 exec_lo, exec_lo, s11
	s_and_saveexec_b32 s11, vcc_lo
	s_cbranch_execz .LBB56_157
; %bb.161:                              ;   in Loop: Header=BB56_158 Depth=2
	s_waitcnt lgkmcnt(0)
	v_bfe_i32 v30, v8, 0, 16
	s_delay_alu instid0(VALU_DEP_1) | instskip(NEXT) | instid1(VALU_DEP_1)
	v_add_nc_u32_e32 v30, 0x8000, v30
	v_and_b32_e32 v30, v30, v2
	s_delay_alu instid0(VALU_DEP_1)
	v_cmp_eq_u32_e32 vcc_lo, v30, v1
	s_and_b32 exec_lo, exec_lo, vcc_lo
	s_cbranch_execz .LBB56_157
; %bb.162:                              ;   in Loop: Header=BB56_158 Depth=2
	v_perm_b32 v8, v8, 1, 0x5040100
	ds_store_b32 v9, v8 offset:3072
	s_branch .LBB56_157
.LBB56_163:                             ;   in Loop: Header=BB56_6 Depth=1
	s_mov_b32 s77, -1
	s_mov_b32 s11, 0
                                        ; implicit-def: $sgpr78
                                        ; implicit-def: $vgpr30
	s_mov_b32 s79, s77
	s_cbranch_execnz .LBB56_166
	s_branch .LBB56_176
.LBB56_164:                             ;   in Loop: Header=BB56_6 Depth=1
	s_set_inst_prefetch_distance 0x2
	s_or_b32 exec_lo, exec_lo, s82
	v_lshrrev_b32_e32 v30, 16, v8
	s_and_b32 s11, s83, exec_lo
.LBB56_165:                             ;   in Loop: Header=BB56_6 Depth=1
	s_or_b32 exec_lo, exec_lo, s78
	s_mov_b32 s78, -1
	s_mov_b32 s77, 0
	s_delay_alu instid0(SALU_CYCLE_1)
	s_mov_b32 s79, s77
	s_branch .LBB56_176
.LBB56_166:                             ;   in Loop: Header=BB56_6 Depth=1
	s_mov_b32 s11, 0
                                        ; implicit-def: $vgpr30
	s_and_saveexec_b32 s77, s9
	s_cbranch_execz .LBB56_175
; %bb.167:                              ;   in Loop: Header=BB56_6 Depth=1
	v_dual_mov_b32 v8, v7 :: v_dual_mov_b32 v3, v0
	s_mov_b32 s78, 0
                                        ; implicit-def: $sgpr79
	s_set_inst_prefetch_distance 0x1
	s_branch .LBB56_169
	.p2align	6
.LBB56_168:                             ;   in Loop: Header=BB56_169 Depth=2
	s_or_b32 exec_lo, exec_lo, s11
	s_waitcnt vmcnt(0) lgkmcnt(0)
	s_barrier
	buffer_gl0_inv
	ds_load_b32 v4, v9 offset:3072
	v_add_nc_u32_e32 v3, s42, v3
	v_add_nc_u32_e32 v8, s44, v8
	s_waitcnt lgkmcnt(0)
	s_barrier
	buffer_gl0_inv
	v_cmp_le_u32_e32 vcc_lo, s61, v3
	v_cmp_ne_u16_e64 s11, 0, v4
	s_delay_alu instid0(VALU_DEP_1) | instskip(NEXT) | instid1(SALU_CYCLE_1)
	s_or_b32 s82, vcc_lo, s11
	s_and_b32 s82, exec_lo, s82
	s_delay_alu instid0(SALU_CYCLE_1) | instskip(SKIP_2) | instid1(SALU_CYCLE_1)
	s_or_b32 s78, s82, s78
	s_and_not1_b32 s79, s79, exec_lo
	s_and_b32 s11, s11, exec_lo
	s_or_b32 s79, s79, s11
	s_and_not1_b32 exec_lo, exec_lo, s78
	s_cbranch_execz .LBB56_174
.LBB56_169:                             ;   Parent Loop BB56_6 Depth=1
                                        ; =>  This Inner Loop Header: Depth=2
	s_delay_alu instid0(VALU_DEP_1)
	v_cmp_gt_u32_e32 vcc_lo, s36, v3
	v_mov_b32_e32 v4, 0
	s_and_saveexec_b32 s82, vcc_lo
	s_cbranch_execz .LBB56_171
; %bb.170:                              ;   in Loop: Header=BB56_169 Depth=2
	v_lshlrev_b64 v[32:33], 1, v[8:9]
	s_delay_alu instid0(VALU_DEP_1) | instskip(NEXT) | instid1(VALU_DEP_1)
	v_add_co_u32 v32, s11, s31, v32
	v_add_co_ci_u32_e64 v33, s11, s33, v33, s11
	global_load_u16 v4, v[32:33], off
.LBB56_171:                             ;   in Loop: Header=BB56_169 Depth=2
	s_or_b32 exec_lo, exec_lo, s82
	s_and_saveexec_b32 s11, vcc_lo
	s_cbranch_execz .LBB56_168
; %bb.172:                              ;   in Loop: Header=BB56_169 Depth=2
	s_waitcnt vmcnt(0)
	v_bfe_i32 v30, v4, 0, 16
	s_delay_alu instid0(VALU_DEP_1) | instskip(NEXT) | instid1(VALU_DEP_1)
	v_add_nc_u32_e32 v30, 0x8000, v30
	v_and_b32_e32 v30, v30, v2
	s_delay_alu instid0(VALU_DEP_1)
	v_cmp_eq_u32_e32 vcc_lo, v30, v1
	s_and_b32 exec_lo, exec_lo, vcc_lo
	s_cbranch_execz .LBB56_168
; %bb.173:                              ;   in Loop: Header=BB56_169 Depth=2
	v_perm_b32 v4, v4, 1, 0x5040100
	ds_store_b32 v9, v4 offset:3072
	s_branch .LBB56_168
.LBB56_174:                             ;   in Loop: Header=BB56_6 Depth=1
	s_set_inst_prefetch_distance 0x2
	s_or_b32 exec_lo, exec_lo, s78
	v_lshrrev_b32_e32 v30, 16, v4
	s_and_b32 s11, s79, exec_lo
.LBB56_175:                             ;   in Loop: Header=BB56_6 Depth=1
	s_or_b32 exec_lo, exec_lo, s77
	s_mov_b32 s79, -1
	s_mov_b32 s77, 0
	s_mov_b32 s78, 0
.LBB56_176:                             ;   in Loop: Header=BB56_6 Depth=1
	s_or_not1_b32 s11, s11, exec_lo
.LBB56_177:                             ;   in Loop: Header=BB56_6 Depth=1
	s_or_b32 exec_lo, exec_lo, s80
	s_mov_b32 s82, 0
                                        ; implicit-def: $vgpr4
	s_and_saveexec_b32 s80, s11
	s_cbranch_execz .LBB56_230
; %bb.178:                              ;   in Loop: Header=BB56_6 Depth=1
	v_dual_mov_b32 v3, 1 :: v_dual_mov_b32 v4, 1
	s_xor_b32 s81, s81, -1
	s_mov_b32 s83, 0
	s_and_saveexec_b32 s11, s81
	s_cbranch_execz .LBB56_188
; %bb.179:                              ;   in Loop: Header=BB56_6 Depth=1
	s_mov_b32 s82, exec_lo
                                        ; implicit-def: $sgpr83
                                        ; implicit-def: $sgpr81
	v_cmpx_ge_u32_e64 s18, v31
	s_xor_b32 s82, exec_lo, s82
	s_cbranch_execz .LBB56_185
; %bb.180:                              ;   in Loop: Header=BB56_6 Depth=1
	ds_load_b32 v3, v9 offset:4096
	s_waitcnt lgkmcnt(0)
	v_cmp_ne_u32_e32 vcc_lo, 0, v3
	s_cbranch_vccnz .LBB56_184
; %bb.181:                              ;   in Loop: Header=BB56_6 Depth=1
	s_and_saveexec_b32 s81, s5
	s_cbranch_execz .LBB56_183
; %bb.182:                              ;   in Loop: Header=BB56_6 Depth=1
	v_mov_b32_e32 v3, s18
	ds_store_b32 v9, v3 offset:4100
.LBB56_183:                             ;   in Loop: Header=BB56_6 Depth=1
	s_or_b32 exec_lo, exec_lo, s81
	s_waitcnt lgkmcnt(0)
	s_barrier
	buffer_gl0_inv
.LBB56_184:                             ;   in Loop: Header=BB56_6 Depth=1
	s_lshl_b32 s81, 2, s17
	v_or_b32_e32 v2, s13, v2
	v_and_or_b32 v1, v1, s14, s81
	s_mov_b32 s81, 0
	s_mov_b32 s83, 8
.LBB56_185:                             ;   in Loop: Header=BB56_6 Depth=1
	s_or_saveexec_b32 s82, s82
	v_mov_b32_e32 v4, s83
	s_xor_b32 exec_lo, exec_lo, s82
; %bb.186:                              ;   in Loop: Header=BB56_6 Depth=1
	v_subrev_nc_u32_e32 v31, s18, v31
	v_mov_b32_e32 v4, 0
	s_or_b32 s81, s81, exec_lo
; %bb.187:                              ;   in Loop: Header=BB56_6 Depth=1
	s_or_b32 exec_lo, exec_lo, s82
	s_delay_alu instid0(VALU_DEP_2)
	v_mov_b32_e32 v3, v31
	s_and_b32 s83, s81, exec_lo
.LBB56_188:                             ;   in Loop: Header=BB56_6 Depth=1
	s_or_b32 exec_lo, exec_lo, s11
	s_mov_b32 s82, -1
                                        ; implicit-def: $sgpr11
                                        ; implicit-def: $sgpr85
                                        ; implicit-def: $sgpr84
	s_and_saveexec_b32 s81, s83
	s_cbranch_execz .LBB56_229
; %bb.189:                              ;   in Loop: Header=BB56_6 Depth=1
	v_cmp_eq_u32_e32 vcc_lo, 1, v3
	s_cmp_eq_u32 s19, 1
	s_mov_b32 s86, -1
	s_cselect_b32 s11, -1, 0
                                        ; implicit-def: $sgpr85
                                        ; implicit-def: $sgpr84
	s_delay_alu instid0(SALU_CYCLE_1) | instskip(NEXT) | instid1(SALU_CYCLE_1)
	s_and_b32 s82, s11, vcc_lo
                                        ; implicit-def: $sgpr11
	s_and_saveexec_b32 s83, s82
	s_cbranch_execz .LBB56_216
; %bb.190:                              ;   in Loop: Header=BB56_6 Depth=1
	ds_load_b32 v4, v9 offset:4096
	s_waitcnt lgkmcnt(0)
	s_barrier
	buffer_gl0_inv
	v_readfirstlane_b32 s84, v4
	s_and_saveexec_b32 s11, s6
	s_cbranch_execz .LBB56_192
; %bb.191:                              ;   in Loop: Header=BB56_6 Depth=1
	ds_store_b16 v19, v9
.LBB56_192:                             ;   in Loop: Header=BB56_6 Depth=1
	s_or_b32 exec_lo, exec_lo, s11
	v_or_b32_e32 v1, s13, v1
	v_or_b32_e32 v2, s13, v2
	s_cmp_eq_u32 s84, 0
	s_waitcnt lgkmcnt(0)
	s_barrier
	buffer_gl0_inv
	s_cbranch_scc1 .LBB56_201
; %bb.193:                              ;   in Loop: Header=BB56_6 Depth=1
	s_add_i32 s11, s84, s53
                                        ; implicit-def: $vgpr30
	s_delay_alu instid0(SALU_CYCLE_1) | instskip(NEXT) | instid1(SALU_CYCLE_1)
	s_mul_hi_u32 s85, s11, s60
	s_mul_i32 s85, s85, s42
	s_delay_alu instid0(SALU_CYCLE_1) | instskip(NEXT) | instid1(SALU_CYCLE_1)
	s_sub_i32 s85, s11, s85
	s_sub_i32 s86, s85, s42
	s_cmp_ge_u32 s85, s42
	s_cselect_b32 s85, s86, s85
	s_delay_alu instid0(SALU_CYCLE_1)
	s_sub_i32 s86, s85, s42
	s_cmp_ge_u32 s85, s42
	s_cselect_b32 s85, s86, s85
	s_mov_b32 s86, 0
	s_sub_i32 s87, s11, s85
	s_mov_b32 s85, exec_lo
	v_cmpx_gt_u32_e64 s87, v0
	s_cbranch_execz .LBB56_203
; %bb.194:                              ;   in Loop: Header=BB56_6 Depth=1
	v_mov_b32_e32 v4, v17
	v_mov_b32_e32 v8, v0
                                        ; implicit-def: $sgpr88
	s_set_inst_prefetch_distance 0x1
	s_branch .LBB56_196
	.p2align	6
.LBB56_195:                             ;   in Loop: Header=BB56_196 Depth=2
	s_or_b32 exec_lo, exec_lo, s11
	s_waitcnt lgkmcnt(0)
	s_barrier
	buffer_gl0_inv
	ds_load_b32 v30, v9 offset:3072
	v_add_nc_u32_e32 v8, s42, v8
	v_add_nc_u32_e32 v4, s64, v4
	s_waitcnt lgkmcnt(0)
	s_barrier
	buffer_gl0_inv
	v_cmp_le_u32_e32 vcc_lo, s87, v8
	v_cmp_ne_u16_e64 s11, 0, v30
	s_delay_alu instid0(VALU_DEP_1) | instskip(NEXT) | instid1(SALU_CYCLE_1)
	s_or_b32 s89, vcc_lo, s11
	s_and_b32 s89, exec_lo, s89
	s_delay_alu instid0(SALU_CYCLE_1) | instskip(SKIP_2) | instid1(SALU_CYCLE_1)
	s_or_b32 s86, s89, s86
	s_and_not1_b32 s88, s88, exec_lo
	s_and_b32 s11, s11, exec_lo
	s_or_b32 s88, s88, s11
	s_and_not1_b32 exec_lo, exec_lo, s86
	s_cbranch_execz .LBB56_202
.LBB56_196:                             ;   Parent Loop BB56_6 Depth=1
                                        ; =>  This Inner Loop Header: Depth=2
	s_delay_alu instid0(VALU_DEP_1)
	v_cmp_gt_u32_e32 vcc_lo, s84, v8
	v_mov_b32_e32 v30, 0
	s_and_saveexec_b32 s11, vcc_lo
	s_cbranch_execz .LBB56_198
; %bb.197:                              ;   in Loop: Header=BB56_196 Depth=2
	ds_load_u16 v30, v4
.LBB56_198:                             ;   in Loop: Header=BB56_196 Depth=2
	s_or_b32 exec_lo, exec_lo, s11
	s_and_saveexec_b32 s11, vcc_lo
	s_cbranch_execz .LBB56_195
; %bb.199:                              ;   in Loop: Header=BB56_196 Depth=2
	s_waitcnt lgkmcnt(0)
	v_bfe_i32 v31, v30, 0, 16
	s_delay_alu instid0(VALU_DEP_1) | instskip(NEXT) | instid1(VALU_DEP_1)
	v_add_nc_u32_e32 v31, 0x8000, v31
	v_and_b32_e32 v31, v31, v2
	s_delay_alu instid0(VALU_DEP_1)
	v_cmp_eq_u32_e32 vcc_lo, v31, v1
	s_and_b32 exec_lo, exec_lo, vcc_lo
	s_cbranch_execz .LBB56_195
; %bb.200:                              ;   in Loop: Header=BB56_196 Depth=2
	v_perm_b32 v30, v30, 1, 0x5040100
	ds_store_b32 v9, v30 offset:3072
	s_branch .LBB56_195
.LBB56_201:                             ;   in Loop: Header=BB56_6 Depth=1
	s_mov_b32 s11, -1
	s_mov_b32 s86, 0
                                        ; implicit-def: $sgpr84
                                        ; implicit-def: $vgpr30
	s_branch .LBB56_204
.LBB56_202:                             ;   in Loop: Header=BB56_6 Depth=1
	s_set_inst_prefetch_distance 0x2
	s_or_b32 exec_lo, exec_lo, s86
	v_lshrrev_b32_e32 v30, 16, v30
	s_and_b32 s86, s88, exec_lo
.LBB56_203:                             ;   in Loop: Header=BB56_6 Depth=1
	s_or_b32 exec_lo, exec_lo, s85
	s_mov_b32 s84, -1
	s_mov_b32 s11, 0
.LBB56_204:                             ;   in Loop: Header=BB56_6 Depth=1
	s_delay_alu instid0(SALU_CYCLE_1)
	s_and_b32 vcc_lo, exec_lo, s11
	s_mov_b32 s85, s11
	s_cbranch_vccz .LBB56_215
; %bb.205:                              ;   in Loop: Header=BB56_6 Depth=1
	s_mov_b32 s86, 0
                                        ; implicit-def: $vgpr30
	s_and_saveexec_b32 s84, s9
	s_cbranch_execz .LBB56_214
; %bb.206:                              ;   in Loop: Header=BB56_6 Depth=1
	v_mov_b32_e32 v8, v7
	v_mov_b32_e32 v4, v0
	s_mov_b32 s85, 0
                                        ; implicit-def: $sgpr86
	s_set_inst_prefetch_distance 0x1
	s_branch .LBB56_208
	.p2align	6
.LBB56_207:                             ;   in Loop: Header=BB56_208 Depth=2
	s_or_b32 exec_lo, exec_lo, s11
	s_waitcnt vmcnt(0) lgkmcnt(0)
	s_barrier
	buffer_gl0_inv
	ds_load_b32 v30, v9 offset:3072
	v_add_nc_u32_e32 v4, s42, v4
	v_add_nc_u32_e32 v8, s44, v8
	s_waitcnt lgkmcnt(0)
	s_barrier
	buffer_gl0_inv
	v_cmp_le_u32_e32 vcc_lo, s61, v4
	v_cmp_ne_u16_e64 s11, 0, v30
	s_delay_alu instid0(VALU_DEP_1) | instskip(NEXT) | instid1(SALU_CYCLE_1)
	s_or_b32 s87, vcc_lo, s11
	s_and_b32 s87, exec_lo, s87
	s_delay_alu instid0(SALU_CYCLE_1) | instskip(SKIP_2) | instid1(SALU_CYCLE_1)
	s_or_b32 s85, s87, s85
	s_and_not1_b32 s86, s86, exec_lo
	s_and_b32 s11, s11, exec_lo
	s_or_b32 s86, s86, s11
	s_and_not1_b32 exec_lo, exec_lo, s85
	s_cbranch_execz .LBB56_213
.LBB56_208:                             ;   Parent Loop BB56_6 Depth=1
                                        ; =>  This Inner Loop Header: Depth=2
	s_delay_alu instid0(VALU_DEP_1)
	v_cmp_gt_u32_e32 vcc_lo, s36, v4
	v_mov_b32_e32 v30, 0
	s_and_saveexec_b32 s87, vcc_lo
	s_cbranch_execz .LBB56_210
; %bb.209:                              ;   in Loop: Header=BB56_208 Depth=2
	v_lshlrev_b64 v[30:31], 1, v[8:9]
	s_delay_alu instid0(VALU_DEP_1) | instskip(NEXT) | instid1(VALU_DEP_1)
	v_add_co_u32 v30, s11, s31, v30
	v_add_co_ci_u32_e64 v31, s11, s33, v31, s11
	global_load_u16 v30, v[30:31], off
.LBB56_210:                             ;   in Loop: Header=BB56_208 Depth=2
	s_or_b32 exec_lo, exec_lo, s87
	s_and_saveexec_b32 s11, vcc_lo
	s_cbranch_execz .LBB56_207
; %bb.211:                              ;   in Loop: Header=BB56_208 Depth=2
	s_waitcnt vmcnt(0)
	v_bfe_i32 v31, v30, 0, 16
	s_delay_alu instid0(VALU_DEP_1) | instskip(NEXT) | instid1(VALU_DEP_1)
	v_add_nc_u32_e32 v31, 0x8000, v31
	v_and_b32_e32 v31, v31, v2
	s_delay_alu instid0(VALU_DEP_1)
	v_cmp_eq_u32_e32 vcc_lo, v31, v1
	s_and_b32 exec_lo, exec_lo, vcc_lo
	s_cbranch_execz .LBB56_207
; %bb.212:                              ;   in Loop: Header=BB56_208 Depth=2
	v_perm_b32 v30, v30, 1, 0x5040100
	ds_store_b32 v9, v30 offset:3072
	s_branch .LBB56_207
.LBB56_213:                             ;   in Loop: Header=BB56_6 Depth=1
	s_set_inst_prefetch_distance 0x2
	s_or_b32 exec_lo, exec_lo, s85
	v_lshrrev_b32_e32 v30, 16, v30
	s_and_b32 s86, s86, exec_lo
.LBB56_214:                             ;   in Loop: Header=BB56_6 Depth=1
	s_or_b32 exec_lo, exec_lo, s84
	s_mov_b32 s85, -1
	s_mov_b32 s11, 0
	s_mov_b32 s84, 0
.LBB56_215:                             ;   in Loop: Header=BB56_6 Depth=1
	s_or_not1_b32 s86, s86, exec_lo
.LBB56_216:                             ;   in Loop: Header=BB56_6 Depth=1
	s_or_b32 exec_lo, exec_lo, s83
	s_mov_b32 s87, 0
                                        ; implicit-def: $vgpr4
                                        ; implicit-def: $vgpr8
	s_and_saveexec_b32 s83, s86
	s_cbranch_execz .LBB56_228
; %bb.217:                              ;   in Loop: Header=BB56_6 Depth=1
	v_mov_b32_e32 v4, 1
	v_mov_b32_e32 v8, 1
	s_xor_b32 s86, s82, -1
	s_delay_alu instid0(SALU_CYCLE_1)
	s_and_saveexec_b32 s82, s86
	s_cbranch_execz .LBB56_227
; %bb.218:                              ;   in Loop: Header=BB56_6 Depth=1
	s_mov_b32 s86, exec_lo
                                        ; implicit-def: $sgpr87
	v_cmpx_ge_u32_e64 s19, v3
	s_xor_b32 s86, exec_lo, s86
	s_cbranch_execz .LBB56_224
; %bb.219:                              ;   in Loop: Header=BB56_6 Depth=1
	ds_load_b32 v4, v9 offset:4096
	s_waitcnt lgkmcnt(0)
	v_cmp_ne_u32_e32 vcc_lo, 0, v4
	s_cbranch_vccnz .LBB56_223
; %bb.220:                              ;   in Loop: Header=BB56_6 Depth=1
	s_and_saveexec_b32 s87, s5
	s_cbranch_execz .LBB56_222
; %bb.221:                              ;   in Loop: Header=BB56_6 Depth=1
	v_mov_b32_e32 v4, s19
	ds_store_b32 v9, v4 offset:4100
.LBB56_222:                             ;   in Loop: Header=BB56_6 Depth=1
	s_or_b32 exec_lo, exec_lo, s87
	s_waitcnt lgkmcnt(0)
	s_barrier
	buffer_gl0_inv
.LBB56_223:                             ;   in Loop: Header=BB56_6 Depth=1
	v_or_b32_e32 v1, s13, v1
	v_or_b32_e32 v2, s13, v2
	s_mov_b32 s87, 8
.LBB56_224:                             ;   in Loop: Header=BB56_6 Depth=1
	s_or_saveexec_b32 s86, s86
	v_mov_b32_e32 v4, s87
	s_xor_b32 exec_lo, exec_lo, s86
; %bb.225:                              ;   in Loop: Header=BB56_6 Depth=1
	v_subrev_nc_u32_e32 v3, s19, v3
	v_mov_b32_e32 v4, 8
; %bb.226:                              ;   in Loop: Header=BB56_6 Depth=1
	s_or_b32 exec_lo, exec_lo, s86
	s_delay_alu instid0(VALU_DEP_2)
	v_mov_b32_e32 v8, v3
.LBB56_227:                             ;   in Loop: Header=BB56_6 Depth=1
	s_or_b32 exec_lo, exec_lo, s82
	s_delay_alu instid0(SALU_CYCLE_1)
	s_mov_b32 s87, exec_lo
.LBB56_228:                             ;   in Loop: Header=BB56_6 Depth=1
	s_or_b32 exec_lo, exec_lo, s83
	s_delay_alu instid0(VALU_DEP_1)
	v_mov_b32_e32 v3, v8
	s_or_not1_b32 s82, s87, exec_lo
.LBB56_229:                             ;   in Loop: Header=BB56_6 Depth=1
	s_or_b32 exec_lo, exec_lo, s81
	s_delay_alu instid0(SALU_CYCLE_1)
	s_and_not1_b32 s77, s77, exec_lo
	s_and_b32 s11, s11, exec_lo
	v_mov_b32_e32 v31, v3
	s_or_b32 s77, s77, s11
	s_and_not1_b32 s11, s79, exec_lo
	s_and_b32 s79, s85, exec_lo
	s_and_not1_b32 s78, s78, exec_lo
	s_and_b32 s81, s84, exec_lo
	s_or_b32 s79, s11, s79
	s_or_b32 s78, s78, s81
	s_and_b32 s82, s82, exec_lo
.LBB56_230:                             ;   in Loop: Header=BB56_6 Depth=1
	s_or_b32 exec_lo, exec_lo, s80
	s_delay_alu instid0(SALU_CYCLE_1)
	s_and_b32 s80, s77, exec_lo
	s_and_b32 s79, s79, exec_lo
	s_and_b32 s77, s78, exec_lo
	s_or_not1_b32 s11, s82, exec_lo
.LBB56_231:                             ;   in Loop: Header=BB56_6 Depth=1
	s_or_b32 exec_lo, exec_lo, s29
	s_delay_alu instid0(SALU_CYCLE_1)
	s_and_not1_b32 s25, s25, exec_lo
	s_and_b32 s29, s80, exec_lo
	v_mov_b32_e32 v3, v31
	s_or_b32 s25, s25, s29
	s_and_not1_b32 s27, s27, exec_lo
	s_and_b32 s29, s79, exec_lo
	s_and_not1_b32 s26, s26, exec_lo
	s_and_b32 s77, s77, exec_lo
	s_or_b32 s27, s27, s29
	s_or_b32 s26, s26, s77
	s_and_b32 s77, s11, exec_lo
.LBB56_232:                             ;   in Loop: Header=BB56_6 Depth=1
	s_or_b32 exec_lo, exec_lo, s28
	s_delay_alu instid0(SALU_CYCLE_1)
	s_and_b32 s28, s25, exec_lo
	s_and_b32 s27, s27, exec_lo
	;; [unrolled: 1-line block ×3, first 2 shown]
	s_or_not1_b32 s11, s77, exec_lo
.LBB56_233:                             ;   in Loop: Header=BB56_6 Depth=1
	s_or_b32 exec_lo, exec_lo, s20
	s_mov_b32 s20, 0
	s_mov_b32 s26, 0
	s_and_saveexec_b32 s29, s11
	s_delay_alu instid0(SALU_CYCLE_1)
	s_xor_b32 s29, exec_lo, s29
; %bb.234:                              ;   in Loop: Header=BB56_6 Depth=1
	v_cmp_ne_u32_e32 vcc_lo, 8, v4
	v_cmp_eq_u32_e64 s11, 8, v4
	s_and_not1_b32 s28, s28, exec_lo
	s_and_not1_b32 s27, s27, exec_lo
	;; [unrolled: 1-line block ×3, first 2 shown]
	s_and_b32 s26, vcc_lo, exec_lo
	s_and_b32 s20, s11, exec_lo
; %bb.235:                              ;   in Loop: Header=BB56_6 Depth=1
	s_or_b32 exec_lo, exec_lo, s29
	s_delay_alu instid0(SALU_CYCLE_1)
	s_and_not1_b32 s11, s15, exec_lo
	s_and_b32 s15, s28, exec_lo
	s_and_not1_b32 s21, s21, exec_lo
	s_or_b32 s15, s11, s15
	s_and_not1_b32 s11, s22, exec_lo
	s_and_b32 s22, s27, exec_lo
	s_and_b32 s25, s25, exec_lo
	s_or_b32 s22, s11, s22
	s_or_b32 s21, s21, s25
	s_and_b32 s11, s26, exec_lo
	s_and_b32 s20, s20, exec_lo
.LBB56_236:                             ;   in Loop: Header=BB56_6 Depth=1
	s_or_b32 exec_lo, exec_lo, s24
	s_delay_alu instid0(SALU_CYCLE_1)
	s_and_b32 vcc_lo, exec_lo, s23
	s_cbranch_vccz .LBB56_83
.LBB56_237:                             ;   in Loop: Header=BB56_6 Depth=1
	s_cmp_eq_u32 s19, 1
                                        ; implicit-def: $sgpr23
                                        ; implicit-def: $sgpr24
	s_cselect_b32 s15, -1, 0
	s_delay_alu instid0(SALU_CYCLE_1)
	s_and_b32 s22, s15, s10
	s_mov_b32 s10, -1
                                        ; implicit-def: $sgpr15
	s_and_saveexec_b32 s21, s22
	s_cbranch_execz .LBB56_263
; %bb.238:                              ;   in Loop: Header=BB56_6 Depth=1
	ds_load_b32 v1, v9 offset:4096
	s_waitcnt lgkmcnt(0)
	s_barrier
	buffer_gl0_inv
	v_readfirstlane_b32 s15, v1
	s_and_saveexec_b32 s10, s6
	s_cbranch_execz .LBB56_240
; %bb.239:                              ;   in Loop: Header=BB56_6 Depth=1
	ds_store_b16 v19, v9
.LBB56_240:                             ;   in Loop: Header=BB56_6 Depth=1
	s_or_b32 exec_lo, exec_lo, s10
	v_or_b32_e32 v27, s13, v27
	v_or_b32_e32 v26, s13, v26
	s_cmp_eq_u32 s15, 0
	s_waitcnt lgkmcnt(0)
	s_barrier
	buffer_gl0_inv
	s_cbranch_scc1 .LBB56_249
; %bb.241:                              ;   in Loop: Header=BB56_6 Depth=1
	s_add_i32 s10, s15, s53
                                        ; implicit-def: $vgpr28
	s_delay_alu instid0(SALU_CYCLE_1) | instskip(NEXT) | instid1(SALU_CYCLE_1)
	s_mul_hi_u32 s23, s10, s60
	s_mul_i32 s23, s23, s42
	s_delay_alu instid0(SALU_CYCLE_1) | instskip(NEXT) | instid1(SALU_CYCLE_1)
	s_sub_i32 s23, s10, s23
	s_sub_i32 s24, s23, s42
	s_cmp_ge_u32 s23, s42
	s_cselect_b32 s23, s24, s23
	s_delay_alu instid0(SALU_CYCLE_1) | instskip(SKIP_2) | instid1(SALU_CYCLE_1)
	s_sub_i32 s24, s23, s42
	s_cmp_ge_u32 s23, s42
	s_cselect_b32 s23, s24, s23
	s_sub_i32 s24, s10, s23
	s_mov_b32 s10, 0
	s_mov_b32 s23, exec_lo
	v_cmpx_gt_u32_e64 s24, v0
	s_cbranch_execz .LBB56_251
; %bb.242:                              ;   in Loop: Header=BB56_6 Depth=1
	v_dual_mov_b32 v1, v17 :: v_dual_mov_b32 v2, v0
	s_mov_b32 s25, 0
                                        ; implicit-def: $sgpr26
	s_set_inst_prefetch_distance 0x1
	s_branch .LBB56_244
	.p2align	6
.LBB56_243:                             ;   in Loop: Header=BB56_244 Depth=2
	s_or_b32 exec_lo, exec_lo, s10
	s_waitcnt lgkmcnt(0)
	s_barrier
	buffer_gl0_inv
	ds_load_b32 v3, v9 offset:3072
	v_add_nc_u32_e32 v2, s42, v2
	v_add_nc_u32_e32 v1, s64, v1
	s_waitcnt lgkmcnt(0)
	s_barrier
	buffer_gl0_inv
	v_cmp_le_u32_e32 vcc_lo, s24, v2
	v_cmp_ne_u16_e64 s10, 0, v3
	s_delay_alu instid0(VALU_DEP_1) | instskip(NEXT) | instid1(SALU_CYCLE_1)
	s_or_b32 s27, vcc_lo, s10
	s_and_b32 s27, exec_lo, s27
	s_delay_alu instid0(SALU_CYCLE_1) | instskip(SKIP_2) | instid1(SALU_CYCLE_1)
	s_or_b32 s25, s27, s25
	s_and_not1_b32 s26, s26, exec_lo
	s_and_b32 s10, s10, exec_lo
	s_or_b32 s26, s26, s10
	s_and_not1_b32 exec_lo, exec_lo, s25
	s_cbranch_execz .LBB56_250
.LBB56_244:                             ;   Parent Loop BB56_6 Depth=1
                                        ; =>  This Inner Loop Header: Depth=2
	s_delay_alu instid0(VALU_DEP_1)
	v_cmp_gt_u32_e32 vcc_lo, s15, v2
	v_mov_b32_e32 v3, 0
	s_and_saveexec_b32 s10, vcc_lo
	s_cbranch_execz .LBB56_246
; %bb.245:                              ;   in Loop: Header=BB56_244 Depth=2
	ds_load_u16 v3, v1
.LBB56_246:                             ;   in Loop: Header=BB56_244 Depth=2
	s_or_b32 exec_lo, exec_lo, s10
	s_and_saveexec_b32 s10, vcc_lo
	s_cbranch_execz .LBB56_243
; %bb.247:                              ;   in Loop: Header=BB56_244 Depth=2
	s_waitcnt lgkmcnt(0)
	v_bfe_i32 v4, v3, 0, 16
	s_delay_alu instid0(VALU_DEP_1) | instskip(NEXT) | instid1(VALU_DEP_1)
	v_add_nc_u32_e32 v4, 0x8000, v4
	v_and_b32_e32 v4, v4, v26
	s_delay_alu instid0(VALU_DEP_1)
	v_cmp_eq_u32_e32 vcc_lo, v4, v27
	s_and_b32 exec_lo, exec_lo, vcc_lo
	s_cbranch_execz .LBB56_243
; %bb.248:                              ;   in Loop: Header=BB56_244 Depth=2
	v_perm_b32 v3, v3, 1, 0x5040100
	ds_store_b32 v9, v3 offset:3072
	s_branch .LBB56_243
.LBB56_249:                             ;   in Loop: Header=BB56_6 Depth=1
	s_mov_b32 s23, -1
	s_mov_b32 s10, 0
                                        ; implicit-def: $sgpr24
                                        ; implicit-def: $vgpr28
	s_mov_b32 s15, s23
	s_cbranch_execnz .LBB56_252
	s_branch .LBB56_262
.LBB56_250:                             ;   in Loop: Header=BB56_6 Depth=1
	s_set_inst_prefetch_distance 0x2
	s_or_b32 exec_lo, exec_lo, s25
	v_lshrrev_b32_e32 v28, 16, v3
	s_and_b32 s10, s26, exec_lo
.LBB56_251:                             ;   in Loop: Header=BB56_6 Depth=1
	s_or_b32 exec_lo, exec_lo, s23
	s_mov_b32 s23, 0
	s_mov_b32 s24, -1
	s_mov_b32 s15, s23
	s_branch .LBB56_262
.LBB56_252:                             ;   in Loop: Header=BB56_6 Depth=1
	s_mov_b32 s10, 0
                                        ; implicit-def: $vgpr28
	s_and_saveexec_b32 s15, s9
	s_cbranch_execz .LBB56_261
; %bb.253:                              ;   in Loop: Header=BB56_6 Depth=1
	v_dual_mov_b32 v8, v7 :: v_dual_mov_b32 v1, v0
	s_mov_b32 s23, 0
                                        ; implicit-def: $sgpr24
	s_set_inst_prefetch_distance 0x1
	s_branch .LBB56_255
	.p2align	6
.LBB56_254:                             ;   in Loop: Header=BB56_255 Depth=2
	s_or_b32 exec_lo, exec_lo, s10
	s_waitcnt vmcnt(0) lgkmcnt(0)
	s_barrier
	buffer_gl0_inv
	ds_load_b32 v2, v9 offset:3072
	v_add_nc_u32_e32 v1, s42, v1
	v_add_nc_u32_e32 v8, s44, v8
	s_waitcnt lgkmcnt(0)
	s_barrier
	buffer_gl0_inv
	v_cmp_le_u32_e32 vcc_lo, s61, v1
	v_cmp_ne_u16_e64 s10, 0, v2
	s_delay_alu instid0(VALU_DEP_1) | instskip(NEXT) | instid1(SALU_CYCLE_1)
	s_or_b32 s25, vcc_lo, s10
	s_and_b32 s25, exec_lo, s25
	s_delay_alu instid0(SALU_CYCLE_1) | instskip(SKIP_2) | instid1(SALU_CYCLE_1)
	s_or_b32 s23, s25, s23
	s_and_not1_b32 s24, s24, exec_lo
	s_and_b32 s10, s10, exec_lo
	s_or_b32 s24, s24, s10
	s_and_not1_b32 exec_lo, exec_lo, s23
	s_cbranch_execz .LBB56_260
.LBB56_255:                             ;   Parent Loop BB56_6 Depth=1
                                        ; =>  This Inner Loop Header: Depth=2
	s_delay_alu instid0(VALU_DEP_1)
	v_cmp_gt_u32_e32 vcc_lo, s36, v1
	v_mov_b32_e32 v2, 0
	s_and_saveexec_b32 s25, vcc_lo
	s_cbranch_execz .LBB56_257
; %bb.256:                              ;   in Loop: Header=BB56_255 Depth=2
	v_lshlrev_b64 v[2:3], 1, v[8:9]
	s_delay_alu instid0(VALU_DEP_1) | instskip(NEXT) | instid1(VALU_DEP_1)
	v_add_co_u32 v2, s10, s31, v2
	v_add_co_ci_u32_e64 v3, s10, s33, v3, s10
	global_load_u16 v2, v[2:3], off
.LBB56_257:                             ;   in Loop: Header=BB56_255 Depth=2
	s_or_b32 exec_lo, exec_lo, s25
	s_and_saveexec_b32 s10, vcc_lo
	s_cbranch_execz .LBB56_254
; %bb.258:                              ;   in Loop: Header=BB56_255 Depth=2
	s_waitcnt vmcnt(0)
	v_bfe_i32 v3, v2, 0, 16
	s_delay_alu instid0(VALU_DEP_1) | instskip(NEXT) | instid1(VALU_DEP_1)
	v_add_nc_u32_e32 v3, 0x8000, v3
	v_and_b32_e32 v3, v3, v26
	s_delay_alu instid0(VALU_DEP_1)
	v_cmp_eq_u32_e32 vcc_lo, v3, v27
	s_and_b32 exec_lo, exec_lo, vcc_lo
	s_cbranch_execz .LBB56_254
; %bb.259:                              ;   in Loop: Header=BB56_255 Depth=2
	v_perm_b32 v2, v2, 1, 0x5040100
	ds_store_b32 v9, v2 offset:3072
	s_branch .LBB56_254
.LBB56_260:                             ;   in Loop: Header=BB56_6 Depth=1
	s_set_inst_prefetch_distance 0x2
	s_or_b32 exec_lo, exec_lo, s23
	v_lshrrev_b32_e32 v28, 16, v2
	s_and_b32 s10, s24, exec_lo
.LBB56_261:                             ;   in Loop: Header=BB56_6 Depth=1
	s_or_b32 exec_lo, exec_lo, s15
	s_mov_b32 s24, 0
	s_mov_b32 s23, -1
	s_mov_b32 s15, 0
.LBB56_262:                             ;   in Loop: Header=BB56_6 Depth=1
	s_or_not1_b32 s10, s10, exec_lo
.LBB56_263:                             ;   in Loop: Header=BB56_6 Depth=1
	s_or_b32 exec_lo, exec_lo, s21
                                        ; implicit-def: $vgpr4
                                        ; implicit-def: $vgpr3
                                        ; implicit-def: $vgpr1
                                        ; implicit-def: $vgpr2
                                        ; implicit-def: $vgpr30
	s_and_saveexec_b32 s21, s10
	s_cbranch_execz .LBB56_398
; %bb.264:                              ;   in Loop: Header=BB56_6 Depth=1
	v_dual_mov_b32 v3, 1 :: v_dual_mov_b32 v4, 1
	s_xor_b32 s22, s22, -1
	s_mov_b32 s28, 0
	s_and_saveexec_b32 s10, s22
	s_cbranch_execz .LBB56_274
; %bb.265:                              ;   in Loop: Header=BB56_6 Depth=1
	s_mov_b32 s25, exec_lo
                                        ; implicit-def: $sgpr26
                                        ; implicit-def: $sgpr22
	v_cmpx_ge_u32_e64 s19, v29
	s_xor_b32 s25, exec_lo, s25
	s_cbranch_execz .LBB56_271
; %bb.266:                              ;   in Loop: Header=BB56_6 Depth=1
	ds_load_b32 v1, v9 offset:4096
	s_waitcnt lgkmcnt(0)
	v_cmp_ne_u32_e32 vcc_lo, 0, v1
	s_cbranch_vccnz .LBB56_270
; %bb.267:                              ;   in Loop: Header=BB56_6 Depth=1
	s_and_saveexec_b32 s22, s5
	s_cbranch_execz .LBB56_269
; %bb.268:                              ;   in Loop: Header=BB56_6 Depth=1
	v_mov_b32_e32 v1, s19
	ds_store_b32 v9, v1 offset:4100
.LBB56_269:                             ;   in Loop: Header=BB56_6 Depth=1
	s_or_b32 exec_lo, exec_lo, s22
	s_waitcnt lgkmcnt(0)
	s_barrier
	buffer_gl0_inv
.LBB56_270:                             ;   in Loop: Header=BB56_6 Depth=1
	v_or_b32_e32 v27, s13, v27
	v_or_b32_e32 v26, s13, v26
	s_mov_b32 s22, 0
	s_mov_b32 s26, 5
.LBB56_271:                             ;   in Loop: Header=BB56_6 Depth=1
	s_or_saveexec_b32 s25, s25
	v_mov_b32_e32 v4, s26
	s_xor_b32 exec_lo, exec_lo, s25
; %bb.272:                              ;   in Loop: Header=BB56_6 Depth=1
	v_subrev_nc_u32_e32 v29, s19, v29
	v_mov_b32_e32 v4, 0
	s_or_b32 s22, s22, exec_lo
; %bb.273:                              ;   in Loop: Header=BB56_6 Depth=1
	s_or_b32 exec_lo, exec_lo, s25
	s_delay_alu instid0(VALU_DEP_2)
	v_mov_b32_e32 v3, v29
	s_and_b32 s28, s22, exec_lo
.LBB56_274:                             ;   in Loop: Header=BB56_6 Depth=1
	s_or_b32 exec_lo, exec_lo, s10
	s_mov_b32 s26, -1
                                        ; implicit-def: $sgpr22
                                        ; implicit-def: $sgpr25
                                        ; implicit-def: $sgpr27
	s_and_saveexec_b32 s10, s28
	s_delay_alu instid0(SALU_CYCLE_1)
	s_xor_b32 s19, exec_lo, s10
	s_cbranch_execz .LBB56_395
; %bb.275:                              ;   in Loop: Header=BB56_6 Depth=1
	v_cmp_eq_u32_e32 vcc_lo, 1, v3
	s_cmp_eq_u32 s18, 1
                                        ; implicit-def: $sgpr22
                                        ; implicit-def: $sgpr25
                                        ; implicit-def: $sgpr26
	s_cselect_b32 s10, -1, 0
	s_delay_alu instid0(SALU_CYCLE_1)
	s_and_b32 s28, s10, vcc_lo
	s_mov_b32 s10, -1
	s_and_saveexec_b32 s27, s28
	s_cbranch_execz .LBB56_301
; %bb.276:                              ;   in Loop: Header=BB56_6 Depth=1
	ds_load_b32 v1, v9 offset:4096
	s_waitcnt lgkmcnt(0)
	s_barrier
	buffer_gl0_inv
	v_readfirstlane_b32 s22, v1
	s_and_saveexec_b32 s10, s6
	s_cbranch_execz .LBB56_278
; %bb.277:                              ;   in Loop: Header=BB56_6 Depth=1
	ds_store_b16 v19, v9
.LBB56_278:                             ;   in Loop: Header=BB56_6 Depth=1
	s_or_b32 exec_lo, exec_lo, s10
	s_lshl_b32 s10, 2, s17
	v_or_b32_e32 v26, s13, v26
	v_and_or_b32 v27, v27, s14, s10
	s_cmp_eq_u32 s22, 0
	s_waitcnt lgkmcnt(0)
	s_barrier
	buffer_gl0_inv
	s_cbranch_scc1 .LBB56_287
; %bb.279:                              ;   in Loop: Header=BB56_6 Depth=1
	s_add_i32 s10, s22, s53
                                        ; implicit-def: $vgpr28
	s_delay_alu instid0(SALU_CYCLE_1) | instskip(NEXT) | instid1(SALU_CYCLE_1)
	s_mul_hi_u32 s25, s10, s60
	s_mul_i32 s25, s25, s42
	s_delay_alu instid0(SALU_CYCLE_1) | instskip(NEXT) | instid1(SALU_CYCLE_1)
	s_sub_i32 s25, s10, s25
	s_sub_i32 s26, s25, s42
	s_cmp_ge_u32 s25, s42
	s_cselect_b32 s25, s26, s25
	s_delay_alu instid0(SALU_CYCLE_1) | instskip(SKIP_2) | instid1(SALU_CYCLE_1)
	s_sub_i32 s26, s25, s42
	s_cmp_ge_u32 s25, s42
	s_cselect_b32 s25, s26, s25
	s_sub_i32 s26, s10, s25
	s_mov_b32 s10, 0
	s_mov_b32 s25, exec_lo
	v_cmpx_gt_u32_e64 s26, v0
	s_cbranch_execz .LBB56_289
; %bb.280:                              ;   in Loop: Header=BB56_6 Depth=1
	v_dual_mov_b32 v1, v17 :: v_dual_mov_b32 v2, v0
	s_mov_b32 s29, 0
                                        ; implicit-def: $sgpr77
	s_set_inst_prefetch_distance 0x1
	s_branch .LBB56_282
	.p2align	6
.LBB56_281:                             ;   in Loop: Header=BB56_282 Depth=2
	s_or_b32 exec_lo, exec_lo, s10
	s_waitcnt lgkmcnt(0)
	s_barrier
	buffer_gl0_inv
	ds_load_b32 v4, v9 offset:3072
	v_add_nc_u32_e32 v2, s42, v2
	v_add_nc_u32_e32 v1, s64, v1
	s_waitcnt lgkmcnt(0)
	s_barrier
	buffer_gl0_inv
	v_cmp_le_u32_e32 vcc_lo, s26, v2
	v_cmp_ne_u16_e64 s10, 0, v4
	s_delay_alu instid0(VALU_DEP_1) | instskip(NEXT) | instid1(SALU_CYCLE_1)
	s_or_b32 s78, vcc_lo, s10
	s_and_b32 s78, exec_lo, s78
	s_delay_alu instid0(SALU_CYCLE_1) | instskip(SKIP_2) | instid1(SALU_CYCLE_1)
	s_or_b32 s29, s78, s29
	s_and_not1_b32 s77, s77, exec_lo
	s_and_b32 s10, s10, exec_lo
	s_or_b32 s77, s77, s10
	s_and_not1_b32 exec_lo, exec_lo, s29
	s_cbranch_execz .LBB56_288
.LBB56_282:                             ;   Parent Loop BB56_6 Depth=1
                                        ; =>  This Inner Loop Header: Depth=2
	s_delay_alu instid0(VALU_DEP_1)
	v_cmp_gt_u32_e32 vcc_lo, s22, v2
	v_mov_b32_e32 v4, 0
	s_and_saveexec_b32 s10, vcc_lo
	s_cbranch_execz .LBB56_284
; %bb.283:                              ;   in Loop: Header=BB56_282 Depth=2
	ds_load_u16 v4, v1
.LBB56_284:                             ;   in Loop: Header=BB56_282 Depth=2
	s_or_b32 exec_lo, exec_lo, s10
	s_and_saveexec_b32 s10, vcc_lo
	s_cbranch_execz .LBB56_281
; %bb.285:                              ;   in Loop: Header=BB56_282 Depth=2
	s_waitcnt lgkmcnt(0)
	v_bfe_i32 v8, v4, 0, 16
	s_delay_alu instid0(VALU_DEP_1) | instskip(NEXT) | instid1(VALU_DEP_1)
	v_add_nc_u32_e32 v8, 0x8000, v8
	v_and_b32_e32 v8, v8, v26
	s_delay_alu instid0(VALU_DEP_1)
	v_cmp_eq_u32_e32 vcc_lo, v8, v27
	s_and_b32 exec_lo, exec_lo, vcc_lo
	s_cbranch_execz .LBB56_281
; %bb.286:                              ;   in Loop: Header=BB56_282 Depth=2
	v_perm_b32 v4, v4, 1, 0x5040100
	ds_store_b32 v9, v4 offset:3072
	s_branch .LBB56_281
.LBB56_287:                             ;   in Loop: Header=BB56_6 Depth=1
	s_mov_b32 s22, -1
	s_mov_b32 s10, 0
                                        ; implicit-def: $sgpr25
                                        ; implicit-def: $vgpr28
	s_mov_b32 s26, s22
	s_cbranch_execnz .LBB56_290
	s_branch .LBB56_300
.LBB56_288:                             ;   in Loop: Header=BB56_6 Depth=1
	s_set_inst_prefetch_distance 0x2
	s_or_b32 exec_lo, exec_lo, s29
	v_lshrrev_b32_e32 v28, 16, v4
	s_and_b32 s10, s77, exec_lo
.LBB56_289:                             ;   in Loop: Header=BB56_6 Depth=1
	s_or_b32 exec_lo, exec_lo, s25
	s_mov_b32 s22, 0
	s_mov_b32 s25, -1
	s_mov_b32 s26, s22
	s_branch .LBB56_300
.LBB56_290:                             ;   in Loop: Header=BB56_6 Depth=1
	s_mov_b32 s10, 0
                                        ; implicit-def: $vgpr28
	s_and_saveexec_b32 s22, s9
	s_cbranch_execz .LBB56_299
; %bb.291:                              ;   in Loop: Header=BB56_6 Depth=1
	v_dual_mov_b32 v8, v7 :: v_dual_mov_b32 v1, v0
	s_mov_b32 s25, 0
                                        ; implicit-def: $sgpr26
	s_set_inst_prefetch_distance 0x1
	s_branch .LBB56_293
	.p2align	6
.LBB56_292:                             ;   in Loop: Header=BB56_293 Depth=2
	s_or_b32 exec_lo, exec_lo, s10
	s_waitcnt vmcnt(0) lgkmcnt(0)
	s_barrier
	buffer_gl0_inv
	ds_load_b32 v2, v9 offset:3072
	v_add_nc_u32_e32 v1, s42, v1
	v_add_nc_u32_e32 v8, s44, v8
	s_waitcnt lgkmcnt(0)
	s_barrier
	buffer_gl0_inv
	v_cmp_le_u32_e32 vcc_lo, s61, v1
	v_cmp_ne_u16_e64 s10, 0, v2
	s_delay_alu instid0(VALU_DEP_1) | instskip(NEXT) | instid1(SALU_CYCLE_1)
	s_or_b32 s29, vcc_lo, s10
	s_and_b32 s29, exec_lo, s29
	s_delay_alu instid0(SALU_CYCLE_1) | instskip(SKIP_2) | instid1(SALU_CYCLE_1)
	s_or_b32 s25, s29, s25
	s_and_not1_b32 s26, s26, exec_lo
	s_and_b32 s10, s10, exec_lo
	s_or_b32 s26, s26, s10
	s_and_not1_b32 exec_lo, exec_lo, s25
	s_cbranch_execz .LBB56_298
.LBB56_293:                             ;   Parent Loop BB56_6 Depth=1
                                        ; =>  This Inner Loop Header: Depth=2
	s_delay_alu instid0(VALU_DEP_1)
	v_cmp_gt_u32_e32 vcc_lo, s36, v1
	v_mov_b32_e32 v2, 0
	s_and_saveexec_b32 s29, vcc_lo
	s_cbranch_execz .LBB56_295
; %bb.294:                              ;   in Loop: Header=BB56_293 Depth=2
	v_lshlrev_b64 v[28:29], 1, v[8:9]
	s_delay_alu instid0(VALU_DEP_1) | instskip(NEXT) | instid1(VALU_DEP_1)
	v_add_co_u32 v28, s10, s31, v28
	v_add_co_ci_u32_e64 v29, s10, s33, v29, s10
	global_load_u16 v2, v[28:29], off
.LBB56_295:                             ;   in Loop: Header=BB56_293 Depth=2
	s_or_b32 exec_lo, exec_lo, s29
	s_and_saveexec_b32 s10, vcc_lo
	s_cbranch_execz .LBB56_292
; %bb.296:                              ;   in Loop: Header=BB56_293 Depth=2
	s_waitcnt vmcnt(0)
	v_bfe_i32 v4, v2, 0, 16
	s_delay_alu instid0(VALU_DEP_1) | instskip(NEXT) | instid1(VALU_DEP_1)
	v_add_nc_u32_e32 v4, 0x8000, v4
	v_and_b32_e32 v4, v4, v26
	s_delay_alu instid0(VALU_DEP_1)
	v_cmp_eq_u32_e32 vcc_lo, v4, v27
	s_and_b32 exec_lo, exec_lo, vcc_lo
	s_cbranch_execz .LBB56_292
; %bb.297:                              ;   in Loop: Header=BB56_293 Depth=2
	v_perm_b32 v2, v2, 1, 0x5040100
	ds_store_b32 v9, v2 offset:3072
	s_branch .LBB56_292
.LBB56_298:                             ;   in Loop: Header=BB56_6 Depth=1
	s_set_inst_prefetch_distance 0x2
	s_or_b32 exec_lo, exec_lo, s25
	v_lshrrev_b32_e32 v28, 16, v2
	s_and_b32 s10, s26, exec_lo
.LBB56_299:                             ;   in Loop: Header=BB56_6 Depth=1
	s_or_b32 exec_lo, exec_lo, s22
	s_mov_b32 s25, 0
	s_mov_b32 s22, -1
	s_mov_b32 s26, 0
.LBB56_300:                             ;   in Loop: Header=BB56_6 Depth=1
	s_or_not1_b32 s10, s10, exec_lo
.LBB56_301:                             ;   in Loop: Header=BB56_6 Depth=1
	s_or_b32 exec_lo, exec_lo, s27
	s_mov_b32 s29, 0
                                        ; implicit-def: $vgpr4
	s_and_saveexec_b32 s27, s10
	s_cbranch_execz .LBB56_394
; %bb.302:                              ;   in Loop: Header=BB56_6 Depth=1
	v_dual_mov_b32 v1, 1 :: v_dual_mov_b32 v4, 1
	s_xor_b32 s28, s28, -1
	s_mov_b32 s77, 0
	s_and_saveexec_b32 s10, s28
	s_cbranch_execz .LBB56_312
; %bb.303:                              ;   in Loop: Header=BB56_6 Depth=1
	s_mov_b32 s29, exec_lo
                                        ; implicit-def: $sgpr77
                                        ; implicit-def: $sgpr28
	v_cmpx_ge_u32_e64 s18, v3
	s_xor_b32 s29, exec_lo, s29
	s_cbranch_execz .LBB56_309
; %bb.304:                              ;   in Loop: Header=BB56_6 Depth=1
	ds_load_b32 v1, v9 offset:4096
	s_waitcnt lgkmcnt(0)
	v_cmp_ne_u32_e32 vcc_lo, 0, v1
	s_cbranch_vccnz .LBB56_308
; %bb.305:                              ;   in Loop: Header=BB56_6 Depth=1
	s_and_saveexec_b32 s28, s5
	s_cbranch_execz .LBB56_307
; %bb.306:                              ;   in Loop: Header=BB56_6 Depth=1
	v_mov_b32_e32 v1, s18
	ds_store_b32 v9, v1 offset:4100
.LBB56_307:                             ;   in Loop: Header=BB56_6 Depth=1
	s_or_b32 exec_lo, exec_lo, s28
	s_waitcnt lgkmcnt(0)
	s_barrier
	buffer_gl0_inv
.LBB56_308:                             ;   in Loop: Header=BB56_6 Depth=1
	s_lshl_b32 s28, 2, s17
	v_or_b32_e32 v26, s13, v26
	v_and_or_b32 v27, v27, s14, s28
	s_mov_b32 s28, 0
	s_mov_b32 s77, 5
.LBB56_309:                             ;   in Loop: Header=BB56_6 Depth=1
	s_or_saveexec_b32 s29, s29
	v_mov_b32_e32 v4, s77
	s_xor_b32 exec_lo, exec_lo, s29
; %bb.310:                              ;   in Loop: Header=BB56_6 Depth=1
	v_subrev_nc_u32_e32 v3, s18, v3
	v_mov_b32_e32 v4, 0
	s_or_b32 s28, s28, exec_lo
; %bb.311:                              ;   in Loop: Header=BB56_6 Depth=1
	s_or_b32 exec_lo, exec_lo, s29
	s_delay_alu instid0(VALU_DEP_2)
	v_mov_b32_e32 v1, v3
	s_and_b32 s77, s28, exec_lo
.LBB56_312:                             ;   in Loop: Header=BB56_6 Depth=1
	s_or_b32 exec_lo, exec_lo, s10
	s_mov_b32 s10, -1
                                        ; implicit-def: $sgpr28
                                        ; implicit-def: $sgpr29
                                        ; implicit-def: $sgpr78
	s_and_saveexec_b32 s18, s77
	s_cbranch_execz .LBB56_393
; %bb.313:                              ;   in Loop: Header=BB56_6 Depth=1
	v_cmp_eq_u32_e32 vcc_lo, 1, v1
	s_cmp_eq_u32 s16, 1
                                        ; implicit-def: $sgpr28
                                        ; implicit-def: $sgpr29
                                        ; implicit-def: $sgpr77
	s_cselect_b32 s10, -1, 0
	s_delay_alu instid0(SALU_CYCLE_1)
	s_and_b32 s79, s10, vcc_lo
	s_mov_b32 s10, -1
	s_and_saveexec_b32 s78, s79
	s_cbranch_execz .LBB56_339
; %bb.314:                              ;   in Loop: Header=BB56_6 Depth=1
	ds_load_b32 v2, v9 offset:4096
	s_waitcnt lgkmcnt(0)
	s_barrier
	buffer_gl0_inv
	v_readfirstlane_b32 s28, v2
	s_and_saveexec_b32 s10, s6
	s_cbranch_execz .LBB56_316
; %bb.315:                              ;   in Loop: Header=BB56_6 Depth=1
	ds_store_b16 v19, v9
.LBB56_316:                             ;   in Loop: Header=BB56_6 Depth=1
	s_or_b32 exec_lo, exec_lo, s10
	s_lshl_b32 s10, 1, s17
	v_or_b32_e32 v26, s13, v26
	v_and_or_b32 v27, v27, s14, s10
	s_cmp_eq_u32 s28, 0
	s_waitcnt lgkmcnt(0)
	s_barrier
	buffer_gl0_inv
	s_cbranch_scc1 .LBB56_325
; %bb.317:                              ;   in Loop: Header=BB56_6 Depth=1
	s_add_i32 s10, s28, s53
                                        ; implicit-def: $vgpr28
	s_delay_alu instid0(SALU_CYCLE_1) | instskip(NEXT) | instid1(SALU_CYCLE_1)
	s_mul_hi_u32 s29, s10, s60
	s_mul_i32 s29, s29, s42
	s_delay_alu instid0(SALU_CYCLE_1) | instskip(NEXT) | instid1(SALU_CYCLE_1)
	s_sub_i32 s29, s10, s29
	s_sub_i32 s77, s29, s42
	s_cmp_ge_u32 s29, s42
	s_cselect_b32 s29, s77, s29
	s_delay_alu instid0(SALU_CYCLE_1) | instskip(SKIP_2) | instid1(SALU_CYCLE_1)
	s_sub_i32 s77, s29, s42
	s_cmp_ge_u32 s29, s42
	s_cselect_b32 s29, s77, s29
	s_sub_i32 s77, s10, s29
	s_mov_b32 s10, 0
	s_mov_b32 s29, exec_lo
	v_cmpx_gt_u32_e64 s77, v0
	s_cbranch_execz .LBB56_327
; %bb.318:                              ;   in Loop: Header=BB56_6 Depth=1
	v_dual_mov_b32 v2, v17 :: v_dual_mov_b32 v3, v0
	s_mov_b32 s80, 0
                                        ; implicit-def: $sgpr81
	s_set_inst_prefetch_distance 0x1
	s_branch .LBB56_320
	.p2align	6
.LBB56_319:                             ;   in Loop: Header=BB56_320 Depth=2
	s_or_b32 exec_lo, exec_lo, s10
	s_waitcnt lgkmcnt(0)
	s_barrier
	buffer_gl0_inv
	ds_load_b32 v4, v9 offset:3072
	v_add_nc_u32_e32 v3, s42, v3
	v_add_nc_u32_e32 v2, s64, v2
	s_waitcnt lgkmcnt(0)
	s_barrier
	buffer_gl0_inv
	v_cmp_le_u32_e32 vcc_lo, s77, v3
	v_cmp_ne_u16_e64 s10, 0, v4
	s_delay_alu instid0(VALU_DEP_1) | instskip(NEXT) | instid1(SALU_CYCLE_1)
	s_or_b32 s82, vcc_lo, s10
	s_and_b32 s82, exec_lo, s82
	s_delay_alu instid0(SALU_CYCLE_1) | instskip(SKIP_2) | instid1(SALU_CYCLE_1)
	s_or_b32 s80, s82, s80
	s_and_not1_b32 s81, s81, exec_lo
	s_and_b32 s10, s10, exec_lo
	s_or_b32 s81, s81, s10
	s_and_not1_b32 exec_lo, exec_lo, s80
	s_cbranch_execz .LBB56_326
.LBB56_320:                             ;   Parent Loop BB56_6 Depth=1
                                        ; =>  This Inner Loop Header: Depth=2
	s_delay_alu instid0(VALU_DEP_1)
	v_cmp_gt_u32_e32 vcc_lo, s28, v3
	v_mov_b32_e32 v4, 0
	s_and_saveexec_b32 s10, vcc_lo
	s_cbranch_execz .LBB56_322
; %bb.321:                              ;   in Loop: Header=BB56_320 Depth=2
	ds_load_u16 v4, v2
.LBB56_322:                             ;   in Loop: Header=BB56_320 Depth=2
	s_or_b32 exec_lo, exec_lo, s10
	s_and_saveexec_b32 s10, vcc_lo
	s_cbranch_execz .LBB56_319
; %bb.323:                              ;   in Loop: Header=BB56_320 Depth=2
	s_waitcnt lgkmcnt(0)
	v_bfe_i32 v8, v4, 0, 16
	s_delay_alu instid0(VALU_DEP_1) | instskip(NEXT) | instid1(VALU_DEP_1)
	v_add_nc_u32_e32 v8, 0x8000, v8
	v_and_b32_e32 v8, v8, v26
	s_delay_alu instid0(VALU_DEP_1)
	v_cmp_eq_u32_e32 vcc_lo, v8, v27
	s_and_b32 exec_lo, exec_lo, vcc_lo
	s_cbranch_execz .LBB56_319
; %bb.324:                              ;   in Loop: Header=BB56_320 Depth=2
	v_perm_b32 v4, v4, 1, 0x5040100
	ds_store_b32 v9, v4 offset:3072
	s_branch .LBB56_319
.LBB56_325:                             ;   in Loop: Header=BB56_6 Depth=1
	s_mov_b32 s28, -1
	s_mov_b32 s10, 0
                                        ; implicit-def: $sgpr29
                                        ; implicit-def: $vgpr28
	s_mov_b32 s77, s28
	s_cbranch_execnz .LBB56_328
	s_branch .LBB56_338
.LBB56_326:                             ;   in Loop: Header=BB56_6 Depth=1
	s_set_inst_prefetch_distance 0x2
	s_or_b32 exec_lo, exec_lo, s80
	v_lshrrev_b32_e32 v28, 16, v4
	s_and_b32 s10, s81, exec_lo
.LBB56_327:                             ;   in Loop: Header=BB56_6 Depth=1
	s_or_b32 exec_lo, exec_lo, s29
	s_mov_b32 s28, 0
	s_mov_b32 s29, -1
	s_mov_b32 s77, s28
	s_branch .LBB56_338
.LBB56_328:                             ;   in Loop: Header=BB56_6 Depth=1
	s_mov_b32 s10, 0
                                        ; implicit-def: $vgpr28
	s_and_saveexec_b32 s28, s9
	s_cbranch_execz .LBB56_337
; %bb.329:                              ;   in Loop: Header=BB56_6 Depth=1
	v_mov_b32_e32 v8, v7
	v_mov_b32_e32 v2, v0
	s_mov_b32 s29, 0
                                        ; implicit-def: $sgpr77
	s_set_inst_prefetch_distance 0x1
	s_branch .LBB56_331
	.p2align	6
.LBB56_330:                             ;   in Loop: Header=BB56_331 Depth=2
	s_or_b32 exec_lo, exec_lo, s10
	s_waitcnt vmcnt(0) lgkmcnt(0)
	s_barrier
	buffer_gl0_inv
	ds_load_b32 v3, v9 offset:3072
	v_add_nc_u32_e32 v2, s42, v2
	v_add_nc_u32_e32 v8, s44, v8
	s_waitcnt lgkmcnt(0)
	s_barrier
	buffer_gl0_inv
	v_cmp_le_u32_e32 vcc_lo, s61, v2
	v_cmp_ne_u16_e64 s10, 0, v3
	s_delay_alu instid0(VALU_DEP_1) | instskip(NEXT) | instid1(SALU_CYCLE_1)
	s_or_b32 s80, vcc_lo, s10
	s_and_b32 s80, exec_lo, s80
	s_delay_alu instid0(SALU_CYCLE_1) | instskip(SKIP_2) | instid1(SALU_CYCLE_1)
	s_or_b32 s29, s80, s29
	s_and_not1_b32 s77, s77, exec_lo
	s_and_b32 s10, s10, exec_lo
	s_or_b32 s77, s77, s10
	s_and_not1_b32 exec_lo, exec_lo, s29
	s_cbranch_execz .LBB56_336
.LBB56_331:                             ;   Parent Loop BB56_6 Depth=1
                                        ; =>  This Inner Loop Header: Depth=2
	s_delay_alu instid0(VALU_DEP_1)
	v_cmp_gt_u32_e32 vcc_lo, s36, v2
	v_mov_b32_e32 v3, 0
	s_and_saveexec_b32 s80, vcc_lo
	s_cbranch_execz .LBB56_333
; %bb.332:                              ;   in Loop: Header=BB56_331 Depth=2
	v_lshlrev_b64 v[3:4], 1, v[8:9]
	s_delay_alu instid0(VALU_DEP_1) | instskip(NEXT) | instid1(VALU_DEP_1)
	v_add_co_u32 v3, s10, s31, v3
	v_add_co_ci_u32_e64 v4, s10, s33, v4, s10
	global_load_u16 v3, v[3:4], off
.LBB56_333:                             ;   in Loop: Header=BB56_331 Depth=2
	s_or_b32 exec_lo, exec_lo, s80
	s_and_saveexec_b32 s10, vcc_lo
	s_cbranch_execz .LBB56_330
; %bb.334:                              ;   in Loop: Header=BB56_331 Depth=2
	s_waitcnt vmcnt(0)
	v_bfe_i32 v4, v3, 0, 16
	s_delay_alu instid0(VALU_DEP_1) | instskip(NEXT) | instid1(VALU_DEP_1)
	v_add_nc_u32_e32 v4, 0x8000, v4
	v_and_b32_e32 v4, v4, v26
	s_delay_alu instid0(VALU_DEP_1)
	v_cmp_eq_u32_e32 vcc_lo, v4, v27
	s_and_b32 exec_lo, exec_lo, vcc_lo
	s_cbranch_execz .LBB56_330
; %bb.335:                              ;   in Loop: Header=BB56_331 Depth=2
	v_perm_b32 v3, v3, 1, 0x5040100
	ds_store_b32 v9, v3 offset:3072
	s_branch .LBB56_330
.LBB56_336:                             ;   in Loop: Header=BB56_6 Depth=1
	s_set_inst_prefetch_distance 0x2
	s_or_b32 exec_lo, exec_lo, s29
	v_lshrrev_b32_e32 v28, 16, v3
	s_and_b32 s10, s77, exec_lo
.LBB56_337:                             ;   in Loop: Header=BB56_6 Depth=1
	s_or_b32 exec_lo, exec_lo, s28
	s_mov_b32 s29, 0
	s_mov_b32 s28, -1
	s_mov_b32 s77, 0
.LBB56_338:                             ;   in Loop: Header=BB56_6 Depth=1
	s_or_not1_b32 s10, s10, exec_lo
.LBB56_339:                             ;   in Loop: Header=BB56_6 Depth=1
	s_or_b32 exec_lo, exec_lo, s78
	s_mov_b32 s80, 0
                                        ; implicit-def: $vgpr4
	s_and_saveexec_b32 s78, s10
	s_cbranch_execz .LBB56_392
; %bb.340:                              ;   in Loop: Header=BB56_6 Depth=1
	v_mov_b32_e32 v2, 1
	v_mov_b32_e32 v4, 1
	s_xor_b32 s80, s79, -1
	s_mov_b32 s79, 0
	s_and_saveexec_b32 s10, s80
	s_cbranch_execz .LBB56_350
; %bb.341:                              ;   in Loop: Header=BB56_6 Depth=1
	s_mov_b32 s80, exec_lo
                                        ; implicit-def: $sgpr81
                                        ; implicit-def: $sgpr79
	v_cmpx_ge_u32_e64 s16, v1
	s_xor_b32 s80, exec_lo, s80
	s_cbranch_execz .LBB56_347
; %bb.342:                              ;   in Loop: Header=BB56_6 Depth=1
	ds_load_b32 v2, v9 offset:4096
	s_waitcnt lgkmcnt(0)
	v_cmp_ne_u32_e32 vcc_lo, 0, v2
	s_cbranch_vccnz .LBB56_346
; %bb.343:                              ;   in Loop: Header=BB56_6 Depth=1
	s_and_saveexec_b32 s79, s5
	s_cbranch_execz .LBB56_345
; %bb.344:                              ;   in Loop: Header=BB56_6 Depth=1
	v_mov_b32_e32 v2, s16
	ds_store_b32 v9, v2 offset:4100
.LBB56_345:                             ;   in Loop: Header=BB56_6 Depth=1
	s_or_b32 exec_lo, exec_lo, s79
	s_waitcnt lgkmcnt(0)
	s_barrier
	buffer_gl0_inv
.LBB56_346:                             ;   in Loop: Header=BB56_6 Depth=1
	s_lshl_b32 s17, 1, s17
	v_or_b32_e32 v26, s13, v26
	v_and_or_b32 v27, v27, s14, s17
	s_mov_b32 s79, 0
	s_mov_b32 s81, 5
.LBB56_347:                             ;   in Loop: Header=BB56_6 Depth=1
	s_or_saveexec_b32 s17, s80
	v_mov_b32_e32 v4, s81
	s_xor_b32 exec_lo, exec_lo, s17
; %bb.348:                              ;   in Loop: Header=BB56_6 Depth=1
	v_subrev_nc_u32_e32 v1, s16, v1
	v_mov_b32_e32 v4, 0
	s_or_b32 s79, s79, exec_lo
; %bb.349:                              ;   in Loop: Header=BB56_6 Depth=1
	s_or_b32 exec_lo, exec_lo, s17
	s_delay_alu instid0(VALU_DEP_2)
	v_mov_b32_e32 v2, v1
	s_and_b32 s79, s79, exec_lo
.LBB56_350:                             ;   in Loop: Header=BB56_6 Depth=1
	s_or_b32 exec_lo, exec_lo, s10
	s_mov_b32 s17, -1
                                        ; implicit-def: $sgpr10
                                        ; implicit-def: $sgpr80
                                        ; implicit-def: $sgpr81
	s_and_saveexec_b32 s16, s79
	s_cbranch_execz .LBB56_391
; %bb.351:                              ;   in Loop: Header=BB56_6 Depth=1
	v_cmp_eq_u32_e32 vcc_lo, 1, v2
	s_cmp_eq_u32 s12, 1
	s_mov_b32 s82, -1
	s_cselect_b32 s10, -1, 0
                                        ; implicit-def: $sgpr80
                                        ; implicit-def: $sgpr81
	s_delay_alu instid0(SALU_CYCLE_1) | instskip(NEXT) | instid1(SALU_CYCLE_1)
	s_and_b32 s17, s10, vcc_lo
                                        ; implicit-def: $sgpr10
	s_and_saveexec_b32 s79, s17
	s_cbranch_execz .LBB56_378
; %bb.352:                              ;   in Loop: Header=BB56_6 Depth=1
	ds_load_b32 v1, v9 offset:4096
	s_waitcnt lgkmcnt(0)
	s_barrier
	buffer_gl0_inv
	v_readfirstlane_b32 s80, v1
	s_and_saveexec_b32 s10, s6
	s_cbranch_execz .LBB56_354
; %bb.353:                              ;   in Loop: Header=BB56_6 Depth=1
	ds_store_b16 v19, v9
.LBB56_354:                             ;   in Loop: Header=BB56_6 Depth=1
	s_or_b32 exec_lo, exec_lo, s10
	v_and_b32_e32 v27, s14, v27
	v_or_b32_e32 v26, s13, v26
	s_cmp_eq_u32 s80, 0
	s_waitcnt lgkmcnt(0)
	s_barrier
	buffer_gl0_inv
	s_cbranch_scc1 .LBB56_363
; %bb.355:                              ;   in Loop: Header=BB56_6 Depth=1
	s_add_i32 s10, s80, s53
                                        ; implicit-def: $vgpr28
	s_delay_alu instid0(SALU_CYCLE_1) | instskip(NEXT) | instid1(SALU_CYCLE_1)
	s_mul_hi_u32 s81, s10, s60
	s_mul_i32 s81, s81, s42
	s_delay_alu instid0(SALU_CYCLE_1) | instskip(NEXT) | instid1(SALU_CYCLE_1)
	s_sub_i32 s81, s10, s81
	s_sub_i32 s82, s81, s42
	s_cmp_ge_u32 s81, s42
	s_cselect_b32 s81, s82, s81
	s_delay_alu instid0(SALU_CYCLE_1)
	s_sub_i32 s82, s81, s42
	s_cmp_ge_u32 s81, s42
	s_cselect_b32 s81, s82, s81
	s_mov_b32 s82, 0
	s_sub_i32 s83, s10, s81
	s_mov_b32 s81, exec_lo
	v_cmpx_gt_u32_e64 s83, v0
	s_cbranch_execz .LBB56_365
; %bb.356:                              ;   in Loop: Header=BB56_6 Depth=1
	v_mov_b32_e32 v1, v17
	v_mov_b32_e32 v3, v0
                                        ; implicit-def: $sgpr84
	s_set_inst_prefetch_distance 0x1
	s_branch .LBB56_358
	.p2align	6
.LBB56_357:                             ;   in Loop: Header=BB56_358 Depth=2
	s_or_b32 exec_lo, exec_lo, s10
	s_waitcnt lgkmcnt(0)
	s_barrier
	buffer_gl0_inv
	ds_load_b32 v4, v9 offset:3072
	v_add_nc_u32_e32 v3, s42, v3
	v_add_nc_u32_e32 v1, s64, v1
	s_waitcnt lgkmcnt(0)
	s_barrier
	buffer_gl0_inv
	v_cmp_le_u32_e32 vcc_lo, s83, v3
	v_cmp_ne_u16_e64 s10, 0, v4
	s_delay_alu instid0(VALU_DEP_1) | instskip(NEXT) | instid1(SALU_CYCLE_1)
	s_or_b32 s85, vcc_lo, s10
	s_and_b32 s85, exec_lo, s85
	s_delay_alu instid0(SALU_CYCLE_1) | instskip(SKIP_2) | instid1(SALU_CYCLE_1)
	s_or_b32 s82, s85, s82
	s_and_not1_b32 s84, s84, exec_lo
	s_and_b32 s10, s10, exec_lo
	s_or_b32 s84, s84, s10
	s_and_not1_b32 exec_lo, exec_lo, s82
	s_cbranch_execz .LBB56_364
.LBB56_358:                             ;   Parent Loop BB56_6 Depth=1
                                        ; =>  This Inner Loop Header: Depth=2
	s_delay_alu instid0(VALU_DEP_1)
	v_cmp_gt_u32_e32 vcc_lo, s80, v3
	v_mov_b32_e32 v4, 0
	s_and_saveexec_b32 s10, vcc_lo
	s_cbranch_execz .LBB56_360
; %bb.359:                              ;   in Loop: Header=BB56_358 Depth=2
	ds_load_u16 v4, v1
.LBB56_360:                             ;   in Loop: Header=BB56_358 Depth=2
	s_or_b32 exec_lo, exec_lo, s10
	s_and_saveexec_b32 s10, vcc_lo
	s_cbranch_execz .LBB56_357
; %bb.361:                              ;   in Loop: Header=BB56_358 Depth=2
	s_waitcnt lgkmcnt(0)
	v_bfe_i32 v8, v4, 0, 16
	s_delay_alu instid0(VALU_DEP_1) | instskip(NEXT) | instid1(VALU_DEP_1)
	v_add_nc_u32_e32 v8, 0x8000, v8
	v_and_b32_e32 v8, v8, v26
	s_delay_alu instid0(VALU_DEP_1)
	v_cmp_eq_u32_e32 vcc_lo, v8, v27
	s_and_b32 exec_lo, exec_lo, vcc_lo
	s_cbranch_execz .LBB56_357
; %bb.362:                              ;   in Loop: Header=BB56_358 Depth=2
	v_perm_b32 v4, v4, 1, 0x5040100
	ds_store_b32 v9, v4 offset:3072
	s_branch .LBB56_357
.LBB56_363:                             ;   in Loop: Header=BB56_6 Depth=1
	s_mov_b32 s10, -1
	s_mov_b32 s82, 0
                                        ; implicit-def: $sgpr80
                                        ; implicit-def: $vgpr28
	s_branch .LBB56_366
.LBB56_364:                             ;   in Loop: Header=BB56_6 Depth=1
	s_set_inst_prefetch_distance 0x2
	s_or_b32 exec_lo, exec_lo, s82
	v_lshrrev_b32_e32 v28, 16, v4
	s_and_b32 s82, s84, exec_lo
.LBB56_365:                             ;   in Loop: Header=BB56_6 Depth=1
	s_or_b32 exec_lo, exec_lo, s81
	s_mov_b32 s10, 0
	s_mov_b32 s80, -1
.LBB56_366:                             ;   in Loop: Header=BB56_6 Depth=1
	s_and_b32 vcc_lo, exec_lo, s10
	s_mov_b32 s81, s10
	s_cbranch_vccz .LBB56_377
; %bb.367:                              ;   in Loop: Header=BB56_6 Depth=1
	s_mov_b32 s82, 0
                                        ; implicit-def: $vgpr28
	s_and_saveexec_b32 s80, s9
	s_cbranch_execz .LBB56_376
; %bb.368:                              ;   in Loop: Header=BB56_6 Depth=1
	v_dual_mov_b32 v8, v7 :: v_dual_mov_b32 v1, v0
	s_mov_b32 s81, 0
                                        ; implicit-def: $sgpr82
	s_set_inst_prefetch_distance 0x1
	s_branch .LBB56_370
	.p2align	6
.LBB56_369:                             ;   in Loop: Header=BB56_370 Depth=2
	s_or_b32 exec_lo, exec_lo, s10
	s_waitcnt vmcnt(0) lgkmcnt(0)
	s_barrier
	buffer_gl0_inv
	ds_load_b32 v3, v9 offset:3072
	v_add_nc_u32_e32 v1, s42, v1
	v_add_nc_u32_e32 v8, s44, v8
	s_waitcnt lgkmcnt(0)
	s_barrier
	buffer_gl0_inv
	v_cmp_le_u32_e32 vcc_lo, s61, v1
	v_cmp_ne_u16_e64 s10, 0, v3
	s_delay_alu instid0(VALU_DEP_1) | instskip(NEXT) | instid1(SALU_CYCLE_1)
	s_or_b32 s83, vcc_lo, s10
	s_and_b32 s83, exec_lo, s83
	s_delay_alu instid0(SALU_CYCLE_1) | instskip(SKIP_2) | instid1(SALU_CYCLE_1)
	s_or_b32 s81, s83, s81
	s_and_not1_b32 s82, s82, exec_lo
	s_and_b32 s10, s10, exec_lo
	s_or_b32 s82, s82, s10
	s_and_not1_b32 exec_lo, exec_lo, s81
	s_cbranch_execz .LBB56_375
.LBB56_370:                             ;   Parent Loop BB56_6 Depth=1
                                        ; =>  This Inner Loop Header: Depth=2
	s_delay_alu instid0(VALU_DEP_1)
	v_cmp_gt_u32_e32 vcc_lo, s36, v1
	v_mov_b32_e32 v3, 0
	s_and_saveexec_b32 s83, vcc_lo
	s_cbranch_execz .LBB56_372
; %bb.371:                              ;   in Loop: Header=BB56_370 Depth=2
	v_lshlrev_b64 v[3:4], 1, v[8:9]
	s_delay_alu instid0(VALU_DEP_1) | instskip(NEXT) | instid1(VALU_DEP_1)
	v_add_co_u32 v3, s10, s31, v3
	v_add_co_ci_u32_e64 v4, s10, s33, v4, s10
	global_load_u16 v3, v[3:4], off
.LBB56_372:                             ;   in Loop: Header=BB56_370 Depth=2
	s_or_b32 exec_lo, exec_lo, s83
	s_and_saveexec_b32 s10, vcc_lo
	s_cbranch_execz .LBB56_369
; %bb.373:                              ;   in Loop: Header=BB56_370 Depth=2
	s_waitcnt vmcnt(0)
	v_bfe_i32 v4, v3, 0, 16
	s_delay_alu instid0(VALU_DEP_1) | instskip(NEXT) | instid1(VALU_DEP_1)
	v_add_nc_u32_e32 v4, 0x8000, v4
	v_and_b32_e32 v4, v4, v26
	s_delay_alu instid0(VALU_DEP_1)
	v_cmp_eq_u32_e32 vcc_lo, v4, v27
	s_and_b32 exec_lo, exec_lo, vcc_lo
	s_cbranch_execz .LBB56_369
; %bb.374:                              ;   in Loop: Header=BB56_370 Depth=2
	v_perm_b32 v3, v3, 1, 0x5040100
	ds_store_b32 v9, v3 offset:3072
	s_branch .LBB56_369
.LBB56_375:                             ;   in Loop: Header=BB56_6 Depth=1
	s_set_inst_prefetch_distance 0x2
	s_or_b32 exec_lo, exec_lo, s81
	v_lshrrev_b32_e32 v28, 16, v3
	s_and_b32 s82, s82, exec_lo
.LBB56_376:                             ;   in Loop: Header=BB56_6 Depth=1
	s_or_b32 exec_lo, exec_lo, s80
	s_mov_b32 s80, 0
	s_mov_b32 s10, -1
	s_mov_b32 s81, 0
.LBB56_377:                             ;   in Loop: Header=BB56_6 Depth=1
	s_or_not1_b32 s82, s82, exec_lo
.LBB56_378:                             ;   in Loop: Header=BB56_6 Depth=1
	s_or_b32 exec_lo, exec_lo, s79
	s_mov_b32 s83, 0
                                        ; implicit-def: $vgpr4
                                        ; implicit-def: $vgpr1
	s_and_saveexec_b32 s79, s82
	s_cbranch_execz .LBB56_390
; %bb.379:                              ;   in Loop: Header=BB56_6 Depth=1
	v_dual_mov_b32 v4, 1 :: v_dual_mov_b32 v1, 1
	s_xor_b32 s82, s17, -1
	s_delay_alu instid0(SALU_CYCLE_1)
	s_and_saveexec_b32 s17, s82
	s_cbranch_execz .LBB56_389
; %bb.380:                              ;   in Loop: Header=BB56_6 Depth=1
	s_mov_b32 s82, exec_lo
                                        ; implicit-def: $sgpr83
	v_cmpx_ge_u32_e64 s12, v2
	s_xor_b32 s82, exec_lo, s82
	s_cbranch_execz .LBB56_386
; %bb.381:                              ;   in Loop: Header=BB56_6 Depth=1
	ds_load_b32 v1, v9 offset:4096
	s_waitcnt lgkmcnt(0)
	v_cmp_ne_u32_e32 vcc_lo, 0, v1
	s_cbranch_vccnz .LBB56_385
; %bb.382:                              ;   in Loop: Header=BB56_6 Depth=1
	s_and_saveexec_b32 s83, s5
	s_cbranch_execz .LBB56_384
; %bb.383:                              ;   in Loop: Header=BB56_6 Depth=1
	v_mov_b32_e32 v1, s12
	ds_store_b32 v9, v1 offset:4100
.LBB56_384:                             ;   in Loop: Header=BB56_6 Depth=1
	s_or_b32 exec_lo, exec_lo, s83
	s_waitcnt lgkmcnt(0)
	s_barrier
	buffer_gl0_inv
.LBB56_385:                             ;   in Loop: Header=BB56_6 Depth=1
	v_and_b32_e32 v27, s14, v27
	v_or_b32_e32 v26, s13, v26
	s_mov_b32 s83, 5
.LBB56_386:                             ;   in Loop: Header=BB56_6 Depth=1
	s_or_saveexec_b32 s13, s82
	v_mov_b32_e32 v4, s83
	s_xor_b32 exec_lo, exec_lo, s13
; %bb.387:                              ;   in Loop: Header=BB56_6 Depth=1
	v_subrev_nc_u32_e32 v2, s12, v2
	v_mov_b32_e32 v4, 5
; %bb.388:                              ;   in Loop: Header=BB56_6 Depth=1
	s_or_b32 exec_lo, exec_lo, s13
	s_delay_alu instid0(VALU_DEP_2)
	v_mov_b32_e32 v1, v2
.LBB56_389:                             ;   in Loop: Header=BB56_6 Depth=1
	s_or_b32 exec_lo, exec_lo, s17
	s_delay_alu instid0(SALU_CYCLE_1)
	s_mov_b32 s83, exec_lo
.LBB56_390:                             ;   in Loop: Header=BB56_6 Depth=1
	s_or_b32 exec_lo, exec_lo, s79
	s_delay_alu instid0(VALU_DEP_1)
	v_mov_b32_e32 v2, v1
	s_or_not1_b32 s17, s83, exec_lo
.LBB56_391:                             ;   in Loop: Header=BB56_6 Depth=1
	s_or_b32 exec_lo, exec_lo, s16
	s_delay_alu instid0(SALU_CYCLE_1)
	s_and_not1_b32 s12, s28, exec_lo
	s_and_b32 s10, s10, exec_lo
	s_and_not1_b32 s13, s77, exec_lo
	s_or_b32 s28, s12, s10
	s_and_not1_b32 s10, s29, exec_lo
	s_and_b32 s12, s80, exec_lo
	s_and_b32 s14, s81, exec_lo
	v_mov_b32_e32 v1, v2
	s_or_b32 s29, s10, s12
	s_or_b32 s77, s13, s14
	s_and_b32 s80, s17, exec_lo
.LBB56_392:                             ;   in Loop: Header=BB56_6 Depth=1
	s_or_b32 exec_lo, exec_lo, s78
	s_delay_alu instid0(SALU_CYCLE_1)
	s_and_b32 s78, s28, exec_lo
	s_and_b32 s29, s29, exec_lo
	s_and_b32 s28, s77, exec_lo
	s_or_not1_b32 s10, s80, exec_lo
.LBB56_393:                             ;   in Loop: Header=BB56_6 Depth=1
	s_or_b32 exec_lo, exec_lo, s18
	s_delay_alu instid0(SALU_CYCLE_1)
	s_and_not1_b32 s12, s22, exec_lo
	s_and_b32 s13, s78, exec_lo
	s_and_not1_b32 s14, s26, exec_lo
	s_or_b32 s22, s12, s13
	s_and_not1_b32 s12, s25, exec_lo
	s_and_b32 s13, s29, exec_lo
	s_and_b32 s16, s28, exec_lo
	v_mov_b32_e32 v3, v1
	s_or_b32 s25, s12, s13
	s_or_b32 s26, s14, s16
	s_and_b32 s29, s10, exec_lo
.LBB56_394:                             ;   in Loop: Header=BB56_6 Depth=1
	s_or_b32 exec_lo, exec_lo, s27
	s_delay_alu instid0(SALU_CYCLE_1)
	s_and_b32 s27, s22, exec_lo
	s_and_b32 s25, s25, exec_lo
	s_and_b32 s22, s26, exec_lo
	s_or_not1_b32 s26, s29, exec_lo
.LBB56_395:                             ;   in Loop: Header=BB56_6 Depth=1
	s_or_b32 exec_lo, exec_lo, s19
	s_mov_b32 s10, s20
	s_mov_b32 s12, s11
	s_and_saveexec_b32 s13, s26
; %bb.396:                              ;   in Loop: Header=BB56_6 Depth=1
	v_cmp_eq_u32_e32 vcc_lo, 5, v4
	v_cmp_ne_u32_e64 s10, 5, v4
	s_and_not1_b32 s12, s11, exec_lo
	s_and_not1_b32 s14, s20, exec_lo
	;; [unrolled: 1-line block ×3, first 2 shown]
	s_and_b32 s16, vcc_lo, exec_lo
	s_and_b32 s10, s10, exec_lo
	s_and_not1_b32 s25, s25, exec_lo
	s_and_not1_b32 s22, s22, exec_lo
	s_or_b32 s12, s12, s10
	s_or_b32 s10, s14, s16
; %bb.397:                              ;   in Loop: Header=BB56_6 Depth=1
	s_or_b32 exec_lo, exec_lo, s13
	s_delay_alu instid0(SALU_CYCLE_1)
	s_and_not1_b32 s13, s23, exec_lo
	s_and_b32 s14, s27, exec_lo
	v_dual_mov_b32 v1, v27 :: v_dual_mov_b32 v2, v26
	s_or_b32 s23, s13, s14
	s_and_not1_b32 s13, s24, exec_lo
	s_and_b32 s14, s25, exec_lo
	v_mov_b32_e32 v30, v28
	s_and_not1_b32 s15, s15, exec_lo
	s_and_b32 s16, s22, exec_lo
	s_or_b32 s24, s13, s14
	s_and_not1_b32 s11, s11, exec_lo
	s_and_b32 s12, s12, exec_lo
	s_and_not1_b32 s13, s20, exec_lo
	s_and_b32 s10, s10, exec_lo
	s_or_b32 s15, s15, s16
	s_or_b32 s11, s11, s12
	;; [unrolled: 1-line block ×3, first 2 shown]
.LBB56_398:                             ;   in Loop: Header=BB56_6 Depth=1
	s_or_b32 exec_lo, exec_lo, s21
	s_mov_b32 s22, s15
	s_mov_b32 s21, s15
	s_and_saveexec_b32 s10, s20
.LBB56_399:                             ;   in Loop: Header=BB56_6 Depth=1
	v_mov_b32_e32 v4, 0
	s_and_not1_b32 s15, s15, exec_lo
	s_and_not1_b32 s23, s23, exec_lo
	;; [unrolled: 1-line block ×5, first 2 shown]
	s_or_b32 s11, s11, exec_lo
.LBB56_400:                             ;   in Loop: Header=BB56_6 Depth=1
	s_or_b32 exec_lo, exec_lo, s10
	s_delay_alu instid0(SALU_CYCLE_1)
	s_and_not1_b32 s10, s76, exec_lo
	s_and_b32 s13, s15, exec_lo
	s_and_not1_b32 s14, s73, exec_lo
	s_or_b32 s76, s10, s13
	s_and_not1_b32 s10, s75, exec_lo
	s_and_b32 s13, s23, exec_lo
	s_and_b32 s15, s24, exec_lo
	s_or_b32 s75, s10, s13
	s_or_b32 s73, s14, s15
	s_and_not1_b32 s10, s74, exec_lo
	s_and_b32 s13, s22, exec_lo
	s_and_not1_b32 s14, s72, exec_lo
	s_and_b32 s15, s21, exec_lo
	s_mov_b32 s12, -1
	s_or_b32 s74, s10, s13
	s_or_b32 s72, s14, s15
                                        ; implicit-def: $vgpr26
                                        ; implicit-def: $vgpr27
                                        ; implicit-def: $vgpr29
                                        ; implicit-def: $vgpr28
	s_and_saveexec_b32 s10, s11
	s_delay_alu instid0(SALU_CYCLE_1)
	s_xor_b32 s10, exec_lo, s10
	s_cbranch_execz .LBB56_5
; %bb.401:                              ;   in Loop: Header=BB56_6 Depth=1
	s_mov_b32 s11, -1
	s_mov_b32 s13, exec_lo
	v_cmpx_eq_u32_e32 0, v4
	s_cbranch_execz .LBB56_4
; %bb.402:                              ;   in Loop: Header=BB56_6 Depth=1
	s_xor_b32 s66, s66, 1
	s_add_i32 s14, s71, -2
	s_cmp_eq_u32 s71, 0
	s_mov_b32 s71, s14
	s_cselect_b32 s11, -1, 0
	s_xor_b32 s12, exec_lo, -1
	s_or_not1_b32 s11, s11, exec_lo
	s_branch .LBB56_4
.LBB56_403:
	s_or_b32 exec_lo, exec_lo, s43
	s_xor_b32 s9, s70, -1
	s_xor_b32 s12, s68, -1
	;; [unrolled: 1-line block ×5, first 2 shown]
	s_mov_b32 s7, 0
	s_and_saveexec_b32 s8, s6
	s_delay_alu instid0(SALU_CYCLE_1)
	s_xor_b32 s6, exec_lo, s8
	s_cbranch_execz .LBB56_460
; %bb.404:
	s_mov_b32 s8, 0
	s_and_saveexec_b32 s7, s11
	s_delay_alu instid0(SALU_CYCLE_1)
	s_xor_b32 s7, exec_lo, s7
	s_cbranch_execz .LBB56_458
; %bb.405:
	;; [unrolled: 6-line block ×3, first 2 shown]
	s_and_saveexec_b32 s12, s9
	s_delay_alu instid0(SALU_CYCLE_1)
	s_xor_b32 s9, exec_lo, s12
	s_cbranch_execz .LBB56_454
; %bb.407:
	s_and_saveexec_b32 s11, s10
	s_delay_alu instid0(SALU_CYCLE_1)
	s_xor_b32 s10, exec_lo, s11
; %bb.408:
	v_xor_b32_e32 v30, 0xffff8000, v1
; %bb.409:
	s_or_b32 exec_lo, exec_lo, s10
	s_and_saveexec_b32 s10, s5
	s_cbranch_execz .LBB56_411
; %bb.410:
	v_mov_b32_e32 v1, 0
	ds_store_b32 v1, v1 offset:4108
.LBB56_411:
	s_or_b32 exec_lo, exec_lo, s10
	v_mov_b32_e32 v1, 0
	s_waitcnt lgkmcnt(0)
	s_barrier
	buffer_gl0_inv
	s_and_saveexec_b32 s5, s4
	s_cbranch_execz .LBB56_413
; %bb.412:
	global_load_u16 v1, v[5:6], off
.LBB56_413:
	s_or_b32 exec_lo, exec_lo, s5
	s_clause 0x1
	s_load_b32 s5, s[0:1], 0x1c8
	s_load_b32 s10, s[0:1], 0x2a8
	v_add_nc_u32_e32 v3, s42, v0
	s_mul_i32 s0, s47, s45
	s_mov_b32 s1, 0
	s_add_i32 s11, s36, 31
	s_lshl_b64 s[12:13], s[0:1], 1
	v_mul_lo_u32 v2, s30, v3
	s_and_not1_b32 s11, s11, 31
	s_mul_i32 s14, s46, s45
	s_mov_b32 s15, s1
	s_add_u32 s12, s40, s12
	s_addc_u32 s13, s41, s13
	s_lshl_b64 s[14:15], s[14:15], 3
	s_mov_b32 s0, -1
	s_add_u32 s14, s34, s14
	s_addc_u32 s15, s35, s15
	s_mov_b32 s16, 0
	s_mov_b32 s17, exec_lo
	v_cmpx_gt_u32_e64 s11, v0
	s_cbranch_execz .LBB56_429
; %bb.414:
	v_bfe_i32 v7, v30, 0, 16
	v_mul_lo_u32 v3, s30, v3
	v_mov_b32_e32 v4, 0
                                        ; implicit-def: $sgpr18
                                        ; implicit-def: $vgpr11
	s_delay_alu instid0(VALU_DEP_3)
	v_add_nc_u32_e32 v9, 0x8000, v7
	v_mov_b32_e32 v7, v0
	s_branch .LBB56_416
.LBB56_415:                             ;   in Loop: Header=BB56_416 Depth=1
	s_or_b32 exec_lo, exec_lo, s19
	s_xor_b32 s19, s21, -1
	s_and_b32 s0, exec_lo, s0
	v_mov_b32_e32 v1, v12
	s_or_b32 s16, s0, s16
	v_mov_b32_e32 v7, v10
	s_and_not1_b32 s0, s18, exec_lo
	s_and_b32 s18, s19, exec_lo
	s_delay_alu instid0(SALU_CYCLE_1)
	s_or_b32 s18, s0, s18
	s_and_not1_b32 exec_lo, exec_lo, s16
	s_cbranch_execz .LBB56_428
.LBB56_416:                             ; =>This Inner Loop Header: Depth=1
	s_delay_alu instid0(VALU_DEP_1) | instskip(SKIP_2) | instid1(VALU_DEP_2)
	v_add_nc_u32_e32 v10, s42, v7
	v_mov_b32_e32 v12, 0
	s_mov_b32 s0, exec_lo
	v_cmpx_gt_u32_e64 s36, v10
	s_cbranch_execz .LBB56_418
; %bb.417:                              ;   in Loop: Header=BB56_416 Depth=1
	v_lshlrev_b64 v[12:13], 1, v[3:4]
	s_delay_alu instid0(VALU_DEP_1) | instskip(NEXT) | instid1(VALU_DEP_2)
	v_add_co_u32 v12, vcc_lo, s31, v12
	v_add_co_ci_u32_e32 v13, vcc_lo, s33, v13, vcc_lo
	global_load_u16 v12, v[12:13], off
.LBB56_418:                             ;   in Loop: Header=BB56_416 Depth=1
	s_or_b32 exec_lo, exec_lo, s0
	s_waitcnt vmcnt(0)
	v_bfe_i32 v8, v1, 0, 16
	s_delay_alu instid0(VALU_DEP_1) | instskip(NEXT) | instid1(VALU_DEP_1)
	v_add_nc_u32_e32 v8, 0x8000, v8
	v_cmp_gt_u32_e32 vcc_lo, v8, v9
	v_cndmask_b32_e64 v13, 0, 1, vcc_lo
	v_cmp_lt_u32_e32 vcc_lo, v8, v9
	v_cndmask_b32_e64 v8, 0, 1, vcc_lo
	v_cmp_gt_u32_e32 vcc_lo, s36, v7
	s_delay_alu instid0(VALU_DEP_2) | instskip(NEXT) | instid1(VALU_DEP_1)
	v_cndmask_b32_e64 v8, v8, v13, s3
	v_and_b32_e32 v8, 1, v8
	s_delay_alu instid0(VALU_DEP_1) | instskip(NEXT) | instid1(VALU_DEP_1)
	v_cmp_eq_u32_e64 s0, 1, v8
	s_and_b32 s20, vcc_lo, s0
	s_delay_alu instid0(SALU_CYCLE_1) | instskip(NEXT) | instid1(VALU_DEP_1)
	v_cndmask_b32_e64 v8, 0, 1, s20
	v_cmp_ne_u32_e32 vcc_lo, 0, v8
	s_cmp_lg_u32 vcc_lo, 0
	s_cselect_b32 s0, -1, 0
	s_delay_alu instid0(SALU_CYCLE_1) | instskip(NEXT) | instid1(SALU_CYCLE_1)
	s_and_b32 s0, s2, s0
	s_and_saveexec_b32 s19, s0
	s_cbranch_execz .LBB56_422
; %bb.419:                              ;   in Loop: Header=BB56_416 Depth=1
	s_mov_b32 s23, exec_lo
	s_bcnt1_i32_b32 s21, vcc_lo
	v_mbcnt_lo_u32_b32 v8, s23, 0
	s_mov_b32 s22, exec_lo
                                        ; implicit-def: $vgpr11
	s_delay_alu instid0(VALU_DEP_1)
	v_cmpx_eq_u32_e32 0, v8
	s_cbranch_execz .LBB56_421
; %bb.420:                              ;   in Loop: Header=BB56_416 Depth=1
	s_bcnt1_i32_b32 s0, s23
	s_delay_alu instid0(SALU_CYCLE_1)
	s_mul_i32 s0, s21, s0
	s_waitcnt lgkmcnt(0)
	v_mov_b32_e32 v11, s0
	ds_add_rtn_u32 v11, v4, v11 offset:4108
.LBB56_421:                             ;   in Loop: Header=BB56_416 Depth=1
	s_or_b32 exec_lo, exec_lo, s22
	s_waitcnt lgkmcnt(0)
	v_readfirstlane_b32 s0, v11
	s_delay_alu instid0(VALU_DEP_1)
	v_mad_u32_u24 v11, s21, v8, s0
.LBB56_422:                             ;   in Loop: Header=BB56_416 Depth=1
	s_or_b32 exec_lo, exec_lo, s19
	s_waitcnt lgkmcnt(0)
	ds_bpermute_b32 v11, v4, v11
	s_mov_b32 s0, -1
	s_mov_b32 s22, -1
                                        ; implicit-def: $sgpr21
	s_and_saveexec_b32 s19, s20
	s_cbranch_execz .LBB56_426
; %bb.423:                              ;   in Loop: Header=BB56_416 Depth=1
	v_and_b32_e32 v8, vcc_lo, v14
	s_mov_b32 s20, 0
	s_mov_b32 s21, exec_lo
	s_waitcnt lgkmcnt(0)
	s_delay_alu instid0(VALU_DEP_1) | instskip(NEXT) | instid1(VALU_DEP_1)
	v_bcnt_u32_b32 v8, v8, v11
	v_cmpx_gt_u32_e64 s37, v8
	s_cbranch_execz .LBB56_425
; %bb.424:                              ;   in Loop: Header=BB56_416 Depth=1
	v_mul_lo_u32 v15, v8, s5
	v_mov_b32_e32 v16, v4
	v_mul_lo_u32 v17, v8, s10
	v_mov_b32_e32 v18, v4
	v_mov_b32_e32 v8, v4
	s_mov_b32 s20, exec_lo
	v_lshlrev_b64 v[15:16], 1, v[15:16]
	s_delay_alu instid0(VALU_DEP_3) | instskip(NEXT) | instid1(VALU_DEP_2)
	v_lshlrev_b64 v[17:18], 3, v[17:18]
	v_add_co_u32 v15, vcc_lo, s12, v15
	s_delay_alu instid0(VALU_DEP_3) | instskip(NEXT) | instid1(VALU_DEP_3)
	v_add_co_ci_u32_e32 v16, vcc_lo, s13, v16, vcc_lo
	v_add_co_u32 v17, vcc_lo, s14, v17
	s_delay_alu instid0(VALU_DEP_4)
	v_add_co_ci_u32_e32 v18, vcc_lo, s15, v18, vcc_lo
	global_store_b16 v[15:16], v1, off
	global_store_b64 v[17:18], v[7:8], off
.LBB56_425:                             ;   in Loop: Header=BB56_416 Depth=1
	s_or_b32 exec_lo, exec_lo, s21
	s_mov_b32 s21, -1
	s_or_not1_b32 s22, s20, exec_lo
.LBB56_426:                             ;   in Loop: Header=BB56_416 Depth=1
	s_or_b32 exec_lo, exec_lo, s19
	s_and_saveexec_b32 s19, s22
	s_cbranch_execz .LBB56_415
; %bb.427:                              ;   in Loop: Header=BB56_416 Depth=1
	v_cmp_le_u32_e32 vcc_lo, s11, v10
	v_add_nc_u32_e32 v3, s44, v3
	s_and_not1_b32 s21, s21, exec_lo
	s_or_not1_b32 s0, vcc_lo, exec_lo
	s_branch .LBB56_415
.LBB56_428:
	s_or_b32 exec_lo, exec_lo, s16
	s_delay_alu instid0(SALU_CYCLE_1)
	s_mov_b32 s16, exec_lo
	s_or_not1_b32 s0, s18, exec_lo
.LBB56_429:
	s_or_b32 exec_lo, exec_lo, s17
	s_and_saveexec_b32 s3, s0
	s_cbranch_execz .LBB56_452
; %bb.430:
	v_mov_b32_e32 v3, 0
	s_waitcnt vmcnt(0)
	v_mov_b32_e32 v1, 0
	s_waitcnt lgkmcnt(0)
	s_waitcnt_vscnt null, 0x0
	s_barrier
	buffer_gl0_inv
	s_and_saveexec_b32 s0, s4
	s_cbranch_execz .LBB56_432
; %bb.431:
	global_load_u16 v1, v[5:6], off
.LBB56_432:
	s_or_b32 exec_lo, exec_lo, s0
	s_mov_b32 s4, 0
                                        ; implicit-def: $sgpr1
                                        ; implicit-def: $sgpr17
                                        ; implicit-def: $sgpr18
                                        ; implicit-def: $vgpr4
	s_branch .LBB56_435
.LBB56_433:                             ;   in Loop: Header=BB56_435 Depth=1
	s_or_b32 exec_lo, exec_lo, s21
	v_mov_b32_e32 v0, v5
	s_and_not1_b32 s0, s18, exec_lo
	s_and_b32 s18, s23, exec_lo
	s_and_not1_b32 s17, s17, exec_lo
	s_and_b32 s20, s20, exec_lo
	s_or_b32 s18, s0, s18
	s_or_b32 s17, s17, s20
.LBB56_434:                             ;   in Loop: Header=BB56_435 Depth=1
	s_or_b32 exec_lo, exec_lo, s19
	s_xor_b32 s0, s18, -1
	s_and_b32 s19, exec_lo, s17
	s_delay_alu instid0(SALU_CYCLE_1) | instskip(SKIP_2) | instid1(SALU_CYCLE_1)
	s_or_b32 s4, s19, s4
	s_and_not1_b32 s1, s1, exec_lo
	s_and_b32 s0, s0, exec_lo
	s_or_b32 s1, s1, s0
	s_and_not1_b32 exec_lo, exec_lo, s4
	s_cbranch_execz .LBB56_450
.LBB56_435:                             ; =>This Inner Loop Header: Depth=1
	s_or_b32 s18, s18, exec_lo
	s_or_b32 s17, s17, exec_lo
	s_mov_b32 s19, exec_lo
	v_cmpx_gt_u32_e64 s11, v0
	s_cbranch_execz .LBB56_434
; %bb.436:                              ;   in Loop: Header=BB56_435 Depth=1
	v_dual_mov_b32 v6, 0 :: v_dual_add_nc_u32 v5, s42, v0
	s_mov_b32 s0, exec_lo
	s_delay_alu instid0(VALU_DEP_1)
	v_cmpx_gt_u32_e64 s36, v5
	s_cbranch_execz .LBB56_438
; %bb.437:                              ;   in Loop: Header=BB56_435 Depth=1
	v_lshlrev_b64 v[6:7], 1, v[2:3]
	s_delay_alu instid0(VALU_DEP_1) | instskip(NEXT) | instid1(VALU_DEP_2)
	v_add_co_u32 v6, vcc_lo, s31, v6
	v_add_co_ci_u32_e32 v7, vcc_lo, s33, v7, vcc_lo
	global_load_u16 v6, v[6:7], off
.LBB56_438:                             ;   in Loop: Header=BB56_435 Depth=1
	s_or_b32 exec_lo, exec_lo, s0
	v_cmp_gt_u32_e32 vcc_lo, s36, v0
	s_waitcnt vmcnt(0)
	v_cmp_eq_u16_e64 s0, v1, v30
	s_delay_alu instid0(VALU_DEP_1) | instskip(NEXT) | instid1(SALU_CYCLE_1)
	s_and_b32 s21, vcc_lo, s0
	v_cndmask_b32_e64 v7, 0, 1, s21
	s_delay_alu instid0(VALU_DEP_1) | instskip(SKIP_2) | instid1(SALU_CYCLE_1)
	v_cmp_ne_u32_e32 vcc_lo, 0, v7
	s_cmp_lg_u32 vcc_lo, 0
	s_cselect_b32 s0, -1, 0
	s_and_b32 s0, s2, s0
	s_delay_alu instid0(SALU_CYCLE_1)
	s_and_saveexec_b32 s20, s0
	s_cbranch_execz .LBB56_442
; %bb.439:                              ;   in Loop: Header=BB56_435 Depth=1
	s_mov_b32 s24, exec_lo
	s_bcnt1_i32_b32 s22, vcc_lo
	v_mbcnt_lo_u32_b32 v4, s24, 0
	s_mov_b32 s23, exec_lo
                                        ; implicit-def: $vgpr7
	s_delay_alu instid0(VALU_DEP_1)
	v_cmpx_eq_u32_e32 0, v4
	s_cbranch_execz .LBB56_441
; %bb.440:                              ;   in Loop: Header=BB56_435 Depth=1
	s_bcnt1_i32_b32 s0, s24
	s_delay_alu instid0(SALU_CYCLE_1) | instskip(NEXT) | instid1(SALU_CYCLE_1)
	s_mul_i32 s0, s22, s0
	v_mov_b32_e32 v7, s0
	ds_add_rtn_u32 v7, v3, v7 offset:4108
.LBB56_441:                             ;   in Loop: Header=BB56_435 Depth=1
	s_or_b32 exec_lo, exec_lo, s23
	s_waitcnt lgkmcnt(0)
	v_readfirstlane_b32 s0, v7
	s_delay_alu instid0(VALU_DEP_1)
	v_mad_u32_u24 v4, s22, v4, s0
.LBB56_442:                             ;   in Loop: Header=BB56_435 Depth=1
	s_or_b32 exec_lo, exec_lo, s20
	ds_bpermute_b32 v4, v3, v4
	s_cmp_eq_u32 vcc_lo, 0
	s_mov_b32 s20, -1
	s_cselect_b32 s22, -1, 0
	s_mov_b32 s23, -1
	s_waitcnt lgkmcnt(0)
	v_cmp_gt_u32_e64 s0, s37, v4
	s_delay_alu instid0(VALU_DEP_1) | instskip(SKIP_3) | instid1(SALU_CYCLE_1)
	s_or_b32 s0, s22, s0
	s_mov_b32 s22, -1
	v_cndmask_b32_e64 v1, v1, v6, s0
	s_and_b32 s24, s21, s0
	s_and_saveexec_b32 s21, s24
	s_cbranch_execz .LBB56_448
; %bb.443:                              ;   in Loop: Header=BB56_435 Depth=1
	v_and_b32_e32 v1, vcc_lo, v14
	v_sub_nc_u32_e32 v7, s37, v4
	s_mov_b32 s24, -1
	s_mov_b32 s23, exec_lo
	s_delay_alu instid0(VALU_DEP_2) | instskip(NEXT) | instid1(VALU_DEP_1)
	v_bcnt_u32_b32 v1, v1, 0
	v_cmp_le_u32_e64 s22, v7, v1
	v_cmpx_gt_u32_e64 v7, v1
	s_cbranch_execz .LBB56_447
; %bb.444:                              ;   in Loop: Header=BB56_435 Depth=1
	v_add_nc_u32_e32 v1, v4, v1
	s_delay_alu instid0(VALU_DEP_3) | instskip(SKIP_1) | instid1(VALU_DEP_1)
	s_mov_b32 s25, s22
	s_mov_b32 s24, exec_lo
	v_cmpx_gt_u32_e64 s37, v1
	s_cbranch_execz .LBB56_446
; %bb.445:                              ;   in Loop: Header=BB56_435 Depth=1
	v_mul_lo_u32 v7, v1, s5
	v_mov_b32_e32 v8, v3
	v_mul_lo_u32 v9, v1, s10
	v_mov_b32_e32 v10, v3
	v_mov_b32_e32 v1, v3
	s_or_b32 s25, s22, exec_lo
	v_lshlrev_b64 v[7:8], 1, v[7:8]
	s_delay_alu instid0(VALU_DEP_3) | instskip(NEXT) | instid1(VALU_DEP_2)
	v_lshlrev_b64 v[9:10], 3, v[9:10]
	v_add_co_u32 v7, vcc_lo, s12, v7
	s_delay_alu instid0(VALU_DEP_3) | instskip(NEXT) | instid1(VALU_DEP_3)
	v_add_co_ci_u32_e32 v8, vcc_lo, s13, v8, vcc_lo
	v_add_co_u32 v9, vcc_lo, s14, v9
	s_delay_alu instid0(VALU_DEP_4)
	v_add_co_ci_u32_e32 v10, vcc_lo, s15, v10, vcc_lo
	global_store_b16 v[7:8], v30, off
	global_store_b64 v[9:10], v[0:1], off
.LBB56_446:                             ;   in Loop: Header=BB56_435 Depth=1
	s_or_b32 exec_lo, exec_lo, s24
	s_delay_alu instid0(SALU_CYCLE_1)
	s_and_not1_b32 s22, s22, exec_lo
	s_and_b32 s25, s25, exec_lo
	s_xor_b32 s24, exec_lo, -1
	s_or_b32 s22, s22, s25
.LBB56_447:                             ;   in Loop: Header=BB56_435 Depth=1
	s_or_b32 exec_lo, exec_lo, s23
	v_mov_b32_e32 v1, v6
	s_or_not1_b32 s23, s24, exec_lo
	s_or_b32 s0, s0, exec_lo
	s_or_not1_b32 s22, s22, exec_lo
.LBB56_448:                             ;   in Loop: Header=BB56_435 Depth=1
	s_or_b32 exec_lo, exec_lo, s21
	s_and_saveexec_b32 s21, s22
	s_cbranch_execz .LBB56_433
; %bb.449:                              ;   in Loop: Header=BB56_435 Depth=1
	v_add_nc_u32_e32 v2, s44, v2
	s_xor_b32 s0, s0, -1
	s_or_b32 s23, s23, exec_lo
	s_or_not1_b32 s20, s0, exec_lo
	s_branch .LBB56_433
.LBB56_450:
	s_or_b32 exec_lo, exec_lo, s4
	s_mov_b32 s0, 0
	s_and_saveexec_b32 s2, s1
	s_delay_alu instid0(SALU_CYCLE_1)
	s_xor_b32 s1, exec_lo, s2
	s_cbranch_execnz .LBB56_482
.LBB56_451:
	s_or_b32 exec_lo, exec_lo, s1
	s_delay_alu instid0(SALU_CYCLE_1)
	s_and_b32 s1, s0, exec_lo
	s_and_not1_b32 s16, s16, exec_lo
.LBB56_452:
	s_or_b32 exec_lo, exec_lo, s3
	s_and_saveexec_b32 s0, s16
	s_delay_alu instid0(SALU_CYCLE_1)
	s_xor_b32 s0, exec_lo, s0
	s_cbranch_execnz .LBB56_478
.LBB56_453:
	s_or_b32 exec_lo, exec_lo, s0
	s_delay_alu instid0(SALU_CYCLE_1)
	s_and_b32 s11, s1, exec_lo
.LBB56_454:
	s_and_not1_saveexec_b32 s0, s9
	s_cbranch_execnz .LBB56_474
.LBB56_455:
	s_or_b32 exec_lo, exec_lo, s0
	s_delay_alu instid0(SALU_CYCLE_1)
	s_and_b32 s11, s11, exec_lo
.LBB56_456:
	s_and_not1_saveexec_b32 s0, s8
	s_cbranch_execnz .LBB56_470
.LBB56_457:
	s_or_b32 exec_lo, exec_lo, s0
	s_delay_alu instid0(SALU_CYCLE_1)
	s_and_b32 s8, s11, exec_lo
.LBB56_458:
	s_and_not1_saveexec_b32 s0, s7
	s_cbranch_execnz .LBB56_466
.LBB56_459:
	s_or_b32 exec_lo, exec_lo, s0
	s_delay_alu instid0(SALU_CYCLE_1)
	s_and_b32 s7, s8, exec_lo
.LBB56_460:
	s_and_not1_saveexec_b32 s0, s6
	s_cbranch_execnz .LBB56_464
; %bb.461:
	s_or_b32 exec_lo, exec_lo, s0
	s_and_saveexec_b32 s0, s7
.LBB56_462:
	; divergent unreachable
.LBB56_463:
	s_nop 0
	s_sendmsg sendmsg(MSG_DEALLOC_VGPRS)
	s_endpgm
.LBB56_464:
	s_cbranch_execnz .LBB56_468
; %bb.465:
	s_or_b32 s7, s7, exec_lo
	s_or_b32 exec_lo, exec_lo, s0
	s_and_saveexec_b32 s0, s7
	s_cbranch_execnz .LBB56_462
	s_branch .LBB56_463
.LBB56_466:
	s_cbranch_execnz .LBB56_472
; %bb.467:
	s_or_b32 s8, s8, exec_lo
	s_branch .LBB56_459
.LBB56_468:
	s_trap 2
	s_sendmsg_rtn_b32 s0, sendmsg(MSG_RTN_GET_DOORBELL)
	s_mov_b32 ttmp2, m0
	s_waitcnt lgkmcnt(0)
	s_and_b32 s0, s0, 0x3ff
	s_delay_alu instid0(SALU_CYCLE_1) | instskip(NEXT) | instid1(SALU_CYCLE_1)
	s_bitset1_b32 s0, 10
	s_mov_b32 m0, s0
	s_sendmsg sendmsg(MSG_INTERRUPT)
	s_mov_b32 m0, ttmp2
.LBB56_469:                             ; =>This Inner Loop Header: Depth=1
	s_sethalt 5
	s_branch .LBB56_469
.LBB56_470:
	s_cbranch_execnz .LBB56_476
; %bb.471:
	s_or_b32 s11, s11, exec_lo
	s_branch .LBB56_457
.LBB56_472:
	s_trap 2
	s_sendmsg_rtn_b32 s0, sendmsg(MSG_RTN_GET_DOORBELL)
	s_mov_b32 ttmp2, m0
	s_waitcnt lgkmcnt(0)
	s_and_b32 s0, s0, 0x3ff
	s_delay_alu instid0(SALU_CYCLE_1) | instskip(NEXT) | instid1(SALU_CYCLE_1)
	s_bitset1_b32 s0, 10
	s_mov_b32 m0, s0
	s_sendmsg sendmsg(MSG_INTERRUPT)
	s_mov_b32 m0, ttmp2
.LBB56_473:                             ; =>This Inner Loop Header: Depth=1
	s_sethalt 5
	s_branch .LBB56_473
.LBB56_474:
	s_cbranch_execnz .LBB56_480
; %bb.475:
	s_or_b32 s11, s11, exec_lo
	s_branch .LBB56_455
.LBB56_476:
	s_trap 2
	s_sendmsg_rtn_b32 s0, sendmsg(MSG_RTN_GET_DOORBELL)
	s_mov_b32 ttmp2, m0
	s_waitcnt lgkmcnt(0)
	s_and_b32 s0, s0, 0x3ff
	s_delay_alu instid0(SALU_CYCLE_1) | instskip(NEXT) | instid1(SALU_CYCLE_1)
	s_bitset1_b32 s0, 10
	s_mov_b32 m0, s0
	s_sendmsg sendmsg(MSG_INTERRUPT)
	s_mov_b32 m0, ttmp2
.LBB56_477:                             ; =>This Inner Loop Header: Depth=1
	s_sethalt 5
	s_branch .LBB56_477
.LBB56_478:
	s_cbranch_execnz .LBB56_484
; %bb.479:
	s_or_b32 s1, s1, exec_lo
	s_branch .LBB56_453
.LBB56_480:
	s_trap 2
	s_sendmsg_rtn_b32 s0, sendmsg(MSG_RTN_GET_DOORBELL)
	s_mov_b32 ttmp2, m0
	s_waitcnt lgkmcnt(0)
	s_and_b32 s0, s0, 0x3ff
	s_delay_alu instid0(SALU_CYCLE_1) | instskip(NEXT) | instid1(SALU_CYCLE_1)
	s_bitset1_b32 s0, 10
	s_mov_b32 m0, s0
	s_sendmsg sendmsg(MSG_INTERRUPT)
	s_mov_b32 m0, ttmp2
.LBB56_481:                             ; =>This Inner Loop Header: Depth=1
	s_sethalt 5
	s_branch .LBB56_481
.LBB56_482:
	s_cbranch_execnz .LBB56_486
; %bb.483:
	s_mov_b32 s0, exec_lo
	s_branch .LBB56_451
.LBB56_484:
	s_trap 2
	s_sendmsg_rtn_b32 s0, sendmsg(MSG_RTN_GET_DOORBELL)
	s_mov_b32 ttmp2, m0
	s_waitcnt lgkmcnt(0)
	s_and_b32 s0, s0, 0x3ff
	s_delay_alu instid0(SALU_CYCLE_1) | instskip(NEXT) | instid1(SALU_CYCLE_1)
	s_bitset1_b32 s0, 10
	s_mov_b32 m0, s0
	s_sendmsg sendmsg(MSG_INTERRUPT)
	s_mov_b32 m0, ttmp2
.LBB56_485:                             ; =>This Inner Loop Header: Depth=1
	s_sethalt 5
	s_branch .LBB56_485
.LBB56_486:
	s_trap 2
	s_sendmsg_rtn_b32 s0, sendmsg(MSG_RTN_GET_DOORBELL)
	s_mov_b32 ttmp2, m0
	s_waitcnt lgkmcnt(0)
	s_and_b32 s0, s0, 0x3ff
	s_delay_alu instid0(SALU_CYCLE_1) | instskip(NEXT) | instid1(SALU_CYCLE_1)
	s_bitset1_b32 s0, 10
	s_mov_b32 m0, s0
	s_sendmsg sendmsg(MSG_INTERRUPT)
	s_mov_b32 m0, ttmp2
.LBB56_487:                             ; =>This Inner Loop Header: Depth=1
	s_sethalt 5
	s_branch .LBB56_487
	.section	.rodata,"a",@progbits
	.p2align	6, 0x0
	.amdhsa_kernel _ZN2at6native6sbtopk10gatherTopKIsjLi1ELb0EEEvNS_4cuda6detail10TensorInfoIKT_T0_EES8_S8_bS8_S8_NS5_IS6_S8_EES8_NS5_IlS8_EES8_PS6_
		.amdhsa_group_segment_fixed_size 4112
		.amdhsa_private_segment_fixed_size 0
		.amdhsa_kernarg_size 952
		.amdhsa_user_sgpr_count 13
		.amdhsa_user_sgpr_dispatch_ptr 0
		.amdhsa_user_sgpr_queue_ptr 0
		.amdhsa_user_sgpr_kernarg_segment_ptr 1
		.amdhsa_user_sgpr_dispatch_id 0
		.amdhsa_user_sgpr_private_segment_size 0
		.amdhsa_wavefront_size32 1
		.amdhsa_uses_dynamic_stack 0
		.amdhsa_enable_private_segment 0
		.amdhsa_system_sgpr_workgroup_id_x 1
		.amdhsa_system_sgpr_workgroup_id_y 1
		.amdhsa_system_sgpr_workgroup_id_z 1
		.amdhsa_system_sgpr_workgroup_info 0
		.amdhsa_system_vgpr_workitem_id 0
		.amdhsa_next_free_vgpr 43
		.amdhsa_next_free_sgpr 90
		.amdhsa_reserve_vcc 1
		.amdhsa_float_round_mode_32 0
		.amdhsa_float_round_mode_16_64 0
		.amdhsa_float_denorm_mode_32 3
		.amdhsa_float_denorm_mode_16_64 3
		.amdhsa_dx10_clamp 1
		.amdhsa_ieee_mode 1
		.amdhsa_fp16_overflow 0
		.amdhsa_workgroup_processor_mode 1
		.amdhsa_memory_ordered 1
		.amdhsa_forward_progress 0
		.amdhsa_shared_vgpr_count 0
		.amdhsa_exception_fp_ieee_invalid_op 0
		.amdhsa_exception_fp_denorm_src 0
		.amdhsa_exception_fp_ieee_div_zero 0
		.amdhsa_exception_fp_ieee_overflow 0
		.amdhsa_exception_fp_ieee_underflow 0
		.amdhsa_exception_fp_ieee_inexact 0
		.amdhsa_exception_int_div_zero 0
	.end_amdhsa_kernel
	.section	.text._ZN2at6native6sbtopk10gatherTopKIsjLi1ELb0EEEvNS_4cuda6detail10TensorInfoIKT_T0_EES8_S8_bS8_S8_NS5_IS6_S8_EES8_NS5_IlS8_EES8_PS6_,"axG",@progbits,_ZN2at6native6sbtopk10gatherTopKIsjLi1ELb0EEEvNS_4cuda6detail10TensorInfoIKT_T0_EES8_S8_bS8_S8_NS5_IS6_S8_EES8_NS5_IlS8_EES8_PS6_,comdat
.Lfunc_end56:
	.size	_ZN2at6native6sbtopk10gatherTopKIsjLi1ELb0EEEvNS_4cuda6detail10TensorInfoIKT_T0_EES8_S8_bS8_S8_NS5_IS6_S8_EES8_NS5_IlS8_EES8_PS6_, .Lfunc_end56-_ZN2at6native6sbtopk10gatherTopKIsjLi1ELb0EEEvNS_4cuda6detail10TensorInfoIKT_T0_EES8_S8_bS8_S8_NS5_IS6_S8_EES8_NS5_IlS8_EES8_PS6_
                                        ; -- End function
	.section	.AMDGPU.csdata,"",@progbits
; Kernel info:
; codeLenInByte = 15576
; NumSgprs: 92
; NumVgprs: 43
; ScratchSize: 0
; MemoryBound: 0
; FloatMode: 240
; IeeeMode: 1
; LDSByteSize: 4112 bytes/workgroup (compile time only)
; SGPRBlocks: 11
; VGPRBlocks: 5
; NumSGPRsForWavesPerEU: 92
; NumVGPRsForWavesPerEU: 43
; Occupancy: 16
; WaveLimiterHint : 1
; COMPUTE_PGM_RSRC2:SCRATCH_EN: 0
; COMPUTE_PGM_RSRC2:USER_SGPR: 13
; COMPUTE_PGM_RSRC2:TRAP_HANDLER: 0
; COMPUTE_PGM_RSRC2:TGID_X_EN: 1
; COMPUTE_PGM_RSRC2:TGID_Y_EN: 1
; COMPUTE_PGM_RSRC2:TGID_Z_EN: 1
; COMPUTE_PGM_RSRC2:TIDIG_COMP_CNT: 0
	.section	.text._ZN2at6native6mbtopk23computeBlockDigitCountsIsjjLi2EEEvNS_4cuda6detail10TensorInfoIKT_T0_EEjPjjS8_iijT1_PSB_Ps,"axG",@progbits,_ZN2at6native6mbtopk23computeBlockDigitCountsIsjjLi2EEEvNS_4cuda6detail10TensorInfoIKT_T0_EEjPjjS8_iijT1_PSB_Ps,comdat
	.protected	_ZN2at6native6mbtopk23computeBlockDigitCountsIsjjLi2EEEvNS_4cuda6detail10TensorInfoIKT_T0_EEjPjjS8_iijT1_PSB_Ps ; -- Begin function _ZN2at6native6mbtopk23computeBlockDigitCountsIsjjLi2EEEvNS_4cuda6detail10TensorInfoIKT_T0_EEjPjjS8_iijT1_PSB_Ps
	.globl	_ZN2at6native6mbtopk23computeBlockDigitCountsIsjjLi2EEEvNS_4cuda6detail10TensorInfoIKT_T0_EEjPjjS8_iijT1_PSB_Ps
	.p2align	8
	.type	_ZN2at6native6mbtopk23computeBlockDigitCountsIsjjLi2EEEvNS_4cuda6detail10TensorInfoIKT_T0_EEjPjjS8_iijT1_PSB_Ps,@function
_ZN2at6native6mbtopk23computeBlockDigitCountsIsjjLi2EEEvNS_4cuda6detail10TensorInfoIKT_T0_EEjPjjS8_iijT1_PSB_Ps: ; @_ZN2at6native6mbtopk23computeBlockDigitCountsIsjjLi2EEEvNS_4cuda6detail10TensorInfoIKT_T0_EEjPjjS8_iijT1_PSB_Ps
; %bb.0:
	s_clause 0x2
	s_load_b64 s[2:3], s[0:1], 0xf8
	s_load_b128 s[8:11], s[0:1], 0xe8
	s_load_b64 s[4:5], s[0:1], 0x110
	s_waitcnt lgkmcnt(0)
	v_cvt_f32_u32_e32 v1, s2
	s_sub_i32 s7, 0, s2
	s_mul_i32 s5, s5, s15
	s_delay_alu instid0(SALU_CYCLE_1) | instskip(NEXT) | instid1(VALU_DEP_1)
	s_add_i32 s5, s5, s14
	v_rcp_iflag_f32_e32 v1, v1
	s_mul_i32 s16, s5, s4
	s_delay_alu instid0(SALU_CYCLE_1) | instskip(SKIP_3) | instid1(VALU_DEP_1)
	s_add_i32 s16, s16, s13
	s_mov_b32 s13, 0
	s_waitcnt_depctr 0xfff
	v_mul_f32_e32 v1, 0x4f7ffffe, v1
	v_cvt_u32_f32_e32 v1, v1
	s_delay_alu instid0(VALU_DEP_1) | instskip(NEXT) | instid1(VALU_DEP_1)
	v_readfirstlane_b32 s6, v1
	s_mul_i32 s7, s7, s6
	s_delay_alu instid0(SALU_CYCLE_1) | instskip(NEXT) | instid1(SALU_CYCLE_1)
	s_mul_hi_u32 s4, s6, s7
	s_add_i32 s6, s6, s4
	s_delay_alu instid0(SALU_CYCLE_1) | instskip(NEXT) | instid1(SALU_CYCLE_1)
	s_mul_hi_u32 s4, s16, s6
	s_mul_i32 s5, s4, s2
	s_add_i32 s6, s4, 1
	s_sub_i32 s5, s16, s5
	s_delay_alu instid0(SALU_CYCLE_1)
	s_sub_i32 s7, s5, s2
	s_cmp_ge_u32 s5, s2
	s_cselect_b32 s4, s6, s4
	s_cselect_b32 s5, s7, s5
	s_add_i32 s6, s4, 1
	s_cmp_ge_u32 s5, s2
	s_cselect_b32 s12, s6, s4
	s_delay_alu instid0(SALU_CYCLE_1)
	s_cmp_ge_u32 s12, s8
	s_cbranch_scc1 .LBB57_29
; %bb.1:
	s_clause 0x1
	s_load_b32 s17, s[0:1], 0xc
	s_load_b128 s[4:7], s[0:1], 0x100
	s_lshl_b64 s[14:15], s[12:13], 2
	v_cmp_gt_u32_e32 vcc_lo, 0x100, v0
	v_lshlrev_b32_e32 v3, 2, v0
	s_waitcnt lgkmcnt(0)
	v_cvt_f32_u32_e32 v1, s17
	s_add_u32 s14, s4, s14
	s_addc_u32 s15, s5, s15
	s_delay_alu instid0(VALU_DEP_1) | instskip(SKIP_2) | instid1(VALU_DEP_1)
	v_rcp_iflag_f32_e32 v1, v1
	s_waitcnt_depctr 0xfff
	v_mul_f32_e32 v1, 0x4f7ffffe, v1
	v_cvt_u32_f32_e32 v1, v1
	s_delay_alu instid0(VALU_DEP_1)
	v_readfirstlane_b32 s18, v1
	s_and_saveexec_b32 s4, vcc_lo
	s_cbranch_execz .LBB57_3
; %bb.2:
	v_mov_b32_e32 v1, 0
	ds_store_b32 v3, v1
.LBB57_3:
	s_or_b32 exec_lo, exec_lo, s4
	s_load_b32 s8, s[0:1], 0xd8
	s_mul_i32 s4, s12, s2
	s_waitcnt lgkmcnt(0)
	s_sub_i32 s4, s16, s4
	s_barrier
	s_mul_i32 s5, s11, s4
	s_add_i32 s4, s4, 1
	s_lshl_b32 s13, s5, 8
	buffer_gl0_inv
	s_sub_i32 s5, s8, s13
	s_delay_alu instid0(SALU_CYCLE_1) | instskip(SKIP_3) | instid1(VALU_DEP_1)
	s_add_u32 s5, s5, 0xff
	s_addc_u32 s19, 0, 0
	s_cmp_lt_u32 s4, s2
	v_alignbit_b32 v1, s19, s5, 8
	v_readfirstlane_b32 s5, v1
	s_delay_alu instid0(VALU_DEP_1)
	s_cselect_b32 s11, s11, s5
	s_mov_b32 s5, 0
	s_cmp_lt_i32 s11, 1
	s_cbranch_scc1 .LBB57_25
; %bb.4:
	s_sub_i32 s2, 0, s17
	s_load_b64 s[20:21], s[0:1], 0x0
	s_mul_i32 s2, s2, s18
	s_delay_alu instid0(SALU_CYCLE_1) | instskip(NEXT) | instid1(SALU_CYCLE_1)
	s_mul_hi_u32 s2, s18, s2
	s_add_i32 s2, s18, s2
	s_load_b64 s[18:19], s[0:1], 0x6c
	s_mul_hi_u32 s2, s12, s2
	s_load_b32 s1, s[14:15], 0x0
	s_mul_i32 s4, s2, s17
	s_delay_alu instid0(SALU_CYCLE_1)
	s_sub_i32 s0, s12, s4
	s_add_i32 s4, s2, 1
	s_sub_i32 s22, s0, s17
	s_cmp_ge_u32 s0, s17
	s_cselect_b32 s2, s4, s2
	s_cselect_b32 s0, s22, s0
	s_add_i32 s4, s2, 1
	s_cmp_ge_u32 s0, s17
	s_cselect_b32 s0, s4, s2
	s_delay_alu instid0(SALU_CYCLE_1) | instskip(NEXT) | instid1(SALU_CYCLE_1)
	s_mul_i32 s2, s0, s17
	s_sub_i32 s2, s12, s2
	s_waitcnt lgkmcnt(0)
	s_mul_i32 s0, s0, s18
	s_mul_i32 s2, s2, s19
	s_delay_alu instid0(SALU_CYCLE_1) | instskip(NEXT) | instid1(SALU_CYCLE_1)
	s_add_i32 s4, s0, s2
	s_lshl_b64 s[14:15], s[4:5], 1
	s_delay_alu instid0(SALU_CYCLE_1)
	s_add_u32 s2, s20, s14
	s_addc_u32 s4, s21, s15
	s_and_b32 s10, s10, 0xff
	s_cmp_lt_u32 s11, 4
	s_cbranch_scc1 .LBB57_19
; %bb.5:
	v_add_nc_u32_e32 v1, s13, v0
	s_and_b32 s5, s11, 0x7ffffffc
	s_lshl_b32 s12, s9, 10
	s_mov_b32 s14, 0
	s_mov_b32 s15, 0
	v_dual_mov_b32 v9, 1 :: v_dual_add_nc_u32 v2, 0x200, v1
	s_delay_alu instid0(VALU_DEP_1) | instskip(SKIP_4) | instid1(VALU_DEP_3)
	v_mul_lo_u32 v6, s9, v2
	v_mov_b32_e32 v2, 0
	v_add_nc_u32_e32 v4, 0x300, v1
	v_add_nc_u32_e32 v7, 0x100, v1
	v_mul_lo_u32 v8, s9, v1
	v_mul_lo_u32 v5, s9, v4
	s_delay_alu instid0(VALU_DEP_3)
	v_mul_lo_u32 v7, s9, v7
	s_branch .LBB57_7
.LBB57_6:                               ;   in Loop: Header=BB57_7 Depth=1
	s_or_b32 exec_lo, exec_lo, s17
	v_add_nc_u32_e32 v4, 0x400, v4
	s_add_i32 s15, s15, 4
	s_add_i32 s14, s14, s12
	s_cmp_eq_u32 s5, s15
	s_cbranch_scc1 .LBB57_19
.LBB57_7:                               ; =>This Inner Loop Header: Depth=1
	v_add_nc_u32_e32 v1, 0xfffffd00, v4
	s_mov_b32 s17, exec_lo
	s_delay_alu instid0(VALU_DEP_1)
	v_cmpx_gt_u32_e64 s8, v1
	s_cbranch_execz .LBB57_10
; %bb.8:                                ;   in Loop: Header=BB57_7 Depth=1
	v_add_nc_u32_e32 v1, s14, v8
	s_delay_alu instid0(VALU_DEP_1) | instskip(NEXT) | instid1(VALU_DEP_1)
	v_lshlrev_b64 v[10:11], 1, v[1:2]
	v_add_co_u32 v10, s0, s2, v10
	s_delay_alu instid0(VALU_DEP_1) | instskip(SKIP_3) | instid1(VALU_DEP_1)
	v_add_co_ci_u32_e64 v11, s0, s4, v11, s0
	global_load_i16 v1, v[10:11], off
	s_waitcnt vmcnt(0)
	v_add_nc_u32_e32 v1, 0x8000, v1
	v_xor_b32_e32 v10, s1, v1
	s_delay_alu instid0(VALU_DEP_1) | instskip(NEXT) | instid1(VALU_DEP_1)
	v_and_b32_e32 v10, s3, v10
	v_cmp_eq_u32_e64 s0, 0, v10
	s_delay_alu instid0(VALU_DEP_1)
	s_and_b32 exec_lo, exec_lo, s0
	s_cbranch_execz .LBB57_10
; %bb.9:                                ;   in Loop: Header=BB57_7 Depth=1
	v_bfe_u32 v1, v1, s10, 8
	s_delay_alu instid0(VALU_DEP_1)
	v_lshlrev_b32_e32 v1, 2, v1
	ds_add_u32 v1, v9
.LBB57_10:                              ;   in Loop: Header=BB57_7 Depth=1
	s_or_b32 exec_lo, exec_lo, s17
	v_add_nc_u32_e32 v1, 0xfffffe00, v4
	s_mov_b32 s17, exec_lo
	s_delay_alu instid0(VALU_DEP_1)
	v_cmpx_gt_u32_e64 s8, v1
	s_cbranch_execz .LBB57_13
; %bb.11:                               ;   in Loop: Header=BB57_7 Depth=1
	v_add_nc_u32_e32 v1, s14, v7
	s_delay_alu instid0(VALU_DEP_1) | instskip(NEXT) | instid1(VALU_DEP_1)
	v_lshlrev_b64 v[10:11], 1, v[1:2]
	v_add_co_u32 v10, s0, s2, v10
	s_delay_alu instid0(VALU_DEP_1) | instskip(SKIP_3) | instid1(VALU_DEP_1)
	v_add_co_ci_u32_e64 v11, s0, s4, v11, s0
	global_load_i16 v1, v[10:11], off
	s_waitcnt vmcnt(0)
	v_add_nc_u32_e32 v1, 0x8000, v1
	v_xor_b32_e32 v10, s1, v1
	s_delay_alu instid0(VALU_DEP_1) | instskip(NEXT) | instid1(VALU_DEP_1)
	v_and_b32_e32 v10, s3, v10
	v_cmp_eq_u32_e64 s0, 0, v10
	s_delay_alu instid0(VALU_DEP_1)
	s_and_b32 exec_lo, exec_lo, s0
	s_cbranch_execz .LBB57_13
; %bb.12:                               ;   in Loop: Header=BB57_7 Depth=1
	v_bfe_u32 v1, v1, s10, 8
	s_delay_alu instid0(VALU_DEP_1)
	v_lshlrev_b32_e32 v1, 2, v1
	ds_add_u32 v1, v9
.LBB57_13:                              ;   in Loop: Header=BB57_7 Depth=1
	s_or_b32 exec_lo, exec_lo, s17
	v_add_nc_u32_e32 v1, 0xffffff00, v4
	s_mov_b32 s17, exec_lo
	s_delay_alu instid0(VALU_DEP_1)
	v_cmpx_gt_u32_e64 s8, v1
	s_cbranch_execz .LBB57_16
; %bb.14:                               ;   in Loop: Header=BB57_7 Depth=1
	v_add_nc_u32_e32 v1, s14, v6
	s_delay_alu instid0(VALU_DEP_1) | instskip(NEXT) | instid1(VALU_DEP_1)
	v_lshlrev_b64 v[10:11], 1, v[1:2]
	v_add_co_u32 v10, s0, s2, v10
	s_delay_alu instid0(VALU_DEP_1) | instskip(SKIP_3) | instid1(VALU_DEP_1)
	v_add_co_ci_u32_e64 v11, s0, s4, v11, s0
	global_load_i16 v1, v[10:11], off
	s_waitcnt vmcnt(0)
	v_add_nc_u32_e32 v1, 0x8000, v1
	v_xor_b32_e32 v10, s1, v1
	s_delay_alu instid0(VALU_DEP_1) | instskip(NEXT) | instid1(VALU_DEP_1)
	v_and_b32_e32 v10, s3, v10
	v_cmp_eq_u32_e64 s0, 0, v10
	s_delay_alu instid0(VALU_DEP_1)
	s_and_b32 exec_lo, exec_lo, s0
	s_cbranch_execz .LBB57_16
; %bb.15:                               ;   in Loop: Header=BB57_7 Depth=1
	v_bfe_u32 v1, v1, s10, 8
	s_delay_alu instid0(VALU_DEP_1)
	v_lshlrev_b32_e32 v1, 2, v1
	ds_add_u32 v1, v9
.LBB57_16:                              ;   in Loop: Header=BB57_7 Depth=1
	s_or_b32 exec_lo, exec_lo, s17
	s_delay_alu instid0(SALU_CYCLE_1)
	s_mov_b32 s17, exec_lo
	v_cmpx_gt_u32_e64 s8, v4
	s_cbranch_execz .LBB57_6
; %bb.17:                               ;   in Loop: Header=BB57_7 Depth=1
	v_add_nc_u32_e32 v1, s14, v5
	s_delay_alu instid0(VALU_DEP_1) | instskip(NEXT) | instid1(VALU_DEP_1)
	v_lshlrev_b64 v[10:11], 1, v[1:2]
	v_add_co_u32 v10, s0, s2, v10
	s_delay_alu instid0(VALU_DEP_1) | instskip(SKIP_3) | instid1(VALU_DEP_1)
	v_add_co_ci_u32_e64 v11, s0, s4, v11, s0
	global_load_i16 v1, v[10:11], off
	s_waitcnt vmcnt(0)
	v_add_nc_u32_e32 v1, 0x8000, v1
	v_xor_b32_e32 v10, s1, v1
	s_delay_alu instid0(VALU_DEP_1) | instskip(NEXT) | instid1(VALU_DEP_1)
	v_and_b32_e32 v10, s3, v10
	v_cmp_eq_u32_e64 s0, 0, v10
	s_delay_alu instid0(VALU_DEP_1)
	s_and_b32 exec_lo, exec_lo, s0
	s_cbranch_execz .LBB57_6
; %bb.18:                               ;   in Loop: Header=BB57_7 Depth=1
	v_bfe_u32 v1, v1, s10, 8
	s_delay_alu instid0(VALU_DEP_1)
	v_lshlrev_b32_e32 v1, 2, v1
	ds_add_u32 v1, v9
	s_branch .LBB57_6
.LBB57_19:
	s_and_b32 s11, s11, 3
	s_delay_alu instid0(SALU_CYCLE_1)
	s_cmp_eq_u32 s11, 0
	s_cbranch_scc1 .LBB57_25
; %bb.20:
	s_lshl_b32 s0, s5, 8
	v_dual_mov_b32 v2, 0 :: v_dual_mov_b32 v5, 1
	v_add3_u32 v4, s0, s13, v0
	s_lshl_b32 s5, s9, 8
	s_delay_alu instid0(VALU_DEP_1)
	v_mul_lo_u32 v1, s9, v4
	s_set_inst_prefetch_distance 0x1
	s_branch .LBB57_22
	.p2align	6
.LBB57_21:                              ;   in Loop: Header=BB57_22 Depth=1
	s_or_b32 exec_lo, exec_lo, s9
	s_delay_alu instid0(VALU_DEP_2) | instskip(SKIP_2) | instid1(SALU_CYCLE_1)
	v_add_nc_u32_e32 v1, s5, v1
	v_add_nc_u32_e32 v4, 0x100, v4
	s_add_i32 s11, s11, -1
	s_cmp_lg_u32 s11, 0
	s_cbranch_scc0 .LBB57_25
.LBB57_22:                              ; =>This Inner Loop Header: Depth=1
	s_mov_b32 s9, exec_lo
	v_cmpx_gt_u32_e64 s8, v4
	s_cbranch_execz .LBB57_21
; %bb.23:                               ;   in Loop: Header=BB57_22 Depth=1
	s_delay_alu instid0(VALU_DEP_2) | instskip(NEXT) | instid1(VALU_DEP_1)
	v_lshlrev_b64 v[6:7], 1, v[1:2]
	v_add_co_u32 v6, s0, s2, v6
	s_delay_alu instid0(VALU_DEP_1) | instskip(SKIP_3) | instid1(VALU_DEP_1)
	v_add_co_ci_u32_e64 v7, s0, s4, v7, s0
	global_load_i16 v6, v[6:7], off
	s_waitcnt vmcnt(0)
	v_add_nc_u32_e32 v6, 0x8000, v6
	v_xor_b32_e32 v7, s1, v6
	s_delay_alu instid0(VALU_DEP_1) | instskip(NEXT) | instid1(VALU_DEP_1)
	v_and_b32_e32 v7, s3, v7
	v_cmp_eq_u32_e64 s0, 0, v7
	s_delay_alu instid0(VALU_DEP_1)
	s_and_b32 exec_lo, exec_lo, s0
	s_cbranch_execz .LBB57_21
; %bb.24:                               ;   in Loop: Header=BB57_22 Depth=1
	v_bfe_u32 v6, v6, s10, 8
	s_delay_alu instid0(VALU_DEP_1)
	v_lshlrev_b32_e32 v6, 2, v6
	ds_add_u32 v6, v5
	s_branch .LBB57_21
.LBB57_25:
	s_set_inst_prefetch_distance 0x2
	v_mov_b32_e32 v1, 0
	s_waitcnt lgkmcnt(0)
	s_barrier
	buffer_gl0_inv
	s_and_saveexec_b32 s0, vcc_lo
	s_cbranch_execz .LBB57_27
; %bb.26:
	ds_load_b32 v1, v3
.LBB57_27:
	s_or_b32 exec_lo, exec_lo, s0
	s_and_saveexec_b32 s0, vcc_lo
	s_cbranch_execz .LBB57_29
; %bb.28:
	v_lshl_or_b32 v2, s16, 8, v0
	v_mov_b32_e32 v3, 0
	s_delay_alu instid0(VALU_DEP_1) | instskip(NEXT) | instid1(VALU_DEP_1)
	v_lshlrev_b64 v[2:3], 1, v[2:3]
	v_add_co_u32 v2, vcc_lo, s6, v2
	s_delay_alu instid0(VALU_DEP_2)
	v_add_co_ci_u32_e32 v3, vcc_lo, s7, v3, vcc_lo
	s_waitcnt lgkmcnt(0)
	global_store_b16 v[2:3], v1, off
.LBB57_29:
	s_nop 0
	s_sendmsg sendmsg(MSG_DEALLOC_VGPRS)
	s_endpgm
	.section	.rodata,"a",@progbits
	.p2align	6, 0x0
	.amdhsa_kernel _ZN2at6native6mbtopk23computeBlockDigitCountsIsjjLi2EEEvNS_4cuda6detail10TensorInfoIKT_T0_EEjPjjS8_iijT1_PSB_Ps
		.amdhsa_group_segment_fixed_size 1024
		.amdhsa_private_segment_fixed_size 0
		.amdhsa_kernarg_size 528
		.amdhsa_user_sgpr_count 13
		.amdhsa_user_sgpr_dispatch_ptr 0
		.amdhsa_user_sgpr_queue_ptr 0
		.amdhsa_user_sgpr_kernarg_segment_ptr 1
		.amdhsa_user_sgpr_dispatch_id 0
		.amdhsa_user_sgpr_private_segment_size 0
		.amdhsa_wavefront_size32 1
		.amdhsa_uses_dynamic_stack 0
		.amdhsa_enable_private_segment 0
		.amdhsa_system_sgpr_workgroup_id_x 1
		.amdhsa_system_sgpr_workgroup_id_y 1
		.amdhsa_system_sgpr_workgroup_id_z 1
		.amdhsa_system_sgpr_workgroup_info 0
		.amdhsa_system_vgpr_workitem_id 0
		.amdhsa_next_free_vgpr 12
		.amdhsa_next_free_sgpr 23
		.amdhsa_reserve_vcc 1
		.amdhsa_float_round_mode_32 0
		.amdhsa_float_round_mode_16_64 0
		.amdhsa_float_denorm_mode_32 3
		.amdhsa_float_denorm_mode_16_64 3
		.amdhsa_dx10_clamp 1
		.amdhsa_ieee_mode 1
		.amdhsa_fp16_overflow 0
		.amdhsa_workgroup_processor_mode 1
		.amdhsa_memory_ordered 1
		.amdhsa_forward_progress 0
		.amdhsa_shared_vgpr_count 0
		.amdhsa_exception_fp_ieee_invalid_op 0
		.amdhsa_exception_fp_denorm_src 0
		.amdhsa_exception_fp_ieee_div_zero 0
		.amdhsa_exception_fp_ieee_overflow 0
		.amdhsa_exception_fp_ieee_underflow 0
		.amdhsa_exception_fp_ieee_inexact 0
		.amdhsa_exception_int_div_zero 0
	.end_amdhsa_kernel
	.section	.text._ZN2at6native6mbtopk23computeBlockDigitCountsIsjjLi2EEEvNS_4cuda6detail10TensorInfoIKT_T0_EEjPjjS8_iijT1_PSB_Ps,"axG",@progbits,_ZN2at6native6mbtopk23computeBlockDigitCountsIsjjLi2EEEvNS_4cuda6detail10TensorInfoIKT_T0_EEjPjjS8_iijT1_PSB_Ps,comdat
.Lfunc_end57:
	.size	_ZN2at6native6mbtopk23computeBlockDigitCountsIsjjLi2EEEvNS_4cuda6detail10TensorInfoIKT_T0_EEjPjjS8_iijT1_PSB_Ps, .Lfunc_end57-_ZN2at6native6mbtopk23computeBlockDigitCountsIsjjLi2EEEvNS_4cuda6detail10TensorInfoIKT_T0_EEjPjjS8_iijT1_PSB_Ps
                                        ; -- End function
	.section	.AMDGPU.csdata,"",@progbits
; Kernel info:
; codeLenInByte = 1572
; NumSgprs: 25
; NumVgprs: 12
; ScratchSize: 0
; MemoryBound: 0
; FloatMode: 240
; IeeeMode: 1
; LDSByteSize: 1024 bytes/workgroup (compile time only)
; SGPRBlocks: 3
; VGPRBlocks: 1
; NumSGPRsForWavesPerEU: 25
; NumVGPRsForWavesPerEU: 12
; Occupancy: 16
; WaveLimiterHint : 1
; COMPUTE_PGM_RSRC2:SCRATCH_EN: 0
; COMPUTE_PGM_RSRC2:USER_SGPR: 13
; COMPUTE_PGM_RSRC2:TRAP_HANDLER: 0
; COMPUTE_PGM_RSRC2:TGID_X_EN: 1
; COMPUTE_PGM_RSRC2:TGID_Y_EN: 1
; COMPUTE_PGM_RSRC2:TGID_Z_EN: 1
; COMPUTE_PGM_RSRC2:TIDIG_COMP_CNT: 0
	.section	.text._ZN2at6native6mbtopk10gatherTopKIsjLi2EEEvNS_4cuda6detail10TensorInfoIKT_T0_EES8_S8_bjS8_NS5_IS6_S8_EES8_NS5_IlS8_EES8_jjPS6_PjSD_j,"axG",@progbits,_ZN2at6native6mbtopk10gatherTopKIsjLi2EEEvNS_4cuda6detail10TensorInfoIKT_T0_EES8_S8_bjS8_NS5_IS6_S8_EES8_NS5_IlS8_EES8_jjPS6_PjSD_j,comdat
	.protected	_ZN2at6native6mbtopk10gatherTopKIsjLi2EEEvNS_4cuda6detail10TensorInfoIKT_T0_EES8_S8_bjS8_NS5_IS6_S8_EES8_NS5_IlS8_EES8_jjPS6_PjSD_j ; -- Begin function _ZN2at6native6mbtopk10gatherTopKIsjLi2EEEvNS_4cuda6detail10TensorInfoIKT_T0_EES8_S8_bjS8_NS5_IS6_S8_EES8_NS5_IlS8_EES8_jjPS6_PjSD_j
	.globl	_ZN2at6native6mbtopk10gatherTopKIsjLi2EEEvNS_4cuda6detail10TensorInfoIKT_T0_EES8_S8_bjS8_NS5_IS6_S8_EES8_NS5_IlS8_EES8_jjPS6_PjSD_j
	.p2align	8
	.type	_ZN2at6native6mbtopk10gatherTopKIsjLi2EEEvNS_4cuda6detail10TensorInfoIKT_T0_EES8_S8_bjS8_NS5_IS6_S8_EES8_NS5_IlS8_EES8_jjPS6_PjSD_j,@function
_ZN2at6native6mbtopk10gatherTopKIsjLi2EEEvNS_4cuda6detail10TensorInfoIKT_T0_EES8_S8_bjS8_NS5_IS6_S8_EES8_NS5_IlS8_EES8_jjPS6_PjSD_j: ; @_ZN2at6native6mbtopk10gatherTopKIsjLi2EEEvNS_4cuda6detail10TensorInfoIKT_T0_EES8_S8_bjS8_NS5_IS6_S8_EES8_NS5_IlS8_EES8_jjPS6_PjSD_j
; %bb.0:
	s_clause 0x1
	s_load_b64 s[2:3], s[0:1], 0x2d8
	s_load_b32 s4, s[0:1], 0x2d0
	s_waitcnt lgkmcnt(0)
	s_mul_i32 s3, s3, s15
	s_delay_alu instid0(SALU_CYCLE_1) | instskip(NEXT) | instid1(SALU_CYCLE_1)
	s_add_i32 s3, s3, s14
	s_mul_i32 s2, s3, s2
	s_delay_alu instid0(SALU_CYCLE_1) | instskip(NEXT) | instid1(SALU_CYCLE_1)
	s_add_i32 s2, s2, s13
	s_cmp_ge_u32 s2, s4
	s_cbranch_scc1 .LBB58_40
; %bb.1:
	s_clause 0x3
	s_load_b256 s[4:11], s[0:1], 0x2a8
	s_load_b32 s37, s[0:1], 0xc
	s_load_b32 s36, s[0:1], 0xfc
	;; [unrolled: 1-line block ×3, first 2 shown]
	s_mov_b32 s19, 0
	s_load_b64 s[16:17], s[0:1], 0x1d0
	s_waitcnt lgkmcnt(0)
	v_cvt_f32_u32_e32 v1, s6
	v_cvt_f32_u32_e32 v2, s37
	;; [unrolled: 1-line block ×4, first 2 shown]
	s_sub_i32 s7, 0, s6
	v_rcp_iflag_f32_e32 v1, v1
	v_rcp_iflag_f32_e32 v2, v2
	;; [unrolled: 1-line block ×4, first 2 shown]
	s_delay_alu instid0(TRANS32_DEP_3) | instskip(SKIP_4) | instid1(VALU_DEP_3)
	v_dual_mul_f32 v1, 0x4f7ffffe, v1 :: v_dual_mul_f32 v2, 0x4f7ffffe, v2
	s_waitcnt_depctr 0xfff
	v_dual_mul_f32 v3, 0x4f7ffffe, v3 :: v_dual_mul_f32 v4, 0x4f7ffffe, v4
	v_cvt_u32_f32_e32 v1, v1
	v_cvt_u32_f32_e32 v2, v2
	;; [unrolled: 1-line block ×3, first 2 shown]
	s_delay_alu instid0(VALU_DEP_4) | instskip(NEXT) | instid1(VALU_DEP_4)
	v_cvt_u32_f32_e32 v4, v4
	v_readfirstlane_b32 s3, v1
	v_mov_b32_e32 v1, 0
	v_readfirstlane_b32 s13, v2
	v_readfirstlane_b32 s20, v3
	;; [unrolled: 1-line block ×3, first 2 shown]
	s_mul_i32 s7, s7, s3
	s_delay_alu instid0(SALU_CYCLE_1) | instskip(NEXT) | instid1(SALU_CYCLE_1)
	s_mul_hi_u32 s7, s3, s7
	s_add_i32 s3, s3, s7
	s_delay_alu instid0(SALU_CYCLE_1) | instskip(NEXT) | instid1(SALU_CYCLE_1)
	s_mul_hi_u32 s3, s2, s3
	s_mul_i32 s7, s3, s6
	s_add_i32 s12, s3, 1
	s_sub_i32 s7, s2, s7
	s_delay_alu instid0(SALU_CYCLE_1)
	s_sub_i32 s14, s7, s6
	s_cmp_ge_u32 s7, s6
	s_cselect_b32 s3, s12, s3
	s_cselect_b32 s7, s14, s7
	s_add_i32 s12, s3, 1
	s_cmp_ge_u32 s7, s6
	s_cselect_b32 s18, s12, s3
	s_sub_i32 s3, 0, s37
	s_sub_i32 s7, 0, s36
	;; [unrolled: 1-line block ×3, first 2 shown]
	s_mul_i32 s12, s18, s6
	s_mul_i32 s3, s3, s13
	;; [unrolled: 1-line block ×4, first 2 shown]
	s_sub_i32 s7, s2, s12
	s_mul_hi_u32 s2, s13, s3
	s_mul_hi_u32 s3, s20, s22
	;; [unrolled: 1-line block ×3, first 2 shown]
	s_lshl_b64 s[14:15], s[18:19], 1
	s_add_i32 s13, s13, s2
	s_add_i32 s30, s20, s3
	;; [unrolled: 1-line block ×3, first 2 shown]
	s_add_u32 s2, s8, s14
	s_addc_u32 s3, s9, s15
	s_mul_hi_u32 s40, s18, s13
	global_load_u16 v6, v1, s[2:3]
	s_clause 0x4
	s_load_b64 s[26:27], s[0:1], 0x15c
	s_load_b64 s[20:21], s[0:1], 0xf0
	;; [unrolled: 1-line block ×5, first 2 shown]
	v_cmp_ne_u32_e64 s2, 0, v0
	v_cmp_eq_u32_e64 s3, 0, v0
	s_mul_hi_u32 s39, s18, s30
	s_mul_hi_u32 s38, s18, s31
	s_delay_alu instid0(VALU_DEP_1)
	s_and_saveexec_b32 s41, s3
	s_cbranch_execz .LBB58_17
; %bb.2:
	s_load_b64 s[8:9], s[0:1], 0x2c8
	s_mov_b32 s13, s19
	s_delay_alu instid0(SALU_CYCLE_1) | instskip(NEXT) | instid1(SALU_CYCLE_1)
	s_lshl_b64 s[30:31], s[12:13], 2
	s_add_u32 s12, s10, s30
	s_addc_u32 s13, s11, s31
	s_waitcnt lgkmcnt(0)
	s_add_u32 s14, s8, s30
	s_addc_u32 s15, s9, s31
	s_cmp_lt_u32 s6, 4
	s_cbranch_scc1 .LBB58_14
; %bb.3:
	s_mov_b32 s42, s19
	s_mov_b32 s43, s19
	;; [unrolled: 1-line block ×3, first 2 shown]
.LBB58_4:                               ; =>This Inner Loop Header: Depth=1
	s_add_u32 s12, s10, s30
	s_addc_u32 s13, s11, s31
	s_add_u32 s34, s8, s30
	s_load_b128 s[12:15], s[12:13], 0x0
	s_addc_u32 s35, s9, s31
	s_cmp_ge_u32 s44, s7
	s_cbranch_scc0 .LBB58_11
; %bb.5:                                ;   in Loop: Header=BB58_4 Depth=1
	s_add_i32 s45, s44, 1
	s_delay_alu instid0(SALU_CYCLE_1)
	s_cmp_ge_u32 s45, s7
	s_cbranch_scc0 .LBB58_12
.LBB58_6:                               ;   in Loop: Header=BB58_4 Depth=1
	s_add_i32 s45, s45, 1
	s_delay_alu instid0(SALU_CYCLE_1)
	s_cmp_ge_u32 s45, s7
	s_cbranch_scc0 .LBB58_13
.LBB58_7:                               ;   in Loop: Header=BB58_4 Depth=1
	s_add_i32 s45, s45, 1
	s_delay_alu instid0(SALU_CYCLE_1)
	s_cmp_ge_u32 s45, s7
	s_cbranch_scc1 .LBB58_9
.LBB58_8:                               ;   in Loop: Header=BB58_4 Depth=1
	s_load_b32 s34, s[34:35], 0xc
	s_waitcnt lgkmcnt(0)
	s_add_i32 s19, s19, s15
	s_add_i32 s42, s34, s42
.LBB58_9:                               ;   in Loop: Header=BB58_4 Depth=1
	s_waitcnt lgkmcnt(0)
	s_add_i32 s12, s12, s43
	s_delay_alu instid0(SALU_CYCLE_1) | instskip(NEXT) | instid1(SALU_CYCLE_1)
	s_add_i32 s12, s12, s13
	s_add_i32 s12, s12, s14
	s_delay_alu instid0(SALU_CYCLE_1)
	s_add_i32 s43, s12, s15
	s_add_u32 s10, s10, 16
	s_addc_u32 s11, s11, 0
	s_add_u32 s8, s8, 16
	s_addc_u32 s9, s9, 0
	s_add_i32 s35, s45, 4
	s_add_u32 s14, s8, s30
	s_addc_u32 s15, s9, s31
	s_add_u32 s12, s10, s30
	s_addc_u32 s13, s11, s31
	s_add_i32 s34, s45, 1
	s_cmp_ge_u32 s35, s6
	s_cbranch_scc1 .LBB58_15
; %bb.10:                               ;   in Loop: Header=BB58_4 Depth=1
	s_mov_b32 s44, s34
	s_branch .LBB58_4
.LBB58_11:                              ;   in Loop: Header=BB58_4 Depth=1
	s_load_b32 s45, s[34:35], 0x0
	s_waitcnt lgkmcnt(0)
	s_add_i32 s19, s12, s19
	s_add_i32 s42, s45, s42
	;; [unrolled: 1-line block ×3, first 2 shown]
	s_delay_alu instid0(SALU_CYCLE_1)
	s_cmp_ge_u32 s45, s7
	s_cbranch_scc1 .LBB58_6
.LBB58_12:                              ;   in Loop: Header=BB58_4 Depth=1
	s_load_b32 s46, s[34:35], 0x4
	s_waitcnt lgkmcnt(0)
	s_add_i32 s19, s19, s13
	s_add_i32 s42, s46, s42
	;; [unrolled: 1-line block ×3, first 2 shown]
	s_delay_alu instid0(SALU_CYCLE_1)
	s_cmp_ge_u32 s45, s7
	s_cbranch_scc1 .LBB58_7
.LBB58_13:                              ;   in Loop: Header=BB58_4 Depth=1
	s_load_b32 s46, s[34:35], 0x8
	s_waitcnt lgkmcnt(0)
	s_add_i32 s19, s19, s14
	s_add_i32 s42, s46, s42
	;; [unrolled: 1-line block ×3, first 2 shown]
	s_delay_alu instid0(SALU_CYCLE_1)
	s_cmp_ge_u32 s45, s7
	s_cbranch_scc0 .LBB58_8
	s_branch .LBB58_9
.LBB58_14:
	s_mov_b32 s42, 0
	s_mov_b32 s43, 0
	s_mov_b32 s8, 0
	s_delay_alu instid0(SALU_CYCLE_1)
	s_cmp_ge_u32 s8, s6
	s_cbranch_scc0 .LBB58_38
	s_branch .LBB58_16
.LBB58_15:
	s_add_i32 s8, s44, 4
	s_delay_alu instid0(SALU_CYCLE_1)
	s_cmp_ge_u32 s8, s6
	s_cbranch_scc0 .LBB58_38
.LBB58_16:
	v_dual_mov_b32 v1, s42 :: v_dual_mov_b32 v2, s43
	v_dual_mov_b32 v3, s19 :: v_dual_mov_b32 v4, 0
	ds_store_b96 v4, v[1:3] offset:1056
.LBB58_17:
	s_or_b32 exec_lo, exec_lo, s41
	s_load_b128 s[8:11], s[0:1], 0xd8
	s_waitcnt lgkmcnt(0)
	s_mul_i32 s11, s5, s7
	s_add_i32 s7, s7, 1
	s_lshl_b32 s15, s11, 8
	s_waitcnt vmcnt(0)
	s_barrier
	buffer_gl0_inv
	s_sub_i32 s11, s8, s15
	s_delay_alu instid0(SALU_CYCLE_1) | instskip(SKIP_4) | instid1(VALU_DEP_1)
	s_add_u32 s11, s11, 0xff
	s_addc_u32 s12, 0, 0
	s_cmp_lt_u32 s7, s6
	v_alignbit_b32 v1, s12, s11, 8
	s_mov_b32 s7, 0
	v_readfirstlane_b32 s11, v1
	s_delay_alu instid0(VALU_DEP_1) | instskip(NEXT) | instid1(SALU_CYCLE_1)
	s_cselect_b32 s5, s5, s11
	s_cmp_eq_u32 s5, 0
	s_cbranch_scc1 .LBB58_40
; %bb.18:
	s_mul_i32 s6, s40, s37
	s_add_i32 s11, s40, 1
	s_sub_i32 s6, s18, s6
	v_mov_b32_e32 v5, 0
	s_sub_i32 s12, s6, s37
	s_cmp_ge_u32 s6, s37
	v_bfe_i32 v4, v6, 0, 16
	s_cselect_b32 s11, s11, s40
	s_cselect_b32 s6, s12, s6
	s_add_i32 s12, s11, 1
	s_cmp_ge_u32 s6, s37
	s_mul_i32 s6, s39, s36
	s_cselect_b32 s11, s12, s11
	s_sub_i32 s12, s18, s6
	s_mul_i32 s6, s11, s37
	s_mul_i32 s11, s11, s28
	s_sub_i32 s6, s18, s6
	s_add_i32 s13, s39, 1
	s_mul_i32 s6, s6, s29
	s_sub_i32 s14, s12, s36
	s_add_i32 s6, s11, s6
	s_cmp_ge_u32 s12, s36
	ds_load_b96 v[1:3], v5 offset:1056
	s_cselect_b32 s11, s13, s39
	s_cselect_b32 s12, s14, s12
	s_add_i32 s13, s11, 1
	s_cmp_ge_u32 s12, s36
	s_mul_i32 s12, s38, s33
	s_cselect_b32 s11, s13, s11
	s_sub_i32 s13, s18, s12
	s_mul_i32 s12, s11, s36
	s_mul_i32 s11, s11, s26
	s_sub_i32 s12, s18, s12
	s_add_i32 s14, s38, 1
	s_mul_i32 s12, s12, s27
	s_sub_i32 s19, s13, s33
	s_add_i32 s12, s11, s12
	s_cmp_ge_u32 s13, s33
	v_add_nc_u32_e32 v7, 0x8000, v4
	s_cselect_b32 s11, s14, s38
	s_cselect_b32 s13, s19, s13
	s_add_i32 s14, s11, 1
	s_waitcnt lgkmcnt(0)
	v_add_nc_u32_e32 v8, v1, v2
	s_cmp_ge_u32 s13, s33
	s_mov_b32 s13, s7
	s_cselect_b32 s11, s14, s11
	s_mov_b32 s19, s7
	s_mul_i32 s14, s11, s33
	s_mul_i32 s11, s11, s24
	s_sub_i32 s14, s18, s14
	s_lshl_b64 s[6:7], s[6:7], 1
	s_mul_i32 s14, s14, s25
	v_lshrrev_b32_e32 v4, 5, v0
	s_add_i32 s18, s11, s14
	s_add_u32 s6, s22, s6
	s_addc_u32 s7, s23, s7
	s_lshl_b64 s[12:13], s[12:13], 1
	v_add_nc_u32_e32 v11, -1, v0
	s_add_u32 s11, s20, s12
	s_load_b32 s20, s[0:1], 0xe8
	s_addc_u32 s12, s21, s13
	s_lshl_b64 s[18:19], s[18:19], 3
	v_add_lshl_u32 v9, v4, v0, 2
	s_add_u32 s13, s16, s18
	s_addc_u32 s14, s17, s19
	s_bitcmp1_b32 s10, 0
	s_load_b32 s10, s[0:1], 0x1c8
	v_lshlrev_b32_e32 v2, 3, v0
	v_lshrrev_b32_e32 v4, 2, v0
	v_add_nc_u32_e32 v1, s15, v0
	v_lshrrev_b32_e32 v12, 5, v11
	v_mbcnt_lo_u32_b32 v10, -1, 0
	v_cmp_gt_u32_e64 s0, 32, v0
	v_add_lshl_u32 v0, v4, v2, 2
	s_cselect_b32 s1, -1, 0
	v_add_lshl_u32 v11, v12, v11, 2
	v_and_b32_e32 v12, 15, v10
	v_bfe_i32 v13, v10, 4, 1
	v_add_nc_u32_e32 v14, -1, v10
	s_waitcnt lgkmcnt(0)
	v_mul_lo_u32 v4, s20, v1
	s_lshl_b32 s15, s20, 8
                                        ; implicit-def: $vgpr15
	s_branch .LBB58_21
.LBB58_19:                              ;   in Loop: Header=BB58_21 Depth=1
	s_or_b32 exec_lo, exec_lo, s16
	v_add_nc_u32_e32 v8, v18, v8
.LBB58_20:                              ;   in Loop: Header=BB58_21 Depth=1
	v_add_nc_u32_e32 v3, v17, v3
	v_add_nc_u32_e32 v4, s15, v4
	;; [unrolled: 1-line block ×3, first 2 shown]
	s_add_i32 s5, s5, -1
	s_delay_alu instid0(SALU_CYCLE_1)
	s_cmp_lg_u32 s5, 0
	s_cbranch_scc0 .LBB58_40
.LBB58_21:                              ; =>This Inner Loop Header: Depth=1
	v_mov_b32_e32 v2, 0
	v_mov_b32_e32 v16, 0
	s_mov_b32 s16, exec_lo
	v_cmpx_gt_u32_e64 s8, v1
	s_cbranch_execz .LBB58_23
; %bb.22:                               ;   in Loop: Header=BB58_21 Depth=1
	v_lshlrev_b64 v[15:16], 1, v[4:5]
	s_delay_alu instid0(VALU_DEP_1) | instskip(NEXT) | instid1(VALU_DEP_2)
	v_add_co_u32 v15, vcc_lo, s6, v15
	v_add_co_ci_u32_e32 v16, vcc_lo, s7, v16, vcc_lo
	global_load_u16 v15, v[15:16], off
	s_waitcnt vmcnt(0)
	v_bfe_i32 v2, v15, 0, 16
	s_delay_alu instid0(VALU_DEP_1) | instskip(NEXT) | instid1(VALU_DEP_1)
	v_add_nc_u32_e32 v2, 0x8000, v2
	v_cmp_gt_u32_e32 vcc_lo, v2, v7
	v_cndmask_b32_e64 v16, 0, 1, vcc_lo
	v_cmp_lt_u32_e32 vcc_lo, v2, v7
	v_cndmask_b32_e64 v2, 0, 1, vcc_lo
	v_cmp_eq_u16_e32 vcc_lo, v15, v6
	s_delay_alu instid0(VALU_DEP_2) | instskip(SKIP_1) | instid1(VALU_DEP_2)
	v_cndmask_b32_e64 v2, v2, v16, s1
	v_cndmask_b32_e64 v16, 0, 1, vcc_lo
	v_and_b32_e32 v2, 1, v2
.LBB58_23:                              ;   in Loop: Header=BB58_21 Depth=1
	s_or_b32 exec_lo, exec_lo, s16
	ds_store_b32 v9, v2
	s_waitcnt lgkmcnt(0)
	s_waitcnt_vscnt null, 0x0
	s_barrier
	buffer_gl0_inv
	s_and_saveexec_b32 s16, s0
	s_cbranch_execz .LBB58_25
; %bb.24:                               ;   in Loop: Header=BB58_21 Depth=1
	ds_load_2addr_b32 v[17:18], v0 offset1:1
	ds_load_2addr_b32 v[19:20], v0 offset0:2 offset1:3
	ds_load_2addr_b32 v[21:22], v0 offset0:4 offset1:5
	ds_load_2addr_b32 v[23:24], v0 offset0:6 offset1:7
	v_cmp_ne_u32_e32 vcc_lo, 0, v12
	; wave barrier
	s_waitcnt lgkmcnt(3)
	v_add_nc_u32_e32 v18, v18, v17
	s_waitcnt lgkmcnt(2)
	s_delay_alu instid0(VALU_DEP_1) | instskip(SKIP_1) | instid1(VALU_DEP_1)
	v_add3_u32 v18, v18, v19, v20
	s_waitcnt lgkmcnt(1)
	v_add3_u32 v18, v18, v21, v22
	s_waitcnt lgkmcnt(0)
	s_delay_alu instid0(VALU_DEP_1) | instskip(NEXT) | instid1(VALU_DEP_1)
	v_add3_u32 v18, v18, v23, v24
	v_mov_b32_dpp v19, v18 row_shr:1 row_mask:0xf bank_mask:0xf
	s_delay_alu instid0(VALU_DEP_1) | instskip(SKIP_1) | instid1(VALU_DEP_2)
	v_cndmask_b32_e32 v19, 0, v19, vcc_lo
	v_cmp_lt_u32_e32 vcc_lo, 1, v12
	v_add_nc_u32_e32 v18, v19, v18
	s_delay_alu instid0(VALU_DEP_1) | instskip(NEXT) | instid1(VALU_DEP_1)
	v_mov_b32_dpp v19, v18 row_shr:2 row_mask:0xf bank_mask:0xf
	v_cndmask_b32_e32 v19, 0, v19, vcc_lo
	v_cmp_lt_u32_e32 vcc_lo, 3, v12
	s_delay_alu instid0(VALU_DEP_2) | instskip(NEXT) | instid1(VALU_DEP_1)
	v_add_nc_u32_e32 v18, v18, v19
	v_mov_b32_dpp v19, v18 row_shr:4 row_mask:0xf bank_mask:0xf
	s_delay_alu instid0(VALU_DEP_1) | instskip(SKIP_1) | instid1(VALU_DEP_2)
	v_cndmask_b32_e32 v19, 0, v19, vcc_lo
	v_cmp_lt_u32_e32 vcc_lo, 7, v12
	v_add_nc_u32_e32 v18, v18, v19
	s_delay_alu instid0(VALU_DEP_1) | instskip(NEXT) | instid1(VALU_DEP_1)
	v_mov_b32_dpp v19, v18 row_shr:8 row_mask:0xf bank_mask:0xf
	v_cndmask_b32_e32 v19, 0, v19, vcc_lo
	v_cmp_gt_i32_e32 vcc_lo, 0, v14
	v_cndmask_b32_e32 v20, v14, v10, vcc_lo
	s_delay_alu instid0(VALU_DEP_1) | instskip(NEXT) | instid1(VALU_DEP_4)
	v_lshlrev_b32_e32 v20, 2, v20
	v_add_nc_u32_e32 v18, v18, v19
	ds_swizzle_b32 v19, v18 offset:swizzle(BROADCAST,32,15)
	s_waitcnt lgkmcnt(0)
	v_and_b32_e32 v19, v13, v19
	s_delay_alu instid0(VALU_DEP_1) | instskip(SKIP_3) | instid1(VALU_DEP_1)
	v_add_nc_u32_e32 v18, v18, v19
	ds_bpermute_b32 v18, v20, v18
	s_waitcnt lgkmcnt(0)
	v_add_nc_u32_e32 v17, v18, v17
	v_cndmask_b32_e64 v23, v17, v2, s3
	ds_store_b32 v0, v23
	; wave barrier
	ds_load_2addr_b32 v[17:18], v0 offset0:1 offset1:2
	ds_load_2addr_b32 v[19:20], v0 offset0:3 offset1:4
	;; [unrolled: 1-line block ×3, first 2 shown]
	ds_load_b32 v24, v0 offset:28
	s_waitcnt lgkmcnt(3)
	v_add_nc_u32_e32 v17, v17, v23
	s_delay_alu instid0(VALU_DEP_1) | instskip(SKIP_1) | instid1(VALU_DEP_1)
	v_add_nc_u32_e32 v18, v18, v17
	s_waitcnt lgkmcnt(2)
	v_add_nc_u32_e32 v19, v19, v18
	s_delay_alu instid0(VALU_DEP_1) | instskip(SKIP_1) | instid1(VALU_DEP_1)
	v_add_nc_u32_e32 v20, v20, v19
	;; [unrolled: 4-line block ×3, first 2 shown]
	s_waitcnt lgkmcnt(0)
	v_add_nc_u32_e32 v23, v24, v22
	ds_store_2addr_b32 v0, v17, v18 offset0:1 offset1:2
	ds_store_2addr_b32 v0, v19, v20 offset0:3 offset1:4
	;; [unrolled: 1-line block ×3, first 2 shown]
	ds_store_b32 v0, v23 offset:28
.LBB58_25:                              ;   in Loop: Header=BB58_21 Depth=1
	s_or_b32 exec_lo, exec_lo, s16
	v_mov_b32_e32 v18, 0
	s_waitcnt lgkmcnt(0)
	s_barrier
	buffer_gl0_inv
	s_and_saveexec_b32 s16, s2
	s_cbranch_execz .LBB58_27
; %bb.26:                               ;   in Loop: Header=BB58_21 Depth=1
	ds_load_b32 v18, v11
.LBB58_27:                              ;   in Loop: Header=BB58_21 Depth=1
	s_or_b32 exec_lo, exec_lo, s16
	ds_load_b32 v17, v5 offset:1048
	s_mov_b32 s16, exec_lo
	s_waitcnt lgkmcnt(0)
	s_barrier
	buffer_gl0_inv
	v_cmpx_ne_u32_e32 0, v2
	s_cbranch_execz .LBB58_29
; %bb.28:                               ;   in Loop: Header=BB58_21 Depth=1
	v_dual_mov_b32 v19, v5 :: v_dual_add_nc_u32 v2, v18, v3
	v_mov_b32_e32 v21, v5
	s_delay_alu instid0(VALU_DEP_2) | instskip(SKIP_2) | instid1(VALU_DEP_3)
	v_mul_lo_u32 v18, v2, s10
	v_mul_lo_u32 v20, v2, s4
	v_mov_b32_e32 v2, v5
	v_lshlrev_b64 v[18:19], 1, v[18:19]
	s_delay_alu instid0(VALU_DEP_3) | instskip(NEXT) | instid1(VALU_DEP_2)
	v_lshlrev_b64 v[20:21], 3, v[20:21]
	v_add_co_u32 v18, vcc_lo, s11, v18
	s_delay_alu instid0(VALU_DEP_3) | instskip(NEXT) | instid1(VALU_DEP_3)
	v_add_co_ci_u32_e32 v19, vcc_lo, s12, v19, vcc_lo
	v_add_co_u32 v20, vcc_lo, s13, v20
	s_delay_alu instid0(VALU_DEP_4)
	v_add_co_ci_u32_e32 v21, vcc_lo, s14, v21, vcc_lo
	global_store_b16 v[18:19], v15, off
	global_store_b64 v[20:21], v[1:2], off
.LBB58_29:                              ;   in Loop: Header=BB58_21 Depth=1
	s_or_b32 exec_lo, exec_lo, s16
	v_cmp_le_u32_e32 vcc_lo, s9, v8
	s_cbranch_vccnz .LBB58_20
; %bb.30:                               ;   in Loop: Header=BB58_21 Depth=1
	ds_store_b32 v9, v16
	s_waitcnt lgkmcnt(0)
	s_waitcnt_vscnt null, 0x0
	s_barrier
	buffer_gl0_inv
	s_and_saveexec_b32 s16, s0
	s_cbranch_execz .LBB58_32
; %bb.31:                               ;   in Loop: Header=BB58_21 Depth=1
	ds_load_2addr_b32 v[18:19], v0 offset1:1
	ds_load_2addr_b32 v[20:21], v0 offset0:2 offset1:3
	ds_load_2addr_b32 v[22:23], v0 offset0:4 offset1:5
	;; [unrolled: 1-line block ×3, first 2 shown]
	v_cmp_ne_u32_e32 vcc_lo, 0, v12
	; wave barrier
	s_waitcnt lgkmcnt(3)
	v_add_nc_u32_e32 v2, v19, v18
	s_waitcnt lgkmcnt(2)
	s_delay_alu instid0(VALU_DEP_1) | instskip(SKIP_1) | instid1(VALU_DEP_1)
	v_add3_u32 v2, v2, v20, v21
	s_waitcnt lgkmcnt(1)
	v_add3_u32 v2, v2, v22, v23
	s_waitcnt lgkmcnt(0)
	s_delay_alu instid0(VALU_DEP_1) | instskip(NEXT) | instid1(VALU_DEP_1)
	v_add3_u32 v2, v2, v24, v25
	v_mov_b32_dpp v19, v2 row_shr:1 row_mask:0xf bank_mask:0xf
	s_delay_alu instid0(VALU_DEP_1) | instskip(SKIP_1) | instid1(VALU_DEP_2)
	v_cndmask_b32_e32 v19, 0, v19, vcc_lo
	v_cmp_lt_u32_e32 vcc_lo, 1, v12
	v_add_nc_u32_e32 v2, v19, v2
	s_delay_alu instid0(VALU_DEP_1) | instskip(NEXT) | instid1(VALU_DEP_1)
	v_mov_b32_dpp v19, v2 row_shr:2 row_mask:0xf bank_mask:0xf
	v_cndmask_b32_e32 v19, 0, v19, vcc_lo
	v_cmp_lt_u32_e32 vcc_lo, 3, v12
	s_delay_alu instid0(VALU_DEP_2) | instskip(NEXT) | instid1(VALU_DEP_1)
	v_add_nc_u32_e32 v2, v2, v19
	v_mov_b32_dpp v19, v2 row_shr:4 row_mask:0xf bank_mask:0xf
	s_delay_alu instid0(VALU_DEP_1) | instskip(SKIP_1) | instid1(VALU_DEP_2)
	v_cndmask_b32_e32 v19, 0, v19, vcc_lo
	v_cmp_lt_u32_e32 vcc_lo, 7, v12
	v_add_nc_u32_e32 v2, v2, v19
	s_delay_alu instid0(VALU_DEP_1) | instskip(NEXT) | instid1(VALU_DEP_1)
	v_mov_b32_dpp v19, v2 row_shr:8 row_mask:0xf bank_mask:0xf
	v_cndmask_b32_e32 v19, 0, v19, vcc_lo
	v_cmp_gt_i32_e32 vcc_lo, 0, v14
	v_cndmask_b32_e32 v20, v14, v10, vcc_lo
	s_delay_alu instid0(VALU_DEP_1) | instskip(NEXT) | instid1(VALU_DEP_4)
	v_lshlrev_b32_e32 v20, 2, v20
	v_add_nc_u32_e32 v2, v2, v19
	ds_swizzle_b32 v19, v2 offset:swizzle(BROADCAST,32,15)
	s_waitcnt lgkmcnt(0)
	v_and_b32_e32 v19, v13, v19
	s_delay_alu instid0(VALU_DEP_1) | instskip(SKIP_3) | instid1(VALU_DEP_1)
	v_add_nc_u32_e32 v2, v2, v19
	ds_bpermute_b32 v2, v20, v2
	s_waitcnt lgkmcnt(0)
	v_add_nc_u32_e32 v2, v2, v18
	v_cndmask_b32_e64 v2, v2, v16, s3
	ds_store_b32 v0, v2
	; wave barrier
	ds_load_2addr_b32 v[18:19], v0 offset0:1 offset1:2
	ds_load_2addr_b32 v[20:21], v0 offset0:3 offset1:4
	;; [unrolled: 1-line block ×3, first 2 shown]
	ds_load_b32 v24, v0 offset:28
	s_waitcnt lgkmcnt(3)
	v_add_nc_u32_e32 v2, v18, v2
	s_delay_alu instid0(VALU_DEP_1) | instskip(SKIP_1) | instid1(VALU_DEP_1)
	v_add_nc_u32_e32 v18, v19, v2
	s_waitcnt lgkmcnt(2)
	v_add_nc_u32_e32 v19, v20, v18
	s_delay_alu instid0(VALU_DEP_1) | instskip(SKIP_1) | instid1(VALU_DEP_1)
	v_add_nc_u32_e32 v20, v21, v19
	;; [unrolled: 4-line block ×3, first 2 shown]
	s_waitcnt lgkmcnt(0)
	v_add_nc_u32_e32 v23, v24, v22
	ds_store_2addr_b32 v0, v2, v18 offset0:1 offset1:2
	ds_store_2addr_b32 v0, v19, v20 offset0:3 offset1:4
	;; [unrolled: 1-line block ×3, first 2 shown]
	ds_store_b32 v0, v23 offset:28
.LBB58_32:                              ;   in Loop: Header=BB58_21 Depth=1
	s_or_b32 exec_lo, exec_lo, s16
	v_mov_b32_e32 v2, 0
	s_waitcnt lgkmcnt(0)
	s_barrier
	buffer_gl0_inv
	s_and_saveexec_b32 s16, s2
	s_cbranch_execz .LBB58_34
; %bb.33:                               ;   in Loop: Header=BB58_21 Depth=1
	ds_load_b32 v2, v11
.LBB58_34:                              ;   in Loop: Header=BB58_21 Depth=1
	s_or_b32 exec_lo, exec_lo, s16
	ds_load_b32 v18, v5 offset:1048
	s_mov_b32 s16, exec_lo
	s_waitcnt lgkmcnt(0)
	s_barrier
	buffer_gl0_inv
	v_cmpx_ne_u32_e32 0, v16
	s_cbranch_execz .LBB58_19
; %bb.35:                               ;   in Loop: Header=BB58_21 Depth=1
	v_add_nc_u32_e32 v2, v2, v8
	s_delay_alu instid0(VALU_DEP_1)
	v_cmp_gt_u32_e32 vcc_lo, s9, v2
	s_and_b32 exec_lo, exec_lo, vcc_lo
	s_cbranch_execz .LBB58_19
; %bb.36:                               ;   in Loop: Header=BB58_21 Depth=1
	v_mul_lo_u32 v19, v2, s10
	v_mov_b32_e32 v20, v5
	v_mul_lo_u32 v21, v2, s4
	v_mov_b32_e32 v22, v5
	v_mov_b32_e32 v2, v5
	s_delay_alu instid0(VALU_DEP_4) | instskip(NEXT) | instid1(VALU_DEP_3)
	v_lshlrev_b64 v[19:20], 1, v[19:20]
	v_lshlrev_b64 v[21:22], 3, v[21:22]
	s_delay_alu instid0(VALU_DEP_2) | instskip(NEXT) | instid1(VALU_DEP_3)
	v_add_co_u32 v19, vcc_lo, s11, v19
	v_add_co_ci_u32_e32 v20, vcc_lo, s12, v20, vcc_lo
	s_delay_alu instid0(VALU_DEP_3) | instskip(NEXT) | instid1(VALU_DEP_4)
	v_add_co_u32 v21, vcc_lo, s13, v21
	v_add_co_ci_u32_e32 v22, vcc_lo, s14, v22, vcc_lo
	global_store_b16 v[19:20], v15, off
	global_store_b64 v[21:22], v[1:2], off
	s_branch .LBB58_19
	.p2align	6
.LBB58_37:                              ;   in Loop: Header=BB58_38 Depth=1
	s_add_u32 s12, s12, 4
	s_addc_u32 s13, s13, 0
	s_waitcnt lgkmcnt(0)
	s_add_i32 s43, s9, s43
	s_add_u32 s14, s14, 4
	s_addc_u32 s15, s15, 0
	s_add_i32 s8, s8, 1
	s_delay_alu instid0(SALU_CYCLE_1)
	s_cmp_lt_u32 s8, s6
	s_cbranch_scc0 .LBB58_16
.LBB58_38:                              ; =>This Inner Loop Header: Depth=1
	s_load_b32 s9, s[12:13], 0x0
	s_cmp_ge_u32 s8, s7
	s_cbranch_scc1 .LBB58_37
; %bb.39:                               ;   in Loop: Header=BB58_38 Depth=1
	s_load_b32 s10, s[14:15], 0x0
	s_waitcnt lgkmcnt(0)
	s_add_i32 s19, s9, s19
	s_add_i32 s42, s10, s42
	s_branch .LBB58_37
.LBB58_40:
	s_nop 0
	s_sendmsg sendmsg(MSG_DEALLOC_VGPRS)
	s_endpgm
	.section	.rodata,"a",@progbits
	.p2align	6, 0x0
	.amdhsa_kernel _ZN2at6native6mbtopk10gatherTopKIsjLi2EEEvNS_4cuda6detail10TensorInfoIKT_T0_EES8_S8_bjS8_NS5_IS6_S8_EES8_NS5_IlS8_EES8_jjPS6_PjSD_j
		.amdhsa_group_segment_fixed_size 1068
		.amdhsa_private_segment_fixed_size 0
		.amdhsa_kernarg_size 984
		.amdhsa_user_sgpr_count 13
		.amdhsa_user_sgpr_dispatch_ptr 0
		.amdhsa_user_sgpr_queue_ptr 0
		.amdhsa_user_sgpr_kernarg_segment_ptr 1
		.amdhsa_user_sgpr_dispatch_id 0
		.amdhsa_user_sgpr_private_segment_size 0
		.amdhsa_wavefront_size32 1
		.amdhsa_uses_dynamic_stack 0
		.amdhsa_enable_private_segment 0
		.amdhsa_system_sgpr_workgroup_id_x 1
		.amdhsa_system_sgpr_workgroup_id_y 1
		.amdhsa_system_sgpr_workgroup_id_z 1
		.amdhsa_system_sgpr_workgroup_info 0
		.amdhsa_system_vgpr_workitem_id 0
		.amdhsa_next_free_vgpr 26
		.amdhsa_next_free_sgpr 47
		.amdhsa_reserve_vcc 1
		.amdhsa_float_round_mode_32 0
		.amdhsa_float_round_mode_16_64 0
		.amdhsa_float_denorm_mode_32 3
		.amdhsa_float_denorm_mode_16_64 3
		.amdhsa_dx10_clamp 1
		.amdhsa_ieee_mode 1
		.amdhsa_fp16_overflow 0
		.amdhsa_workgroup_processor_mode 1
		.amdhsa_memory_ordered 1
		.amdhsa_forward_progress 0
		.amdhsa_shared_vgpr_count 0
		.amdhsa_exception_fp_ieee_invalid_op 0
		.amdhsa_exception_fp_denorm_src 0
		.amdhsa_exception_fp_ieee_div_zero 0
		.amdhsa_exception_fp_ieee_overflow 0
		.amdhsa_exception_fp_ieee_underflow 0
		.amdhsa_exception_fp_ieee_inexact 0
		.amdhsa_exception_int_div_zero 0
	.end_amdhsa_kernel
	.section	.text._ZN2at6native6mbtopk10gatherTopKIsjLi2EEEvNS_4cuda6detail10TensorInfoIKT_T0_EES8_S8_bjS8_NS5_IS6_S8_EES8_NS5_IlS8_EES8_jjPS6_PjSD_j,"axG",@progbits,_ZN2at6native6mbtopk10gatherTopKIsjLi2EEEvNS_4cuda6detail10TensorInfoIKT_T0_EES8_S8_bjS8_NS5_IS6_S8_EES8_NS5_IlS8_EES8_jjPS6_PjSD_j,comdat
.Lfunc_end58:
	.size	_ZN2at6native6mbtopk10gatherTopKIsjLi2EEEvNS_4cuda6detail10TensorInfoIKT_T0_EES8_S8_bjS8_NS5_IS6_S8_EES8_NS5_IlS8_EES8_jjPS6_PjSD_j, .Lfunc_end58-_ZN2at6native6mbtopk10gatherTopKIsjLi2EEEvNS_4cuda6detail10TensorInfoIKT_T0_EES8_S8_bjS8_NS5_IS6_S8_EES8_NS5_IlS8_EES8_jjPS6_PjSD_j
                                        ; -- End function
	.section	.AMDGPU.csdata,"",@progbits
; Kernel info:
; codeLenInByte = 2840
; NumSgprs: 49
; NumVgprs: 26
; ScratchSize: 0
; MemoryBound: 0
; FloatMode: 240
; IeeeMode: 1
; LDSByteSize: 1068 bytes/workgroup (compile time only)
; SGPRBlocks: 6
; VGPRBlocks: 3
; NumSGPRsForWavesPerEU: 49
; NumVGPRsForWavesPerEU: 26
; Occupancy: 16
; WaveLimiterHint : 1
; COMPUTE_PGM_RSRC2:SCRATCH_EN: 0
; COMPUTE_PGM_RSRC2:USER_SGPR: 13
; COMPUTE_PGM_RSRC2:TRAP_HANDLER: 0
; COMPUTE_PGM_RSRC2:TGID_X_EN: 1
; COMPUTE_PGM_RSRC2:TGID_Y_EN: 1
; COMPUTE_PGM_RSRC2:TGID_Z_EN: 1
; COMPUTE_PGM_RSRC2:TIDIG_COMP_CNT: 0
	.section	.text._ZN2at6native6sbtopk10gatherTopKIsjLi2ELb0EEEvNS_4cuda6detail10TensorInfoIKT_T0_EES8_S8_bS8_S8_NS5_IS6_S8_EES8_NS5_IlS8_EES8_PS6_,"axG",@progbits,_ZN2at6native6sbtopk10gatherTopKIsjLi2ELb0EEEvNS_4cuda6detail10TensorInfoIKT_T0_EES8_S8_bS8_S8_NS5_IS6_S8_EES8_NS5_IlS8_EES8_PS6_,comdat
	.protected	_ZN2at6native6sbtopk10gatherTopKIsjLi2ELb0EEEvNS_4cuda6detail10TensorInfoIKT_T0_EES8_S8_bS8_S8_NS5_IS6_S8_EES8_NS5_IlS8_EES8_PS6_ ; -- Begin function _ZN2at6native6sbtopk10gatherTopKIsjLi2ELb0EEEvNS_4cuda6detail10TensorInfoIKT_T0_EES8_S8_bS8_S8_NS5_IS6_S8_EES8_NS5_IlS8_EES8_PS6_
	.globl	_ZN2at6native6sbtopk10gatherTopKIsjLi2ELb0EEEvNS_4cuda6detail10TensorInfoIKT_T0_EES8_S8_bS8_S8_NS5_IS6_S8_EES8_NS5_IlS8_EES8_PS6_
	.p2align	8
	.type	_ZN2at6native6sbtopk10gatherTopKIsjLi2ELb0EEEvNS_4cuda6detail10TensorInfoIKT_T0_EES8_S8_bS8_S8_NS5_IS6_S8_EES8_NS5_IlS8_EES8_PS6_,@function
_ZN2at6native6sbtopk10gatherTopKIsjLi2ELb0EEEvNS_4cuda6detail10TensorInfoIKT_T0_EES8_S8_bS8_S8_NS5_IS6_S8_EES8_NS5_IlS8_EES8_PS6_: ; @_ZN2at6native6sbtopk10gatherTopKIsjLi2ELb0EEEvNS_4cuda6detail10TensorInfoIKT_T0_EES8_S8_bS8_S8_NS5_IS6_S8_EES8_NS5_IlS8_EES8_PS6_
; %bb.0:
	s_clause 0x1
	s_load_b64 s[4:5], s[0:1], 0x2b8
	s_load_b128 s[36:39], s[0:1], 0xd8
	s_add_u32 s6, s0, 0x2b8
	s_addc_u32 s7, s1, 0
	s_waitcnt lgkmcnt(0)
	s_mul_i32 s2, s5, s15
	s_delay_alu instid0(SALU_CYCLE_1) | instskip(NEXT) | instid1(SALU_CYCLE_1)
	s_add_i32 s2, s2, s14
	s_mul_i32 s49, s2, s4
	s_delay_alu instid0(SALU_CYCLE_1) | instskip(NEXT) | instid1(SALU_CYCLE_1)
	s_add_i32 s49, s49, s13
	s_cmp_ge_u32 s49, s39
	s_cbranch_scc1 .LBB59_463
; %bb.1:
	s_clause 0x9
	s_load_b32 s10, s[0:1], 0xc
	s_load_b32 s51, s[0:1], 0xfc
	;; [unrolled: 1-line block ×3, first 2 shown]
	s_load_b64 s[30:31], s[0:1], 0xf0
	s_load_b64 s[42:43], s[0:1], 0x23c
	;; [unrolled: 1-line block ×4, first 2 shown]
	s_load_b32 s34, s[0:1], 0xe8
	s_load_b64 s[2:3], s[0:1], 0x6c
	s_load_b64 s[8:9], s[0:1], 0x0
	v_cmp_eq_u32_e64 s5, 0, v0
	s_mov_b32 s47, 0
	s_waitcnt lgkmcnt(0)
	v_cvt_f32_u32_e32 v1, s10
	v_cvt_f32_u32_e32 v2, s51
	;; [unrolled: 1-line block ×3, first 2 shown]
	s_sub_i32 s11, 0, s10
	s_sub_i32 s16, 0, s51
	v_rcp_iflag_f32_e32 v1, v1
	v_rcp_iflag_f32_e32 v2, v2
	;; [unrolled: 1-line block ×3, first 2 shown]
	s_sub_i32 s17, 0, s50
	s_waitcnt_depctr 0xfff
	v_dual_mul_f32 v1, 0x4f7ffffe, v1 :: v_dual_mul_f32 v2, 0x4f7ffffe, v2
	v_mul_f32_e32 v3, 0x4f7ffffe, v3
	s_delay_alu instid0(VALU_DEP_2) | instskip(NEXT) | instid1(VALU_DEP_3)
	v_cvt_u32_f32_e32 v1, v1
	v_cvt_u32_f32_e32 v2, v2
	s_delay_alu instid0(VALU_DEP_3) | instskip(NEXT) | instid1(VALU_DEP_3)
	v_cvt_u32_f32_e32 v3, v3
	v_readfirstlane_b32 s12, v1
	s_delay_alu instid0(VALU_DEP_3) | instskip(NEXT) | instid1(VALU_DEP_3)
	v_readfirstlane_b32 s14, v2
	v_readfirstlane_b32 s15, v3
	s_delay_alu instid0(VALU_DEP_3) | instskip(NEXT) | instid1(VALU_DEP_2)
	s_mul_i32 s11, s11, s12
	s_mul_i32 s16, s16, s14
	s_delay_alu instid0(VALU_DEP_1)
	s_mul_i32 s17, s17, s15
	s_mul_hi_u32 s11, s12, s11
	s_mul_hi_u32 s16, s14, s16
	;; [unrolled: 1-line block ×3, first 2 shown]
	s_add_i32 s12, s12, s11
	s_add_i32 s14, s14, s16
	;; [unrolled: 1-line block ×3, first 2 shown]
	s_mul_hi_u32 s11, s49, s12
	s_mul_hi_u32 s53, s49, s14
	;; [unrolled: 1-line block ×3, first 2 shown]
	s_and_saveexec_b32 s12, s5
	s_cbranch_execz .LBB59_3
; %bb.2:
	v_dual_mov_b32 v1, 0 :: v_dual_mov_b32 v2, s36
	s_delay_alu instid0(VALU_DEP_1)
	v_mov_b32_e32 v3, v1
	ds_store_b96 v1, v[1:3] offset:4096
.LBB59_3:
	s_or_b32 exec_lo, exec_lo, s12
	s_mul_i32 s12, s11, s10
	s_add_i32 s14, s11, 1
	s_sub_i32 s12, s49, s12
	s_waitcnt lgkmcnt(0)
	s_sub_i32 s15, s12, s10
	s_cmp_ge_u32 s12, s10
	s_barrier
	s_cselect_b32 s11, s14, s11
	s_cselect_b32 s12, s15, s12
	buffer_gl0_inv
	s_load_b32 s15, s[6:7], 0xc
	s_add_i32 s14, s11, 1
	s_cmp_ge_u32 s12, s10
	v_mbcnt_lo_u32_b32 v15, -1, 0
	s_cselect_b32 s11, s14, s11
	v_cmp_gt_u32_e32 vcc_lo, 32, v0
	s_mul_i32 s10, s11, s10
	s_mul_i32 s2, s11, s2
	s_sub_i32 s10, s49, s10
	v_dual_mov_b32 v9, 0 :: v_dual_lshlrev_b32 v16, 2, v0
	s_mul_i32 s10, s10, s3
	v_mul_lo_u32 v7, v0, s34
	s_add_i32 s46, s2, s10
	v_cmp_gt_i32_e64 s2, 4, v15
	s_lshl_b64 s[10:11], s[46:47], 1
	v_dual_mov_b32 v26, 0 :: v_dual_lshlrev_b32 v19, 1, v0
	s_add_u32 s33, s8, s10
	s_addc_u32 s35, s9, s11
	s_bitcmp1_b32 s38, 0
	v_mad_u64_u32 v[12:13], null, s34, v16, s[34:35]
	s_cselect_b32 s3, -1, 0
	s_waitcnt lgkmcnt(0)
	s_and_b32 s46, s15, 0xffff
	s_bfe_u32 s8, s15, 0xb0005
	s_lshl_b32 s55, s46, 2
	s_and_b32 s54, vcc_lo, s2
	v_cvt_f32_u32_e32 v1, s55
	s_xor_b32 s56, s3, -1
	s_cmpk_gt_u32 s36, 0x600
	v_cvt_f32_u32_e32 v3, s46
	s_cselect_b32 s57, -1, 0
	v_rcp_iflag_f32_e32 v1, v1
	s_cmp_gt_u32 s46, 31
	v_dual_mov_b32 v29, s37 :: v_dual_add_nc_u32 v20, 0xc00, v19
	s_cselect_b32 s58, -1, 0
	s_add_i32 s59, s46, -1
	v_mov_b32_e32 v8, v9
	s_add_i32 s9, s59, s36
	s_cmp_lt_u32 s13, s4
	v_rcp_iflag_f32_e32 v3, v3
	s_waitcnt_depctr 0xfff
	v_mul_f32_e32 v1, 0x4f7ffffe, v1
	s_cselect_b32 s2, 12, 18
	v_dual_mov_b32 v27, 0 :: v_dual_lshlrev_b32 v22, 2, v7
	s_add_u32 s38, s6, s2
	s_delay_alu instid0(VALU_DEP_2)
	v_cvt_u32_f32_e32 v1, v1
	s_addc_u32 s39, s7, 0
	s_add_i32 s2, s8, -1
	s_bfe_u32 s60, s46, 0x30005
	s_cmp_gt_u32 s2, 6
	v_readfirstlane_b32 s2, v1
	s_cselect_b32 s61, -1, 0
	s_and_b32 s62, s8, 0x7f8
	s_cmp_lg_u32 s60, 0
	v_lshlrev_b64 v[1:2], 1, v[7:8]
	s_cselect_b32 s63, -1, 0
	s_sub_i32 s4, 0, s55
	v_lshlrev_b32_e32 v24, 3, v0
	s_mul_i32 s4, s4, s2
	v_lshl_or_b32 v25, v15, 2, 0xc00
	s_mul_hi_u32 s4, s2, s4
	v_add_co_u32 v5, vcc_lo, s33, v1
	s_add_i32 s64, s2, s4
	v_add_co_ci_u32_e32 v6, vcc_lo, s35, v2, vcc_lo
	s_mul_hi_u32 s4, s36, s64
	v_lshrrev_b32_e32 v2, 3, v0
	s_mul_i32 s4, s4, s55
	v_cmp_eq_u32_e64 s2, 0, v15
	s_sub_i32 s4, s36, s4
	v_mov_b32_e32 v28, 0
	s_sub_i32 s6, s4, s55
	s_cmp_ge_u32 s4, s55
	v_and_b32_e32 v17, 0x7c, v2
	s_cselect_b32 s6, s6, s4
	v_cmp_gt_u32_e64 s4, s36, v0
	s_sub_i32 s7, s6, s55
	s_cmp_ge_u32 s6, s55
	s_mul_i32 s48, s34, s46
	s_cselect_b32 s10, s7, s6
	s_sub_i32 s6, 0, s46
	s_sub_i32 s65, s36, s10
	s_delay_alu instid0(SALU_CYCLE_1) | instskip(SKIP_3) | instid1(VALU_DEP_2)
	v_dual_mul_f32 v1, 0x4f7ffffe, v3 :: v_dual_add_nc_u32 v18, s65, v0
	v_or_b32_e32 v3, 3, v16
	s_mov_b32 s77, 14
	s_mov_b32 s72, 0
	v_cvt_u32_f32_e32 v1, v1
	v_mul_lo_u32 v8, v18, s34
	v_mul_lo_u32 v21, s34, v3
                                        ; implicit-def: $sgpr71
                                        ; implicit-def: $sgpr75
                                        ; implicit-def: $sgpr74
                                        ; implicit-def: $sgpr76
                                        ; implicit-def: $sgpr73
                                        ; implicit-def: $sgpr78
                                        ; implicit-def: $sgpr80
                                        ; implicit-def: $sgpr79
                                        ; implicit-def: $sgpr81
                                        ; implicit-def: $sgpr82
	s_delay_alu instid0(VALU_DEP_3) | instskip(SKIP_1) | instid1(VALU_DEP_2)
	v_readfirstlane_b32 s8, v1
	v_lshlrev_b64 v[1:2], v15, -1
	s_mul_i32 s6, s6, s8
	s_delay_alu instid0(SALU_CYCLE_1) | instskip(NEXT) | instid1(VALU_DEP_1)
	s_mul_hi_u32 s6, s8, s6
	v_not_b32_e32 v14, v1
	s_add_i32 s66, s8, s6
	v_lshlrev_b64 v[1:2], 1, v[8:9]
	s_mul_hi_u32 s6, s9, s66
	s_delay_alu instid0(SALU_CYCLE_1) | instskip(SKIP_2) | instid1(VALU_DEP_2)
	s_mul_i32 s7, s6, s46
	v_cmp_gt_u32_e64 s6, 2, v0
	s_sub_i32 s7, s9, s7
	v_add_co_u32 v10, vcc_lo, s33, v1
	v_add3_u32 v1, s46, s36, v0
	s_sub_i32 s8, s7, s46
	s_cmp_ge_u32 s7, s46
	v_add_co_ci_u32_e32 v11, vcc_lo, s35, v2, vcc_lo
	s_cselect_b32 s8, s8, s7
	v_or_b32_e32 v2, 2, v16
	v_subrev_nc_u32_e32 v1, s10, v1
	s_sub_i32 s11, s8, s46
	s_cmp_ge_u32 s8, s46
	v_cmp_gt_u32_e64 s7, s65, v16
	s_cselect_b32 s11, s11, s8
	v_mul_lo_u32 v13, s34, v2
	v_mul_lo_u32 v23, s34, v1
	s_sub_i32 s67, s9, s11
	v_cmp_gt_u32_e64 s8, s36, v18
	v_cmp_gt_u32_e64 s9, s67, v0
	s_lshl_b32 s68, s48, 2
	s_lshl_b32 s69, s46, 3
	;; [unrolled: 1-line block ×3, first 2 shown]
	s_branch .LBB59_6
.LBB59_4:                               ;   in Loop: Header=BB59_6 Depth=1
	s_or_b32 exec_lo, exec_lo, s13
	v_dual_mov_b32 v26, v2 :: v_dual_mov_b32 v27, v1
	v_dual_mov_b32 v29, v3 :: v_dual_mov_b32 v28, v30
	s_and_not1_b32 s13, s82, exec_lo
	s_and_b32 s12, s12, exec_lo
	s_and_not1_b32 s81, s81, exec_lo
	s_or_b32 s82, s13, s12
	s_and_not1_b32 s79, s79, exec_lo
	s_and_not1_b32 s80, s80, exec_lo
	;; [unrolled: 1-line block ×3, first 2 shown]
	s_or_not1_b32 s12, s11, exec_lo
.LBB59_5:                               ;   in Loop: Header=BB59_6 Depth=1
	s_or_b32 exec_lo, exec_lo, s10
	s_delay_alu instid0(SALU_CYCLE_1) | instskip(NEXT) | instid1(SALU_CYCLE_1)
	s_and_b32 s10, exec_lo, s12
	s_or_b32 s47, s10, s47
	s_and_not1_b32 s10, s73, exec_lo
	s_and_b32 s11, s82, exec_lo
	s_and_not1_b32 s12, s76, exec_lo
	s_or_b32 s73, s10, s11
	s_and_b32 s10, s81, exec_lo
	s_and_not1_b32 s11, s74, exec_lo
	s_and_b32 s13, s79, exec_lo
	s_or_b32 s76, s12, s10
	s_or_b32 s74, s11, s13
	s_and_not1_b32 s10, s75, exec_lo
	s_and_b32 s11, s80, exec_lo
	s_and_not1_b32 s12, s71, exec_lo
	s_and_b32 s13, s78, exec_lo
	s_or_b32 s75, s10, s11
	s_or_b32 s71, s12, s13
	s_and_not1_b32 exec_lo, exec_lo, s47
	s_cbranch_execz .LBB59_403
.LBB59_6:                               ; =>This Loop Header: Depth=1
                                        ;     Child Loop BB59_11 Depth 2
                                        ;     Child Loop BB59_26 Depth 2
	;; [unrolled: 1-line block ×24, first 2 shown]
	ds_load_b64 v[1:2], v9 offset:4096
	s_waitcnt lgkmcnt(0)
	v_readfirstlane_b32 s83, v1
	s_delay_alu instid0(VALU_DEP_1)
	s_cmp_lg_u32 s83, 0
	s_cbranch_scc1 .LBB59_33
; %bb.7:                                ;   in Loop: Header=BB59_6 Depth=1
	s_and_b32 vcc_lo, exec_lo, s57
	s_cbranch_vccz .LBB59_19
; %bb.8:                                ;   in Loop: Header=BB59_6 Depth=1
	v_cmp_gt_u32_e32 vcc_lo, 0x601, v2
	s_mov_b32 s83, 0
	s_mov_b32 s10, 0
	s_cbranch_vccz .LBB59_20
; %bb.9:                                ;   in Loop: Header=BB59_6 Depth=1
	global_load_u16 v1, v9, s[38:39]
	global_load_u16 v3, v[5:6], off
	v_mov_b32_e32 v4, v0
	s_mov_b32 s12, 0
	s_waitcnt vmcnt(1)
	v_add_nc_u32_e32 v2, v0, v1
	s_delay_alu instid0(VALU_DEP_1)
	v_mul_lo_u32 v8, s34, v2
	v_mul_lo_u32 v2, s34, v1
	s_branch .LBB59_11
.LBB59_10:                              ;   in Loop: Header=BB59_11 Depth=2
	s_or_b32 exec_lo, exec_lo, s11
	v_dual_mov_b32 v3, v30 :: v_dual_add_nc_u32 v8, v8, v2
	s_and_not1_b32 exec_lo, exec_lo, s12
	s_cbranch_execz .LBB59_84
.LBB59_11:                              ;   Parent Loop BB59_6 Depth=1
                                        ; =>  This Inner Loop Header: Depth=2
	s_waitcnt lgkmcnt(0)
	v_dual_mov_b32 v31, 0 :: v_dual_add_nc_u32 v4, v4, v1
	v_mov_b32_e32 v30, 0
	s_mov_b32 s11, exec_lo
	s_delay_alu instid0(VALU_DEP_2)
	v_cmp_le_u32_e32 vcc_lo, s36, v4
	v_cmpx_gt_u32_e64 s36, v4
	s_cbranch_execz .LBB59_13
; %bb.12:                               ;   in Loop: Header=BB59_11 Depth=2
	v_lshlrev_b64 v[32:33], 1, v[8:9]
	s_delay_alu instid0(VALU_DEP_1) | instskip(NEXT) | instid1(VALU_DEP_1)
	v_add_co_u32 v32, s10, s33, v32
	v_add_co_ci_u32_e64 v33, s10, s35, v33, s10
	global_load_u16 v30, v[32:33], off
.LBB59_13:                              ;   in Loop: Header=BB59_11 Depth=2
	s_or_b32 exec_lo, exec_lo, s11
	s_waitcnt vmcnt(0)
	v_bfe_i32 v32, v3, 0, 16
	s_delay_alu instid0(VALU_DEP_1) | instskip(NEXT) | instid1(VALU_DEP_1)
	v_add_nc_u32_e32 v32, 0x8000, v32
	v_and_b32_e32 v32, v32, v26
	s_delay_alu instid0(VALU_DEP_1) | instskip(NEXT) | instid1(VALU_DEP_1)
	v_cmp_eq_u32_e64 s10, v32, v27
	s_cmp_lg_u32 s10, 0
	s_cselect_b32 s11, -1, 0
	s_delay_alu instid0(SALU_CYCLE_1) | instskip(NEXT) | instid1(SALU_CYCLE_1)
	s_and_b32 s11, s2, s11
	s_and_saveexec_b32 s13, s11
	s_cbranch_execz .LBB59_17
; %bb.14:                               ;   in Loop: Header=BB59_11 Depth=2
	s_mov_b32 s16, exec_lo
	s_bcnt1_i32_b32 s14, s10
	v_mbcnt_lo_u32_b32 v31, s16, 0
	s_mov_b32 s15, exec_lo
                                        ; implicit-def: $vgpr32
	s_delay_alu instid0(VALU_DEP_1)
	v_cmpx_eq_u32_e32 0, v31
	s_cbranch_execz .LBB59_16
; %bb.15:                               ;   in Loop: Header=BB59_11 Depth=2
	s_bcnt1_i32_b32 s11, s16
	s_delay_alu instid0(SALU_CYCLE_1) | instskip(NEXT) | instid1(SALU_CYCLE_1)
	s_mul_i32 s11, s14, s11
	v_mov_b32_e32 v32, s11
	ds_add_rtn_u32 v32, v9, v32 offset:4104
.LBB59_16:                              ;   in Loop: Header=BB59_11 Depth=2
	s_or_b32 exec_lo, exec_lo, s15
	s_waitcnt lgkmcnt(0)
	v_readfirstlane_b32 s11, v32
	s_delay_alu instid0(VALU_DEP_1)
	v_mad_u32_u24 v31, s14, v31, s11
.LBB59_17:                              ;   in Loop: Header=BB59_11 Depth=2
	s_or_b32 exec_lo, exec_lo, s13
	ds_bpermute_b32 v31, v9, v31
	s_and_b32 s11, exec_lo, vcc_lo
	s_delay_alu instid0(SALU_CYCLE_1)
	s_or_b32 s12, s11, s12
	s_and_saveexec_b32 s11, s10
	s_cbranch_execz .LBB59_10
; %bb.18:                               ;   in Loop: Header=BB59_11 Depth=2
	v_and_b32_e32 v32, s10, v14
	s_delay_alu instid0(VALU_DEP_1) | instskip(NEXT) | instid1(VALU_DEP_1)
	v_bcnt_u32_b32 v32, v32, 0
	v_lshlrev_b32_e32 v32, 1, v32
	s_waitcnt lgkmcnt(0)
	s_delay_alu instid0(VALU_DEP_1)
	v_lshl_add_u32 v31, v31, 1, v32
	ds_store_b16 v31, v3
	s_branch .LBB59_10
.LBB59_19:                              ;   in Loop: Header=BB59_6 Depth=1
	s_mov_b32 s83, -1
	s_mov_b32 s10, 0
.LBB59_20:                              ;   in Loop: Header=BB59_6 Depth=1
	s_and_b32 vcc_lo, exec_lo, s83
	s_cbranch_vccz .LBB59_31
.LBB59_21:                              ;   in Loop: Header=BB59_6 Depth=1
	v_mov_b32_e32 v1, 0
	s_and_saveexec_b32 s10, s4
	s_cbranch_execz .LBB59_23
; %bb.22:                               ;   in Loop: Header=BB59_6 Depth=1
	global_load_u16 v1, v[5:6], off
.LBB59_23:                              ;   in Loop: Header=BB59_6 Depth=1
	s_or_b32 exec_lo, exec_lo, s10
	s_and_saveexec_b32 s11, s4
	s_cbranch_execz .LBB59_28
; %bb.24:                               ;   in Loop: Header=BB59_6 Depth=1
	global_load_u16 v2, v9, s[38:39]
	s_mov_b32 s12, 0
	v_dual_mov_b32 v30, v19 :: v_dual_mov_b32 v31, v0
	s_waitcnt vmcnt(0)
	v_add_nc_u32_e32 v3, v0, v2
	v_lshlrev_b32_e32 v4, 1, v2
	s_delay_alu instid0(VALU_DEP_2)
	v_mul_lo_u32 v8, s34, v3
	v_mul_lo_u32 v3, s34, v2
	s_set_inst_prefetch_distance 0x1
	s_branch .LBB59_26
	.p2align	6
.LBB59_25:                              ;   in Loop: Header=BB59_26 Depth=2
	s_or_b32 exec_lo, exec_lo, s13
	ds_store_b16 v30, v1
	s_waitcnt vmcnt(0)
	v_dual_mov_b32 v1, v32 :: v_dual_add_nc_u32 v30, v30, v4
	v_add_nc_u32_e32 v8, v8, v3
	s_and_b32 s10, exec_lo, vcc_lo
	s_delay_alu instid0(SALU_CYCLE_1) | instskip(NEXT) | instid1(SALU_CYCLE_1)
	s_or_b32 s12, s10, s12
	s_and_not1_b32 exec_lo, exec_lo, s12
	s_cbranch_execz .LBB59_28
.LBB59_26:                              ;   Parent Loop BB59_6 Depth=1
                                        ; =>  This Inner Loop Header: Depth=2
	v_dual_mov_b32 v32, 0 :: v_dual_add_nc_u32 v31, v31, v2
	s_mov_b32 s13, exec_lo
	s_delay_alu instid0(VALU_DEP_1)
	v_cmp_le_u32_e32 vcc_lo, s36, v31
	v_cmpx_gt_u32_e64 s36, v31
	s_cbranch_execz .LBB59_25
; %bb.27:                               ;   in Loop: Header=BB59_26 Depth=2
	v_lshlrev_b64 v[32:33], 1, v[8:9]
	s_delay_alu instid0(VALU_DEP_1) | instskip(NEXT) | instid1(VALU_DEP_1)
	v_add_co_u32 v32, s10, s33, v32
	v_add_co_ci_u32_e64 v33, s10, s35, v33, s10
	global_load_u16 v32, v[32:33], off
	s_branch .LBB59_25
.LBB59_28:                              ;   in Loop: Header=BB59_6 Depth=1
	s_set_inst_prefetch_distance 0x2
	s_or_b32 exec_lo, exec_lo, s11
	s_waitcnt vmcnt(0) lgkmcnt(0)
	s_barrier
	buffer_gl0_inv
	s_and_saveexec_b32 s10, s5
	s_cbranch_execz .LBB59_30
; %bb.29:                               ;   in Loop: Header=BB59_6 Depth=1
	v_mov_b32_e32 v1, s36
	ds_store_b32 v9, v1 offset:4096
.LBB59_30:                              ;   in Loop: Header=BB59_6 Depth=1
	s_or_b32 exec_lo, exec_lo, s10
	s_mov_b32 s10, -1
	s_waitcnt lgkmcnt(0)
	s_barrier
                                        ; implicit-def: $sgpr83
.LBB59_31:                              ;   in Loop: Header=BB59_6 Depth=1
	s_and_b32 vcc_lo, exec_lo, s10
	s_cbranch_vccz .LBB59_33
; %bb.32:                               ;   in Loop: Header=BB59_6 Depth=1
	buffer_gl0_inv
	ds_load_b32 v1, v9 offset:4096
	s_waitcnt lgkmcnt(0)
	v_readfirstlane_b32 s83, v1
.LBB59_33:                              ;   in Loop: Header=BB59_6 Depth=1
	s_delay_alu instid0(VALU_DEP_1)
	s_cmp_lt_i32 s83, 1
	s_cbranch_scc0 .LBB59_37
; %bb.34:                               ;   in Loop: Header=BB59_6 Depth=1
	v_dual_mov_b32 v1, 0 :: v_dual_mov_b32 v2, 0
	v_dual_mov_b32 v3, 0 :: v_dual_mov_b32 v4, 0
	s_mov_b32 s22, 0
	s_and_saveexec_b32 s21, s7
	s_cbranch_execnz .LBB59_38
; %bb.35:                               ;   in Loop: Header=BB59_6 Depth=1
	s_or_b32 exec_lo, exec_lo, s21
	v_mov_b32_e32 v31, 0
	s_and_saveexec_b32 s10, s8
	s_cbranch_execnz .LBB59_41
.LBB59_36:                              ;   in Loop: Header=BB59_6 Depth=1
	s_or_b32 exec_lo, exec_lo, s10
	s_and_saveexec_b32 s14, s8
	s_cbranch_execnz .LBB59_42
	s_branch .LBB59_47
.LBB59_37:                              ;   in Loop: Header=BB59_6 Depth=1
                                        ; implicit-def: $vgpr4
	s_cbranch_execnz .LBB59_48
	s_branch .LBB59_57
.LBB59_38:                              ;   in Loop: Header=BB59_6 Depth=1
	v_mov_b32_e32 v30, v16
	s_and_b32 s23, s77, 0xfe
	s_mov_b32 s24, 0
	s_mov_b32 s25, 0
	s_mov_b32 s26, 0
	s_mov_b32 s27, 0
	s_mov_b32 s28, 0
.LBB59_39:                              ;   Parent Loop BB59_6 Depth=1
                                        ; =>  This Inner Loop Header: Depth=2
	v_add_nc_u32_e32 v8, s24, v22
	v_add_nc_u32_e32 v30, s55, v30
	s_delay_alu instid0(VALU_DEP_2) | instskip(SKIP_1) | instid1(VALU_DEP_1)
	v_lshlrev_b64 v[1:2], 1, v[8:9]
	v_add_nc_u32_e32 v8, s24, v12
	v_lshlrev_b64 v[3:4], 1, v[8:9]
	v_add_nc_u32_e32 v8, s24, v13
	s_delay_alu instid0(VALU_DEP_4) | instskip(SKIP_1) | instid1(VALU_DEP_3)
	v_add_co_u32 v1, vcc_lo, s33, v1
	v_add_co_ci_u32_e32 v2, vcc_lo, s35, v2, vcc_lo
	v_lshlrev_b64 v[31:32], 1, v[8:9]
	v_add_nc_u32_e32 v8, s24, v21
	s_add_i32 s24, s24, s68
	global_load_i16 v33, v[1:2], off
	v_add_co_u32 v1, vcc_lo, s33, v3
	v_add_co_ci_u32_e32 v2, vcc_lo, s35, v4, vcc_lo
	v_add_co_u32 v31, vcc_lo, s33, v31
	v_add_co_ci_u32_e32 v32, vcc_lo, s35, v32, vcc_lo
	v_lshlrev_b64 v[3:4], 1, v[8:9]
	s_clause 0x1
	global_load_i16 v8, v[1:2], off
	global_load_i16 v31, v[31:32], off
	v_add_co_u32 v1, vcc_lo, s33, v3
	v_add_co_ci_u32_e32 v2, vcc_lo, s35, v4, vcc_lo
	v_cmp_le_u32_e32 vcc_lo, s65, v30
	global_load_i16 v1, v[1:2], off
	s_waitcnt vmcnt(3)
	v_add_nc_u32_e32 v2, 0x8000, v33
	s_delay_alu instid0(VALU_DEP_1) | instskip(SKIP_3) | instid1(VALU_DEP_3)
	v_and_b32_e32 v3, v2, v26
	v_bfe_u32 v2, v2, s23, 2
	s_waitcnt vmcnt(2)
	v_add_nc_u32_e32 v4, 0x8000, v8
	v_cmp_eq_u32_e64 s10, v3, v27
	s_delay_alu instid0(VALU_DEP_3)
	v_cmp_eq_u32_e64 s11, 0, v2
	s_waitcnt vmcnt(1)
	v_add_nc_u32_e32 v8, 0x8000, v31
	v_cmp_eq_u32_e64 s12, 1, v2
	v_and_b32_e32 v3, v4, v26
	v_bfe_u32 v4, v4, s23, 2
	v_cmp_eq_u32_e64 s13, 2, v2
	s_and_b32 s11, s10, s11
	v_cmp_eq_u32_e64 s14, 3, v2
	v_cmp_eq_u32_e64 s15, v3, v27
	v_and_b32_e32 v2, v8, v26
	v_bfe_u32 v3, v8, s23, 2
	v_cmp_eq_u32_e64 s16, 0, v4
	v_cndmask_b32_e64 v8, 0, 1, s11
	v_cmp_eq_u32_e64 s11, 1, v4
	s_and_b32 s12, s10, s12
	s_and_b32 s13, s10, s13
	v_cndmask_b32_e64 v31, 0, 1, s12
	v_cmp_eq_u32_e64 s12, 2, v4
	s_waitcnt vmcnt(0)
	v_add_nc_u32_e32 v1, 0x8000, v1
	v_cndmask_b32_e64 v32, 0, 1, s13
	s_and_b32 s10, s10, s14
	s_and_b32 s16, s15, s16
	;; [unrolled: 1-line block ×3, first 2 shown]
	v_cmp_eq_u32_e64 s13, 3, v4
	v_cndmask_b32_e64 v4, 0, 1, s10
	v_cmp_eq_u32_e64 s10, v2, v27
	v_cmp_eq_u32_e64 s14, 0, v3
	v_cmp_ne_u32_e64 s17, 0, v8
	v_cndmask_b32_e64 v8, 0, 1, s16
	v_cmp_eq_u32_e64 s16, 1, v3
	v_cmp_ne_u32_e64 s18, 0, v31
	v_cndmask_b32_e64 v31, 0, 1, s11
	v_cmp_eq_u32_e64 s11, 2, v3
	s_and_b32 s12, s15, s12
	v_and_b32_e32 v2, v1, v26
	v_bfe_u32 v1, v1, s23, 2
	v_cmp_ne_u32_e64 s19, 0, v32
	v_cndmask_b32_e64 v32, 0, 1, s12
	v_cmp_eq_u32_e64 s12, 3, v3
	s_and_b32 s13, s15, s13
	s_and_b32 s14, s10, s14
	;; [unrolled: 1-line block ×4, first 2 shown]
	v_cmp_ne_u32_e64 s20, 0, v4
	v_cndmask_b32_e64 v3, 0, 1, s13
	v_cmp_eq_u32_e64 s13, v2, v27
	v_cmp_eq_u32_e64 s15, 0, v1
	s_bcnt1_i32_b32 s29, s17
	v_cmp_ne_u32_e64 s17, 0, v8
	v_cndmask_b32_e64 v2, 0, 1, s14
	v_cmp_eq_u32_e64 s14, 1, v1
	v_cndmask_b32_e64 v4, 0, 1, s16
	v_cmp_eq_u32_e64 s16, 2, v1
	;; [unrolled: 2-line block ×3, first 2 shown]
	s_and_b32 s10, s10, s12
	s_bcnt1_i32_b32 s86, s20
	v_cndmask_b32_e64 v1, 0, 1, s10
	v_cmp_ne_u32_e64 s20, 0, v3
	s_and_b32 s12, s13, s15
	s_and_b32 s14, s13, s14
	;; [unrolled: 1-line block ×4, first 2 shown]
	v_cmp_ne_u32_e64 s10, 0, v2
	v_cndmask_b32_e64 v2, 0, 1, s12
	v_cmp_ne_u32_e64 s12, 0, v4
	v_cndmask_b32_e64 v3, 0, 1, s14
	v_cndmask_b32_e64 v4, 0, 1, s15
	v_cmp_ne_u32_e64 s15, 0, v1
	v_cndmask_b32_e64 v1, 0, 1, s11
	s_bcnt1_i32_b32 s84, s18
	v_cmp_ne_u32_e64 s18, 0, v31
	s_bcnt1_i32_b32 s85, s19
	v_cmp_ne_u32_e64 s19, 0, v32
	s_add_i32 s25, s86, s25
	v_cmp_ne_u32_e64 s14, 0, v8
	s_bcnt1_i32_b32 s16, s20
	s_bcnt1_i32_b32 s20, s10
	s_add_i32 s16, s25, s16
	v_cmp_ne_u32_e64 s10, 0, v2
	s_bcnt1_i32_b32 s25, s12
	v_cmp_ne_u32_e64 s11, 0, v3
	v_cmp_ne_u32_e64 s12, 0, v4
	;; [unrolled: 1-line block ×3, first 2 shown]
	s_add_i32 s28, s29, s28
	s_add_i32 s27, s84, s27
	;; [unrolled: 1-line block ×3, first 2 shown]
	s_bcnt1_i32_b32 s17, s17
	s_bcnt1_i32_b32 s18, s18
	;; [unrolled: 1-line block ×3, first 2 shown]
	s_add_i32 s17, s28, s17
	s_add_i32 s18, s27, s18
	;; [unrolled: 1-line block ×3, first 2 shown]
	s_bcnt1_i32_b32 s14, s14
	s_bcnt1_i32_b32 s15, s15
	s_add_i32 s17, s17, s20
	s_add_i32 s18, s18, s25
	;; [unrolled: 1-line block ×4, first 2 shown]
	s_bcnt1_i32_b32 s10, s10
	s_bcnt1_i32_b32 s11, s11
	;; [unrolled: 1-line block ×4, first 2 shown]
	s_add_i32 s28, s17, s10
	s_add_i32 s27, s18, s11
	;; [unrolled: 1-line block ×4, first 2 shown]
	s_delay_alu instid0(SALU_CYCLE_1) | instskip(SKIP_2) | instid1(SALU_CYCLE_1)
	v_dual_mov_b32 v1, s28 :: v_dual_mov_b32 v4, s25
	v_dual_mov_b32 v2, s27 :: v_dual_mov_b32 v3, s26
	s_or_b32 s22, vcc_lo, s22
	s_and_not1_b32 exec_lo, exec_lo, s22
	s_cbranch_execnz .LBB59_39
; %bb.40:                               ;   in Loop: Header=BB59_6 Depth=1
	s_or_b32 exec_lo, exec_lo, s22
	s_delay_alu instid0(SALU_CYCLE_1)
	s_or_b32 exec_lo, exec_lo, s21
	v_mov_b32_e32 v31, 0
	s_and_saveexec_b32 s10, s8
	s_cbranch_execz .LBB59_36
.LBB59_41:                              ;   in Loop: Header=BB59_6 Depth=1
	global_load_u16 v31, v[10:11], off
	s_or_b32 exec_lo, exec_lo, s10
	s_and_saveexec_b32 s14, s8
	s_cbranch_execz .LBB59_47
.LBB59_42:                              ;   in Loop: Header=BB59_6 Depth=1
	v_mov_b32_e32 v8, v23
	v_mov_b32_e32 v30, v18
	s_and_b32 s16, s77, 0xfe
	s_mov_b32 s15, 0
	s_branch .LBB59_44
.LBB59_43:                              ;   in Loop: Header=BB59_44 Depth=2
	s_or_b32 exec_lo, exec_lo, s11
	s_waitcnt vmcnt(0)
	v_bfe_i32 v31, v31, 0, 16
	s_and_b32 s11, exec_lo, vcc_lo
	v_add_nc_u32_e32 v8, s48, v8
	s_or_b32 s15, s11, s15
	s_delay_alu instid0(VALU_DEP_2) | instskip(NEXT) | instid1(VALU_DEP_1)
	v_add_nc_u32_e32 v31, 0x8000, v31
	v_and_b32_e32 v33, v31, v26
	v_bfe_u32 v31, v31, s16, 2
	s_delay_alu instid0(VALU_DEP_2) | instskip(NEXT) | instid1(VALU_DEP_2)
	v_cmp_eq_u32_e32 vcc_lo, v33, v27
	v_cmp_eq_u32_e64 s10, 0, v31
	v_cmp_eq_u32_e64 s11, 1, v31
	v_cmp_eq_u32_e64 s12, 2, v31
	v_cmp_eq_u32_e64 s13, 3, v31
	s_delay_alu instid0(VALU_DEP_4) | instskip(NEXT) | instid1(SALU_CYCLE_1)
	s_and_b32 s10, vcc_lo, s10
	v_cndmask_b32_e64 v31, 0, 1, s10
	s_and_b32 s10, vcc_lo, s11
	s_delay_alu instid0(SALU_CYCLE_1) | instskip(SKIP_1) | instid1(SALU_CYCLE_1)
	v_cndmask_b32_e64 v33, 0, 1, s10
	s_and_b32 s10, vcc_lo, s12
	v_cndmask_b32_e64 v34, 0, 1, s10
	s_and_b32 s10, vcc_lo, s13
	v_cmp_ne_u32_e32 vcc_lo, 0, v31
	v_mov_b32_e32 v31, v32
	v_cndmask_b32_e64 v35, 0, 1, s10
	v_cmp_ne_u32_e64 s10, 0, v33
	v_cmp_ne_u32_e64 s11, 0, v34
	s_bcnt1_i32_b32 s13, vcc_lo
	s_delay_alu instid0(VALU_DEP_3) | instskip(NEXT) | instid1(VALU_DEP_3)
	v_cmp_ne_u32_e64 s12, 0, v35
	s_bcnt1_i32_b32 s10, s10
	s_delay_alu instid0(VALU_DEP_2)
	s_bcnt1_i32_b32 s11, s11
	v_add_nc_u32_e32 v1, s13, v1
	v_add_nc_u32_e32 v2, s10, v2
	s_bcnt1_i32_b32 s12, s12
	v_add_nc_u32_e32 v3, s11, v3
	v_add_nc_u32_e32 v4, s12, v4
	s_and_not1_b32 exec_lo, exec_lo, s15
	s_cbranch_execz .LBB59_46
.LBB59_44:                              ;   Parent Loop BB59_6 Depth=1
                                        ; =>  This Inner Loop Header: Depth=2
	s_delay_alu instid0(VALU_DEP_1) | instskip(SKIP_2) | instid1(VALU_DEP_2)
	v_add_nc_u32_e32 v30, s46, v30
	v_mov_b32_e32 v32, 0
	s_mov_b32 s11, exec_lo
	v_cmp_le_u32_e32 vcc_lo, s36, v30
	v_cmpx_gt_u32_e64 s36, v30
	s_cbranch_execz .LBB59_43
; %bb.45:                               ;   in Loop: Header=BB59_44 Depth=2
	v_lshlrev_b64 v[32:33], 1, v[8:9]
	s_delay_alu instid0(VALU_DEP_1) | instskip(NEXT) | instid1(VALU_DEP_1)
	v_add_co_u32 v32, s10, s33, v32
	v_add_co_ci_u32_e64 v33, s10, s35, v33, s10
	global_load_u16 v32, v[32:33], off
	s_branch .LBB59_43
.LBB59_46:                              ;   in Loop: Header=BB59_6 Depth=1
	s_or_b32 exec_lo, exec_lo, s15
.LBB59_47:                              ;   in Loop: Header=BB59_6 Depth=1
	s_delay_alu instid0(SALU_CYCLE_1)
	s_or_b32 exec_lo, exec_lo, s14
	s_branch .LBB59_57
.LBB59_48:                              ;   in Loop: Header=BB59_6 Depth=1
	s_mul_hi_u32 s10, s83, s64
	v_dual_mov_b32 v1, 0 :: v_dual_mov_b32 v2, 0
	s_mul_i32 s10, s10, s55
	v_dual_mov_b32 v3, 0 :: v_dual_mov_b32 v4, 0
	s_sub_i32 s10, s83, s10
	s_mov_b32 s86, 0
	s_sub_i32 s11, s10, s55
	s_cmp_ge_u32 s10, s55
	s_mov_b32 s85, exec_lo
	s_cselect_b32 s10, s11, s10
	s_delay_alu instid0(SALU_CYCLE_1) | instskip(SKIP_2) | instid1(SALU_CYCLE_1)
	s_sub_i32 s11, s10, s55
	s_cmp_ge_u32 s10, s55
	s_cselect_b32 s10, s11, s10
	s_sub_i32 s84, s83, s10
	s_delay_alu instid0(SALU_CYCLE_1)
	v_cmpx_gt_u32_e64 s84, v16
	s_cbranch_execz .LBB59_52
; %bb.49:                               ;   in Loop: Header=BB59_6 Depth=1
	v_mov_b32_e32 v8, v24
	v_mov_b32_e32 v30, v16
	s_and_b32 s87, s77, 0xfe
	s_mov_b32 s88, 0
	s_mov_b32 s89, 0
	;; [unrolled: 1-line block ×4, first 2 shown]
.LBB59_50:                              ;   Parent Loop BB59_6 Depth=1
                                        ; =>  This Inner Loop Header: Depth=2
	ds_load_b64 v[1:2], v8
	s_waitcnt lgkmcnt(0)
	v_bfe_i32 v3, v1, 0, 16
	v_ashrrev_i32_e32 v1, 16, v1
	v_bfe_i32 v4, v2, 0, 16
	v_ashrrev_i32_e32 v2, 16, v2
	s_delay_alu instid0(VALU_DEP_4) | instskip(NEXT) | instid1(VALU_DEP_4)
	v_add_nc_u32_e32 v3, 0x8000, v3
	v_add_nc_u32_e32 v1, 0x8000, v1
	s_delay_alu instid0(VALU_DEP_4) | instskip(NEXT) | instid1(VALU_DEP_4)
	v_add_nc_u32_e32 v4, 0x8000, v4
	v_add_nc_u32_e32 v2, 0x8000, v2
	s_waitcnt vmcnt(0)
	v_and_b32_e32 v31, v3, v26
	v_bfe_u32 v3, v3, s87, 2
	v_and_b32_e32 v32, v1, v26
	v_bfe_u32 v1, v1, s87, 2
	;; [unrolled: 2-line block ×3, first 2 shown]
	v_cmp_eq_u32_e64 s10, v31, v27
	v_cmp_eq_u32_e64 s14, 0, v3
	v_and_b32_e32 v34, v2, v26
	v_bfe_u32 v2, v2, s87, 2
	v_cmp_eq_u32_e64 s11, v32, v27
	v_cmp_eq_u32_e64 s15, 0, v1
	;; [unrolled: 1-line block ×4, first 2 shown]
	s_and_b32 s14, s10, s14
	v_cmp_eq_u32_e64 s13, v34, v27
	v_cmp_eq_u32_e64 s17, 0, v2
	;; [unrolled: 1-line block ×5, first 2 shown]
	v_cndmask_b32_e64 v1, 0, 1, s14
	s_and_b32 s14, s11, s15
	v_cmp_eq_u32_e64 s18, 1, v3
	v_cmp_eq_u32_e64 s21, 1, v2
	;; [unrolled: 1-line block ×4, first 2 shown]
	v_cndmask_b32_e64 v2, 0, 1, s14
	s_and_b32 s14, s12, s16
	v_cmp_eq_u32_e64 s22, 2, v3
	v_cmp_eq_u32_e64 s26, 3, v3
	v_cndmask_b32_e64 v3, 0, 1, s14
	s_and_b32 s14, s13, s17
	v_cmp_eq_u32_e64 s20, 1, v4
	v_cmp_eq_u32_e64 s24, 2, v4
	;; [unrolled: 1-line block ×3, first 2 shown]
	v_cndmask_b32_e64 v4, 0, 1, s14
	s_and_b32 s14, s10, s18
	s_delay_alu instid0(SALU_CYCLE_1) | instskip(SKIP_1) | instid1(SALU_CYCLE_1)
	v_cndmask_b32_e64 v31, 0, 1, s14
	s_and_b32 s14, s11, s19
	v_cndmask_b32_e64 v32, 0, 1, s14
	s_and_b32 s14, s12, s20
	s_delay_alu instid0(SALU_CYCLE_1) | instskip(SKIP_1) | instid1(VALU_DEP_2)
	v_cndmask_b32_e64 v33, 0, 1, s14
	s_and_b32 s14, s13, s21
	v_cmp_ne_u32_e64 s15, 0, v32
	v_cndmask_b32_e64 v34, 0, 1, s14
	s_and_b32 s14, s10, s22
	s_and_b32 s10, s10, s26
	v_cndmask_b32_e64 v35, 0, 1, s14
	v_cndmask_b32_e64 v39, 0, 1, s10
	s_and_b32 s10, s11, s27
	s_and_b32 s14, s11, s23
	v_cndmask_b32_e64 v40, 0, 1, s10
	s_and_b32 s10, s12, s28
	v_cndmask_b32_e64 v36, 0, 1, s14
	v_cndmask_b32_e64 v41, 0, 1, s10
	s_and_b32 s10, s13, s29
	s_and_b32 s14, s12, s24
	v_cndmask_b32_e64 v42, 0, 1, s10
	v_cmp_ne_u32_e64 s10, 0, v1
	v_cmp_ne_u32_e64 s11, 0, v2
	v_cndmask_b32_e64 v37, 0, 1, s14
	s_and_b32 s14, s13, s25
	v_cmp_ne_u32_e64 s12, 0, v3
	v_cndmask_b32_e64 v38, 0, 1, s14
	v_cmp_ne_u32_e64 s14, 0, v31
	v_cmp_ne_u32_e64 s18, 0, v35
	;; [unrolled: 1-line block ×3, first 2 shown]
	s_bcnt1_i32_b32 s10, s10
	v_cmp_ne_u32_e64 s13, 0, v4
	v_cmp_ne_u32_e64 s19, 0, v36
	;; [unrolled: 1-line block ×3, first 2 shown]
	s_bcnt1_i32_b32 s11, s11
	s_add_i32 s10, s10, s91
	v_cmp_ne_u32_e64 s16, 0, v33
	v_cmp_ne_u32_e64 s20, 0, v37
	;; [unrolled: 1-line block ×3, first 2 shown]
	s_bcnt1_i32_b32 s12, s12
	s_add_i32 s10, s10, s11
	s_bcnt1_i32_b32 s14, s14
	s_bcnt1_i32_b32 s18, s18
	;; [unrolled: 1-line block ×3, first 2 shown]
	v_cmp_ne_u32_e64 s17, 0, v34
	v_cmp_ne_u32_e64 s21, 0, v38
	;; [unrolled: 1-line block ×3, first 2 shown]
	s_bcnt1_i32_b32 s13, s13
	s_add_i32 s10, s10, s12
	s_bcnt1_i32_b32 s15, s15
	s_bcnt1_i32_b32 s19, s19
	;; [unrolled: 1-line block ×3, first 2 shown]
	s_add_i32 s14, s14, s90
	s_add_i32 s18, s18, s89
	;; [unrolled: 1-line block ×4, first 2 shown]
	s_delay_alu instid0(SALU_CYCLE_1)
	v_dual_mov_b32 v1, s91 :: v_dual_add_nc_u32 v30, s55, v30
	s_bcnt1_i32_b32 s16, s16
	s_bcnt1_i32_b32 s20, s20
	;; [unrolled: 1-line block ×3, first 2 shown]
	s_add_i32 s11, s14, s15
	s_add_i32 s14, s18, s19
	;; [unrolled: 1-line block ×3, first 2 shown]
	s_bcnt1_i32_b32 s17, s17
	s_bcnt1_i32_b32 s21, s21
	;; [unrolled: 1-line block ×3, first 2 shown]
	s_add_i32 s11, s11, s16
	s_add_i32 s12, s14, s20
	;; [unrolled: 1-line block ×3, first 2 shown]
	v_cmp_le_u32_e32 vcc_lo, s84, v30
	s_add_i32 s90, s11, s17
	s_add_i32 s89, s12, s21
	;; [unrolled: 1-line block ×3, first 2 shown]
	v_dual_mov_b32 v3, s89 :: v_dual_add_nc_u32 v8, s69, v8
	v_mov_b32_e32 v2, s90
	v_mov_b32_e32 v4, s88
	s_or_b32 s86, vcc_lo, s86
	s_delay_alu instid0(SALU_CYCLE_1)
	s_and_not1_b32 exec_lo, exec_lo, s86
	s_cbranch_execnz .LBB59_50
; %bb.51:                               ;   in Loop: Header=BB59_6 Depth=1
	s_or_b32 exec_lo, exec_lo, s86
.LBB59_52:                              ;   in Loop: Header=BB59_6 Depth=1
	s_delay_alu instid0(SALU_CYCLE_1) | instskip(SKIP_2) | instid1(VALU_DEP_1)
	s_or_b32 exec_lo, exec_lo, s85
	v_add_nc_u32_e32 v8, s84, v0
	s_mov_b32 s15, exec_lo
	v_cmpx_gt_u32_e64 s83, v8
	s_cbranch_execz .LBB59_56
; %bb.53:                               ;   in Loop: Header=BB59_6 Depth=1
	v_lshlrev_b32_e32 v30, 1, v8
	s_and_b32 s17, s77, 0xfe
	s_mov_b32 s16, 0
.LBB59_54:                              ;   Parent Loop BB59_6 Depth=1
                                        ; =>  This Inner Loop Header: Depth=2
	s_waitcnt vmcnt(0)
	ds_load_i16 v31, v30
	v_add_nc_u32_e32 v8, s46, v8
	v_add_nc_u32_e32 v30, s70, v30
	s_delay_alu instid0(VALU_DEP_2) | instskip(SKIP_2) | instid1(VALU_DEP_1)
	v_cmp_le_u32_e32 vcc_lo, s83, v8
	s_waitcnt lgkmcnt(0)
	v_add_nc_u32_e32 v31, 0x8000, v31
	v_and_b32_e32 v32, v31, v26
	v_bfe_u32 v31, v31, s17, 2
	s_delay_alu instid0(VALU_DEP_2) | instskip(NEXT) | instid1(VALU_DEP_2)
	v_cmp_eq_u32_e64 s10, v32, v27
	v_cmp_eq_u32_e64 s11, 0, v31
	;; [unrolled: 1-line block ×5, first 2 shown]
	s_delay_alu instid0(VALU_DEP_4) | instskip(NEXT) | instid1(SALU_CYCLE_1)
	s_and_b32 s11, s10, s11
	v_cndmask_b32_e64 v31, 0, 1, s11
	s_and_b32 s11, s10, s12
	s_delay_alu instid0(SALU_CYCLE_1)
	v_cndmask_b32_e64 v32, 0, 1, s11
	s_and_b32 s11, s10, s13
	s_and_b32 s10, s10, s14
	v_cndmask_b32_e64 v33, 0, 1, s11
	v_cndmask_b32_e64 v34, 0, 1, s10
	v_cmp_ne_u32_e64 s10, 0, v31
	v_cmp_ne_u32_e64 s11, 0, v32
	s_delay_alu instid0(VALU_DEP_4) | instskip(NEXT) | instid1(VALU_DEP_4)
	v_cmp_ne_u32_e64 s12, 0, v33
	v_cmp_ne_u32_e64 s13, 0, v34
	s_delay_alu instid0(VALU_DEP_4) | instskip(NEXT) | instid1(VALU_DEP_3)
	s_bcnt1_i32_b32 s10, s10
	s_bcnt1_i32_b32 s11, s11
	v_add_nc_u32_e32 v1, s10, v1
	s_bcnt1_i32_b32 s12, s12
	s_bcnt1_i32_b32 s13, s13
	v_add_nc_u32_e32 v2, s11, v2
	v_add_nc_u32_e32 v3, s12, v3
	;; [unrolled: 1-line block ×3, first 2 shown]
	s_or_b32 s16, vcc_lo, s16
	s_delay_alu instid0(SALU_CYCLE_1)
	s_and_not1_b32 exec_lo, exec_lo, s16
	s_cbranch_execnz .LBB59_54
; %bb.55:                               ;   in Loop: Header=BB59_6 Depth=1
	s_or_b32 exec_lo, exec_lo, s16
.LBB59_56:                              ;   in Loop: Header=BB59_6 Depth=1
	s_delay_alu instid0(SALU_CYCLE_1)
	s_or_b32 exec_lo, exec_lo, s15
.LBB59_57:                              ;   in Loop: Header=BB59_6 Depth=1
	s_lshl_b32 s10, s72, 7
	s_and_saveexec_b32 s11, s2
	s_cbranch_execz .LBB59_59
; %bb.58:                               ;   in Loop: Header=BB59_6 Depth=1
	v_or_b32_e32 v8, s10, v17
	s_delay_alu instid0(VALU_DEP_1)
	v_lshlrev_b32_e32 v8, 2, v8
	ds_store_b128 v8, v[1:4] offset:3072
.LBB59_59:                              ;   in Loop: Header=BB59_6 Depth=1
	s_or_b32 exec_lo, exec_lo, s11
	s_waitcnt vmcnt(0) lgkmcnt(0)
	s_barrier
	buffer_gl0_inv
	s_and_saveexec_b32 s11, s54
	s_cbranch_execz .LBB59_69
; %bb.60:                               ;   in Loop: Header=BB59_6 Depth=1
	v_mov_b32_e32 v1, 0
	s_and_not1_b32 vcc_lo, exec_lo, s58
	s_cbranch_vccnz .LBB59_68
; %bb.61:                               ;   in Loop: Header=BB59_6 Depth=1
	v_mov_b32_e32 v1, 0
	s_and_not1_b32 vcc_lo, exec_lo, s61
	s_mov_b32 s12, 0
	s_cbranch_vccnz .LBB59_65
; %bb.62:                               ;   in Loop: Header=BB59_6 Depth=1
	v_lshl_add_u32 v2, s72, 9, v25
	v_mov_b32_e32 v1, 0
	.p2align	6
.LBB59_63:                              ;   Parent Loop BB59_6 Depth=1
                                        ; =>  This Inner Loop Header: Depth=2
	ds_load_2addr_b32 v[3:4], v2 offset1:4
	ds_load_2addr_b32 v[30:31], v2 offset0:8 offset1:12
	ds_load_2addr_b32 v[32:33], v2 offset0:16 offset1:20
	ds_load_2addr_b32 v[34:35], v2 offset0:24 offset1:28
	v_add_nc_u32_e32 v2, 0x80, v2
	s_add_i32 s12, s12, 8
	s_delay_alu instid0(SALU_CYCLE_1) | instskip(SKIP_3) | instid1(VALU_DEP_1)
	s_cmp_eq_u32 s62, s12
	s_waitcnt lgkmcnt(3)
	v_add3_u32 v1, v3, v1, v4
	s_waitcnt lgkmcnt(2)
	v_add3_u32 v1, v30, v1, v31
	s_waitcnt lgkmcnt(1)
	s_delay_alu instid0(VALU_DEP_1) | instskip(SKIP_1) | instid1(VALU_DEP_1)
	v_add3_u32 v1, v32, v1, v33
	s_waitcnt lgkmcnt(0)
	v_add3_u32 v1, v34, v1, v35
	s_cbranch_scc0 .LBB59_63
; %bb.64:                               ;   in Loop: Header=BB59_6 Depth=1
	s_mov_b32 s12, s62
.LBB59_65:                              ;   in Loop: Header=BB59_6 Depth=1
	s_and_not1_b32 vcc_lo, exec_lo, s63
	s_cbranch_vccnz .LBB59_68
; %bb.66:                               ;   in Loop: Header=BB59_6 Depth=1
	s_lshl_b32 s13, s72, 9
	s_lshl_b32 s12, s12, 4
	s_delay_alu instid0(SALU_CYCLE_1)
	v_add3_u32 v2, s13, s12, v25
	s_mov_b32 s12, s60
.LBB59_67:                              ;   Parent Loop BB59_6 Depth=1
                                        ; =>  This Inner Loop Header: Depth=2
	ds_load_b32 v3, v2
	v_add_nc_u32_e32 v2, 16, v2
	s_add_i32 s12, s12, -1
	s_delay_alu instid0(SALU_CYCLE_1)
	s_cmp_lg_u32 s12, 0
	s_waitcnt lgkmcnt(0)
	v_add_nc_u32_e32 v1, v3, v1
	s_cbranch_scc1 .LBB59_67
.LBB59_68:                              ;   in Loop: Header=BB59_6 Depth=1
	v_add_lshl_u32 v2, s10, v15, 2
	ds_store_b32 v2, v1 offset:3072
.LBB59_69:                              ;   in Loop: Header=BB59_6 Depth=1
	s_or_b32 exec_lo, exec_lo, s11
	s_lshl_b32 s10, s10, 2
	s_waitcnt lgkmcnt(0)
	v_mov_b32_e32 v1, s10
	s_barrier
	buffer_gl0_inv
	s_and_b32 s17, s77, 0xfe
	v_cmp_eq_u32_e64 s10, 1, v29
	ds_load_b128 v[1:4], v1 offset:3072
	s_lshl_b32 s13, 3, s17
	s_and_not1_b32 vcc_lo, exec_lo, s56
	s_not_b32 s14, s13
	s_waitcnt lgkmcnt(0)
	v_readfirstlane_b32 s12, v1
	v_readfirstlane_b32 s16, v2
	;; [unrolled: 1-line block ×4, first 2 shown]
	s_cbranch_vccnz .LBB59_82
; %bb.70:                               ;   in Loop: Header=BB59_6 Depth=1
	s_cmp_eq_u32 s12, 1
	v_dual_mov_b32 v1, v27 :: v_dual_mov_b32 v2, v26
	v_mov_b32_e32 v30, v28
	s_cselect_b32 s11, -1, 0
	s_mov_b32 s26, -1
	s_and_b32 s25, s11, s10
                                        ; implicit-def: $sgpr15
                                        ; implicit-def: $sgpr22
                                        ; implicit-def: $sgpr21
	s_delay_alu instid0(SALU_CYCLE_1)
	s_and_saveexec_b32 s20, s25
	s_cbranch_execz .LBB59_101
; %bb.71:                               ;   in Loop: Header=BB59_6 Depth=1
	ds_load_b32 v1, v9 offset:4096
	s_waitcnt lgkmcnt(0)
	s_barrier
	buffer_gl0_inv
	v_readfirstlane_b32 s15, v1
	s_and_saveexec_b32 s11, s6
	s_cbranch_execz .LBB59_73
; %bb.72:                               ;   in Loop: Header=BB59_6 Depth=1
	ds_store_b16 v20, v9
.LBB59_73:                              ;   in Loop: Header=BB59_6 Depth=1
	s_or_b32 exec_lo, exec_lo, s11
	v_and_b32_e32 v1, s14, v27
	v_or_b32_e32 v2, s13, v26
	s_cmp_eq_u32 s15, 0
	s_waitcnt lgkmcnt(0)
	s_barrier
	buffer_gl0_inv
	s_cbranch_scc1 .LBB59_87
; %bb.74:                               ;   in Loop: Header=BB59_6 Depth=1
	s_add_i32 s11, s15, s59
                                        ; implicit-def: $vgpr30
	s_delay_alu instid0(SALU_CYCLE_1) | instskip(NEXT) | instid1(SALU_CYCLE_1)
	s_mul_hi_u32 s21, s11, s66
	s_mul_i32 s21, s21, s46
	s_delay_alu instid0(SALU_CYCLE_1) | instskip(NEXT) | instid1(SALU_CYCLE_1)
	s_sub_i32 s21, s11, s21
	s_sub_i32 s22, s21, s46
	s_cmp_ge_u32 s21, s46
	s_cselect_b32 s21, s22, s21
	s_delay_alu instid0(SALU_CYCLE_1) | instskip(SKIP_2) | instid1(SALU_CYCLE_1)
	s_sub_i32 s22, s21, s46
	s_cmp_ge_u32 s21, s46
	s_cselect_b32 s21, s22, s21
	s_sub_i32 s22, s11, s21
	s_mov_b32 s11, 0
	s_mov_b32 s21, exec_lo
	v_cmpx_gt_u32_e64 s22, v0
	s_cbranch_execz .LBB59_89
; %bb.75:                               ;   in Loop: Header=BB59_6 Depth=1
	v_dual_mov_b32 v3, v19 :: v_dual_mov_b32 v4, v0
	s_mov_b32 s23, 0
                                        ; implicit-def: $sgpr24
	s_set_inst_prefetch_distance 0x1
	s_branch .LBB59_77
	.p2align	6
.LBB59_76:                              ;   in Loop: Header=BB59_77 Depth=2
	s_or_b32 exec_lo, exec_lo, s11
	s_waitcnt lgkmcnt(0)
	s_barrier
	buffer_gl0_inv
	ds_load_b32 v8, v9 offset:3072
	v_add_nc_u32_e32 v4, s46, v4
	v_add_nc_u32_e32 v3, s70, v3
	s_waitcnt lgkmcnt(0)
	s_barrier
	buffer_gl0_inv
	v_cmp_le_u32_e32 vcc_lo, s22, v4
	v_cmp_ne_u16_e64 s11, 0, v8
	s_delay_alu instid0(VALU_DEP_1) | instskip(NEXT) | instid1(SALU_CYCLE_1)
	s_or_b32 s26, vcc_lo, s11
	s_and_b32 s26, exec_lo, s26
	s_delay_alu instid0(SALU_CYCLE_1) | instskip(SKIP_2) | instid1(SALU_CYCLE_1)
	s_or_b32 s23, s26, s23
	s_and_not1_b32 s24, s24, exec_lo
	s_and_b32 s11, s11, exec_lo
	s_or_b32 s24, s24, s11
	s_and_not1_b32 exec_lo, exec_lo, s23
	s_cbranch_execz .LBB59_88
.LBB59_77:                              ;   Parent Loop BB59_6 Depth=1
                                        ; =>  This Inner Loop Header: Depth=2
	s_delay_alu instid0(VALU_DEP_1)
	v_cmp_gt_u32_e32 vcc_lo, s15, v4
	v_mov_b32_e32 v8, 0
	s_and_saveexec_b32 s11, vcc_lo
	s_cbranch_execz .LBB59_79
; %bb.78:                               ;   in Loop: Header=BB59_77 Depth=2
	ds_load_u16 v8, v3
.LBB59_79:                              ;   in Loop: Header=BB59_77 Depth=2
	s_or_b32 exec_lo, exec_lo, s11
	s_and_saveexec_b32 s11, vcc_lo
	s_cbranch_execz .LBB59_76
; %bb.80:                               ;   in Loop: Header=BB59_77 Depth=2
	s_waitcnt lgkmcnt(0)
	v_bfe_i32 v30, v8, 0, 16
	s_delay_alu instid0(VALU_DEP_1) | instskip(NEXT) | instid1(VALU_DEP_1)
	v_add_nc_u32_e32 v30, 0x8000, v30
	v_and_b32_e32 v30, v30, v2
	s_delay_alu instid0(VALU_DEP_1)
	v_cmp_eq_u32_e32 vcc_lo, v30, v1
	s_and_b32 exec_lo, exec_lo, vcc_lo
	s_cbranch_execz .LBB59_76
; %bb.81:                               ;   in Loop: Header=BB59_77 Depth=2
	v_perm_b32 v8, v8, 1, 0x5040100
	ds_store_b32 v9, v8 offset:3072
	s_branch .LBB59_76
.LBB59_82:                              ;   in Loop: Header=BB59_6 Depth=1
	s_mov_b32 s20, 0
	s_mov_b32 s11, 0
                                        ; implicit-def: $sgpr21
                                        ; implicit-def: $sgpr22
                                        ; implicit-def: $sgpr15
                                        ; implicit-def: $vgpr4
                                        ; implicit-def: $vgpr3
                                        ; implicit-def: $vgpr1
                                        ; implicit-def: $vgpr2
                                        ; implicit-def: $vgpr30
	s_cbranch_execnz .LBB59_237
.LBB59_83:                              ;   in Loop: Header=BB59_6 Depth=1
	s_mov_b32 s23, s15
	s_mov_b32 s24, s15
	s_and_saveexec_b32 s10, s20
	s_cbranch_execnz .LBB59_399
	s_branch .LBB59_400
.LBB59_84:                              ;   in Loop: Header=BB59_6 Depth=1
	s_or_b32 exec_lo, exec_lo, s12
	s_waitcnt lgkmcnt(0)
	s_barrier
	buffer_gl0_inv
	s_and_saveexec_b32 s10, s5
	s_cbranch_execz .LBB59_86
; %bb.85:                               ;   in Loop: Header=BB59_6 Depth=1
	ds_load_b32 v1, v9 offset:4104
	s_waitcnt lgkmcnt(0)
	ds_store_b32 v9, v1 offset:4096
.LBB59_86:                              ;   in Loop: Header=BB59_6 Depth=1
	s_or_b32 exec_lo, exec_lo, s10
	s_waitcnt lgkmcnt(0)
	s_mov_b32 s10, -1
	s_barrier
	s_and_b32 vcc_lo, exec_lo, s83
	s_cbranch_vccnz .LBB59_21
	s_branch .LBB59_31
.LBB59_87:                              ;   in Loop: Header=BB59_6 Depth=1
	s_mov_b32 s15, -1
	s_mov_b32 s11, 0
                                        ; implicit-def: $sgpr21
                                        ; implicit-def: $vgpr30
	s_mov_b32 s22, s15
	s_cbranch_execnz .LBB59_90
	s_branch .LBB59_100
.LBB59_88:                              ;   in Loop: Header=BB59_6 Depth=1
	s_set_inst_prefetch_distance 0x2
	s_or_b32 exec_lo, exec_lo, s23
	v_lshrrev_b32_e32 v30, 16, v8
	s_and_b32 s11, s24, exec_lo
.LBB59_89:                              ;   in Loop: Header=BB59_6 Depth=1
	s_or_b32 exec_lo, exec_lo, s21
	s_mov_b32 s21, -1
	s_mov_b32 s15, 0
	s_delay_alu instid0(SALU_CYCLE_1)
	s_mov_b32 s22, s15
	s_branch .LBB59_100
.LBB59_90:                              ;   in Loop: Header=BB59_6 Depth=1
	s_mov_b32 s11, 0
                                        ; implicit-def: $vgpr30
	s_and_saveexec_b32 s15, s9
	s_cbranch_execz .LBB59_99
; %bb.91:                               ;   in Loop: Header=BB59_6 Depth=1
	v_dual_mov_b32 v8, v7 :: v_dual_mov_b32 v3, v0
	s_mov_b32 s21, 0
                                        ; implicit-def: $sgpr22
	s_set_inst_prefetch_distance 0x1
	s_branch .LBB59_93
	.p2align	6
.LBB59_92:                              ;   in Loop: Header=BB59_93 Depth=2
	s_or_b32 exec_lo, exec_lo, s11
	s_waitcnt vmcnt(0) lgkmcnt(0)
	s_barrier
	buffer_gl0_inv
	ds_load_b32 v4, v9 offset:3072
	v_add_nc_u32_e32 v3, s46, v3
	v_add_nc_u32_e32 v8, s48, v8
	s_waitcnt lgkmcnt(0)
	s_barrier
	buffer_gl0_inv
	v_cmp_le_u32_e32 vcc_lo, s67, v3
	v_cmp_ne_u16_e64 s11, 0, v4
	s_delay_alu instid0(VALU_DEP_1) | instskip(NEXT) | instid1(SALU_CYCLE_1)
	s_or_b32 s23, vcc_lo, s11
	s_and_b32 s23, exec_lo, s23
	s_delay_alu instid0(SALU_CYCLE_1) | instskip(SKIP_2) | instid1(SALU_CYCLE_1)
	s_or_b32 s21, s23, s21
	s_and_not1_b32 s22, s22, exec_lo
	s_and_b32 s11, s11, exec_lo
	s_or_b32 s22, s22, s11
	s_and_not1_b32 exec_lo, exec_lo, s21
	s_cbranch_execz .LBB59_98
.LBB59_93:                              ;   Parent Loop BB59_6 Depth=1
                                        ; =>  This Inner Loop Header: Depth=2
	s_delay_alu instid0(VALU_DEP_1)
	v_cmp_gt_u32_e32 vcc_lo, s36, v3
	v_mov_b32_e32 v4, 0
	s_and_saveexec_b32 s23, vcc_lo
	s_cbranch_execz .LBB59_95
; %bb.94:                               ;   in Loop: Header=BB59_93 Depth=2
	v_lshlrev_b64 v[30:31], 1, v[8:9]
	s_delay_alu instid0(VALU_DEP_1) | instskip(NEXT) | instid1(VALU_DEP_1)
	v_add_co_u32 v30, s11, s33, v30
	v_add_co_ci_u32_e64 v31, s11, s35, v31, s11
	global_load_u16 v4, v[30:31], off
.LBB59_95:                              ;   in Loop: Header=BB59_93 Depth=2
	s_or_b32 exec_lo, exec_lo, s23
	s_and_saveexec_b32 s11, vcc_lo
	s_cbranch_execz .LBB59_92
; %bb.96:                               ;   in Loop: Header=BB59_93 Depth=2
	s_waitcnt vmcnt(0)
	v_bfe_i32 v30, v4, 0, 16
	s_delay_alu instid0(VALU_DEP_1) | instskip(NEXT) | instid1(VALU_DEP_1)
	v_add_nc_u32_e32 v30, 0x8000, v30
	v_and_b32_e32 v30, v30, v2
	s_delay_alu instid0(VALU_DEP_1)
	v_cmp_eq_u32_e32 vcc_lo, v30, v1
	s_and_b32 exec_lo, exec_lo, vcc_lo
	s_cbranch_execz .LBB59_92
; %bb.97:                               ;   in Loop: Header=BB59_93 Depth=2
	v_perm_b32 v4, v4, 1, 0x5040100
	ds_store_b32 v9, v4 offset:3072
	s_branch .LBB59_92
.LBB59_98:                              ;   in Loop: Header=BB59_6 Depth=1
	s_set_inst_prefetch_distance 0x2
	s_or_b32 exec_lo, exec_lo, s21
	v_lshrrev_b32_e32 v30, 16, v4
	s_and_b32 s11, s22, exec_lo
.LBB59_99:                              ;   in Loop: Header=BB59_6 Depth=1
	s_or_b32 exec_lo, exec_lo, s15
	s_mov_b32 s22, -1
	s_mov_b32 s15, 0
	s_mov_b32 s21, 0
.LBB59_100:                             ;   in Loop: Header=BB59_6 Depth=1
	s_or_not1_b32 s26, s11, exec_lo
.LBB59_101:                             ;   in Loop: Header=BB59_6 Depth=1
	s_or_b32 exec_lo, exec_lo, s20
	s_mov_b32 s23, 0
	s_mov_b32 s20, 0
	s_mov_b32 s11, 0
                                        ; implicit-def: $vgpr4
                                        ; implicit-def: $vgpr3
	s_and_saveexec_b32 s24, s26
	s_cbranch_execz .LBB59_236
; %bb.102:                              ;   in Loop: Header=BB59_6 Depth=1
	v_dual_mov_b32 v3, 1 :: v_dual_mov_b32 v4, 1
	s_xor_b32 s25, s25, -1
	s_delay_alu instid0(SALU_CYCLE_1)
	s_and_saveexec_b32 s11, s25
	s_cbranch_execz .LBB59_112
; %bb.103:                              ;   in Loop: Header=BB59_6 Depth=1
	s_mov_b32 s25, exec_lo
                                        ; implicit-def: $sgpr26
                                        ; implicit-def: $sgpr20
	v_cmpx_ge_u32_e64 s12, v29
	s_xor_b32 s25, exec_lo, s25
	s_cbranch_execz .LBB59_109
; %bb.104:                              ;   in Loop: Header=BB59_6 Depth=1
	ds_load_b32 v3, v9 offset:4096
	s_waitcnt lgkmcnt(0)
	v_cmp_ne_u32_e32 vcc_lo, 0, v3
	s_cbranch_vccnz .LBB59_108
; %bb.105:                              ;   in Loop: Header=BB59_6 Depth=1
	s_and_saveexec_b32 s20, s5
	s_cbranch_execz .LBB59_107
; %bb.106:                              ;   in Loop: Header=BB59_6 Depth=1
	v_mov_b32_e32 v3, s12
	ds_store_b32 v9, v3 offset:4100
.LBB59_107:                             ;   in Loop: Header=BB59_6 Depth=1
	s_or_b32 exec_lo, exec_lo, s20
	s_waitcnt lgkmcnt(0)
	s_barrier
	buffer_gl0_inv
.LBB59_108:                             ;   in Loop: Header=BB59_6 Depth=1
	v_and_b32_e32 v1, s14, v1
	v_or_b32_e32 v2, s13, v2
	s_mov_b32 s20, 0
	s_mov_b32 s26, 8
.LBB59_109:                             ;   in Loop: Header=BB59_6 Depth=1
	s_or_saveexec_b32 s25, s25
	v_dual_mov_b32 v4, s26 :: v_dual_mov_b32 v3, v29
	s_xor_b32 exec_lo, exec_lo, s25
; %bb.110:                              ;   in Loop: Header=BB59_6 Depth=1
	v_subrev_nc_u32_e32 v3, s12, v29
	v_mov_b32_e32 v4, 0
	s_or_b32 s20, s20, exec_lo
; %bb.111:                              ;   in Loop: Header=BB59_6 Depth=1
	s_or_b32 exec_lo, exec_lo, s25
	s_delay_alu instid0(SALU_CYCLE_1)
	s_and_b32 s20, s20, exec_lo
.LBB59_112:                             ;   in Loop: Header=BB59_6 Depth=1
	s_or_b32 exec_lo, exec_lo, s11
	s_mov_b32 s11, -1
                                        ; implicit-def: $sgpr25
                                        ; implicit-def: $sgpr27
                                        ; implicit-def: $sgpr28
	s_and_saveexec_b32 s26, s20
	s_delay_alu instid0(SALU_CYCLE_1)
	s_xor_b32 s20, exec_lo, s26
	s_cbranch_execz .LBB59_233
; %bb.113:                              ;   in Loop: Header=BB59_6 Depth=1
	v_cmp_eq_u32_e32 vcc_lo, 1, v3
	s_cmp_eq_u32 s16, 1
                                        ; implicit-def: $sgpr25
                                        ; implicit-def: $sgpr27
                                        ; implicit-def: $sgpr26
	s_cselect_b32 s11, -1, 0
	s_delay_alu instid0(SALU_CYCLE_1)
	s_and_b32 s29, s11, vcc_lo
	s_mov_b32 s11, -1
	s_and_saveexec_b32 s28, s29
	s_cbranch_execz .LBB59_139
; %bb.114:                              ;   in Loop: Header=BB59_6 Depth=1
	ds_load_b32 v4, v9 offset:4096
	s_waitcnt lgkmcnt(0)
	s_barrier
	buffer_gl0_inv
	v_readfirstlane_b32 s25, v4
	s_and_saveexec_b32 s11, s6
	s_cbranch_execz .LBB59_116
; %bb.115:                              ;   in Loop: Header=BB59_6 Depth=1
	ds_store_b16 v20, v9
.LBB59_116:                             ;   in Loop: Header=BB59_6 Depth=1
	s_or_b32 exec_lo, exec_lo, s11
	s_lshl_b32 s11, 1, s17
	v_or_b32_e32 v2, s13, v2
	v_and_or_b32 v1, v1, s14, s11
	s_cmp_eq_u32 s25, 0
	s_waitcnt lgkmcnt(0)
	s_barrier
	buffer_gl0_inv
	s_cbranch_scc1 .LBB59_125
; %bb.117:                              ;   in Loop: Header=BB59_6 Depth=1
	s_add_i32 s11, s25, s59
                                        ; implicit-def: $vgpr30
	s_delay_alu instid0(SALU_CYCLE_1) | instskip(NEXT) | instid1(SALU_CYCLE_1)
	s_mul_hi_u32 s26, s11, s66
	s_mul_i32 s26, s26, s46
	s_delay_alu instid0(SALU_CYCLE_1) | instskip(NEXT) | instid1(SALU_CYCLE_1)
	s_sub_i32 s26, s11, s26
	s_sub_i32 s27, s26, s46
	s_cmp_ge_u32 s26, s46
	s_cselect_b32 s26, s27, s26
	s_delay_alu instid0(SALU_CYCLE_1) | instskip(SKIP_2) | instid1(SALU_CYCLE_1)
	s_sub_i32 s27, s26, s46
	s_cmp_ge_u32 s26, s46
	s_cselect_b32 s26, s27, s26
	s_sub_i32 s27, s11, s26
	s_mov_b32 s11, 0
	s_mov_b32 s26, exec_lo
	v_cmpx_gt_u32_e64 s27, v0
	s_cbranch_execz .LBB59_127
; %bb.118:                              ;   in Loop: Header=BB59_6 Depth=1
	v_mov_b32_e32 v4, v19
	v_mov_b32_e32 v8, v0
	s_mov_b32 s83, 0
                                        ; implicit-def: $sgpr84
	s_set_inst_prefetch_distance 0x1
	s_branch .LBB59_120
	.p2align	6
.LBB59_119:                             ;   in Loop: Header=BB59_120 Depth=2
	s_or_b32 exec_lo, exec_lo, s11
	s_waitcnt lgkmcnt(0)
	s_barrier
	buffer_gl0_inv
	ds_load_b32 v30, v9 offset:3072
	v_add_nc_u32_e32 v8, s46, v8
	v_add_nc_u32_e32 v4, s70, v4
	s_waitcnt lgkmcnt(0)
	s_barrier
	buffer_gl0_inv
	v_cmp_le_u32_e32 vcc_lo, s27, v8
	v_cmp_ne_u16_e64 s11, 0, v30
	s_delay_alu instid0(VALU_DEP_1) | instskip(NEXT) | instid1(SALU_CYCLE_1)
	s_or_b32 s85, vcc_lo, s11
	s_and_b32 s85, exec_lo, s85
	s_delay_alu instid0(SALU_CYCLE_1) | instskip(SKIP_2) | instid1(SALU_CYCLE_1)
	s_or_b32 s83, s85, s83
	s_and_not1_b32 s84, s84, exec_lo
	s_and_b32 s11, s11, exec_lo
	s_or_b32 s84, s84, s11
	s_and_not1_b32 exec_lo, exec_lo, s83
	s_cbranch_execz .LBB59_126
.LBB59_120:                             ;   Parent Loop BB59_6 Depth=1
                                        ; =>  This Inner Loop Header: Depth=2
	s_delay_alu instid0(VALU_DEP_1)
	v_cmp_gt_u32_e32 vcc_lo, s25, v8
	v_mov_b32_e32 v30, 0
	s_and_saveexec_b32 s11, vcc_lo
	s_cbranch_execz .LBB59_122
; %bb.121:                              ;   in Loop: Header=BB59_120 Depth=2
	ds_load_u16 v30, v4
.LBB59_122:                             ;   in Loop: Header=BB59_120 Depth=2
	s_or_b32 exec_lo, exec_lo, s11
	s_and_saveexec_b32 s11, vcc_lo
	s_cbranch_execz .LBB59_119
; %bb.123:                              ;   in Loop: Header=BB59_120 Depth=2
	s_waitcnt lgkmcnt(0)
	v_bfe_i32 v31, v30, 0, 16
	s_delay_alu instid0(VALU_DEP_1) | instskip(NEXT) | instid1(VALU_DEP_1)
	v_add_nc_u32_e32 v31, 0x8000, v31
	v_and_b32_e32 v31, v31, v2
	s_delay_alu instid0(VALU_DEP_1)
	v_cmp_eq_u32_e32 vcc_lo, v31, v1
	s_and_b32 exec_lo, exec_lo, vcc_lo
	s_cbranch_execz .LBB59_119
; %bb.124:                              ;   in Loop: Header=BB59_120 Depth=2
	v_perm_b32 v30, v30, 1, 0x5040100
	ds_store_b32 v9, v30 offset:3072
	s_branch .LBB59_119
.LBB59_125:                             ;   in Loop: Header=BB59_6 Depth=1
	s_mov_b32 s25, -1
	s_mov_b32 s11, 0
                                        ; implicit-def: $sgpr26
                                        ; implicit-def: $vgpr30
	s_mov_b32 s27, s25
	s_cbranch_execnz .LBB59_128
	s_branch .LBB59_138
.LBB59_126:                             ;   in Loop: Header=BB59_6 Depth=1
	s_set_inst_prefetch_distance 0x2
	s_or_b32 exec_lo, exec_lo, s83
	v_lshrrev_b32_e32 v30, 16, v30
	s_and_b32 s11, s84, exec_lo
.LBB59_127:                             ;   in Loop: Header=BB59_6 Depth=1
	s_or_b32 exec_lo, exec_lo, s26
	s_mov_b32 s26, -1
	s_mov_b32 s25, 0
	s_delay_alu instid0(SALU_CYCLE_1)
	s_mov_b32 s27, s25
	s_branch .LBB59_138
.LBB59_128:                             ;   in Loop: Header=BB59_6 Depth=1
	s_mov_b32 s11, 0
                                        ; implicit-def: $vgpr30
	s_and_saveexec_b32 s25, s9
	s_cbranch_execz .LBB59_137
; %bb.129:                              ;   in Loop: Header=BB59_6 Depth=1
	v_mov_b32_e32 v8, v7
	v_mov_b32_e32 v4, v0
	s_mov_b32 s26, 0
                                        ; implicit-def: $sgpr27
	s_set_inst_prefetch_distance 0x1
	s_branch .LBB59_131
	.p2align	6
.LBB59_130:                             ;   in Loop: Header=BB59_131 Depth=2
	s_or_b32 exec_lo, exec_lo, s11
	s_waitcnt vmcnt(0) lgkmcnt(0)
	s_barrier
	buffer_gl0_inv
	ds_load_b32 v30, v9 offset:3072
	v_add_nc_u32_e32 v4, s46, v4
	v_add_nc_u32_e32 v8, s48, v8
	s_waitcnt lgkmcnt(0)
	s_barrier
	buffer_gl0_inv
	v_cmp_le_u32_e32 vcc_lo, s67, v4
	v_cmp_ne_u16_e64 s11, 0, v30
	s_delay_alu instid0(VALU_DEP_1) | instskip(NEXT) | instid1(SALU_CYCLE_1)
	s_or_b32 s83, vcc_lo, s11
	s_and_b32 s83, exec_lo, s83
	s_delay_alu instid0(SALU_CYCLE_1) | instskip(SKIP_2) | instid1(SALU_CYCLE_1)
	s_or_b32 s26, s83, s26
	s_and_not1_b32 s27, s27, exec_lo
	s_and_b32 s11, s11, exec_lo
	s_or_b32 s27, s27, s11
	s_and_not1_b32 exec_lo, exec_lo, s26
	s_cbranch_execz .LBB59_136
.LBB59_131:                             ;   Parent Loop BB59_6 Depth=1
                                        ; =>  This Inner Loop Header: Depth=2
	s_delay_alu instid0(VALU_DEP_1)
	v_cmp_gt_u32_e32 vcc_lo, s36, v4
	v_mov_b32_e32 v30, 0
	s_and_saveexec_b32 s83, vcc_lo
	s_cbranch_execz .LBB59_133
; %bb.132:                              ;   in Loop: Header=BB59_131 Depth=2
	v_lshlrev_b64 v[30:31], 1, v[8:9]
	s_delay_alu instid0(VALU_DEP_1) | instskip(NEXT) | instid1(VALU_DEP_1)
	v_add_co_u32 v30, s11, s33, v30
	v_add_co_ci_u32_e64 v31, s11, s35, v31, s11
	global_load_u16 v30, v[30:31], off
.LBB59_133:                             ;   in Loop: Header=BB59_131 Depth=2
	s_or_b32 exec_lo, exec_lo, s83
	s_and_saveexec_b32 s11, vcc_lo
	s_cbranch_execz .LBB59_130
; %bb.134:                              ;   in Loop: Header=BB59_131 Depth=2
	s_waitcnt vmcnt(0)
	v_bfe_i32 v31, v30, 0, 16
	s_delay_alu instid0(VALU_DEP_1) | instskip(NEXT) | instid1(VALU_DEP_1)
	v_add_nc_u32_e32 v31, 0x8000, v31
	v_and_b32_e32 v31, v31, v2
	s_delay_alu instid0(VALU_DEP_1)
	v_cmp_eq_u32_e32 vcc_lo, v31, v1
	s_and_b32 exec_lo, exec_lo, vcc_lo
	s_cbranch_execz .LBB59_130
; %bb.135:                              ;   in Loop: Header=BB59_131 Depth=2
	v_perm_b32 v30, v30, 1, 0x5040100
	ds_store_b32 v9, v30 offset:3072
	s_branch .LBB59_130
.LBB59_136:                             ;   in Loop: Header=BB59_6 Depth=1
	s_set_inst_prefetch_distance 0x2
	s_or_b32 exec_lo, exec_lo, s26
	v_lshrrev_b32_e32 v30, 16, v30
	s_and_b32 s11, s27, exec_lo
.LBB59_137:                             ;   in Loop: Header=BB59_6 Depth=1
	s_or_b32 exec_lo, exec_lo, s25
	s_mov_b32 s27, -1
	s_mov_b32 s25, 0
	s_mov_b32 s26, 0
.LBB59_138:                             ;   in Loop: Header=BB59_6 Depth=1
	s_or_not1_b32 s11, s11, exec_lo
.LBB59_139:                             ;   in Loop: Header=BB59_6 Depth=1
	s_or_b32 exec_lo, exec_lo, s28
	s_mov_b32 s83, 0
                                        ; implicit-def: $vgpr4
	s_and_saveexec_b32 s28, s11
	s_cbranch_execz .LBB59_232
; %bb.140:                              ;   in Loop: Header=BB59_6 Depth=1
	v_dual_mov_b32 v31, 1 :: v_dual_mov_b32 v4, 1
	s_xor_b32 s29, s29, -1
	s_mov_b32 s84, 0
	s_and_saveexec_b32 s11, s29
	s_cbranch_execz .LBB59_150
; %bb.141:                              ;   in Loop: Header=BB59_6 Depth=1
	s_mov_b32 s83, exec_lo
                                        ; implicit-def: $sgpr84
                                        ; implicit-def: $sgpr29
	v_cmpx_ge_u32_e64 s16, v3
	s_xor_b32 s83, exec_lo, s83
	s_cbranch_execz .LBB59_147
; %bb.142:                              ;   in Loop: Header=BB59_6 Depth=1
	ds_load_b32 v4, v9 offset:4096
	s_waitcnt lgkmcnt(0)
	v_cmp_ne_u32_e32 vcc_lo, 0, v4
	s_cbranch_vccnz .LBB59_146
; %bb.143:                              ;   in Loop: Header=BB59_6 Depth=1
	s_and_saveexec_b32 s29, s5
	s_cbranch_execz .LBB59_145
; %bb.144:                              ;   in Loop: Header=BB59_6 Depth=1
	v_mov_b32_e32 v4, s16
	ds_store_b32 v9, v4 offset:4100
.LBB59_145:                             ;   in Loop: Header=BB59_6 Depth=1
	s_or_b32 exec_lo, exec_lo, s29
	s_waitcnt lgkmcnt(0)
	s_barrier
	buffer_gl0_inv
.LBB59_146:                             ;   in Loop: Header=BB59_6 Depth=1
	s_lshl_b32 s29, 1, s17
	v_or_b32_e32 v2, s13, v2
	v_and_or_b32 v1, v1, s14, s29
	s_mov_b32 s29, 0
	s_mov_b32 s84, 8
.LBB59_147:                             ;   in Loop: Header=BB59_6 Depth=1
	s_or_saveexec_b32 s83, s83
	v_mov_b32_e32 v4, s84
	s_xor_b32 exec_lo, exec_lo, s83
; %bb.148:                              ;   in Loop: Header=BB59_6 Depth=1
	v_subrev_nc_u32_e32 v3, s16, v3
	v_mov_b32_e32 v4, 0
	s_or_b32 s29, s29, exec_lo
; %bb.149:                              ;   in Loop: Header=BB59_6 Depth=1
	s_or_b32 exec_lo, exec_lo, s83
	s_delay_alu instid0(VALU_DEP_2)
	v_mov_b32_e32 v31, v3
	s_and_b32 s84, s29, exec_lo
.LBB59_150:                             ;   in Loop: Header=BB59_6 Depth=1
	s_or_b32 exec_lo, exec_lo, s11
	s_mov_b32 s11, -1
                                        ; implicit-def: $sgpr83
                                        ; implicit-def: $sgpr85
                                        ; implicit-def: $sgpr86
	s_and_saveexec_b32 s29, s84
	s_cbranch_execz .LBB59_231
; %bb.151:                              ;   in Loop: Header=BB59_6 Depth=1
	v_cmp_eq_u32_e32 vcc_lo, 1, v31
	s_cmp_eq_u32 s18, 1
                                        ; implicit-def: $sgpr83
                                        ; implicit-def: $sgpr85
                                        ; implicit-def: $sgpr84
	s_cselect_b32 s11, -1, 0
	s_delay_alu instid0(SALU_CYCLE_1)
	s_and_b32 s87, s11, vcc_lo
	s_mov_b32 s11, -1
	s_and_saveexec_b32 s86, s87
	s_cbranch_execz .LBB59_177
; %bb.152:                              ;   in Loop: Header=BB59_6 Depth=1
	ds_load_b32 v3, v9 offset:4096
	s_waitcnt lgkmcnt(0)
	s_barrier
	buffer_gl0_inv
	v_readfirstlane_b32 s83, v3
	s_and_saveexec_b32 s11, s6
	s_cbranch_execz .LBB59_154
; %bb.153:                              ;   in Loop: Header=BB59_6 Depth=1
	ds_store_b16 v20, v9
.LBB59_154:                             ;   in Loop: Header=BB59_6 Depth=1
	s_or_b32 exec_lo, exec_lo, s11
	s_lshl_b32 s11, 2, s17
	v_or_b32_e32 v2, s13, v2
	v_and_or_b32 v1, v1, s14, s11
	s_cmp_eq_u32 s83, 0
	s_waitcnt lgkmcnt(0)
	s_barrier
	buffer_gl0_inv
	s_cbranch_scc1 .LBB59_163
; %bb.155:                              ;   in Loop: Header=BB59_6 Depth=1
	s_add_i32 s11, s83, s59
                                        ; implicit-def: $vgpr30
	s_delay_alu instid0(SALU_CYCLE_1) | instskip(NEXT) | instid1(SALU_CYCLE_1)
	s_mul_hi_u32 s84, s11, s66
	s_mul_i32 s84, s84, s46
	s_delay_alu instid0(SALU_CYCLE_1) | instskip(NEXT) | instid1(SALU_CYCLE_1)
	s_sub_i32 s84, s11, s84
	s_sub_i32 s85, s84, s46
	s_cmp_ge_u32 s84, s46
	s_cselect_b32 s84, s85, s84
	s_delay_alu instid0(SALU_CYCLE_1) | instskip(SKIP_2) | instid1(SALU_CYCLE_1)
	s_sub_i32 s85, s84, s46
	s_cmp_ge_u32 s84, s46
	s_cselect_b32 s84, s85, s84
	s_sub_i32 s85, s11, s84
	s_mov_b32 s11, 0
	s_mov_b32 s84, exec_lo
	v_cmpx_gt_u32_e64 s85, v0
	s_cbranch_execz .LBB59_165
; %bb.156:                              ;   in Loop: Header=BB59_6 Depth=1
	v_dual_mov_b32 v3, v19 :: v_dual_mov_b32 v4, v0
	s_mov_b32 s88, 0
                                        ; implicit-def: $sgpr89
	s_set_inst_prefetch_distance 0x1
	s_branch .LBB59_158
	.p2align	6
.LBB59_157:                             ;   in Loop: Header=BB59_158 Depth=2
	s_or_b32 exec_lo, exec_lo, s11
	s_waitcnt lgkmcnt(0)
	s_barrier
	buffer_gl0_inv
	ds_load_b32 v8, v9 offset:3072
	v_add_nc_u32_e32 v4, s46, v4
	v_add_nc_u32_e32 v3, s70, v3
	s_waitcnt lgkmcnt(0)
	s_barrier
	buffer_gl0_inv
	v_cmp_le_u32_e32 vcc_lo, s85, v4
	v_cmp_ne_u16_e64 s11, 0, v8
	s_delay_alu instid0(VALU_DEP_1) | instskip(NEXT) | instid1(SALU_CYCLE_1)
	s_or_b32 s90, vcc_lo, s11
	s_and_b32 s90, exec_lo, s90
	s_delay_alu instid0(SALU_CYCLE_1) | instskip(SKIP_2) | instid1(SALU_CYCLE_1)
	s_or_b32 s88, s90, s88
	s_and_not1_b32 s89, s89, exec_lo
	s_and_b32 s11, s11, exec_lo
	s_or_b32 s89, s89, s11
	s_and_not1_b32 exec_lo, exec_lo, s88
	s_cbranch_execz .LBB59_164
.LBB59_158:                             ;   Parent Loop BB59_6 Depth=1
                                        ; =>  This Inner Loop Header: Depth=2
	s_delay_alu instid0(VALU_DEP_1)
	v_cmp_gt_u32_e32 vcc_lo, s83, v4
	v_mov_b32_e32 v8, 0
	s_and_saveexec_b32 s11, vcc_lo
	s_cbranch_execz .LBB59_160
; %bb.159:                              ;   in Loop: Header=BB59_158 Depth=2
	ds_load_u16 v8, v3
.LBB59_160:                             ;   in Loop: Header=BB59_158 Depth=2
	s_or_b32 exec_lo, exec_lo, s11
	s_and_saveexec_b32 s11, vcc_lo
	s_cbranch_execz .LBB59_157
; %bb.161:                              ;   in Loop: Header=BB59_158 Depth=2
	s_waitcnt lgkmcnt(0)
	v_bfe_i32 v30, v8, 0, 16
	s_delay_alu instid0(VALU_DEP_1) | instskip(NEXT) | instid1(VALU_DEP_1)
	v_add_nc_u32_e32 v30, 0x8000, v30
	v_and_b32_e32 v30, v30, v2
	s_delay_alu instid0(VALU_DEP_1)
	v_cmp_eq_u32_e32 vcc_lo, v30, v1
	s_and_b32 exec_lo, exec_lo, vcc_lo
	s_cbranch_execz .LBB59_157
; %bb.162:                              ;   in Loop: Header=BB59_158 Depth=2
	v_perm_b32 v8, v8, 1, 0x5040100
	ds_store_b32 v9, v8 offset:3072
	s_branch .LBB59_157
.LBB59_163:                             ;   in Loop: Header=BB59_6 Depth=1
	s_mov_b32 s83, -1
	s_mov_b32 s11, 0
                                        ; implicit-def: $sgpr84
                                        ; implicit-def: $vgpr30
	s_mov_b32 s85, s83
	s_cbranch_execnz .LBB59_166
	s_branch .LBB59_176
.LBB59_164:                             ;   in Loop: Header=BB59_6 Depth=1
	s_set_inst_prefetch_distance 0x2
	s_or_b32 exec_lo, exec_lo, s88
	v_lshrrev_b32_e32 v30, 16, v8
	s_and_b32 s11, s89, exec_lo
.LBB59_165:                             ;   in Loop: Header=BB59_6 Depth=1
	s_or_b32 exec_lo, exec_lo, s84
	s_mov_b32 s84, -1
	s_mov_b32 s83, 0
	s_delay_alu instid0(SALU_CYCLE_1)
	s_mov_b32 s85, s83
	s_branch .LBB59_176
.LBB59_166:                             ;   in Loop: Header=BB59_6 Depth=1
	s_mov_b32 s11, 0
                                        ; implicit-def: $vgpr30
	s_and_saveexec_b32 s83, s9
	s_cbranch_execz .LBB59_175
; %bb.167:                              ;   in Loop: Header=BB59_6 Depth=1
	v_dual_mov_b32 v8, v7 :: v_dual_mov_b32 v3, v0
	s_mov_b32 s84, 0
                                        ; implicit-def: $sgpr85
	s_set_inst_prefetch_distance 0x1
	s_branch .LBB59_169
	.p2align	6
.LBB59_168:                             ;   in Loop: Header=BB59_169 Depth=2
	s_or_b32 exec_lo, exec_lo, s11
	s_waitcnt vmcnt(0) lgkmcnt(0)
	s_barrier
	buffer_gl0_inv
	ds_load_b32 v4, v9 offset:3072
	v_add_nc_u32_e32 v3, s46, v3
	v_add_nc_u32_e32 v8, s48, v8
	s_waitcnt lgkmcnt(0)
	s_barrier
	buffer_gl0_inv
	v_cmp_le_u32_e32 vcc_lo, s67, v3
	v_cmp_ne_u16_e64 s11, 0, v4
	s_delay_alu instid0(VALU_DEP_1) | instskip(NEXT) | instid1(SALU_CYCLE_1)
	s_or_b32 s88, vcc_lo, s11
	s_and_b32 s88, exec_lo, s88
	s_delay_alu instid0(SALU_CYCLE_1) | instskip(SKIP_2) | instid1(SALU_CYCLE_1)
	s_or_b32 s84, s88, s84
	s_and_not1_b32 s85, s85, exec_lo
	s_and_b32 s11, s11, exec_lo
	s_or_b32 s85, s85, s11
	s_and_not1_b32 exec_lo, exec_lo, s84
	s_cbranch_execz .LBB59_174
.LBB59_169:                             ;   Parent Loop BB59_6 Depth=1
                                        ; =>  This Inner Loop Header: Depth=2
	s_delay_alu instid0(VALU_DEP_1)
	v_cmp_gt_u32_e32 vcc_lo, s36, v3
	v_mov_b32_e32 v4, 0
	s_and_saveexec_b32 s88, vcc_lo
	s_cbranch_execz .LBB59_171
; %bb.170:                              ;   in Loop: Header=BB59_169 Depth=2
	v_lshlrev_b64 v[32:33], 1, v[8:9]
	s_delay_alu instid0(VALU_DEP_1) | instskip(NEXT) | instid1(VALU_DEP_1)
	v_add_co_u32 v32, s11, s33, v32
	v_add_co_ci_u32_e64 v33, s11, s35, v33, s11
	global_load_u16 v4, v[32:33], off
.LBB59_171:                             ;   in Loop: Header=BB59_169 Depth=2
	s_or_b32 exec_lo, exec_lo, s88
	s_and_saveexec_b32 s11, vcc_lo
	s_cbranch_execz .LBB59_168
; %bb.172:                              ;   in Loop: Header=BB59_169 Depth=2
	s_waitcnt vmcnt(0)
	v_bfe_i32 v30, v4, 0, 16
	s_delay_alu instid0(VALU_DEP_1) | instskip(NEXT) | instid1(VALU_DEP_1)
	v_add_nc_u32_e32 v30, 0x8000, v30
	v_and_b32_e32 v30, v30, v2
	s_delay_alu instid0(VALU_DEP_1)
	v_cmp_eq_u32_e32 vcc_lo, v30, v1
	s_and_b32 exec_lo, exec_lo, vcc_lo
	s_cbranch_execz .LBB59_168
; %bb.173:                              ;   in Loop: Header=BB59_169 Depth=2
	v_perm_b32 v4, v4, 1, 0x5040100
	ds_store_b32 v9, v4 offset:3072
	s_branch .LBB59_168
.LBB59_174:                             ;   in Loop: Header=BB59_6 Depth=1
	s_set_inst_prefetch_distance 0x2
	s_or_b32 exec_lo, exec_lo, s84
	v_lshrrev_b32_e32 v30, 16, v4
	s_and_b32 s11, s85, exec_lo
.LBB59_175:                             ;   in Loop: Header=BB59_6 Depth=1
	s_or_b32 exec_lo, exec_lo, s83
	s_mov_b32 s85, -1
	s_mov_b32 s83, 0
	s_mov_b32 s84, 0
.LBB59_176:                             ;   in Loop: Header=BB59_6 Depth=1
	s_or_not1_b32 s11, s11, exec_lo
.LBB59_177:                             ;   in Loop: Header=BB59_6 Depth=1
	s_or_b32 exec_lo, exec_lo, s86
	s_mov_b32 s88, 0
                                        ; implicit-def: $vgpr4
	s_and_saveexec_b32 s86, s11
	s_cbranch_execz .LBB59_230
; %bb.178:                              ;   in Loop: Header=BB59_6 Depth=1
	v_dual_mov_b32 v3, 1 :: v_dual_mov_b32 v4, 1
	s_xor_b32 s87, s87, -1
	s_mov_b32 s89, 0
	s_and_saveexec_b32 s11, s87
	s_cbranch_execz .LBB59_188
; %bb.179:                              ;   in Loop: Header=BB59_6 Depth=1
	s_mov_b32 s88, exec_lo
                                        ; implicit-def: $sgpr89
                                        ; implicit-def: $sgpr87
	v_cmpx_ge_u32_e64 s18, v31
	s_xor_b32 s88, exec_lo, s88
	s_cbranch_execz .LBB59_185
; %bb.180:                              ;   in Loop: Header=BB59_6 Depth=1
	ds_load_b32 v3, v9 offset:4096
	s_waitcnt lgkmcnt(0)
	v_cmp_ne_u32_e32 vcc_lo, 0, v3
	s_cbranch_vccnz .LBB59_184
; %bb.181:                              ;   in Loop: Header=BB59_6 Depth=1
	s_and_saveexec_b32 s87, s5
	s_cbranch_execz .LBB59_183
; %bb.182:                              ;   in Loop: Header=BB59_6 Depth=1
	v_mov_b32_e32 v3, s18
	ds_store_b32 v9, v3 offset:4100
.LBB59_183:                             ;   in Loop: Header=BB59_6 Depth=1
	s_or_b32 exec_lo, exec_lo, s87
	s_waitcnt lgkmcnt(0)
	s_barrier
	buffer_gl0_inv
.LBB59_184:                             ;   in Loop: Header=BB59_6 Depth=1
	s_lshl_b32 s87, 2, s17
	v_or_b32_e32 v2, s13, v2
	v_and_or_b32 v1, v1, s14, s87
	s_mov_b32 s87, 0
	s_mov_b32 s89, 8
.LBB59_185:                             ;   in Loop: Header=BB59_6 Depth=1
	s_or_saveexec_b32 s88, s88
	v_mov_b32_e32 v4, s89
	s_xor_b32 exec_lo, exec_lo, s88
; %bb.186:                              ;   in Loop: Header=BB59_6 Depth=1
	v_subrev_nc_u32_e32 v31, s18, v31
	v_mov_b32_e32 v4, 0
	s_or_b32 s87, s87, exec_lo
; %bb.187:                              ;   in Loop: Header=BB59_6 Depth=1
	s_or_b32 exec_lo, exec_lo, s88
	s_delay_alu instid0(VALU_DEP_2)
	v_mov_b32_e32 v3, v31
	s_and_b32 s89, s87, exec_lo
.LBB59_188:                             ;   in Loop: Header=BB59_6 Depth=1
	s_or_b32 exec_lo, exec_lo, s11
	s_mov_b32 s88, -1
                                        ; implicit-def: $sgpr11
                                        ; implicit-def: $sgpr91
                                        ; implicit-def: $sgpr90
	s_and_saveexec_b32 s87, s89
	s_cbranch_execz .LBB59_229
; %bb.189:                              ;   in Loop: Header=BB59_6 Depth=1
	v_cmp_eq_u32_e32 vcc_lo, 1, v3
	s_cmp_eq_u32 s19, 1
	s_mov_b32 s92, -1
	s_cselect_b32 s11, -1, 0
                                        ; implicit-def: $sgpr91
                                        ; implicit-def: $sgpr90
	s_delay_alu instid0(SALU_CYCLE_1) | instskip(NEXT) | instid1(SALU_CYCLE_1)
	s_and_b32 s88, s11, vcc_lo
                                        ; implicit-def: $sgpr11
	s_and_saveexec_b32 s89, s88
	s_cbranch_execz .LBB59_216
; %bb.190:                              ;   in Loop: Header=BB59_6 Depth=1
	ds_load_b32 v4, v9 offset:4096
	s_waitcnt lgkmcnt(0)
	s_barrier
	buffer_gl0_inv
	v_readfirstlane_b32 s90, v4
	s_and_saveexec_b32 s11, s6
	s_cbranch_execz .LBB59_192
; %bb.191:                              ;   in Loop: Header=BB59_6 Depth=1
	ds_store_b16 v20, v9
.LBB59_192:                             ;   in Loop: Header=BB59_6 Depth=1
	s_or_b32 exec_lo, exec_lo, s11
	v_or_b32_e32 v1, s13, v1
	v_or_b32_e32 v2, s13, v2
	s_cmp_eq_u32 s90, 0
	s_waitcnt lgkmcnt(0)
	s_barrier
	buffer_gl0_inv
	s_cbranch_scc1 .LBB59_201
; %bb.193:                              ;   in Loop: Header=BB59_6 Depth=1
	s_add_i32 s11, s90, s59
                                        ; implicit-def: $vgpr30
	s_delay_alu instid0(SALU_CYCLE_1) | instskip(NEXT) | instid1(SALU_CYCLE_1)
	s_mul_hi_u32 s91, s11, s66
	s_mul_i32 s91, s91, s46
	s_delay_alu instid0(SALU_CYCLE_1) | instskip(NEXT) | instid1(SALU_CYCLE_1)
	s_sub_i32 s91, s11, s91
	s_sub_i32 s92, s91, s46
	s_cmp_ge_u32 s91, s46
	s_cselect_b32 s91, s92, s91
	s_delay_alu instid0(SALU_CYCLE_1)
	s_sub_i32 s92, s91, s46
	s_cmp_ge_u32 s91, s46
	s_cselect_b32 s91, s92, s91
	s_mov_b32 s92, 0
	s_sub_i32 s93, s11, s91
	s_mov_b32 s91, exec_lo
	v_cmpx_gt_u32_e64 s93, v0
	s_cbranch_execz .LBB59_203
; %bb.194:                              ;   in Loop: Header=BB59_6 Depth=1
	v_mov_b32_e32 v4, v19
	v_mov_b32_e32 v8, v0
                                        ; implicit-def: $sgpr94
	s_set_inst_prefetch_distance 0x1
	s_branch .LBB59_196
	.p2align	6
.LBB59_195:                             ;   in Loop: Header=BB59_196 Depth=2
	s_or_b32 exec_lo, exec_lo, s11
	s_waitcnt lgkmcnt(0)
	s_barrier
	buffer_gl0_inv
	ds_load_b32 v30, v9 offset:3072
	v_add_nc_u32_e32 v8, s46, v8
	v_add_nc_u32_e32 v4, s70, v4
	s_waitcnt lgkmcnt(0)
	s_barrier
	buffer_gl0_inv
	v_cmp_le_u32_e32 vcc_lo, s93, v8
	v_cmp_ne_u16_e64 s11, 0, v30
	s_delay_alu instid0(VALU_DEP_1) | instskip(NEXT) | instid1(SALU_CYCLE_1)
	s_or_b32 s95, vcc_lo, s11
	s_and_b32 s95, exec_lo, s95
	s_delay_alu instid0(SALU_CYCLE_1) | instskip(SKIP_2) | instid1(SALU_CYCLE_1)
	s_or_b32 s92, s95, s92
	s_and_not1_b32 s94, s94, exec_lo
	s_and_b32 s11, s11, exec_lo
	s_or_b32 s94, s94, s11
	s_and_not1_b32 exec_lo, exec_lo, s92
	s_cbranch_execz .LBB59_202
.LBB59_196:                             ;   Parent Loop BB59_6 Depth=1
                                        ; =>  This Inner Loop Header: Depth=2
	s_delay_alu instid0(VALU_DEP_1)
	v_cmp_gt_u32_e32 vcc_lo, s90, v8
	v_mov_b32_e32 v30, 0
	s_and_saveexec_b32 s11, vcc_lo
	s_cbranch_execz .LBB59_198
; %bb.197:                              ;   in Loop: Header=BB59_196 Depth=2
	ds_load_u16 v30, v4
.LBB59_198:                             ;   in Loop: Header=BB59_196 Depth=2
	s_or_b32 exec_lo, exec_lo, s11
	s_and_saveexec_b32 s11, vcc_lo
	s_cbranch_execz .LBB59_195
; %bb.199:                              ;   in Loop: Header=BB59_196 Depth=2
	s_waitcnt lgkmcnt(0)
	v_bfe_i32 v31, v30, 0, 16
	s_delay_alu instid0(VALU_DEP_1) | instskip(NEXT) | instid1(VALU_DEP_1)
	v_add_nc_u32_e32 v31, 0x8000, v31
	v_and_b32_e32 v31, v31, v2
	s_delay_alu instid0(VALU_DEP_1)
	v_cmp_eq_u32_e32 vcc_lo, v31, v1
	s_and_b32 exec_lo, exec_lo, vcc_lo
	s_cbranch_execz .LBB59_195
; %bb.200:                              ;   in Loop: Header=BB59_196 Depth=2
	v_perm_b32 v30, v30, 1, 0x5040100
	ds_store_b32 v9, v30 offset:3072
	s_branch .LBB59_195
.LBB59_201:                             ;   in Loop: Header=BB59_6 Depth=1
	s_mov_b32 s11, -1
	s_mov_b32 s92, 0
                                        ; implicit-def: $sgpr90
                                        ; implicit-def: $vgpr30
	s_branch .LBB59_204
.LBB59_202:                             ;   in Loop: Header=BB59_6 Depth=1
	s_set_inst_prefetch_distance 0x2
	s_or_b32 exec_lo, exec_lo, s92
	v_lshrrev_b32_e32 v30, 16, v30
	s_and_b32 s92, s94, exec_lo
.LBB59_203:                             ;   in Loop: Header=BB59_6 Depth=1
	s_or_b32 exec_lo, exec_lo, s91
	s_mov_b32 s90, -1
	s_mov_b32 s11, 0
.LBB59_204:                             ;   in Loop: Header=BB59_6 Depth=1
	s_delay_alu instid0(SALU_CYCLE_1)
	s_and_b32 vcc_lo, exec_lo, s11
	s_mov_b32 s91, s11
	s_cbranch_vccz .LBB59_215
; %bb.205:                              ;   in Loop: Header=BB59_6 Depth=1
	s_mov_b32 s92, 0
                                        ; implicit-def: $vgpr30
	s_and_saveexec_b32 s90, s9
	s_cbranch_execz .LBB59_214
; %bb.206:                              ;   in Loop: Header=BB59_6 Depth=1
	v_mov_b32_e32 v8, v7
	v_mov_b32_e32 v4, v0
	s_mov_b32 s91, 0
                                        ; implicit-def: $sgpr92
	s_set_inst_prefetch_distance 0x1
	s_branch .LBB59_208
	.p2align	6
.LBB59_207:                             ;   in Loop: Header=BB59_208 Depth=2
	s_or_b32 exec_lo, exec_lo, s11
	s_waitcnt vmcnt(0) lgkmcnt(0)
	s_barrier
	buffer_gl0_inv
	ds_load_b32 v30, v9 offset:3072
	v_add_nc_u32_e32 v4, s46, v4
	v_add_nc_u32_e32 v8, s48, v8
	s_waitcnt lgkmcnt(0)
	s_barrier
	buffer_gl0_inv
	v_cmp_le_u32_e32 vcc_lo, s67, v4
	v_cmp_ne_u16_e64 s11, 0, v30
	s_delay_alu instid0(VALU_DEP_1) | instskip(NEXT) | instid1(SALU_CYCLE_1)
	s_or_b32 s93, vcc_lo, s11
	s_and_b32 s93, exec_lo, s93
	s_delay_alu instid0(SALU_CYCLE_1) | instskip(SKIP_2) | instid1(SALU_CYCLE_1)
	s_or_b32 s91, s93, s91
	s_and_not1_b32 s92, s92, exec_lo
	s_and_b32 s11, s11, exec_lo
	s_or_b32 s92, s92, s11
	s_and_not1_b32 exec_lo, exec_lo, s91
	s_cbranch_execz .LBB59_213
.LBB59_208:                             ;   Parent Loop BB59_6 Depth=1
                                        ; =>  This Inner Loop Header: Depth=2
	s_delay_alu instid0(VALU_DEP_1)
	v_cmp_gt_u32_e32 vcc_lo, s36, v4
	v_mov_b32_e32 v30, 0
	s_and_saveexec_b32 s93, vcc_lo
	s_cbranch_execz .LBB59_210
; %bb.209:                              ;   in Loop: Header=BB59_208 Depth=2
	v_lshlrev_b64 v[30:31], 1, v[8:9]
	s_delay_alu instid0(VALU_DEP_1) | instskip(NEXT) | instid1(VALU_DEP_1)
	v_add_co_u32 v30, s11, s33, v30
	v_add_co_ci_u32_e64 v31, s11, s35, v31, s11
	global_load_u16 v30, v[30:31], off
.LBB59_210:                             ;   in Loop: Header=BB59_208 Depth=2
	s_or_b32 exec_lo, exec_lo, s93
	s_and_saveexec_b32 s11, vcc_lo
	s_cbranch_execz .LBB59_207
; %bb.211:                              ;   in Loop: Header=BB59_208 Depth=2
	s_waitcnt vmcnt(0)
	v_bfe_i32 v31, v30, 0, 16
	s_delay_alu instid0(VALU_DEP_1) | instskip(NEXT) | instid1(VALU_DEP_1)
	v_add_nc_u32_e32 v31, 0x8000, v31
	v_and_b32_e32 v31, v31, v2
	s_delay_alu instid0(VALU_DEP_1)
	v_cmp_eq_u32_e32 vcc_lo, v31, v1
	s_and_b32 exec_lo, exec_lo, vcc_lo
	s_cbranch_execz .LBB59_207
; %bb.212:                              ;   in Loop: Header=BB59_208 Depth=2
	v_perm_b32 v30, v30, 1, 0x5040100
	ds_store_b32 v9, v30 offset:3072
	s_branch .LBB59_207
.LBB59_213:                             ;   in Loop: Header=BB59_6 Depth=1
	s_set_inst_prefetch_distance 0x2
	s_or_b32 exec_lo, exec_lo, s91
	v_lshrrev_b32_e32 v30, 16, v30
	s_and_b32 s92, s92, exec_lo
.LBB59_214:                             ;   in Loop: Header=BB59_6 Depth=1
	s_or_b32 exec_lo, exec_lo, s90
	s_mov_b32 s91, -1
	s_mov_b32 s11, 0
	s_mov_b32 s90, 0
.LBB59_215:                             ;   in Loop: Header=BB59_6 Depth=1
	s_or_not1_b32 s92, s92, exec_lo
.LBB59_216:                             ;   in Loop: Header=BB59_6 Depth=1
	s_or_b32 exec_lo, exec_lo, s89
	s_mov_b32 s93, 0
                                        ; implicit-def: $vgpr4
                                        ; implicit-def: $vgpr8
	s_and_saveexec_b32 s89, s92
	s_cbranch_execz .LBB59_228
; %bb.217:                              ;   in Loop: Header=BB59_6 Depth=1
	v_mov_b32_e32 v4, 1
	v_mov_b32_e32 v8, 1
	s_xor_b32 s92, s88, -1
	s_delay_alu instid0(SALU_CYCLE_1)
	s_and_saveexec_b32 s88, s92
	s_cbranch_execz .LBB59_227
; %bb.218:                              ;   in Loop: Header=BB59_6 Depth=1
	s_mov_b32 s92, exec_lo
                                        ; implicit-def: $sgpr93
	v_cmpx_ge_u32_e64 s19, v3
	s_xor_b32 s92, exec_lo, s92
	s_cbranch_execz .LBB59_224
; %bb.219:                              ;   in Loop: Header=BB59_6 Depth=1
	ds_load_b32 v4, v9 offset:4096
	s_waitcnt lgkmcnt(0)
	v_cmp_ne_u32_e32 vcc_lo, 0, v4
	s_cbranch_vccnz .LBB59_223
; %bb.220:                              ;   in Loop: Header=BB59_6 Depth=1
	s_and_saveexec_b32 s93, s5
	s_cbranch_execz .LBB59_222
; %bb.221:                              ;   in Loop: Header=BB59_6 Depth=1
	v_mov_b32_e32 v4, s19
	ds_store_b32 v9, v4 offset:4100
.LBB59_222:                             ;   in Loop: Header=BB59_6 Depth=1
	s_or_b32 exec_lo, exec_lo, s93
	s_waitcnt lgkmcnt(0)
	s_barrier
	buffer_gl0_inv
.LBB59_223:                             ;   in Loop: Header=BB59_6 Depth=1
	v_or_b32_e32 v1, s13, v1
	v_or_b32_e32 v2, s13, v2
	s_mov_b32 s93, 8
.LBB59_224:                             ;   in Loop: Header=BB59_6 Depth=1
	s_or_saveexec_b32 s92, s92
	v_mov_b32_e32 v4, s93
	s_xor_b32 exec_lo, exec_lo, s92
; %bb.225:                              ;   in Loop: Header=BB59_6 Depth=1
	v_subrev_nc_u32_e32 v3, s19, v3
	v_mov_b32_e32 v4, 8
; %bb.226:                              ;   in Loop: Header=BB59_6 Depth=1
	s_or_b32 exec_lo, exec_lo, s92
	s_delay_alu instid0(VALU_DEP_2)
	v_mov_b32_e32 v8, v3
.LBB59_227:                             ;   in Loop: Header=BB59_6 Depth=1
	s_or_b32 exec_lo, exec_lo, s88
	s_delay_alu instid0(SALU_CYCLE_1)
	s_mov_b32 s93, exec_lo
.LBB59_228:                             ;   in Loop: Header=BB59_6 Depth=1
	s_or_b32 exec_lo, exec_lo, s89
	s_delay_alu instid0(VALU_DEP_1)
	v_mov_b32_e32 v3, v8
	s_or_not1_b32 s88, s93, exec_lo
.LBB59_229:                             ;   in Loop: Header=BB59_6 Depth=1
	s_or_b32 exec_lo, exec_lo, s87
	s_delay_alu instid0(SALU_CYCLE_1)
	s_and_not1_b32 s83, s83, exec_lo
	s_and_b32 s11, s11, exec_lo
	v_mov_b32_e32 v31, v3
	s_or_b32 s83, s83, s11
	s_and_not1_b32 s11, s85, exec_lo
	s_and_b32 s85, s91, exec_lo
	s_and_not1_b32 s84, s84, exec_lo
	s_and_b32 s87, s90, exec_lo
	s_or_b32 s85, s11, s85
	s_or_b32 s84, s84, s87
	s_and_b32 s88, s88, exec_lo
.LBB59_230:                             ;   in Loop: Header=BB59_6 Depth=1
	s_or_b32 exec_lo, exec_lo, s86
	s_delay_alu instid0(SALU_CYCLE_1)
	s_and_b32 s86, s83, exec_lo
	s_and_b32 s85, s85, exec_lo
	;; [unrolled: 1-line block ×3, first 2 shown]
	s_or_not1_b32 s11, s88, exec_lo
.LBB59_231:                             ;   in Loop: Header=BB59_6 Depth=1
	s_or_b32 exec_lo, exec_lo, s29
	s_delay_alu instid0(SALU_CYCLE_1)
	s_and_not1_b32 s25, s25, exec_lo
	s_and_b32 s29, s86, exec_lo
	v_mov_b32_e32 v3, v31
	s_or_b32 s25, s25, s29
	s_and_not1_b32 s27, s27, exec_lo
	s_and_b32 s29, s85, exec_lo
	s_and_not1_b32 s26, s26, exec_lo
	s_and_b32 s83, s83, exec_lo
	s_or_b32 s27, s27, s29
	s_or_b32 s26, s26, s83
	s_and_b32 s83, s11, exec_lo
.LBB59_232:                             ;   in Loop: Header=BB59_6 Depth=1
	s_or_b32 exec_lo, exec_lo, s28
	s_delay_alu instid0(SALU_CYCLE_1)
	s_and_b32 s28, s25, exec_lo
	s_and_b32 s27, s27, exec_lo
	;; [unrolled: 1-line block ×3, first 2 shown]
	s_or_not1_b32 s11, s83, exec_lo
.LBB59_233:                             ;   in Loop: Header=BB59_6 Depth=1
	s_or_b32 exec_lo, exec_lo, s20
	s_mov_b32 s20, 0
	s_mov_b32 s26, 0
	s_and_saveexec_b32 s29, s11
	s_delay_alu instid0(SALU_CYCLE_1)
	s_xor_b32 s29, exec_lo, s29
; %bb.234:                              ;   in Loop: Header=BB59_6 Depth=1
	v_cmp_ne_u32_e32 vcc_lo, 8, v4
	v_cmp_eq_u32_e64 s11, 8, v4
	s_and_not1_b32 s28, s28, exec_lo
	s_and_not1_b32 s27, s27, exec_lo
	s_and_not1_b32 s25, s25, exec_lo
	s_and_b32 s26, vcc_lo, exec_lo
	s_and_b32 s20, s11, exec_lo
; %bb.235:                              ;   in Loop: Header=BB59_6 Depth=1
	s_or_b32 exec_lo, exec_lo, s29
	s_delay_alu instid0(SALU_CYCLE_1)
	s_and_not1_b32 s11, s15, exec_lo
	s_and_b32 s15, s28, exec_lo
	s_and_not1_b32 s21, s21, exec_lo
	s_or_b32 s15, s11, s15
	s_and_not1_b32 s11, s22, exec_lo
	s_and_b32 s22, s27, exec_lo
	s_and_b32 s25, s25, exec_lo
	s_or_b32 s22, s11, s22
	s_or_b32 s21, s21, s25
	s_and_b32 s11, s26, exec_lo
	s_and_b32 s20, s20, exec_lo
.LBB59_236:                             ;   in Loop: Header=BB59_6 Depth=1
	s_or_b32 exec_lo, exec_lo, s24
	s_delay_alu instid0(SALU_CYCLE_1)
	s_and_b32 vcc_lo, exec_lo, s23
	s_cbranch_vccz .LBB59_83
.LBB59_237:                             ;   in Loop: Header=BB59_6 Depth=1
	s_cmp_eq_u32 s19, 1
                                        ; implicit-def: $sgpr23
                                        ; implicit-def: $sgpr24
	s_cselect_b32 s15, -1, 0
	s_delay_alu instid0(SALU_CYCLE_1)
	s_and_b32 s22, s15, s10
	s_mov_b32 s10, -1
                                        ; implicit-def: $sgpr15
	s_and_saveexec_b32 s21, s22
	s_cbranch_execz .LBB59_263
; %bb.238:                              ;   in Loop: Header=BB59_6 Depth=1
	ds_load_b32 v1, v9 offset:4096
	s_waitcnt lgkmcnt(0)
	s_barrier
	buffer_gl0_inv
	v_readfirstlane_b32 s15, v1
	s_and_saveexec_b32 s10, s6
	s_cbranch_execz .LBB59_240
; %bb.239:                              ;   in Loop: Header=BB59_6 Depth=1
	ds_store_b16 v20, v9
.LBB59_240:                             ;   in Loop: Header=BB59_6 Depth=1
	s_or_b32 exec_lo, exec_lo, s10
	v_or_b32_e32 v27, s13, v27
	v_or_b32_e32 v26, s13, v26
	s_cmp_eq_u32 s15, 0
	s_waitcnt lgkmcnt(0)
	s_barrier
	buffer_gl0_inv
	s_cbranch_scc1 .LBB59_249
; %bb.241:                              ;   in Loop: Header=BB59_6 Depth=1
	s_add_i32 s10, s15, s59
                                        ; implicit-def: $vgpr28
	s_delay_alu instid0(SALU_CYCLE_1) | instskip(NEXT) | instid1(SALU_CYCLE_1)
	s_mul_hi_u32 s23, s10, s66
	s_mul_i32 s23, s23, s46
	s_delay_alu instid0(SALU_CYCLE_1) | instskip(NEXT) | instid1(SALU_CYCLE_1)
	s_sub_i32 s23, s10, s23
	s_sub_i32 s24, s23, s46
	s_cmp_ge_u32 s23, s46
	s_cselect_b32 s23, s24, s23
	s_delay_alu instid0(SALU_CYCLE_1) | instskip(SKIP_2) | instid1(SALU_CYCLE_1)
	s_sub_i32 s24, s23, s46
	s_cmp_ge_u32 s23, s46
	s_cselect_b32 s23, s24, s23
	s_sub_i32 s24, s10, s23
	s_mov_b32 s10, 0
	s_mov_b32 s23, exec_lo
	v_cmpx_gt_u32_e64 s24, v0
	s_cbranch_execz .LBB59_251
; %bb.242:                              ;   in Loop: Header=BB59_6 Depth=1
	v_dual_mov_b32 v1, v19 :: v_dual_mov_b32 v2, v0
	s_mov_b32 s25, 0
                                        ; implicit-def: $sgpr26
	s_set_inst_prefetch_distance 0x1
	s_branch .LBB59_244
	.p2align	6
.LBB59_243:                             ;   in Loop: Header=BB59_244 Depth=2
	s_or_b32 exec_lo, exec_lo, s10
	s_waitcnt lgkmcnt(0)
	s_barrier
	buffer_gl0_inv
	ds_load_b32 v3, v9 offset:3072
	v_add_nc_u32_e32 v2, s46, v2
	v_add_nc_u32_e32 v1, s70, v1
	s_waitcnt lgkmcnt(0)
	s_barrier
	buffer_gl0_inv
	v_cmp_le_u32_e32 vcc_lo, s24, v2
	v_cmp_ne_u16_e64 s10, 0, v3
	s_delay_alu instid0(VALU_DEP_1) | instskip(NEXT) | instid1(SALU_CYCLE_1)
	s_or_b32 s27, vcc_lo, s10
	s_and_b32 s27, exec_lo, s27
	s_delay_alu instid0(SALU_CYCLE_1) | instskip(SKIP_2) | instid1(SALU_CYCLE_1)
	s_or_b32 s25, s27, s25
	s_and_not1_b32 s26, s26, exec_lo
	s_and_b32 s10, s10, exec_lo
	s_or_b32 s26, s26, s10
	s_and_not1_b32 exec_lo, exec_lo, s25
	s_cbranch_execz .LBB59_250
.LBB59_244:                             ;   Parent Loop BB59_6 Depth=1
                                        ; =>  This Inner Loop Header: Depth=2
	s_delay_alu instid0(VALU_DEP_1)
	v_cmp_gt_u32_e32 vcc_lo, s15, v2
	v_mov_b32_e32 v3, 0
	s_and_saveexec_b32 s10, vcc_lo
	s_cbranch_execz .LBB59_246
; %bb.245:                              ;   in Loop: Header=BB59_244 Depth=2
	ds_load_u16 v3, v1
.LBB59_246:                             ;   in Loop: Header=BB59_244 Depth=2
	s_or_b32 exec_lo, exec_lo, s10
	s_and_saveexec_b32 s10, vcc_lo
	s_cbranch_execz .LBB59_243
; %bb.247:                              ;   in Loop: Header=BB59_244 Depth=2
	s_waitcnt lgkmcnt(0)
	v_bfe_i32 v4, v3, 0, 16
	s_delay_alu instid0(VALU_DEP_1) | instskip(NEXT) | instid1(VALU_DEP_1)
	v_add_nc_u32_e32 v4, 0x8000, v4
	v_and_b32_e32 v4, v4, v26
	s_delay_alu instid0(VALU_DEP_1)
	v_cmp_eq_u32_e32 vcc_lo, v4, v27
	s_and_b32 exec_lo, exec_lo, vcc_lo
	s_cbranch_execz .LBB59_243
; %bb.248:                              ;   in Loop: Header=BB59_244 Depth=2
	v_perm_b32 v3, v3, 1, 0x5040100
	ds_store_b32 v9, v3 offset:3072
	s_branch .LBB59_243
.LBB59_249:                             ;   in Loop: Header=BB59_6 Depth=1
	s_mov_b32 s23, -1
	s_mov_b32 s10, 0
                                        ; implicit-def: $sgpr24
                                        ; implicit-def: $vgpr28
	s_mov_b32 s15, s23
	s_cbranch_execnz .LBB59_252
	s_branch .LBB59_262
.LBB59_250:                             ;   in Loop: Header=BB59_6 Depth=1
	s_set_inst_prefetch_distance 0x2
	s_or_b32 exec_lo, exec_lo, s25
	v_lshrrev_b32_e32 v28, 16, v3
	s_and_b32 s10, s26, exec_lo
.LBB59_251:                             ;   in Loop: Header=BB59_6 Depth=1
	s_or_b32 exec_lo, exec_lo, s23
	s_mov_b32 s23, 0
	s_mov_b32 s24, -1
	s_mov_b32 s15, s23
	s_branch .LBB59_262
.LBB59_252:                             ;   in Loop: Header=BB59_6 Depth=1
	s_mov_b32 s10, 0
                                        ; implicit-def: $vgpr28
	s_and_saveexec_b32 s15, s9
	s_cbranch_execz .LBB59_261
; %bb.253:                              ;   in Loop: Header=BB59_6 Depth=1
	v_dual_mov_b32 v8, v7 :: v_dual_mov_b32 v1, v0
	s_mov_b32 s23, 0
                                        ; implicit-def: $sgpr24
	s_set_inst_prefetch_distance 0x1
	s_branch .LBB59_255
	.p2align	6
.LBB59_254:                             ;   in Loop: Header=BB59_255 Depth=2
	s_or_b32 exec_lo, exec_lo, s10
	s_waitcnt vmcnt(0) lgkmcnt(0)
	s_barrier
	buffer_gl0_inv
	ds_load_b32 v2, v9 offset:3072
	v_add_nc_u32_e32 v1, s46, v1
	v_add_nc_u32_e32 v8, s48, v8
	s_waitcnt lgkmcnt(0)
	s_barrier
	buffer_gl0_inv
	v_cmp_le_u32_e32 vcc_lo, s67, v1
	v_cmp_ne_u16_e64 s10, 0, v2
	s_delay_alu instid0(VALU_DEP_1) | instskip(NEXT) | instid1(SALU_CYCLE_1)
	s_or_b32 s25, vcc_lo, s10
	s_and_b32 s25, exec_lo, s25
	s_delay_alu instid0(SALU_CYCLE_1) | instskip(SKIP_2) | instid1(SALU_CYCLE_1)
	s_or_b32 s23, s25, s23
	s_and_not1_b32 s24, s24, exec_lo
	s_and_b32 s10, s10, exec_lo
	s_or_b32 s24, s24, s10
	s_and_not1_b32 exec_lo, exec_lo, s23
	s_cbranch_execz .LBB59_260
.LBB59_255:                             ;   Parent Loop BB59_6 Depth=1
                                        ; =>  This Inner Loop Header: Depth=2
	s_delay_alu instid0(VALU_DEP_1)
	v_cmp_gt_u32_e32 vcc_lo, s36, v1
	v_mov_b32_e32 v2, 0
	s_and_saveexec_b32 s25, vcc_lo
	s_cbranch_execz .LBB59_257
; %bb.256:                              ;   in Loop: Header=BB59_255 Depth=2
	v_lshlrev_b64 v[2:3], 1, v[8:9]
	s_delay_alu instid0(VALU_DEP_1) | instskip(NEXT) | instid1(VALU_DEP_1)
	v_add_co_u32 v2, s10, s33, v2
	v_add_co_ci_u32_e64 v3, s10, s35, v3, s10
	global_load_u16 v2, v[2:3], off
.LBB59_257:                             ;   in Loop: Header=BB59_255 Depth=2
	s_or_b32 exec_lo, exec_lo, s25
	s_and_saveexec_b32 s10, vcc_lo
	s_cbranch_execz .LBB59_254
; %bb.258:                              ;   in Loop: Header=BB59_255 Depth=2
	s_waitcnt vmcnt(0)
	v_bfe_i32 v3, v2, 0, 16
	s_delay_alu instid0(VALU_DEP_1) | instskip(NEXT) | instid1(VALU_DEP_1)
	v_add_nc_u32_e32 v3, 0x8000, v3
	v_and_b32_e32 v3, v3, v26
	s_delay_alu instid0(VALU_DEP_1)
	v_cmp_eq_u32_e32 vcc_lo, v3, v27
	s_and_b32 exec_lo, exec_lo, vcc_lo
	s_cbranch_execz .LBB59_254
; %bb.259:                              ;   in Loop: Header=BB59_255 Depth=2
	v_perm_b32 v2, v2, 1, 0x5040100
	ds_store_b32 v9, v2 offset:3072
	s_branch .LBB59_254
.LBB59_260:                             ;   in Loop: Header=BB59_6 Depth=1
	s_set_inst_prefetch_distance 0x2
	s_or_b32 exec_lo, exec_lo, s23
	v_lshrrev_b32_e32 v28, 16, v2
	s_and_b32 s10, s24, exec_lo
.LBB59_261:                             ;   in Loop: Header=BB59_6 Depth=1
	s_or_b32 exec_lo, exec_lo, s15
	s_mov_b32 s24, 0
	s_mov_b32 s23, -1
	s_mov_b32 s15, 0
.LBB59_262:                             ;   in Loop: Header=BB59_6 Depth=1
	s_or_not1_b32 s10, s10, exec_lo
.LBB59_263:                             ;   in Loop: Header=BB59_6 Depth=1
	s_or_b32 exec_lo, exec_lo, s21
                                        ; implicit-def: $vgpr4
                                        ; implicit-def: $vgpr3
                                        ; implicit-def: $vgpr1
                                        ; implicit-def: $vgpr2
                                        ; implicit-def: $vgpr30
	s_and_saveexec_b32 s21, s10
	s_cbranch_execz .LBB59_398
; %bb.264:                              ;   in Loop: Header=BB59_6 Depth=1
	v_dual_mov_b32 v3, 1 :: v_dual_mov_b32 v4, 1
	s_xor_b32 s22, s22, -1
	s_mov_b32 s28, 0
	s_and_saveexec_b32 s10, s22
	s_cbranch_execz .LBB59_274
; %bb.265:                              ;   in Loop: Header=BB59_6 Depth=1
	s_mov_b32 s25, exec_lo
                                        ; implicit-def: $sgpr26
                                        ; implicit-def: $sgpr22
	v_cmpx_ge_u32_e64 s19, v29
	s_xor_b32 s25, exec_lo, s25
	s_cbranch_execz .LBB59_271
; %bb.266:                              ;   in Loop: Header=BB59_6 Depth=1
	ds_load_b32 v1, v9 offset:4096
	s_waitcnt lgkmcnt(0)
	v_cmp_ne_u32_e32 vcc_lo, 0, v1
	s_cbranch_vccnz .LBB59_270
; %bb.267:                              ;   in Loop: Header=BB59_6 Depth=1
	s_and_saveexec_b32 s22, s5
	s_cbranch_execz .LBB59_269
; %bb.268:                              ;   in Loop: Header=BB59_6 Depth=1
	v_mov_b32_e32 v1, s19
	ds_store_b32 v9, v1 offset:4100
.LBB59_269:                             ;   in Loop: Header=BB59_6 Depth=1
	s_or_b32 exec_lo, exec_lo, s22
	s_waitcnt lgkmcnt(0)
	s_barrier
	buffer_gl0_inv
.LBB59_270:                             ;   in Loop: Header=BB59_6 Depth=1
	v_or_b32_e32 v27, s13, v27
	v_or_b32_e32 v26, s13, v26
	s_mov_b32 s22, 0
	s_mov_b32 s26, 5
.LBB59_271:                             ;   in Loop: Header=BB59_6 Depth=1
	s_or_saveexec_b32 s25, s25
	v_mov_b32_e32 v4, s26
	s_xor_b32 exec_lo, exec_lo, s25
; %bb.272:                              ;   in Loop: Header=BB59_6 Depth=1
	v_subrev_nc_u32_e32 v29, s19, v29
	v_mov_b32_e32 v4, 0
	s_or_b32 s22, s22, exec_lo
; %bb.273:                              ;   in Loop: Header=BB59_6 Depth=1
	s_or_b32 exec_lo, exec_lo, s25
	s_delay_alu instid0(VALU_DEP_2)
	v_mov_b32_e32 v3, v29
	s_and_b32 s28, s22, exec_lo
.LBB59_274:                             ;   in Loop: Header=BB59_6 Depth=1
	s_or_b32 exec_lo, exec_lo, s10
	s_mov_b32 s26, -1
                                        ; implicit-def: $sgpr22
                                        ; implicit-def: $sgpr25
                                        ; implicit-def: $sgpr27
	s_and_saveexec_b32 s10, s28
	s_delay_alu instid0(SALU_CYCLE_1)
	s_xor_b32 s19, exec_lo, s10
	s_cbranch_execz .LBB59_395
; %bb.275:                              ;   in Loop: Header=BB59_6 Depth=1
	v_cmp_eq_u32_e32 vcc_lo, 1, v3
	s_cmp_eq_u32 s18, 1
                                        ; implicit-def: $sgpr22
                                        ; implicit-def: $sgpr25
                                        ; implicit-def: $sgpr26
	s_cselect_b32 s10, -1, 0
	s_delay_alu instid0(SALU_CYCLE_1)
	s_and_b32 s28, s10, vcc_lo
	s_mov_b32 s10, -1
	s_and_saveexec_b32 s27, s28
	s_cbranch_execz .LBB59_301
; %bb.276:                              ;   in Loop: Header=BB59_6 Depth=1
	ds_load_b32 v1, v9 offset:4096
	s_waitcnt lgkmcnt(0)
	s_barrier
	buffer_gl0_inv
	v_readfirstlane_b32 s22, v1
	s_and_saveexec_b32 s10, s6
	s_cbranch_execz .LBB59_278
; %bb.277:                              ;   in Loop: Header=BB59_6 Depth=1
	ds_store_b16 v20, v9
.LBB59_278:                             ;   in Loop: Header=BB59_6 Depth=1
	s_or_b32 exec_lo, exec_lo, s10
	s_lshl_b32 s10, 2, s17
	v_or_b32_e32 v26, s13, v26
	v_and_or_b32 v27, v27, s14, s10
	s_cmp_eq_u32 s22, 0
	s_waitcnt lgkmcnt(0)
	s_barrier
	buffer_gl0_inv
	s_cbranch_scc1 .LBB59_287
; %bb.279:                              ;   in Loop: Header=BB59_6 Depth=1
	s_add_i32 s10, s22, s59
                                        ; implicit-def: $vgpr28
	s_delay_alu instid0(SALU_CYCLE_1) | instskip(NEXT) | instid1(SALU_CYCLE_1)
	s_mul_hi_u32 s25, s10, s66
	s_mul_i32 s25, s25, s46
	s_delay_alu instid0(SALU_CYCLE_1) | instskip(NEXT) | instid1(SALU_CYCLE_1)
	s_sub_i32 s25, s10, s25
	s_sub_i32 s26, s25, s46
	s_cmp_ge_u32 s25, s46
	s_cselect_b32 s25, s26, s25
	s_delay_alu instid0(SALU_CYCLE_1) | instskip(SKIP_2) | instid1(SALU_CYCLE_1)
	s_sub_i32 s26, s25, s46
	s_cmp_ge_u32 s25, s46
	s_cselect_b32 s25, s26, s25
	s_sub_i32 s26, s10, s25
	s_mov_b32 s10, 0
	s_mov_b32 s25, exec_lo
	v_cmpx_gt_u32_e64 s26, v0
	s_cbranch_execz .LBB59_289
; %bb.280:                              ;   in Loop: Header=BB59_6 Depth=1
	v_dual_mov_b32 v1, v19 :: v_dual_mov_b32 v2, v0
	s_mov_b32 s29, 0
                                        ; implicit-def: $sgpr83
	s_set_inst_prefetch_distance 0x1
	s_branch .LBB59_282
	.p2align	6
.LBB59_281:                             ;   in Loop: Header=BB59_282 Depth=2
	s_or_b32 exec_lo, exec_lo, s10
	s_waitcnt lgkmcnt(0)
	s_barrier
	buffer_gl0_inv
	ds_load_b32 v4, v9 offset:3072
	v_add_nc_u32_e32 v2, s46, v2
	v_add_nc_u32_e32 v1, s70, v1
	s_waitcnt lgkmcnt(0)
	s_barrier
	buffer_gl0_inv
	v_cmp_le_u32_e32 vcc_lo, s26, v2
	v_cmp_ne_u16_e64 s10, 0, v4
	s_delay_alu instid0(VALU_DEP_1) | instskip(NEXT) | instid1(SALU_CYCLE_1)
	s_or_b32 s84, vcc_lo, s10
	s_and_b32 s84, exec_lo, s84
	s_delay_alu instid0(SALU_CYCLE_1) | instskip(SKIP_2) | instid1(SALU_CYCLE_1)
	s_or_b32 s29, s84, s29
	s_and_not1_b32 s83, s83, exec_lo
	s_and_b32 s10, s10, exec_lo
	s_or_b32 s83, s83, s10
	s_and_not1_b32 exec_lo, exec_lo, s29
	s_cbranch_execz .LBB59_288
.LBB59_282:                             ;   Parent Loop BB59_6 Depth=1
                                        ; =>  This Inner Loop Header: Depth=2
	s_delay_alu instid0(VALU_DEP_1)
	v_cmp_gt_u32_e32 vcc_lo, s22, v2
	v_mov_b32_e32 v4, 0
	s_and_saveexec_b32 s10, vcc_lo
	s_cbranch_execz .LBB59_284
; %bb.283:                              ;   in Loop: Header=BB59_282 Depth=2
	ds_load_u16 v4, v1
.LBB59_284:                             ;   in Loop: Header=BB59_282 Depth=2
	s_or_b32 exec_lo, exec_lo, s10
	s_and_saveexec_b32 s10, vcc_lo
	s_cbranch_execz .LBB59_281
; %bb.285:                              ;   in Loop: Header=BB59_282 Depth=2
	s_waitcnt lgkmcnt(0)
	v_bfe_i32 v8, v4, 0, 16
	s_delay_alu instid0(VALU_DEP_1) | instskip(NEXT) | instid1(VALU_DEP_1)
	v_add_nc_u32_e32 v8, 0x8000, v8
	v_and_b32_e32 v8, v8, v26
	s_delay_alu instid0(VALU_DEP_1)
	v_cmp_eq_u32_e32 vcc_lo, v8, v27
	s_and_b32 exec_lo, exec_lo, vcc_lo
	s_cbranch_execz .LBB59_281
; %bb.286:                              ;   in Loop: Header=BB59_282 Depth=2
	v_perm_b32 v4, v4, 1, 0x5040100
	ds_store_b32 v9, v4 offset:3072
	s_branch .LBB59_281
.LBB59_287:                             ;   in Loop: Header=BB59_6 Depth=1
	s_mov_b32 s22, -1
	s_mov_b32 s10, 0
                                        ; implicit-def: $sgpr25
                                        ; implicit-def: $vgpr28
	s_mov_b32 s26, s22
	s_cbranch_execnz .LBB59_290
	s_branch .LBB59_300
.LBB59_288:                             ;   in Loop: Header=BB59_6 Depth=1
	s_set_inst_prefetch_distance 0x2
	s_or_b32 exec_lo, exec_lo, s29
	v_lshrrev_b32_e32 v28, 16, v4
	s_and_b32 s10, s83, exec_lo
.LBB59_289:                             ;   in Loop: Header=BB59_6 Depth=1
	s_or_b32 exec_lo, exec_lo, s25
	s_mov_b32 s22, 0
	s_mov_b32 s25, -1
	s_mov_b32 s26, s22
	s_branch .LBB59_300
.LBB59_290:                             ;   in Loop: Header=BB59_6 Depth=1
	s_mov_b32 s10, 0
                                        ; implicit-def: $vgpr28
	s_and_saveexec_b32 s22, s9
	s_cbranch_execz .LBB59_299
; %bb.291:                              ;   in Loop: Header=BB59_6 Depth=1
	v_dual_mov_b32 v8, v7 :: v_dual_mov_b32 v1, v0
	s_mov_b32 s25, 0
                                        ; implicit-def: $sgpr26
	s_set_inst_prefetch_distance 0x1
	s_branch .LBB59_293
	.p2align	6
.LBB59_292:                             ;   in Loop: Header=BB59_293 Depth=2
	s_or_b32 exec_lo, exec_lo, s10
	s_waitcnt vmcnt(0) lgkmcnt(0)
	s_barrier
	buffer_gl0_inv
	ds_load_b32 v2, v9 offset:3072
	v_add_nc_u32_e32 v1, s46, v1
	v_add_nc_u32_e32 v8, s48, v8
	s_waitcnt lgkmcnt(0)
	s_barrier
	buffer_gl0_inv
	v_cmp_le_u32_e32 vcc_lo, s67, v1
	v_cmp_ne_u16_e64 s10, 0, v2
	s_delay_alu instid0(VALU_DEP_1) | instskip(NEXT) | instid1(SALU_CYCLE_1)
	s_or_b32 s29, vcc_lo, s10
	s_and_b32 s29, exec_lo, s29
	s_delay_alu instid0(SALU_CYCLE_1) | instskip(SKIP_2) | instid1(SALU_CYCLE_1)
	s_or_b32 s25, s29, s25
	s_and_not1_b32 s26, s26, exec_lo
	s_and_b32 s10, s10, exec_lo
	s_or_b32 s26, s26, s10
	s_and_not1_b32 exec_lo, exec_lo, s25
	s_cbranch_execz .LBB59_298
.LBB59_293:                             ;   Parent Loop BB59_6 Depth=1
                                        ; =>  This Inner Loop Header: Depth=2
	s_delay_alu instid0(VALU_DEP_1)
	v_cmp_gt_u32_e32 vcc_lo, s36, v1
	v_mov_b32_e32 v2, 0
	s_and_saveexec_b32 s29, vcc_lo
	s_cbranch_execz .LBB59_295
; %bb.294:                              ;   in Loop: Header=BB59_293 Depth=2
	v_lshlrev_b64 v[28:29], 1, v[8:9]
	s_delay_alu instid0(VALU_DEP_1) | instskip(NEXT) | instid1(VALU_DEP_1)
	v_add_co_u32 v28, s10, s33, v28
	v_add_co_ci_u32_e64 v29, s10, s35, v29, s10
	global_load_u16 v2, v[28:29], off
.LBB59_295:                             ;   in Loop: Header=BB59_293 Depth=2
	s_or_b32 exec_lo, exec_lo, s29
	s_and_saveexec_b32 s10, vcc_lo
	s_cbranch_execz .LBB59_292
; %bb.296:                              ;   in Loop: Header=BB59_293 Depth=2
	s_waitcnt vmcnt(0)
	v_bfe_i32 v4, v2, 0, 16
	s_delay_alu instid0(VALU_DEP_1) | instskip(NEXT) | instid1(VALU_DEP_1)
	v_add_nc_u32_e32 v4, 0x8000, v4
	v_and_b32_e32 v4, v4, v26
	s_delay_alu instid0(VALU_DEP_1)
	v_cmp_eq_u32_e32 vcc_lo, v4, v27
	s_and_b32 exec_lo, exec_lo, vcc_lo
	s_cbranch_execz .LBB59_292
; %bb.297:                              ;   in Loop: Header=BB59_293 Depth=2
	v_perm_b32 v2, v2, 1, 0x5040100
	ds_store_b32 v9, v2 offset:3072
	s_branch .LBB59_292
.LBB59_298:                             ;   in Loop: Header=BB59_6 Depth=1
	s_set_inst_prefetch_distance 0x2
	s_or_b32 exec_lo, exec_lo, s25
	v_lshrrev_b32_e32 v28, 16, v2
	s_and_b32 s10, s26, exec_lo
.LBB59_299:                             ;   in Loop: Header=BB59_6 Depth=1
	s_or_b32 exec_lo, exec_lo, s22
	s_mov_b32 s25, 0
	s_mov_b32 s22, -1
	s_mov_b32 s26, 0
.LBB59_300:                             ;   in Loop: Header=BB59_6 Depth=1
	s_or_not1_b32 s10, s10, exec_lo
.LBB59_301:                             ;   in Loop: Header=BB59_6 Depth=1
	s_or_b32 exec_lo, exec_lo, s27
	s_mov_b32 s29, 0
                                        ; implicit-def: $vgpr4
	s_and_saveexec_b32 s27, s10
	s_cbranch_execz .LBB59_394
; %bb.302:                              ;   in Loop: Header=BB59_6 Depth=1
	v_dual_mov_b32 v1, 1 :: v_dual_mov_b32 v4, 1
	s_xor_b32 s28, s28, -1
	s_mov_b32 s83, 0
	s_and_saveexec_b32 s10, s28
	s_cbranch_execz .LBB59_312
; %bb.303:                              ;   in Loop: Header=BB59_6 Depth=1
	s_mov_b32 s29, exec_lo
                                        ; implicit-def: $sgpr83
                                        ; implicit-def: $sgpr28
	v_cmpx_ge_u32_e64 s18, v3
	s_xor_b32 s29, exec_lo, s29
	s_cbranch_execz .LBB59_309
; %bb.304:                              ;   in Loop: Header=BB59_6 Depth=1
	ds_load_b32 v1, v9 offset:4096
	s_waitcnt lgkmcnt(0)
	v_cmp_ne_u32_e32 vcc_lo, 0, v1
	s_cbranch_vccnz .LBB59_308
; %bb.305:                              ;   in Loop: Header=BB59_6 Depth=1
	s_and_saveexec_b32 s28, s5
	s_cbranch_execz .LBB59_307
; %bb.306:                              ;   in Loop: Header=BB59_6 Depth=1
	v_mov_b32_e32 v1, s18
	ds_store_b32 v9, v1 offset:4100
.LBB59_307:                             ;   in Loop: Header=BB59_6 Depth=1
	s_or_b32 exec_lo, exec_lo, s28
	s_waitcnt lgkmcnt(0)
	s_barrier
	buffer_gl0_inv
.LBB59_308:                             ;   in Loop: Header=BB59_6 Depth=1
	s_lshl_b32 s28, 2, s17
	v_or_b32_e32 v26, s13, v26
	v_and_or_b32 v27, v27, s14, s28
	s_mov_b32 s28, 0
	s_mov_b32 s83, 5
.LBB59_309:                             ;   in Loop: Header=BB59_6 Depth=1
	s_or_saveexec_b32 s29, s29
	v_mov_b32_e32 v4, s83
	s_xor_b32 exec_lo, exec_lo, s29
; %bb.310:                              ;   in Loop: Header=BB59_6 Depth=1
	v_subrev_nc_u32_e32 v3, s18, v3
	v_mov_b32_e32 v4, 0
	s_or_b32 s28, s28, exec_lo
; %bb.311:                              ;   in Loop: Header=BB59_6 Depth=1
	s_or_b32 exec_lo, exec_lo, s29
	s_delay_alu instid0(VALU_DEP_2)
	v_mov_b32_e32 v1, v3
	s_and_b32 s83, s28, exec_lo
.LBB59_312:                             ;   in Loop: Header=BB59_6 Depth=1
	s_or_b32 exec_lo, exec_lo, s10
	s_mov_b32 s10, -1
                                        ; implicit-def: $sgpr28
                                        ; implicit-def: $sgpr29
                                        ; implicit-def: $sgpr84
	s_and_saveexec_b32 s18, s83
	s_cbranch_execz .LBB59_393
; %bb.313:                              ;   in Loop: Header=BB59_6 Depth=1
	v_cmp_eq_u32_e32 vcc_lo, 1, v1
	s_cmp_eq_u32 s16, 1
                                        ; implicit-def: $sgpr28
                                        ; implicit-def: $sgpr29
                                        ; implicit-def: $sgpr83
	s_cselect_b32 s10, -1, 0
	s_delay_alu instid0(SALU_CYCLE_1)
	s_and_b32 s85, s10, vcc_lo
	s_mov_b32 s10, -1
	s_and_saveexec_b32 s84, s85
	s_cbranch_execz .LBB59_339
; %bb.314:                              ;   in Loop: Header=BB59_6 Depth=1
	ds_load_b32 v2, v9 offset:4096
	s_waitcnt lgkmcnt(0)
	s_barrier
	buffer_gl0_inv
	v_readfirstlane_b32 s28, v2
	s_and_saveexec_b32 s10, s6
	s_cbranch_execz .LBB59_316
; %bb.315:                              ;   in Loop: Header=BB59_6 Depth=1
	ds_store_b16 v20, v9
.LBB59_316:                             ;   in Loop: Header=BB59_6 Depth=1
	s_or_b32 exec_lo, exec_lo, s10
	s_lshl_b32 s10, 1, s17
	v_or_b32_e32 v26, s13, v26
	v_and_or_b32 v27, v27, s14, s10
	s_cmp_eq_u32 s28, 0
	s_waitcnt lgkmcnt(0)
	s_barrier
	buffer_gl0_inv
	s_cbranch_scc1 .LBB59_325
; %bb.317:                              ;   in Loop: Header=BB59_6 Depth=1
	s_add_i32 s10, s28, s59
                                        ; implicit-def: $vgpr28
	s_delay_alu instid0(SALU_CYCLE_1) | instskip(NEXT) | instid1(SALU_CYCLE_1)
	s_mul_hi_u32 s29, s10, s66
	s_mul_i32 s29, s29, s46
	s_delay_alu instid0(SALU_CYCLE_1) | instskip(NEXT) | instid1(SALU_CYCLE_1)
	s_sub_i32 s29, s10, s29
	s_sub_i32 s83, s29, s46
	s_cmp_ge_u32 s29, s46
	s_cselect_b32 s29, s83, s29
	s_delay_alu instid0(SALU_CYCLE_1) | instskip(SKIP_2) | instid1(SALU_CYCLE_1)
	s_sub_i32 s83, s29, s46
	s_cmp_ge_u32 s29, s46
	s_cselect_b32 s29, s83, s29
	s_sub_i32 s83, s10, s29
	s_mov_b32 s10, 0
	s_mov_b32 s29, exec_lo
	v_cmpx_gt_u32_e64 s83, v0
	s_cbranch_execz .LBB59_327
; %bb.318:                              ;   in Loop: Header=BB59_6 Depth=1
	v_dual_mov_b32 v2, v19 :: v_dual_mov_b32 v3, v0
	s_mov_b32 s86, 0
                                        ; implicit-def: $sgpr87
	s_set_inst_prefetch_distance 0x1
	s_branch .LBB59_320
	.p2align	6
.LBB59_319:                             ;   in Loop: Header=BB59_320 Depth=2
	s_or_b32 exec_lo, exec_lo, s10
	s_waitcnt lgkmcnt(0)
	s_barrier
	buffer_gl0_inv
	ds_load_b32 v4, v9 offset:3072
	v_add_nc_u32_e32 v3, s46, v3
	v_add_nc_u32_e32 v2, s70, v2
	s_waitcnt lgkmcnt(0)
	s_barrier
	buffer_gl0_inv
	v_cmp_le_u32_e32 vcc_lo, s83, v3
	v_cmp_ne_u16_e64 s10, 0, v4
	s_delay_alu instid0(VALU_DEP_1) | instskip(NEXT) | instid1(SALU_CYCLE_1)
	s_or_b32 s88, vcc_lo, s10
	s_and_b32 s88, exec_lo, s88
	s_delay_alu instid0(SALU_CYCLE_1) | instskip(SKIP_2) | instid1(SALU_CYCLE_1)
	s_or_b32 s86, s88, s86
	s_and_not1_b32 s87, s87, exec_lo
	s_and_b32 s10, s10, exec_lo
	s_or_b32 s87, s87, s10
	s_and_not1_b32 exec_lo, exec_lo, s86
	s_cbranch_execz .LBB59_326
.LBB59_320:                             ;   Parent Loop BB59_6 Depth=1
                                        ; =>  This Inner Loop Header: Depth=2
	s_delay_alu instid0(VALU_DEP_1)
	v_cmp_gt_u32_e32 vcc_lo, s28, v3
	v_mov_b32_e32 v4, 0
	s_and_saveexec_b32 s10, vcc_lo
	s_cbranch_execz .LBB59_322
; %bb.321:                              ;   in Loop: Header=BB59_320 Depth=2
	ds_load_u16 v4, v2
.LBB59_322:                             ;   in Loop: Header=BB59_320 Depth=2
	s_or_b32 exec_lo, exec_lo, s10
	s_and_saveexec_b32 s10, vcc_lo
	s_cbranch_execz .LBB59_319
; %bb.323:                              ;   in Loop: Header=BB59_320 Depth=2
	s_waitcnt lgkmcnt(0)
	v_bfe_i32 v8, v4, 0, 16
	s_delay_alu instid0(VALU_DEP_1) | instskip(NEXT) | instid1(VALU_DEP_1)
	v_add_nc_u32_e32 v8, 0x8000, v8
	v_and_b32_e32 v8, v8, v26
	s_delay_alu instid0(VALU_DEP_1)
	v_cmp_eq_u32_e32 vcc_lo, v8, v27
	s_and_b32 exec_lo, exec_lo, vcc_lo
	s_cbranch_execz .LBB59_319
; %bb.324:                              ;   in Loop: Header=BB59_320 Depth=2
	v_perm_b32 v4, v4, 1, 0x5040100
	ds_store_b32 v9, v4 offset:3072
	s_branch .LBB59_319
.LBB59_325:                             ;   in Loop: Header=BB59_6 Depth=1
	s_mov_b32 s28, -1
	s_mov_b32 s10, 0
                                        ; implicit-def: $sgpr29
                                        ; implicit-def: $vgpr28
	s_mov_b32 s83, s28
	s_cbranch_execnz .LBB59_328
	s_branch .LBB59_338
.LBB59_326:                             ;   in Loop: Header=BB59_6 Depth=1
	s_set_inst_prefetch_distance 0x2
	s_or_b32 exec_lo, exec_lo, s86
	v_lshrrev_b32_e32 v28, 16, v4
	s_and_b32 s10, s87, exec_lo
.LBB59_327:                             ;   in Loop: Header=BB59_6 Depth=1
	s_or_b32 exec_lo, exec_lo, s29
	s_mov_b32 s28, 0
	s_mov_b32 s29, -1
	s_mov_b32 s83, s28
	s_branch .LBB59_338
.LBB59_328:                             ;   in Loop: Header=BB59_6 Depth=1
	s_mov_b32 s10, 0
                                        ; implicit-def: $vgpr28
	s_and_saveexec_b32 s28, s9
	s_cbranch_execz .LBB59_337
; %bb.329:                              ;   in Loop: Header=BB59_6 Depth=1
	v_mov_b32_e32 v8, v7
	v_mov_b32_e32 v2, v0
	s_mov_b32 s29, 0
                                        ; implicit-def: $sgpr83
	s_set_inst_prefetch_distance 0x1
	s_branch .LBB59_331
	.p2align	6
.LBB59_330:                             ;   in Loop: Header=BB59_331 Depth=2
	s_or_b32 exec_lo, exec_lo, s10
	s_waitcnt vmcnt(0) lgkmcnt(0)
	s_barrier
	buffer_gl0_inv
	ds_load_b32 v3, v9 offset:3072
	v_add_nc_u32_e32 v2, s46, v2
	v_add_nc_u32_e32 v8, s48, v8
	s_waitcnt lgkmcnt(0)
	s_barrier
	buffer_gl0_inv
	v_cmp_le_u32_e32 vcc_lo, s67, v2
	v_cmp_ne_u16_e64 s10, 0, v3
	s_delay_alu instid0(VALU_DEP_1) | instskip(NEXT) | instid1(SALU_CYCLE_1)
	s_or_b32 s86, vcc_lo, s10
	s_and_b32 s86, exec_lo, s86
	s_delay_alu instid0(SALU_CYCLE_1) | instskip(SKIP_2) | instid1(SALU_CYCLE_1)
	s_or_b32 s29, s86, s29
	s_and_not1_b32 s83, s83, exec_lo
	s_and_b32 s10, s10, exec_lo
	s_or_b32 s83, s83, s10
	s_and_not1_b32 exec_lo, exec_lo, s29
	s_cbranch_execz .LBB59_336
.LBB59_331:                             ;   Parent Loop BB59_6 Depth=1
                                        ; =>  This Inner Loop Header: Depth=2
	s_delay_alu instid0(VALU_DEP_1)
	v_cmp_gt_u32_e32 vcc_lo, s36, v2
	v_mov_b32_e32 v3, 0
	s_and_saveexec_b32 s86, vcc_lo
	s_cbranch_execz .LBB59_333
; %bb.332:                              ;   in Loop: Header=BB59_331 Depth=2
	v_lshlrev_b64 v[3:4], 1, v[8:9]
	s_delay_alu instid0(VALU_DEP_1) | instskip(NEXT) | instid1(VALU_DEP_1)
	v_add_co_u32 v3, s10, s33, v3
	v_add_co_ci_u32_e64 v4, s10, s35, v4, s10
	global_load_u16 v3, v[3:4], off
.LBB59_333:                             ;   in Loop: Header=BB59_331 Depth=2
	s_or_b32 exec_lo, exec_lo, s86
	s_and_saveexec_b32 s10, vcc_lo
	s_cbranch_execz .LBB59_330
; %bb.334:                              ;   in Loop: Header=BB59_331 Depth=2
	s_waitcnt vmcnt(0)
	v_bfe_i32 v4, v3, 0, 16
	s_delay_alu instid0(VALU_DEP_1) | instskip(NEXT) | instid1(VALU_DEP_1)
	v_add_nc_u32_e32 v4, 0x8000, v4
	v_and_b32_e32 v4, v4, v26
	s_delay_alu instid0(VALU_DEP_1)
	v_cmp_eq_u32_e32 vcc_lo, v4, v27
	s_and_b32 exec_lo, exec_lo, vcc_lo
	s_cbranch_execz .LBB59_330
; %bb.335:                              ;   in Loop: Header=BB59_331 Depth=2
	v_perm_b32 v3, v3, 1, 0x5040100
	ds_store_b32 v9, v3 offset:3072
	s_branch .LBB59_330
.LBB59_336:                             ;   in Loop: Header=BB59_6 Depth=1
	s_set_inst_prefetch_distance 0x2
	s_or_b32 exec_lo, exec_lo, s29
	v_lshrrev_b32_e32 v28, 16, v3
	s_and_b32 s10, s83, exec_lo
.LBB59_337:                             ;   in Loop: Header=BB59_6 Depth=1
	s_or_b32 exec_lo, exec_lo, s28
	s_mov_b32 s29, 0
	s_mov_b32 s28, -1
	s_mov_b32 s83, 0
.LBB59_338:                             ;   in Loop: Header=BB59_6 Depth=1
	s_or_not1_b32 s10, s10, exec_lo
.LBB59_339:                             ;   in Loop: Header=BB59_6 Depth=1
	s_or_b32 exec_lo, exec_lo, s84
	s_mov_b32 s86, 0
                                        ; implicit-def: $vgpr4
	s_and_saveexec_b32 s84, s10
	s_cbranch_execz .LBB59_392
; %bb.340:                              ;   in Loop: Header=BB59_6 Depth=1
	v_mov_b32_e32 v2, 1
	v_mov_b32_e32 v4, 1
	s_xor_b32 s86, s85, -1
	s_mov_b32 s85, 0
	s_and_saveexec_b32 s10, s86
	s_cbranch_execz .LBB59_350
; %bb.341:                              ;   in Loop: Header=BB59_6 Depth=1
	s_mov_b32 s86, exec_lo
                                        ; implicit-def: $sgpr87
                                        ; implicit-def: $sgpr85
	v_cmpx_ge_u32_e64 s16, v1
	s_xor_b32 s86, exec_lo, s86
	s_cbranch_execz .LBB59_347
; %bb.342:                              ;   in Loop: Header=BB59_6 Depth=1
	ds_load_b32 v2, v9 offset:4096
	s_waitcnt lgkmcnt(0)
	v_cmp_ne_u32_e32 vcc_lo, 0, v2
	s_cbranch_vccnz .LBB59_346
; %bb.343:                              ;   in Loop: Header=BB59_6 Depth=1
	s_and_saveexec_b32 s85, s5
	s_cbranch_execz .LBB59_345
; %bb.344:                              ;   in Loop: Header=BB59_6 Depth=1
	v_mov_b32_e32 v2, s16
	ds_store_b32 v9, v2 offset:4100
.LBB59_345:                             ;   in Loop: Header=BB59_6 Depth=1
	s_or_b32 exec_lo, exec_lo, s85
	s_waitcnt lgkmcnt(0)
	s_barrier
	buffer_gl0_inv
.LBB59_346:                             ;   in Loop: Header=BB59_6 Depth=1
	s_lshl_b32 s17, 1, s17
	v_or_b32_e32 v26, s13, v26
	v_and_or_b32 v27, v27, s14, s17
	s_mov_b32 s85, 0
	s_mov_b32 s87, 5
.LBB59_347:                             ;   in Loop: Header=BB59_6 Depth=1
	s_or_saveexec_b32 s17, s86
	v_mov_b32_e32 v4, s87
	s_xor_b32 exec_lo, exec_lo, s17
; %bb.348:                              ;   in Loop: Header=BB59_6 Depth=1
	v_subrev_nc_u32_e32 v1, s16, v1
	v_mov_b32_e32 v4, 0
	s_or_b32 s85, s85, exec_lo
; %bb.349:                              ;   in Loop: Header=BB59_6 Depth=1
	s_or_b32 exec_lo, exec_lo, s17
	s_delay_alu instid0(VALU_DEP_2)
	v_mov_b32_e32 v2, v1
	s_and_b32 s85, s85, exec_lo
.LBB59_350:                             ;   in Loop: Header=BB59_6 Depth=1
	s_or_b32 exec_lo, exec_lo, s10
	s_mov_b32 s17, -1
                                        ; implicit-def: $sgpr10
                                        ; implicit-def: $sgpr86
                                        ; implicit-def: $sgpr87
	s_and_saveexec_b32 s16, s85
	s_cbranch_execz .LBB59_391
; %bb.351:                              ;   in Loop: Header=BB59_6 Depth=1
	v_cmp_eq_u32_e32 vcc_lo, 1, v2
	s_cmp_eq_u32 s12, 1
	s_mov_b32 s88, -1
	s_cselect_b32 s10, -1, 0
                                        ; implicit-def: $sgpr86
                                        ; implicit-def: $sgpr87
	s_delay_alu instid0(SALU_CYCLE_1) | instskip(NEXT) | instid1(SALU_CYCLE_1)
	s_and_b32 s17, s10, vcc_lo
                                        ; implicit-def: $sgpr10
	s_and_saveexec_b32 s85, s17
	s_cbranch_execz .LBB59_378
; %bb.352:                              ;   in Loop: Header=BB59_6 Depth=1
	ds_load_b32 v1, v9 offset:4096
	s_waitcnt lgkmcnt(0)
	s_barrier
	buffer_gl0_inv
	v_readfirstlane_b32 s86, v1
	s_and_saveexec_b32 s10, s6
	s_cbranch_execz .LBB59_354
; %bb.353:                              ;   in Loop: Header=BB59_6 Depth=1
	ds_store_b16 v20, v9
.LBB59_354:                             ;   in Loop: Header=BB59_6 Depth=1
	s_or_b32 exec_lo, exec_lo, s10
	v_and_b32_e32 v27, s14, v27
	v_or_b32_e32 v26, s13, v26
	s_cmp_eq_u32 s86, 0
	s_waitcnt lgkmcnt(0)
	s_barrier
	buffer_gl0_inv
	s_cbranch_scc1 .LBB59_363
; %bb.355:                              ;   in Loop: Header=BB59_6 Depth=1
	s_add_i32 s10, s86, s59
                                        ; implicit-def: $vgpr28
	s_delay_alu instid0(SALU_CYCLE_1) | instskip(NEXT) | instid1(SALU_CYCLE_1)
	s_mul_hi_u32 s87, s10, s66
	s_mul_i32 s87, s87, s46
	s_delay_alu instid0(SALU_CYCLE_1) | instskip(NEXT) | instid1(SALU_CYCLE_1)
	s_sub_i32 s87, s10, s87
	s_sub_i32 s88, s87, s46
	s_cmp_ge_u32 s87, s46
	s_cselect_b32 s87, s88, s87
	s_delay_alu instid0(SALU_CYCLE_1)
	s_sub_i32 s88, s87, s46
	s_cmp_ge_u32 s87, s46
	s_cselect_b32 s87, s88, s87
	s_mov_b32 s88, 0
	s_sub_i32 s89, s10, s87
	s_mov_b32 s87, exec_lo
	v_cmpx_gt_u32_e64 s89, v0
	s_cbranch_execz .LBB59_365
; %bb.356:                              ;   in Loop: Header=BB59_6 Depth=1
	v_mov_b32_e32 v1, v19
	v_mov_b32_e32 v3, v0
                                        ; implicit-def: $sgpr90
	s_set_inst_prefetch_distance 0x1
	s_branch .LBB59_358
	.p2align	6
.LBB59_357:                             ;   in Loop: Header=BB59_358 Depth=2
	s_or_b32 exec_lo, exec_lo, s10
	s_waitcnt lgkmcnt(0)
	s_barrier
	buffer_gl0_inv
	ds_load_b32 v4, v9 offset:3072
	v_add_nc_u32_e32 v3, s46, v3
	v_add_nc_u32_e32 v1, s70, v1
	s_waitcnt lgkmcnt(0)
	s_barrier
	buffer_gl0_inv
	v_cmp_le_u32_e32 vcc_lo, s89, v3
	v_cmp_ne_u16_e64 s10, 0, v4
	s_delay_alu instid0(VALU_DEP_1) | instskip(NEXT) | instid1(SALU_CYCLE_1)
	s_or_b32 s91, vcc_lo, s10
	s_and_b32 s91, exec_lo, s91
	s_delay_alu instid0(SALU_CYCLE_1) | instskip(SKIP_2) | instid1(SALU_CYCLE_1)
	s_or_b32 s88, s91, s88
	s_and_not1_b32 s90, s90, exec_lo
	s_and_b32 s10, s10, exec_lo
	s_or_b32 s90, s90, s10
	s_and_not1_b32 exec_lo, exec_lo, s88
	s_cbranch_execz .LBB59_364
.LBB59_358:                             ;   Parent Loop BB59_6 Depth=1
                                        ; =>  This Inner Loop Header: Depth=2
	s_delay_alu instid0(VALU_DEP_1)
	v_cmp_gt_u32_e32 vcc_lo, s86, v3
	v_mov_b32_e32 v4, 0
	s_and_saveexec_b32 s10, vcc_lo
	s_cbranch_execz .LBB59_360
; %bb.359:                              ;   in Loop: Header=BB59_358 Depth=2
	ds_load_u16 v4, v1
.LBB59_360:                             ;   in Loop: Header=BB59_358 Depth=2
	s_or_b32 exec_lo, exec_lo, s10
	s_and_saveexec_b32 s10, vcc_lo
	s_cbranch_execz .LBB59_357
; %bb.361:                              ;   in Loop: Header=BB59_358 Depth=2
	s_waitcnt lgkmcnt(0)
	v_bfe_i32 v8, v4, 0, 16
	s_delay_alu instid0(VALU_DEP_1) | instskip(NEXT) | instid1(VALU_DEP_1)
	v_add_nc_u32_e32 v8, 0x8000, v8
	v_and_b32_e32 v8, v8, v26
	s_delay_alu instid0(VALU_DEP_1)
	v_cmp_eq_u32_e32 vcc_lo, v8, v27
	s_and_b32 exec_lo, exec_lo, vcc_lo
	s_cbranch_execz .LBB59_357
; %bb.362:                              ;   in Loop: Header=BB59_358 Depth=2
	v_perm_b32 v4, v4, 1, 0x5040100
	ds_store_b32 v9, v4 offset:3072
	s_branch .LBB59_357
.LBB59_363:                             ;   in Loop: Header=BB59_6 Depth=1
	s_mov_b32 s10, -1
	s_mov_b32 s88, 0
                                        ; implicit-def: $sgpr86
                                        ; implicit-def: $vgpr28
	s_branch .LBB59_366
.LBB59_364:                             ;   in Loop: Header=BB59_6 Depth=1
	s_set_inst_prefetch_distance 0x2
	s_or_b32 exec_lo, exec_lo, s88
	v_lshrrev_b32_e32 v28, 16, v4
	s_and_b32 s88, s90, exec_lo
.LBB59_365:                             ;   in Loop: Header=BB59_6 Depth=1
	s_or_b32 exec_lo, exec_lo, s87
	s_mov_b32 s10, 0
	s_mov_b32 s86, -1
.LBB59_366:                             ;   in Loop: Header=BB59_6 Depth=1
	s_and_b32 vcc_lo, exec_lo, s10
	s_mov_b32 s87, s10
	s_cbranch_vccz .LBB59_377
; %bb.367:                              ;   in Loop: Header=BB59_6 Depth=1
	s_mov_b32 s88, 0
                                        ; implicit-def: $vgpr28
	s_and_saveexec_b32 s86, s9
	s_cbranch_execz .LBB59_376
; %bb.368:                              ;   in Loop: Header=BB59_6 Depth=1
	v_dual_mov_b32 v8, v7 :: v_dual_mov_b32 v1, v0
	s_mov_b32 s87, 0
                                        ; implicit-def: $sgpr88
	s_set_inst_prefetch_distance 0x1
	s_branch .LBB59_370
	.p2align	6
.LBB59_369:                             ;   in Loop: Header=BB59_370 Depth=2
	s_or_b32 exec_lo, exec_lo, s10
	s_waitcnt vmcnt(0) lgkmcnt(0)
	s_barrier
	buffer_gl0_inv
	ds_load_b32 v3, v9 offset:3072
	v_add_nc_u32_e32 v1, s46, v1
	v_add_nc_u32_e32 v8, s48, v8
	s_waitcnt lgkmcnt(0)
	s_barrier
	buffer_gl0_inv
	v_cmp_le_u32_e32 vcc_lo, s67, v1
	v_cmp_ne_u16_e64 s10, 0, v3
	s_delay_alu instid0(VALU_DEP_1) | instskip(NEXT) | instid1(SALU_CYCLE_1)
	s_or_b32 s89, vcc_lo, s10
	s_and_b32 s89, exec_lo, s89
	s_delay_alu instid0(SALU_CYCLE_1) | instskip(SKIP_2) | instid1(SALU_CYCLE_1)
	s_or_b32 s87, s89, s87
	s_and_not1_b32 s88, s88, exec_lo
	s_and_b32 s10, s10, exec_lo
	s_or_b32 s88, s88, s10
	s_and_not1_b32 exec_lo, exec_lo, s87
	s_cbranch_execz .LBB59_375
.LBB59_370:                             ;   Parent Loop BB59_6 Depth=1
                                        ; =>  This Inner Loop Header: Depth=2
	s_delay_alu instid0(VALU_DEP_1)
	v_cmp_gt_u32_e32 vcc_lo, s36, v1
	v_mov_b32_e32 v3, 0
	s_and_saveexec_b32 s89, vcc_lo
	s_cbranch_execz .LBB59_372
; %bb.371:                              ;   in Loop: Header=BB59_370 Depth=2
	v_lshlrev_b64 v[3:4], 1, v[8:9]
	s_delay_alu instid0(VALU_DEP_1) | instskip(NEXT) | instid1(VALU_DEP_1)
	v_add_co_u32 v3, s10, s33, v3
	v_add_co_ci_u32_e64 v4, s10, s35, v4, s10
	global_load_u16 v3, v[3:4], off
.LBB59_372:                             ;   in Loop: Header=BB59_370 Depth=2
	s_or_b32 exec_lo, exec_lo, s89
	s_and_saveexec_b32 s10, vcc_lo
	s_cbranch_execz .LBB59_369
; %bb.373:                              ;   in Loop: Header=BB59_370 Depth=2
	s_waitcnt vmcnt(0)
	v_bfe_i32 v4, v3, 0, 16
	s_delay_alu instid0(VALU_DEP_1) | instskip(NEXT) | instid1(VALU_DEP_1)
	v_add_nc_u32_e32 v4, 0x8000, v4
	v_and_b32_e32 v4, v4, v26
	s_delay_alu instid0(VALU_DEP_1)
	v_cmp_eq_u32_e32 vcc_lo, v4, v27
	s_and_b32 exec_lo, exec_lo, vcc_lo
	s_cbranch_execz .LBB59_369
; %bb.374:                              ;   in Loop: Header=BB59_370 Depth=2
	v_perm_b32 v3, v3, 1, 0x5040100
	ds_store_b32 v9, v3 offset:3072
	s_branch .LBB59_369
.LBB59_375:                             ;   in Loop: Header=BB59_6 Depth=1
	s_set_inst_prefetch_distance 0x2
	s_or_b32 exec_lo, exec_lo, s87
	v_lshrrev_b32_e32 v28, 16, v3
	s_and_b32 s88, s88, exec_lo
.LBB59_376:                             ;   in Loop: Header=BB59_6 Depth=1
	s_or_b32 exec_lo, exec_lo, s86
	s_mov_b32 s86, 0
	s_mov_b32 s10, -1
	s_mov_b32 s87, 0
.LBB59_377:                             ;   in Loop: Header=BB59_6 Depth=1
	s_or_not1_b32 s88, s88, exec_lo
.LBB59_378:                             ;   in Loop: Header=BB59_6 Depth=1
	s_or_b32 exec_lo, exec_lo, s85
	s_mov_b32 s89, 0
                                        ; implicit-def: $vgpr4
                                        ; implicit-def: $vgpr1
	s_and_saveexec_b32 s85, s88
	s_cbranch_execz .LBB59_390
; %bb.379:                              ;   in Loop: Header=BB59_6 Depth=1
	v_dual_mov_b32 v4, 1 :: v_dual_mov_b32 v1, 1
	s_xor_b32 s88, s17, -1
	s_delay_alu instid0(SALU_CYCLE_1)
	s_and_saveexec_b32 s17, s88
	s_cbranch_execz .LBB59_389
; %bb.380:                              ;   in Loop: Header=BB59_6 Depth=1
	s_mov_b32 s88, exec_lo
                                        ; implicit-def: $sgpr89
	v_cmpx_ge_u32_e64 s12, v2
	s_xor_b32 s88, exec_lo, s88
	s_cbranch_execz .LBB59_386
; %bb.381:                              ;   in Loop: Header=BB59_6 Depth=1
	ds_load_b32 v1, v9 offset:4096
	s_waitcnt lgkmcnt(0)
	v_cmp_ne_u32_e32 vcc_lo, 0, v1
	s_cbranch_vccnz .LBB59_385
; %bb.382:                              ;   in Loop: Header=BB59_6 Depth=1
	s_and_saveexec_b32 s89, s5
	s_cbranch_execz .LBB59_384
; %bb.383:                              ;   in Loop: Header=BB59_6 Depth=1
	v_mov_b32_e32 v1, s12
	ds_store_b32 v9, v1 offset:4100
.LBB59_384:                             ;   in Loop: Header=BB59_6 Depth=1
	s_or_b32 exec_lo, exec_lo, s89
	s_waitcnt lgkmcnt(0)
	s_barrier
	buffer_gl0_inv
.LBB59_385:                             ;   in Loop: Header=BB59_6 Depth=1
	v_and_b32_e32 v27, s14, v27
	v_or_b32_e32 v26, s13, v26
	s_mov_b32 s89, 5
.LBB59_386:                             ;   in Loop: Header=BB59_6 Depth=1
	s_or_saveexec_b32 s13, s88
	v_mov_b32_e32 v4, s89
	s_xor_b32 exec_lo, exec_lo, s13
; %bb.387:                              ;   in Loop: Header=BB59_6 Depth=1
	v_subrev_nc_u32_e32 v2, s12, v2
	v_mov_b32_e32 v4, 5
; %bb.388:                              ;   in Loop: Header=BB59_6 Depth=1
	s_or_b32 exec_lo, exec_lo, s13
	s_delay_alu instid0(VALU_DEP_2)
	v_mov_b32_e32 v1, v2
.LBB59_389:                             ;   in Loop: Header=BB59_6 Depth=1
	s_or_b32 exec_lo, exec_lo, s17
	s_delay_alu instid0(SALU_CYCLE_1)
	s_mov_b32 s89, exec_lo
.LBB59_390:                             ;   in Loop: Header=BB59_6 Depth=1
	s_or_b32 exec_lo, exec_lo, s85
	s_delay_alu instid0(VALU_DEP_1)
	v_mov_b32_e32 v2, v1
	s_or_not1_b32 s17, s89, exec_lo
.LBB59_391:                             ;   in Loop: Header=BB59_6 Depth=1
	s_or_b32 exec_lo, exec_lo, s16
	s_delay_alu instid0(SALU_CYCLE_1)
	s_and_not1_b32 s12, s28, exec_lo
	s_and_b32 s10, s10, exec_lo
	s_and_not1_b32 s13, s83, exec_lo
	s_or_b32 s28, s12, s10
	s_and_not1_b32 s10, s29, exec_lo
	s_and_b32 s12, s86, exec_lo
	s_and_b32 s14, s87, exec_lo
	v_mov_b32_e32 v1, v2
	s_or_b32 s29, s10, s12
	s_or_b32 s83, s13, s14
	s_and_b32 s86, s17, exec_lo
.LBB59_392:                             ;   in Loop: Header=BB59_6 Depth=1
	s_or_b32 exec_lo, exec_lo, s84
	s_delay_alu instid0(SALU_CYCLE_1)
	s_and_b32 s84, s28, exec_lo
	s_and_b32 s29, s29, exec_lo
	;; [unrolled: 1-line block ×3, first 2 shown]
	s_or_not1_b32 s10, s86, exec_lo
.LBB59_393:                             ;   in Loop: Header=BB59_6 Depth=1
	s_or_b32 exec_lo, exec_lo, s18
	s_delay_alu instid0(SALU_CYCLE_1)
	s_and_not1_b32 s12, s22, exec_lo
	s_and_b32 s13, s84, exec_lo
	s_and_not1_b32 s14, s26, exec_lo
	s_or_b32 s22, s12, s13
	s_and_not1_b32 s12, s25, exec_lo
	s_and_b32 s13, s29, exec_lo
	s_and_b32 s16, s28, exec_lo
	v_mov_b32_e32 v3, v1
	s_or_b32 s25, s12, s13
	s_or_b32 s26, s14, s16
	s_and_b32 s29, s10, exec_lo
.LBB59_394:                             ;   in Loop: Header=BB59_6 Depth=1
	s_or_b32 exec_lo, exec_lo, s27
	s_delay_alu instid0(SALU_CYCLE_1)
	s_and_b32 s27, s22, exec_lo
	s_and_b32 s25, s25, exec_lo
	;; [unrolled: 1-line block ×3, first 2 shown]
	s_or_not1_b32 s26, s29, exec_lo
.LBB59_395:                             ;   in Loop: Header=BB59_6 Depth=1
	s_or_b32 exec_lo, exec_lo, s19
	s_mov_b32 s10, s20
	s_mov_b32 s12, s11
	s_and_saveexec_b32 s13, s26
; %bb.396:                              ;   in Loop: Header=BB59_6 Depth=1
	v_cmp_eq_u32_e32 vcc_lo, 5, v4
	v_cmp_ne_u32_e64 s10, 5, v4
	s_and_not1_b32 s12, s11, exec_lo
	s_and_not1_b32 s14, s20, exec_lo
	;; [unrolled: 1-line block ×3, first 2 shown]
	s_and_b32 s16, vcc_lo, exec_lo
	s_and_b32 s10, s10, exec_lo
	s_and_not1_b32 s25, s25, exec_lo
	s_and_not1_b32 s22, s22, exec_lo
	s_or_b32 s12, s12, s10
	s_or_b32 s10, s14, s16
; %bb.397:                              ;   in Loop: Header=BB59_6 Depth=1
	s_or_b32 exec_lo, exec_lo, s13
	s_delay_alu instid0(SALU_CYCLE_1)
	s_and_not1_b32 s13, s23, exec_lo
	s_and_b32 s14, s27, exec_lo
	v_dual_mov_b32 v1, v27 :: v_dual_mov_b32 v2, v26
	s_or_b32 s23, s13, s14
	s_and_not1_b32 s13, s24, exec_lo
	s_and_b32 s14, s25, exec_lo
	v_mov_b32_e32 v30, v28
	s_and_not1_b32 s15, s15, exec_lo
	s_and_b32 s16, s22, exec_lo
	s_or_b32 s24, s13, s14
	s_and_not1_b32 s11, s11, exec_lo
	s_and_b32 s12, s12, exec_lo
	s_and_not1_b32 s13, s20, exec_lo
	s_and_b32 s10, s10, exec_lo
	s_or_b32 s15, s15, s16
	s_or_b32 s11, s11, s12
	;; [unrolled: 1-line block ×3, first 2 shown]
.LBB59_398:                             ;   in Loop: Header=BB59_6 Depth=1
	s_or_b32 exec_lo, exec_lo, s21
	s_mov_b32 s22, s15
	s_mov_b32 s21, s15
	s_and_saveexec_b32 s10, s20
.LBB59_399:                             ;   in Loop: Header=BB59_6 Depth=1
	v_mov_b32_e32 v4, 0
	s_and_not1_b32 s15, s15, exec_lo
	s_and_not1_b32 s23, s23, exec_lo
	;; [unrolled: 1-line block ×5, first 2 shown]
	s_or_b32 s11, s11, exec_lo
.LBB59_400:                             ;   in Loop: Header=BB59_6 Depth=1
	s_or_b32 exec_lo, exec_lo, s10
	s_delay_alu instid0(SALU_CYCLE_1)
	s_and_not1_b32 s10, s82, exec_lo
	s_and_b32 s13, s15, exec_lo
	s_and_not1_b32 s14, s79, exec_lo
	s_or_b32 s82, s10, s13
	s_and_not1_b32 s10, s81, exec_lo
	s_and_b32 s13, s23, exec_lo
	s_and_b32 s15, s24, exec_lo
	s_or_b32 s81, s10, s13
	s_or_b32 s79, s14, s15
	s_and_not1_b32 s10, s80, exec_lo
	s_and_b32 s13, s22, exec_lo
	s_and_not1_b32 s14, s78, exec_lo
	s_and_b32 s15, s21, exec_lo
	s_mov_b32 s12, -1
	s_or_b32 s80, s10, s13
	s_or_b32 s78, s14, s15
                                        ; implicit-def: $vgpr26
                                        ; implicit-def: $vgpr27
                                        ; implicit-def: $vgpr29
                                        ; implicit-def: $vgpr28
	s_and_saveexec_b32 s10, s11
	s_delay_alu instid0(SALU_CYCLE_1)
	s_xor_b32 s10, exec_lo, s10
	s_cbranch_execz .LBB59_5
; %bb.401:                              ;   in Loop: Header=BB59_6 Depth=1
	s_mov_b32 s11, -1
	s_mov_b32 s13, exec_lo
	v_cmpx_eq_u32_e32 0, v4
	s_cbranch_execz .LBB59_4
; %bb.402:                              ;   in Loop: Header=BB59_6 Depth=1
	s_xor_b32 s72, s72, 1
	s_add_i32 s14, s77, -2
	s_cmp_eq_u32 s77, 0
	s_mov_b32 s77, s14
	s_cselect_b32 s11, -1, 0
	s_xor_b32 s12, exec_lo, -1
	s_or_not1_b32 s11, s11, exec_lo
	s_branch .LBB59_4
.LBB59_403:
	s_or_b32 exec_lo, exec_lo, s47
	s_xor_b32 s7, s76, -1
	s_xor_b32 s12, s74, -1
	;; [unrolled: 1-line block ×5, first 2 shown]
	s_mov_b32 s9, 0
	s_and_saveexec_b32 s10, s8
	s_delay_alu instid0(SALU_CYCLE_1)
	s_xor_b32 s8, exec_lo, s10
	s_cbranch_execz .LBB59_460
; %bb.404:
	s_mov_b32 s10, 0
	s_and_saveexec_b32 s9, s11
	s_delay_alu instid0(SALU_CYCLE_1)
	s_xor_b32 s9, exec_lo, s9
	s_cbranch_execz .LBB59_458
; %bb.405:
	;; [unrolled: 6-line block ×4, first 2 shown]
	s_and_saveexec_b32 s7, s6
	s_delay_alu instid0(SALU_CYCLE_1)
	s_xor_b32 s6, exec_lo, s7
; %bb.408:
	v_xor_b32_e32 v30, 0xffff8000, v1
; %bb.409:
	s_or_b32 exec_lo, exec_lo, s6
	s_and_saveexec_b32 s6, s5
	s_cbranch_execz .LBB59_411
; %bb.410:
	v_mov_b32_e32 v1, 0
	ds_store_b32 v1, v1 offset:4108
.LBB59_411:
	s_or_b32 exec_lo, exec_lo, s6
	v_mov_b32_e32 v1, 0
	s_waitcnt lgkmcnt(0)
	s_barrier
	buffer_gl0_inv
	s_and_saveexec_b32 s5, s4
	s_cbranch_execz .LBB59_413
; %bb.412:
	global_load_u16 v1, v[5:6], off
.LBB59_413:
	s_or_b32 exec_lo, exec_lo, s5
	s_mul_i32 s6, s53, s51
	s_add_i32 s5, s36, 31
	s_sub_i32 s6, s49, s6
	s_and_not1_b32 s5, s5, 31
	s_add_i32 s7, s53, 1
	s_sub_i32 s12, s6, s51
	s_cmp_ge_u32 s6, s51
	v_add_nc_u32_e32 v3, s46, v0
	s_cselect_b32 s7, s7, s53
	s_cselect_b32 s6, s12, s6
	s_add_i32 s12, s7, 1
	s_cmp_ge_u32 s6, s51
	s_mul_i32 s6, s52, s50
	s_cselect_b32 s7, s12, s7
	s_sub_i32 s12, s49, s6
	s_mul_i32 s6, s7, s51
	s_mul_i32 s7, s7, s44
	s_sub_i32 s6, s49, s6
	s_add_i32 s13, s52, 1
	s_mul_i32 s6, s6, s45
	s_sub_i32 s14, s12, s50
	s_add_i32 s6, s7, s6
	s_cmp_ge_u32 s12, s50
	v_mul_lo_u32 v2, s34, v3
	s_cselect_b32 s13, s13, s52
	s_cselect_b32 s7, s14, s12
	s_add_i32 s12, s13, 1
	s_cmp_ge_u32 s7, s50
	s_mov_b32 s7, 0
	s_cselect_b32 s13, s12, s13
	s_clause 0x1
	s_load_b32 s12, s[0:1], 0x1c8
	s_load_b32 s1, s[0:1], 0x2a8
	s_mul_i32 s0, s13, s50
	s_mul_i32 s13, s13, s42
	s_sub_i32 s0, s49, s0
	s_lshl_b64 s[14:15], s[6:7], 1
	s_mul_i32 s0, s0, s43
	s_mov_b32 s17, s7
	s_add_i32 s16, s13, s0
	s_add_u32 s6, s30, s14
	s_addc_u32 s13, s31, s15
	s_lshl_b64 s[14:15], s[16:17], 3
	s_mov_b32 s0, -1
	s_add_u32 s14, s40, s14
	s_addc_u32 s15, s41, s15
	s_mov_b32 s16, 0
	s_mov_b32 s17, exec_lo
	v_cmpx_gt_u32_e64 s5, v0
	s_cbranch_execz .LBB59_429
; %bb.414:
	v_bfe_i32 v7, v30, 0, 16
	v_mul_lo_u32 v3, s34, v3
	v_mov_b32_e32 v4, 0
                                        ; implicit-def: $sgpr18
                                        ; implicit-def: $vgpr11
	s_delay_alu instid0(VALU_DEP_3)
	v_add_nc_u32_e32 v9, 0x8000, v7
	v_mov_b32_e32 v7, v0
	s_branch .LBB59_416
.LBB59_415:                             ;   in Loop: Header=BB59_416 Depth=1
	s_or_b32 exec_lo, exec_lo, s19
	s_xor_b32 s19, s21, -1
	s_and_b32 s0, exec_lo, s0
	v_mov_b32_e32 v1, v12
	s_or_b32 s16, s0, s16
	v_mov_b32_e32 v7, v10
	s_and_not1_b32 s0, s18, exec_lo
	s_and_b32 s18, s19, exec_lo
	s_delay_alu instid0(SALU_CYCLE_1)
	s_or_b32 s18, s0, s18
	s_and_not1_b32 exec_lo, exec_lo, s16
	s_cbranch_execz .LBB59_428
.LBB59_416:                             ; =>This Inner Loop Header: Depth=1
	s_delay_alu instid0(VALU_DEP_1) | instskip(SKIP_2) | instid1(VALU_DEP_2)
	v_add_nc_u32_e32 v10, s46, v7
	v_mov_b32_e32 v12, 0
	s_mov_b32 s0, exec_lo
	v_cmpx_gt_u32_e64 s36, v10
	s_cbranch_execz .LBB59_418
; %bb.417:                              ;   in Loop: Header=BB59_416 Depth=1
	v_lshlrev_b64 v[12:13], 1, v[3:4]
	s_delay_alu instid0(VALU_DEP_1) | instskip(NEXT) | instid1(VALU_DEP_2)
	v_add_co_u32 v12, vcc_lo, s33, v12
	v_add_co_ci_u32_e32 v13, vcc_lo, s35, v13, vcc_lo
	global_load_u16 v12, v[12:13], off
.LBB59_418:                             ;   in Loop: Header=BB59_416 Depth=1
	s_or_b32 exec_lo, exec_lo, s0
	s_waitcnt vmcnt(0)
	v_bfe_i32 v8, v1, 0, 16
	s_delay_alu instid0(VALU_DEP_1) | instskip(NEXT) | instid1(VALU_DEP_1)
	v_add_nc_u32_e32 v8, 0x8000, v8
	v_cmp_gt_u32_e32 vcc_lo, v8, v9
	v_cndmask_b32_e64 v13, 0, 1, vcc_lo
	v_cmp_lt_u32_e32 vcc_lo, v8, v9
	v_cndmask_b32_e64 v8, 0, 1, vcc_lo
	v_cmp_gt_u32_e32 vcc_lo, s36, v7
	s_delay_alu instid0(VALU_DEP_2) | instskip(NEXT) | instid1(VALU_DEP_1)
	v_cndmask_b32_e64 v8, v8, v13, s3
	v_and_b32_e32 v8, 1, v8
	s_delay_alu instid0(VALU_DEP_1) | instskip(NEXT) | instid1(VALU_DEP_1)
	v_cmp_eq_u32_e64 s0, 1, v8
	s_and_b32 s20, vcc_lo, s0
	s_delay_alu instid0(SALU_CYCLE_1) | instskip(NEXT) | instid1(VALU_DEP_1)
	v_cndmask_b32_e64 v8, 0, 1, s20
	v_cmp_ne_u32_e32 vcc_lo, 0, v8
	s_cmp_lg_u32 vcc_lo, 0
	s_cselect_b32 s0, -1, 0
	s_delay_alu instid0(SALU_CYCLE_1) | instskip(NEXT) | instid1(SALU_CYCLE_1)
	s_and_b32 s0, s2, s0
	s_and_saveexec_b32 s19, s0
	s_cbranch_execz .LBB59_422
; %bb.419:                              ;   in Loop: Header=BB59_416 Depth=1
	s_mov_b32 s23, exec_lo
	s_bcnt1_i32_b32 s21, vcc_lo
	v_mbcnt_lo_u32_b32 v8, s23, 0
	s_mov_b32 s22, exec_lo
                                        ; implicit-def: $vgpr11
	s_delay_alu instid0(VALU_DEP_1)
	v_cmpx_eq_u32_e32 0, v8
	s_cbranch_execz .LBB59_421
; %bb.420:                              ;   in Loop: Header=BB59_416 Depth=1
	s_bcnt1_i32_b32 s0, s23
	s_delay_alu instid0(SALU_CYCLE_1)
	s_mul_i32 s0, s21, s0
	s_waitcnt lgkmcnt(0)
	v_mov_b32_e32 v11, s0
	ds_add_rtn_u32 v11, v4, v11 offset:4108
.LBB59_421:                             ;   in Loop: Header=BB59_416 Depth=1
	s_or_b32 exec_lo, exec_lo, s22
	s_waitcnt lgkmcnt(0)
	v_readfirstlane_b32 s0, v11
	s_delay_alu instid0(VALU_DEP_1)
	v_mad_u32_u24 v11, s21, v8, s0
.LBB59_422:                             ;   in Loop: Header=BB59_416 Depth=1
	s_or_b32 exec_lo, exec_lo, s19
	s_waitcnt lgkmcnt(0)
	ds_bpermute_b32 v11, v4, v11
	s_mov_b32 s0, -1
	s_mov_b32 s22, -1
                                        ; implicit-def: $sgpr21
	s_and_saveexec_b32 s19, s20
	s_cbranch_execz .LBB59_426
; %bb.423:                              ;   in Loop: Header=BB59_416 Depth=1
	v_and_b32_e32 v8, vcc_lo, v14
	s_mov_b32 s20, 0
	s_mov_b32 s21, exec_lo
	s_waitcnt lgkmcnt(0)
	s_delay_alu instid0(VALU_DEP_1) | instskip(NEXT) | instid1(VALU_DEP_1)
	v_bcnt_u32_b32 v8, v8, v11
	v_cmpx_gt_u32_e64 s37, v8
	s_cbranch_execz .LBB59_425
; %bb.424:                              ;   in Loop: Header=BB59_416 Depth=1
	v_mul_lo_u32 v15, v8, s12
	v_mov_b32_e32 v16, v4
	v_mul_lo_u32 v17, v8, s1
	v_mov_b32_e32 v18, v4
	v_mov_b32_e32 v8, v4
	s_mov_b32 s20, exec_lo
	v_lshlrev_b64 v[15:16], 1, v[15:16]
	s_delay_alu instid0(VALU_DEP_3) | instskip(NEXT) | instid1(VALU_DEP_2)
	v_lshlrev_b64 v[17:18], 3, v[17:18]
	v_add_co_u32 v15, vcc_lo, s6, v15
	s_delay_alu instid0(VALU_DEP_3) | instskip(NEXT) | instid1(VALU_DEP_3)
	v_add_co_ci_u32_e32 v16, vcc_lo, s13, v16, vcc_lo
	v_add_co_u32 v17, vcc_lo, s14, v17
	s_delay_alu instid0(VALU_DEP_4)
	v_add_co_ci_u32_e32 v18, vcc_lo, s15, v18, vcc_lo
	global_store_b16 v[15:16], v1, off
	global_store_b64 v[17:18], v[7:8], off
.LBB59_425:                             ;   in Loop: Header=BB59_416 Depth=1
	s_or_b32 exec_lo, exec_lo, s21
	s_mov_b32 s21, -1
	s_or_not1_b32 s22, s20, exec_lo
.LBB59_426:                             ;   in Loop: Header=BB59_416 Depth=1
	s_or_b32 exec_lo, exec_lo, s19
	s_and_saveexec_b32 s19, s22
	s_cbranch_execz .LBB59_415
; %bb.427:                              ;   in Loop: Header=BB59_416 Depth=1
	v_cmp_le_u32_e32 vcc_lo, s5, v10
	v_add_nc_u32_e32 v3, s48, v3
	s_and_not1_b32 s21, s21, exec_lo
	s_or_not1_b32 s0, vcc_lo, exec_lo
	s_branch .LBB59_415
.LBB59_428:
	s_or_b32 exec_lo, exec_lo, s16
	s_delay_alu instid0(SALU_CYCLE_1)
	s_mov_b32 s16, exec_lo
	s_or_not1_b32 s0, s18, exec_lo
.LBB59_429:
	s_or_b32 exec_lo, exec_lo, s17
	s_and_saveexec_b32 s3, s0
	s_cbranch_execz .LBB59_452
; %bb.430:
	v_mov_b32_e32 v3, 0
	s_waitcnt vmcnt(0)
	v_mov_b32_e32 v1, 0
	s_waitcnt lgkmcnt(0)
	s_waitcnt_vscnt null, 0x0
	s_barrier
	buffer_gl0_inv
	s_and_saveexec_b32 s0, s4
	s_cbranch_execz .LBB59_432
; %bb.431:
	global_load_u16 v1, v[5:6], off
.LBB59_432:
	s_or_b32 exec_lo, exec_lo, s0
	s_mov_b32 s7, 0
                                        ; implicit-def: $sgpr4
                                        ; implicit-def: $sgpr17
                                        ; implicit-def: $sgpr18
                                        ; implicit-def: $vgpr4
	s_branch .LBB59_435
.LBB59_433:                             ;   in Loop: Header=BB59_435 Depth=1
	s_or_b32 exec_lo, exec_lo, s21
	v_mov_b32_e32 v0, v5
	s_and_not1_b32 s0, s18, exec_lo
	s_and_b32 s18, s23, exec_lo
	s_and_not1_b32 s17, s17, exec_lo
	s_and_b32 s20, s20, exec_lo
	s_or_b32 s18, s0, s18
	s_or_b32 s17, s17, s20
.LBB59_434:                             ;   in Loop: Header=BB59_435 Depth=1
	s_or_b32 exec_lo, exec_lo, s19
	s_xor_b32 s0, s18, -1
	s_and_b32 s19, exec_lo, s17
	s_delay_alu instid0(SALU_CYCLE_1) | instskip(SKIP_2) | instid1(SALU_CYCLE_1)
	s_or_b32 s7, s19, s7
	s_and_not1_b32 s4, s4, exec_lo
	s_and_b32 s0, s0, exec_lo
	s_or_b32 s4, s4, s0
	s_and_not1_b32 exec_lo, exec_lo, s7
	s_cbranch_execz .LBB59_450
.LBB59_435:                             ; =>This Inner Loop Header: Depth=1
	s_or_b32 s18, s18, exec_lo
	s_or_b32 s17, s17, exec_lo
	s_mov_b32 s19, exec_lo
	v_cmpx_gt_u32_e64 s5, v0
	s_cbranch_execz .LBB59_434
; %bb.436:                              ;   in Loop: Header=BB59_435 Depth=1
	v_dual_mov_b32 v6, 0 :: v_dual_add_nc_u32 v5, s46, v0
	s_mov_b32 s0, exec_lo
	s_delay_alu instid0(VALU_DEP_1)
	v_cmpx_gt_u32_e64 s36, v5
	s_cbranch_execz .LBB59_438
; %bb.437:                              ;   in Loop: Header=BB59_435 Depth=1
	v_lshlrev_b64 v[6:7], 1, v[2:3]
	s_delay_alu instid0(VALU_DEP_1) | instskip(NEXT) | instid1(VALU_DEP_2)
	v_add_co_u32 v6, vcc_lo, s33, v6
	v_add_co_ci_u32_e32 v7, vcc_lo, s35, v7, vcc_lo
	global_load_u16 v6, v[6:7], off
.LBB59_438:                             ;   in Loop: Header=BB59_435 Depth=1
	s_or_b32 exec_lo, exec_lo, s0
	v_cmp_gt_u32_e32 vcc_lo, s36, v0
	s_waitcnt vmcnt(0)
	v_cmp_eq_u16_e64 s0, v1, v30
	s_delay_alu instid0(VALU_DEP_1) | instskip(NEXT) | instid1(SALU_CYCLE_1)
	s_and_b32 s21, vcc_lo, s0
	v_cndmask_b32_e64 v7, 0, 1, s21
	s_delay_alu instid0(VALU_DEP_1) | instskip(SKIP_2) | instid1(SALU_CYCLE_1)
	v_cmp_ne_u32_e32 vcc_lo, 0, v7
	s_cmp_lg_u32 vcc_lo, 0
	s_cselect_b32 s0, -1, 0
	s_and_b32 s0, s2, s0
	s_delay_alu instid0(SALU_CYCLE_1)
	s_and_saveexec_b32 s20, s0
	s_cbranch_execz .LBB59_442
; %bb.439:                              ;   in Loop: Header=BB59_435 Depth=1
	s_mov_b32 s24, exec_lo
	s_bcnt1_i32_b32 s22, vcc_lo
	v_mbcnt_lo_u32_b32 v4, s24, 0
	s_mov_b32 s23, exec_lo
                                        ; implicit-def: $vgpr7
	s_delay_alu instid0(VALU_DEP_1)
	v_cmpx_eq_u32_e32 0, v4
	s_cbranch_execz .LBB59_441
; %bb.440:                              ;   in Loop: Header=BB59_435 Depth=1
	s_bcnt1_i32_b32 s0, s24
	s_delay_alu instid0(SALU_CYCLE_1) | instskip(NEXT) | instid1(SALU_CYCLE_1)
	s_mul_i32 s0, s22, s0
	v_mov_b32_e32 v7, s0
	ds_add_rtn_u32 v7, v3, v7 offset:4108
.LBB59_441:                             ;   in Loop: Header=BB59_435 Depth=1
	s_or_b32 exec_lo, exec_lo, s23
	s_waitcnt lgkmcnt(0)
	v_readfirstlane_b32 s0, v7
	s_delay_alu instid0(VALU_DEP_1)
	v_mad_u32_u24 v4, s22, v4, s0
.LBB59_442:                             ;   in Loop: Header=BB59_435 Depth=1
	s_or_b32 exec_lo, exec_lo, s20
	ds_bpermute_b32 v4, v3, v4
	s_cmp_eq_u32 vcc_lo, 0
	s_mov_b32 s20, -1
	s_cselect_b32 s22, -1, 0
	s_mov_b32 s23, -1
	s_waitcnt lgkmcnt(0)
	v_cmp_gt_u32_e64 s0, s37, v4
	s_delay_alu instid0(VALU_DEP_1) | instskip(SKIP_3) | instid1(SALU_CYCLE_1)
	s_or_b32 s0, s22, s0
	s_mov_b32 s22, -1
	v_cndmask_b32_e64 v1, v1, v6, s0
	s_and_b32 s24, s21, s0
	s_and_saveexec_b32 s21, s24
	s_cbranch_execz .LBB59_448
; %bb.443:                              ;   in Loop: Header=BB59_435 Depth=1
	v_and_b32_e32 v1, vcc_lo, v14
	v_sub_nc_u32_e32 v7, s37, v4
	s_mov_b32 s24, -1
	s_mov_b32 s23, exec_lo
	s_delay_alu instid0(VALU_DEP_2) | instskip(NEXT) | instid1(VALU_DEP_1)
	v_bcnt_u32_b32 v1, v1, 0
	v_cmp_le_u32_e64 s22, v7, v1
	v_cmpx_gt_u32_e64 v7, v1
	s_cbranch_execz .LBB59_447
; %bb.444:                              ;   in Loop: Header=BB59_435 Depth=1
	v_add_nc_u32_e32 v1, v4, v1
	s_delay_alu instid0(VALU_DEP_3) | instskip(SKIP_1) | instid1(VALU_DEP_1)
	s_mov_b32 s25, s22
	s_mov_b32 s24, exec_lo
	v_cmpx_gt_u32_e64 s37, v1
	s_cbranch_execz .LBB59_446
; %bb.445:                              ;   in Loop: Header=BB59_435 Depth=1
	v_mul_lo_u32 v7, v1, s12
	v_mov_b32_e32 v8, v3
	v_mul_lo_u32 v9, v1, s1
	v_mov_b32_e32 v10, v3
	v_mov_b32_e32 v1, v3
	s_or_b32 s25, s22, exec_lo
	v_lshlrev_b64 v[7:8], 1, v[7:8]
	s_delay_alu instid0(VALU_DEP_3) | instskip(NEXT) | instid1(VALU_DEP_2)
	v_lshlrev_b64 v[9:10], 3, v[9:10]
	v_add_co_u32 v7, vcc_lo, s6, v7
	s_delay_alu instid0(VALU_DEP_3) | instskip(NEXT) | instid1(VALU_DEP_3)
	v_add_co_ci_u32_e32 v8, vcc_lo, s13, v8, vcc_lo
	v_add_co_u32 v9, vcc_lo, s14, v9
	s_delay_alu instid0(VALU_DEP_4)
	v_add_co_ci_u32_e32 v10, vcc_lo, s15, v10, vcc_lo
	global_store_b16 v[7:8], v30, off
	global_store_b64 v[9:10], v[0:1], off
.LBB59_446:                             ;   in Loop: Header=BB59_435 Depth=1
	s_or_b32 exec_lo, exec_lo, s24
	s_delay_alu instid0(SALU_CYCLE_1)
	s_and_not1_b32 s22, s22, exec_lo
	s_and_b32 s25, s25, exec_lo
	s_xor_b32 s24, exec_lo, -1
	s_or_b32 s22, s22, s25
.LBB59_447:                             ;   in Loop: Header=BB59_435 Depth=1
	s_or_b32 exec_lo, exec_lo, s23
	v_mov_b32_e32 v1, v6
	s_or_not1_b32 s23, s24, exec_lo
	s_or_b32 s0, s0, exec_lo
	s_or_not1_b32 s22, s22, exec_lo
.LBB59_448:                             ;   in Loop: Header=BB59_435 Depth=1
	s_or_b32 exec_lo, exec_lo, s21
	s_and_saveexec_b32 s21, s22
	s_cbranch_execz .LBB59_433
; %bb.449:                              ;   in Loop: Header=BB59_435 Depth=1
	v_add_nc_u32_e32 v2, s48, v2
	s_xor_b32 s0, s0, -1
	s_or_b32 s23, s23, exec_lo
	s_or_not1_b32 s20, s0, exec_lo
	s_branch .LBB59_433
.LBB59_450:
	s_or_b32 exec_lo, exec_lo, s7
	s_mov_b32 s0, 0
	s_and_saveexec_b32 s1, s4
	s_delay_alu instid0(SALU_CYCLE_1)
	s_xor_b32 s1, exec_lo, s1
	s_cbranch_execnz .LBB59_482
.LBB59_451:
	s_or_b32 exec_lo, exec_lo, s1
	s_delay_alu instid0(SALU_CYCLE_1)
	s_and_b32 s7, s0, exec_lo
	s_and_not1_b32 s16, s16, exec_lo
.LBB59_452:
	s_or_b32 exec_lo, exec_lo, s3
	s_and_saveexec_b32 s0, s16
	s_delay_alu instid0(SALU_CYCLE_1)
	s_xor_b32 s0, exec_lo, s0
	s_cbranch_execnz .LBB59_478
.LBB59_453:
	s_or_b32 exec_lo, exec_lo, s0
	s_waitcnt lgkmcnt(0)
	s_and_b32 s12, s7, exec_lo
.LBB59_454:
	s_and_not1_saveexec_b32 s0, s11
	s_cbranch_execnz .LBB59_474
.LBB59_455:
	s_or_b32 exec_lo, exec_lo, s0
	s_delay_alu instid0(SALU_CYCLE_1)
	s_and_b32 s11, s12, exec_lo
.LBB59_456:
	s_and_not1_saveexec_b32 s0, s10
	s_cbranch_execnz .LBB59_470
.LBB59_457:
	s_or_b32 exec_lo, exec_lo, s0
	s_delay_alu instid0(SALU_CYCLE_1)
	s_and_b32 s10, s11, exec_lo
.LBB59_458:
	s_and_not1_saveexec_b32 s0, s9
	s_cbranch_execnz .LBB59_466
.LBB59_459:
	s_or_b32 exec_lo, exec_lo, s0
	s_delay_alu instid0(SALU_CYCLE_1)
	s_and_b32 s9, s10, exec_lo
.LBB59_460:
	s_and_not1_saveexec_b32 s0, s8
	s_cbranch_execnz .LBB59_464
; %bb.461:
	s_or_b32 exec_lo, exec_lo, s0
	s_and_saveexec_b32 s0, s9
.LBB59_462:
	; divergent unreachable
.LBB59_463:
	s_nop 0
	s_sendmsg sendmsg(MSG_DEALLOC_VGPRS)
	s_endpgm
.LBB59_464:
	s_cbranch_execnz .LBB59_468
; %bb.465:
	s_or_b32 s9, s9, exec_lo
	s_or_b32 exec_lo, exec_lo, s0
	s_and_saveexec_b32 s0, s9
	s_cbranch_execnz .LBB59_462
	s_branch .LBB59_463
.LBB59_466:
	s_cbranch_execnz .LBB59_472
; %bb.467:
	s_or_b32 s10, s10, exec_lo
	s_branch .LBB59_459
.LBB59_468:
	s_trap 2
	s_sendmsg_rtn_b32 s0, sendmsg(MSG_RTN_GET_DOORBELL)
	s_mov_b32 ttmp2, m0
	s_waitcnt lgkmcnt(0)
	s_and_b32 s0, s0, 0x3ff
	s_delay_alu instid0(SALU_CYCLE_1) | instskip(NEXT) | instid1(SALU_CYCLE_1)
	s_bitset1_b32 s0, 10
	s_mov_b32 m0, s0
	s_sendmsg sendmsg(MSG_INTERRUPT)
	s_mov_b32 m0, ttmp2
.LBB59_469:                             ; =>This Inner Loop Header: Depth=1
	s_sethalt 5
	s_branch .LBB59_469
.LBB59_470:
	s_cbranch_execnz .LBB59_476
; %bb.471:
	s_or_b32 s11, s11, exec_lo
	s_branch .LBB59_457
.LBB59_472:
	s_trap 2
	s_sendmsg_rtn_b32 s0, sendmsg(MSG_RTN_GET_DOORBELL)
	s_mov_b32 ttmp2, m0
	s_waitcnt lgkmcnt(0)
	s_and_b32 s0, s0, 0x3ff
	s_delay_alu instid0(SALU_CYCLE_1) | instskip(NEXT) | instid1(SALU_CYCLE_1)
	s_bitset1_b32 s0, 10
	s_mov_b32 m0, s0
	s_sendmsg sendmsg(MSG_INTERRUPT)
	s_mov_b32 m0, ttmp2
.LBB59_473:                             ; =>This Inner Loop Header: Depth=1
	s_sethalt 5
	s_branch .LBB59_473
.LBB59_474:
	s_cbranch_execnz .LBB59_480
; %bb.475:
	s_or_b32 s12, s12, exec_lo
	s_branch .LBB59_455
.LBB59_476:
	s_trap 2
	s_sendmsg_rtn_b32 s0, sendmsg(MSG_RTN_GET_DOORBELL)
	s_mov_b32 ttmp2, m0
	s_waitcnt lgkmcnt(0)
	s_and_b32 s0, s0, 0x3ff
	s_delay_alu instid0(SALU_CYCLE_1) | instskip(NEXT) | instid1(SALU_CYCLE_1)
	s_bitset1_b32 s0, 10
	s_mov_b32 m0, s0
	s_sendmsg sendmsg(MSG_INTERRUPT)
	s_mov_b32 m0, ttmp2
.LBB59_477:                             ; =>This Inner Loop Header: Depth=1
	s_sethalt 5
	s_branch .LBB59_477
.LBB59_478:
	s_cbranch_execnz .LBB59_484
; %bb.479:
	s_or_b32 s7, s7, exec_lo
	s_branch .LBB59_453
.LBB59_480:
	s_trap 2
	s_sendmsg_rtn_b32 s0, sendmsg(MSG_RTN_GET_DOORBELL)
	s_mov_b32 ttmp2, m0
	s_waitcnt lgkmcnt(0)
	s_and_b32 s0, s0, 0x3ff
	s_delay_alu instid0(SALU_CYCLE_1) | instskip(NEXT) | instid1(SALU_CYCLE_1)
	s_bitset1_b32 s0, 10
	s_mov_b32 m0, s0
	s_sendmsg sendmsg(MSG_INTERRUPT)
	s_mov_b32 m0, ttmp2
.LBB59_481:                             ; =>This Inner Loop Header: Depth=1
	s_sethalt 5
	s_branch .LBB59_481
.LBB59_482:
	s_cbranch_execnz .LBB59_486
; %bb.483:
	s_mov_b32 s0, exec_lo
	s_branch .LBB59_451
.LBB59_484:
	s_trap 2
	s_sendmsg_rtn_b32 s0, sendmsg(MSG_RTN_GET_DOORBELL)
	s_mov_b32 ttmp2, m0
	s_waitcnt lgkmcnt(0)
	s_and_b32 s0, s0, 0x3ff
	s_delay_alu instid0(SALU_CYCLE_1) | instskip(NEXT) | instid1(SALU_CYCLE_1)
	s_bitset1_b32 s0, 10
	s_mov_b32 m0, s0
	s_sendmsg sendmsg(MSG_INTERRUPT)
	s_mov_b32 m0, ttmp2
.LBB59_485:                             ; =>This Inner Loop Header: Depth=1
	s_sethalt 5
	s_branch .LBB59_485
.LBB59_486:
	s_trap 2
	s_sendmsg_rtn_b32 s0, sendmsg(MSG_RTN_GET_DOORBELL)
	s_mov_b32 ttmp2, m0
	s_waitcnt lgkmcnt(0)
	s_and_b32 s0, s0, 0x3ff
	s_delay_alu instid0(SALU_CYCLE_1) | instskip(NEXT) | instid1(SALU_CYCLE_1)
	s_bitset1_b32 s0, 10
	s_mov_b32 m0, s0
	s_sendmsg sendmsg(MSG_INTERRUPT)
	s_mov_b32 m0, ttmp2
.LBB59_487:                             ; =>This Inner Loop Header: Depth=1
	s_sethalt 5
	s_branch .LBB59_487
	.section	.rodata,"a",@progbits
	.p2align	6, 0x0
	.amdhsa_kernel _ZN2at6native6sbtopk10gatherTopKIsjLi2ELb0EEEvNS_4cuda6detail10TensorInfoIKT_T0_EES8_S8_bS8_S8_NS5_IS6_S8_EES8_NS5_IlS8_EES8_PS6_
		.amdhsa_group_segment_fixed_size 4112
		.amdhsa_private_segment_fixed_size 0
		.amdhsa_kernarg_size 952
		.amdhsa_user_sgpr_count 13
		.amdhsa_user_sgpr_dispatch_ptr 0
		.amdhsa_user_sgpr_queue_ptr 0
		.amdhsa_user_sgpr_kernarg_segment_ptr 1
		.amdhsa_user_sgpr_dispatch_id 0
		.amdhsa_user_sgpr_private_segment_size 0
		.amdhsa_wavefront_size32 1
		.amdhsa_uses_dynamic_stack 0
		.amdhsa_enable_private_segment 0
		.amdhsa_system_sgpr_workgroup_id_x 1
		.amdhsa_system_sgpr_workgroup_id_y 1
		.amdhsa_system_sgpr_workgroup_id_z 1
		.amdhsa_system_sgpr_workgroup_info 0
		.amdhsa_system_vgpr_workitem_id 0
		.amdhsa_next_free_vgpr 43
		.amdhsa_next_free_sgpr 96
		.amdhsa_reserve_vcc 1
		.amdhsa_float_round_mode_32 0
		.amdhsa_float_round_mode_16_64 0
		.amdhsa_float_denorm_mode_32 3
		.amdhsa_float_denorm_mode_16_64 3
		.amdhsa_dx10_clamp 1
		.amdhsa_ieee_mode 1
		.amdhsa_fp16_overflow 0
		.amdhsa_workgroup_processor_mode 1
		.amdhsa_memory_ordered 1
		.amdhsa_forward_progress 0
		.amdhsa_shared_vgpr_count 0
		.amdhsa_exception_fp_ieee_invalid_op 0
		.amdhsa_exception_fp_denorm_src 0
		.amdhsa_exception_fp_ieee_div_zero 0
		.amdhsa_exception_fp_ieee_overflow 0
		.amdhsa_exception_fp_ieee_underflow 0
		.amdhsa_exception_fp_ieee_inexact 0
		.amdhsa_exception_int_div_zero 0
	.end_amdhsa_kernel
	.section	.text._ZN2at6native6sbtopk10gatherTopKIsjLi2ELb0EEEvNS_4cuda6detail10TensorInfoIKT_T0_EES8_S8_bS8_S8_NS5_IS6_S8_EES8_NS5_IlS8_EES8_PS6_,"axG",@progbits,_ZN2at6native6sbtopk10gatherTopKIsjLi2ELb0EEEvNS_4cuda6detail10TensorInfoIKT_T0_EES8_S8_bS8_S8_NS5_IS6_S8_EES8_NS5_IlS8_EES8_PS6_,comdat
.Lfunc_end59:
	.size	_ZN2at6native6sbtopk10gatherTopKIsjLi2ELb0EEEvNS_4cuda6detail10TensorInfoIKT_T0_EES8_S8_bS8_S8_NS5_IS6_S8_EES8_NS5_IlS8_EES8_PS6_, .Lfunc_end59-_ZN2at6native6sbtopk10gatherTopKIsjLi2ELb0EEEvNS_4cuda6detail10TensorInfoIKT_T0_EES8_S8_bS8_S8_NS5_IS6_S8_EES8_NS5_IlS8_EES8_PS6_
                                        ; -- End function
	.section	.AMDGPU.csdata,"",@progbits
; Kernel info:
; codeLenInByte = 15932
; NumSgprs: 98
; NumVgprs: 43
; ScratchSize: 0
; MemoryBound: 0
; FloatMode: 240
; IeeeMode: 1
; LDSByteSize: 4112 bytes/workgroup (compile time only)
; SGPRBlocks: 12
; VGPRBlocks: 5
; NumSGPRsForWavesPerEU: 98
; NumVGPRsForWavesPerEU: 43
; Occupancy: 16
; WaveLimiterHint : 1
; COMPUTE_PGM_RSRC2:SCRATCH_EN: 0
; COMPUTE_PGM_RSRC2:USER_SGPR: 13
; COMPUTE_PGM_RSRC2:TRAP_HANDLER: 0
; COMPUTE_PGM_RSRC2:TGID_X_EN: 1
; COMPUTE_PGM_RSRC2:TGID_Y_EN: 1
; COMPUTE_PGM_RSRC2:TGID_Z_EN: 1
; COMPUTE_PGM_RSRC2:TIDIG_COMP_CNT: 0
	.section	.text._ZN2at6native6mbtopk23computeBlockDigitCountsIsjjLi3EEEvNS_4cuda6detail10TensorInfoIKT_T0_EEjPjjS8_iijT1_PSB_Ps,"axG",@progbits,_ZN2at6native6mbtopk23computeBlockDigitCountsIsjjLi3EEEvNS_4cuda6detail10TensorInfoIKT_T0_EEjPjjS8_iijT1_PSB_Ps,comdat
	.protected	_ZN2at6native6mbtopk23computeBlockDigitCountsIsjjLi3EEEvNS_4cuda6detail10TensorInfoIKT_T0_EEjPjjS8_iijT1_PSB_Ps ; -- Begin function _ZN2at6native6mbtopk23computeBlockDigitCountsIsjjLi3EEEvNS_4cuda6detail10TensorInfoIKT_T0_EEjPjjS8_iijT1_PSB_Ps
	.globl	_ZN2at6native6mbtopk23computeBlockDigitCountsIsjjLi3EEEvNS_4cuda6detail10TensorInfoIKT_T0_EEjPjjS8_iijT1_PSB_Ps
	.p2align	8
	.type	_ZN2at6native6mbtopk23computeBlockDigitCountsIsjjLi3EEEvNS_4cuda6detail10TensorInfoIKT_T0_EEjPjjS8_iijT1_PSB_Ps,@function
_ZN2at6native6mbtopk23computeBlockDigitCountsIsjjLi3EEEvNS_4cuda6detail10TensorInfoIKT_T0_EEjPjjS8_iijT1_PSB_Ps: ; @_ZN2at6native6mbtopk23computeBlockDigitCountsIsjjLi3EEEvNS_4cuda6detail10TensorInfoIKT_T0_EEjPjjS8_iijT1_PSB_Ps
; %bb.0:
	s_clause 0x2
	s_load_b64 s[2:3], s[0:1], 0xf8
	s_load_b128 s[8:11], s[0:1], 0xe8
	s_load_b64 s[4:5], s[0:1], 0x110
	s_waitcnt lgkmcnt(0)
	v_cvt_f32_u32_e32 v1, s2
	s_sub_i32 s7, 0, s2
	s_mul_i32 s5, s5, s15
	s_mov_b32 s15, 0
	s_add_i32 s5, s5, s14
	v_rcp_iflag_f32_e32 v1, v1
	s_mul_i32 s18, s5, s4
	s_delay_alu instid0(SALU_CYCLE_1) | instskip(SKIP_2) | instid1(VALU_DEP_1)
	s_add_i32 s18, s18, s13
	s_waitcnt_depctr 0xfff
	v_mul_f32_e32 v1, 0x4f7ffffe, v1
	v_cvt_u32_f32_e32 v1, v1
	s_delay_alu instid0(VALU_DEP_1) | instskip(NEXT) | instid1(VALU_DEP_1)
	v_readfirstlane_b32 s6, v1
	s_mul_i32 s7, s7, s6
	s_delay_alu instid0(SALU_CYCLE_1) | instskip(NEXT) | instid1(SALU_CYCLE_1)
	s_mul_hi_u32 s4, s6, s7
	s_add_i32 s6, s6, s4
	s_delay_alu instid0(SALU_CYCLE_1) | instskip(NEXT) | instid1(SALU_CYCLE_1)
	s_mul_hi_u32 s4, s18, s6
	s_mul_i32 s5, s4, s2
	s_add_i32 s6, s4, 1
	s_sub_i32 s5, s18, s5
	s_delay_alu instid0(SALU_CYCLE_1)
	s_sub_i32 s7, s5, s2
	s_cmp_ge_u32 s5, s2
	s_cselect_b32 s4, s6, s4
	s_cselect_b32 s5, s7, s5
	s_add_i32 s6, s4, 1
	s_cmp_ge_u32 s5, s2
	s_cselect_b32 s14, s6, s4
	s_delay_alu instid0(SALU_CYCLE_1)
	s_cmp_ge_u32 s14, s8
	s_cbranch_scc1 .LBB60_29
; %bb.1:
	s_clause 0x1
	s_load_b64 s[12:13], s[0:1], 0xc
	s_load_b128 s[4:7], s[0:1], 0x100
	s_lshl_b64 s[16:17], s[14:15], 2
	v_cmp_gt_u32_e32 vcc_lo, 0x100, v0
	v_lshlrev_b32_e32 v3, 2, v0
	s_waitcnt lgkmcnt(0)
	v_cvt_f32_u32_e32 v1, s13
	v_cvt_f32_u32_e32 v2, s12
	s_add_u32 s16, s4, s16
	s_addc_u32 s17, s5, s17
	s_sub_i32 s4, 0, s13
	v_rcp_iflag_f32_e32 v1, v1
	v_rcp_iflag_f32_e32 v2, v2
	s_waitcnt_depctr 0xfff
	v_mul_f32_e32 v1, 0x4f7ffffe, v1
	s_delay_alu instid0(VALU_DEP_1) | instskip(NEXT) | instid1(VALU_DEP_1)
	v_cvt_u32_f32_e32 v1, v1
	v_readfirstlane_b32 s8, v1
	v_mul_f32_e32 v1, 0x4f7ffffe, v2
	s_delay_alu instid0(VALU_DEP_2) | instskip(NEXT) | instid1(VALU_DEP_1)
	s_mul_i32 s4, s4, s8
	v_cvt_u32_f32_e32 v1, v1
	s_mul_hi_u32 s4, s8, s4
	s_delay_alu instid0(SALU_CYCLE_1) | instskip(NEXT) | instid1(VALU_DEP_1)
	s_add_i32 s8, s8, s4
	v_readfirstlane_b32 s19, v1
	s_mul_hi_u32 s4, s14, s8
	s_delay_alu instid0(SALU_CYCLE_1) | instskip(SKIP_2) | instid1(SALU_CYCLE_1)
	s_mul_i32 s5, s4, s13
	s_add_i32 s8, s4, 1
	s_sub_i32 s5, s14, s5
	s_sub_i32 s15, s5, s13
	s_cmp_ge_u32 s5, s13
	s_cselect_b32 s4, s8, s4
	s_cselect_b32 s5, s15, s5
	s_add_i32 s8, s4, 1
	s_cmp_ge_u32 s5, s13
	s_cselect_b32 s4, s8, s4
	s_and_saveexec_b32 s5, vcc_lo
	s_cbranch_execz .LBB60_3
; %bb.2:
	v_mov_b32_e32 v1, 0
	ds_store_b32 v3, v1
.LBB60_3:
	s_or_b32 exec_lo, exec_lo, s5
	s_load_b32 s8, s[0:1], 0xd8
	s_mul_i32 s5, s14, s2
	s_waitcnt lgkmcnt(0)
	s_sub_i32 s5, s18, s5
	s_barrier
	s_mul_i32 s15, s11, s5
	s_add_i32 s5, s5, 1
	s_lshl_b32 s15, s15, 8
	buffer_gl0_inv
	s_sub_i32 s20, s8, s15
	s_delay_alu instid0(SALU_CYCLE_1) | instskip(SKIP_4) | instid1(VALU_DEP_1)
	s_add_u32 s20, s20, 0xff
	s_addc_u32 s21, 0, 0
	s_cmp_lt_u32 s5, s2
	v_alignbit_b32 v1, s21, s20, 8
	s_mov_b32 s5, 0
	v_readfirstlane_b32 s20, v1
	s_delay_alu instid0(VALU_DEP_1) | instskip(NEXT) | instid1(SALU_CYCLE_1)
	s_cselect_b32 s11, s11, s20
	s_cmp_lt_i32 s11, 1
	s_cbranch_scc1 .LBB60_25
; %bb.4:
	s_sub_i32 s2, 0, s12
	s_clause 0x1
	s_load_b128 s[20:23], s[0:1], 0x6c
	s_load_b64 s[24:25], s[0:1], 0x0
	s_mul_i32 s2, s2, s19
	s_mul_i32 s13, s4, s13
	s_mul_hi_u32 s2, s19, s2
	s_sub_i32 s13, s14, s13
	s_add_i32 s19, s19, s2
	s_delay_alu instid0(SALU_CYCLE_1) | instskip(NEXT) | instid1(SALU_CYCLE_1)
	s_mul_hi_u32 s2, s4, s19
	s_mul_i32 s19, s2, s12
	s_delay_alu instid0(SALU_CYCLE_1)
	s_sub_i32 s14, s4, s19
	s_add_i32 s19, s2, 1
	s_waitcnt lgkmcnt(0)
	s_sub_i32 s23, s14, s12
	s_cmp_ge_u32 s14, s12
	s_cselect_b32 s0, s19, s2
	s_cselect_b32 s1, s23, s14
	s_add_i32 s2, s0, 1
	s_cmp_ge_u32 s1, s12
	s_load_b32 s1, s[16:17], 0x0
	s_cselect_b32 s0, s2, s0
	s_mul_i32 s13, s13, s22
	s_mul_i32 s2, s0, s12
	;; [unrolled: 1-line block ×3, first 2 shown]
	s_sub_i32 s2, s4, s2
	s_delay_alu instid0(SALU_CYCLE_1) | instskip(NEXT) | instid1(SALU_CYCLE_1)
	s_mul_i32 s2, s2, s21
	s_add_i32 s2, s2, s13
	s_delay_alu instid0(SALU_CYCLE_1) | instskip(NEXT) | instid1(SALU_CYCLE_1)
	s_add_i32 s4, s2, s0
	s_lshl_b64 s[12:13], s[4:5], 1
	s_delay_alu instid0(SALU_CYCLE_1)
	s_add_u32 s2, s24, s12
	s_addc_u32 s4, s25, s13
	s_and_b32 s10, s10, 0xff
	s_cmp_lt_u32 s11, 4
	s_cbranch_scc1 .LBB60_19
; %bb.5:
	v_add_nc_u32_e32 v1, s15, v0
	s_and_b32 s5, s11, 0x7ffffffc
	s_lshl_b32 s12, s9, 10
	s_mov_b32 s13, 0
	s_mov_b32 s14, 0
	v_dual_mov_b32 v9, 1 :: v_dual_add_nc_u32 v2, 0x200, v1
	s_delay_alu instid0(VALU_DEP_1) | instskip(SKIP_4) | instid1(VALU_DEP_3)
	v_mul_lo_u32 v6, s9, v2
	v_mov_b32_e32 v2, 0
	v_add_nc_u32_e32 v4, 0x300, v1
	v_add_nc_u32_e32 v7, 0x100, v1
	v_mul_lo_u32 v8, s9, v1
	v_mul_lo_u32 v5, s9, v4
	s_delay_alu instid0(VALU_DEP_3)
	v_mul_lo_u32 v7, s9, v7
	s_branch .LBB60_7
.LBB60_6:                               ;   in Loop: Header=BB60_7 Depth=1
	s_or_b32 exec_lo, exec_lo, s16
	v_add_nc_u32_e32 v4, 0x400, v4
	s_add_i32 s14, s14, 4
	s_add_i32 s13, s13, s12
	s_cmp_eq_u32 s5, s14
	s_cbranch_scc1 .LBB60_19
.LBB60_7:                               ; =>This Inner Loop Header: Depth=1
	v_add_nc_u32_e32 v1, 0xfffffd00, v4
	s_mov_b32 s16, exec_lo
	s_delay_alu instid0(VALU_DEP_1)
	v_cmpx_gt_u32_e64 s8, v1
	s_cbranch_execz .LBB60_10
; %bb.8:                                ;   in Loop: Header=BB60_7 Depth=1
	v_add_nc_u32_e32 v1, s13, v8
	s_delay_alu instid0(VALU_DEP_1) | instskip(NEXT) | instid1(VALU_DEP_1)
	v_lshlrev_b64 v[10:11], 1, v[1:2]
	v_add_co_u32 v10, s0, s2, v10
	s_delay_alu instid0(VALU_DEP_1) | instskip(SKIP_4) | instid1(VALU_DEP_1)
	v_add_co_ci_u32_e64 v11, s0, s4, v11, s0
	global_load_i16 v1, v[10:11], off
	s_waitcnt vmcnt(0)
	v_add_nc_u32_e32 v1, 0x8000, v1
	s_waitcnt lgkmcnt(0)
	v_xor_b32_e32 v10, s1, v1
	s_delay_alu instid0(VALU_DEP_1) | instskip(NEXT) | instid1(VALU_DEP_1)
	v_and_b32_e32 v10, s3, v10
	v_cmp_eq_u32_e64 s0, 0, v10
	s_delay_alu instid0(VALU_DEP_1)
	s_and_b32 exec_lo, exec_lo, s0
	s_cbranch_execz .LBB60_10
; %bb.9:                                ;   in Loop: Header=BB60_7 Depth=1
	v_bfe_u32 v1, v1, s10, 8
	s_delay_alu instid0(VALU_DEP_1)
	v_lshlrev_b32_e32 v1, 2, v1
	ds_add_u32 v1, v9
.LBB60_10:                              ;   in Loop: Header=BB60_7 Depth=1
	s_or_b32 exec_lo, exec_lo, s16
	v_add_nc_u32_e32 v1, 0xfffffe00, v4
	s_mov_b32 s16, exec_lo
	s_delay_alu instid0(VALU_DEP_1)
	v_cmpx_gt_u32_e64 s8, v1
	s_cbranch_execz .LBB60_13
; %bb.11:                               ;   in Loop: Header=BB60_7 Depth=1
	v_add_nc_u32_e32 v1, s13, v7
	s_delay_alu instid0(VALU_DEP_1) | instskip(NEXT) | instid1(VALU_DEP_1)
	v_lshlrev_b64 v[10:11], 1, v[1:2]
	v_add_co_u32 v10, s0, s2, v10
	s_delay_alu instid0(VALU_DEP_1) | instskip(SKIP_4) | instid1(VALU_DEP_1)
	v_add_co_ci_u32_e64 v11, s0, s4, v11, s0
	global_load_i16 v1, v[10:11], off
	s_waitcnt vmcnt(0)
	v_add_nc_u32_e32 v1, 0x8000, v1
	s_waitcnt lgkmcnt(0)
	v_xor_b32_e32 v10, s1, v1
	s_delay_alu instid0(VALU_DEP_1) | instskip(NEXT) | instid1(VALU_DEP_1)
	v_and_b32_e32 v10, s3, v10
	v_cmp_eq_u32_e64 s0, 0, v10
	s_delay_alu instid0(VALU_DEP_1)
	s_and_b32 exec_lo, exec_lo, s0
	s_cbranch_execz .LBB60_13
; %bb.12:                               ;   in Loop: Header=BB60_7 Depth=1
	v_bfe_u32 v1, v1, s10, 8
	s_delay_alu instid0(VALU_DEP_1)
	v_lshlrev_b32_e32 v1, 2, v1
	ds_add_u32 v1, v9
.LBB60_13:                              ;   in Loop: Header=BB60_7 Depth=1
	s_or_b32 exec_lo, exec_lo, s16
	v_add_nc_u32_e32 v1, 0xffffff00, v4
	s_mov_b32 s16, exec_lo
	s_delay_alu instid0(VALU_DEP_1)
	v_cmpx_gt_u32_e64 s8, v1
	s_cbranch_execz .LBB60_16
; %bb.14:                               ;   in Loop: Header=BB60_7 Depth=1
	v_add_nc_u32_e32 v1, s13, v6
	s_delay_alu instid0(VALU_DEP_1) | instskip(NEXT) | instid1(VALU_DEP_1)
	v_lshlrev_b64 v[10:11], 1, v[1:2]
	v_add_co_u32 v10, s0, s2, v10
	s_delay_alu instid0(VALU_DEP_1) | instskip(SKIP_4) | instid1(VALU_DEP_1)
	v_add_co_ci_u32_e64 v11, s0, s4, v11, s0
	global_load_i16 v1, v[10:11], off
	s_waitcnt vmcnt(0)
	v_add_nc_u32_e32 v1, 0x8000, v1
	s_waitcnt lgkmcnt(0)
	v_xor_b32_e32 v10, s1, v1
	s_delay_alu instid0(VALU_DEP_1) | instskip(NEXT) | instid1(VALU_DEP_1)
	v_and_b32_e32 v10, s3, v10
	v_cmp_eq_u32_e64 s0, 0, v10
	s_delay_alu instid0(VALU_DEP_1)
	s_and_b32 exec_lo, exec_lo, s0
	s_cbranch_execz .LBB60_16
; %bb.15:                               ;   in Loop: Header=BB60_7 Depth=1
	v_bfe_u32 v1, v1, s10, 8
	s_delay_alu instid0(VALU_DEP_1)
	v_lshlrev_b32_e32 v1, 2, v1
	ds_add_u32 v1, v9
.LBB60_16:                              ;   in Loop: Header=BB60_7 Depth=1
	s_or_b32 exec_lo, exec_lo, s16
	s_delay_alu instid0(SALU_CYCLE_1)
	s_mov_b32 s16, exec_lo
	v_cmpx_gt_u32_e64 s8, v4
	s_cbranch_execz .LBB60_6
; %bb.17:                               ;   in Loop: Header=BB60_7 Depth=1
	v_add_nc_u32_e32 v1, s13, v5
	s_delay_alu instid0(VALU_DEP_1) | instskip(NEXT) | instid1(VALU_DEP_1)
	v_lshlrev_b64 v[10:11], 1, v[1:2]
	v_add_co_u32 v10, s0, s2, v10
	s_delay_alu instid0(VALU_DEP_1) | instskip(SKIP_4) | instid1(VALU_DEP_1)
	v_add_co_ci_u32_e64 v11, s0, s4, v11, s0
	global_load_i16 v1, v[10:11], off
	s_waitcnt vmcnt(0)
	v_add_nc_u32_e32 v1, 0x8000, v1
	s_waitcnt lgkmcnt(0)
	v_xor_b32_e32 v10, s1, v1
	s_delay_alu instid0(VALU_DEP_1) | instskip(NEXT) | instid1(VALU_DEP_1)
	v_and_b32_e32 v10, s3, v10
	v_cmp_eq_u32_e64 s0, 0, v10
	s_delay_alu instid0(VALU_DEP_1)
	s_and_b32 exec_lo, exec_lo, s0
	s_cbranch_execz .LBB60_6
; %bb.18:                               ;   in Loop: Header=BB60_7 Depth=1
	v_bfe_u32 v1, v1, s10, 8
	s_delay_alu instid0(VALU_DEP_1)
	v_lshlrev_b32_e32 v1, 2, v1
	ds_add_u32 v1, v9
	s_branch .LBB60_6
.LBB60_19:
	s_and_b32 s11, s11, 3
	s_delay_alu instid0(SALU_CYCLE_1)
	s_cmp_eq_u32 s11, 0
	s_cbranch_scc1 .LBB60_25
; %bb.20:
	s_lshl_b32 s0, s5, 8
	v_dual_mov_b32 v2, 0 :: v_dual_mov_b32 v5, 1
	v_add3_u32 v4, s0, s15, v0
	s_lshl_b32 s5, s9, 8
	s_delay_alu instid0(VALU_DEP_1)
	v_mul_lo_u32 v1, s9, v4
	s_set_inst_prefetch_distance 0x1
	s_branch .LBB60_22
	.p2align	6
.LBB60_21:                              ;   in Loop: Header=BB60_22 Depth=1
	s_or_b32 exec_lo, exec_lo, s9
	s_delay_alu instid0(VALU_DEP_2) | instskip(SKIP_2) | instid1(SALU_CYCLE_1)
	v_add_nc_u32_e32 v1, s5, v1
	v_add_nc_u32_e32 v4, 0x100, v4
	s_add_i32 s11, s11, -1
	s_cmp_lg_u32 s11, 0
	s_cbranch_scc0 .LBB60_25
.LBB60_22:                              ; =>This Inner Loop Header: Depth=1
	s_mov_b32 s9, exec_lo
	v_cmpx_gt_u32_e64 s8, v4
	s_cbranch_execz .LBB60_21
; %bb.23:                               ;   in Loop: Header=BB60_22 Depth=1
	s_delay_alu instid0(VALU_DEP_2) | instskip(NEXT) | instid1(VALU_DEP_1)
	v_lshlrev_b64 v[6:7], 1, v[1:2]
	v_add_co_u32 v6, s0, s2, v6
	s_delay_alu instid0(VALU_DEP_1) | instskip(SKIP_4) | instid1(VALU_DEP_1)
	v_add_co_ci_u32_e64 v7, s0, s4, v7, s0
	global_load_i16 v6, v[6:7], off
	s_waitcnt vmcnt(0)
	v_add_nc_u32_e32 v6, 0x8000, v6
	s_waitcnt lgkmcnt(0)
	v_xor_b32_e32 v7, s1, v6
	s_delay_alu instid0(VALU_DEP_1) | instskip(NEXT) | instid1(VALU_DEP_1)
	v_and_b32_e32 v7, s3, v7
	v_cmp_eq_u32_e64 s0, 0, v7
	s_delay_alu instid0(VALU_DEP_1)
	s_and_b32 exec_lo, exec_lo, s0
	s_cbranch_execz .LBB60_21
; %bb.24:                               ;   in Loop: Header=BB60_22 Depth=1
	v_bfe_u32 v6, v6, s10, 8
	s_delay_alu instid0(VALU_DEP_1)
	v_lshlrev_b32_e32 v6, 2, v6
	ds_add_u32 v6, v5
	s_branch .LBB60_21
.LBB60_25:
	s_set_inst_prefetch_distance 0x2
	v_mov_b32_e32 v1, 0
	s_waitcnt lgkmcnt(0)
	s_barrier
	buffer_gl0_inv
	s_and_saveexec_b32 s0, vcc_lo
	s_cbranch_execz .LBB60_27
; %bb.26:
	ds_load_b32 v1, v3
.LBB60_27:
	s_or_b32 exec_lo, exec_lo, s0
	s_and_saveexec_b32 s0, vcc_lo
	s_cbranch_execz .LBB60_29
; %bb.28:
	v_lshl_or_b32 v2, s18, 8, v0
	v_mov_b32_e32 v3, 0
	s_delay_alu instid0(VALU_DEP_1) | instskip(NEXT) | instid1(VALU_DEP_1)
	v_lshlrev_b64 v[2:3], 1, v[2:3]
	v_add_co_u32 v2, vcc_lo, s6, v2
	s_delay_alu instid0(VALU_DEP_2)
	v_add_co_ci_u32_e32 v3, vcc_lo, s7, v3, vcc_lo
	s_waitcnt lgkmcnt(0)
	global_store_b16 v[2:3], v1, off
.LBB60_29:
	s_nop 0
	s_sendmsg sendmsg(MSG_DEALLOC_VGPRS)
	s_endpgm
	.section	.rodata,"a",@progbits
	.p2align	6, 0x0
	.amdhsa_kernel _ZN2at6native6mbtopk23computeBlockDigitCountsIsjjLi3EEEvNS_4cuda6detail10TensorInfoIKT_T0_EEjPjjS8_iijT1_PSB_Ps
		.amdhsa_group_segment_fixed_size 1024
		.amdhsa_private_segment_fixed_size 0
		.amdhsa_kernarg_size 528
		.amdhsa_user_sgpr_count 13
		.amdhsa_user_sgpr_dispatch_ptr 0
		.amdhsa_user_sgpr_queue_ptr 0
		.amdhsa_user_sgpr_kernarg_segment_ptr 1
		.amdhsa_user_sgpr_dispatch_id 0
		.amdhsa_user_sgpr_private_segment_size 0
		.amdhsa_wavefront_size32 1
		.amdhsa_uses_dynamic_stack 0
		.amdhsa_enable_private_segment 0
		.amdhsa_system_sgpr_workgroup_id_x 1
		.amdhsa_system_sgpr_workgroup_id_y 1
		.amdhsa_system_sgpr_workgroup_id_z 1
		.amdhsa_system_sgpr_workgroup_info 0
		.amdhsa_system_vgpr_workitem_id 0
		.amdhsa_next_free_vgpr 12
		.amdhsa_next_free_sgpr 26
		.amdhsa_reserve_vcc 1
		.amdhsa_float_round_mode_32 0
		.amdhsa_float_round_mode_16_64 0
		.amdhsa_float_denorm_mode_32 3
		.amdhsa_float_denorm_mode_16_64 3
		.amdhsa_dx10_clamp 1
		.amdhsa_ieee_mode 1
		.amdhsa_fp16_overflow 0
		.amdhsa_workgroup_processor_mode 1
		.amdhsa_memory_ordered 1
		.amdhsa_forward_progress 0
		.amdhsa_shared_vgpr_count 0
		.amdhsa_exception_fp_ieee_invalid_op 0
		.amdhsa_exception_fp_denorm_src 0
		.amdhsa_exception_fp_ieee_div_zero 0
		.amdhsa_exception_fp_ieee_overflow 0
		.amdhsa_exception_fp_ieee_underflow 0
		.amdhsa_exception_fp_ieee_inexact 0
		.amdhsa_exception_int_div_zero 0
	.end_amdhsa_kernel
	.section	.text._ZN2at6native6mbtopk23computeBlockDigitCountsIsjjLi3EEEvNS_4cuda6detail10TensorInfoIKT_T0_EEjPjjS8_iijT1_PSB_Ps,"axG",@progbits,_ZN2at6native6mbtopk23computeBlockDigitCountsIsjjLi3EEEvNS_4cuda6detail10TensorInfoIKT_T0_EEjPjjS8_iijT1_PSB_Ps,comdat
.Lfunc_end60:
	.size	_ZN2at6native6mbtopk23computeBlockDigitCountsIsjjLi3EEEvNS_4cuda6detail10TensorInfoIKT_T0_EEjPjjS8_iijT1_PSB_Ps, .Lfunc_end60-_ZN2at6native6mbtopk23computeBlockDigitCountsIsjjLi3EEEvNS_4cuda6detail10TensorInfoIKT_T0_EEjPjjS8_iijT1_PSB_Ps
                                        ; -- End function
	.section	.AMDGPU.csdata,"",@progbits
; Kernel info:
; codeLenInByte = 1700
; NumSgprs: 28
; NumVgprs: 12
; ScratchSize: 0
; MemoryBound: 0
; FloatMode: 240
; IeeeMode: 1
; LDSByteSize: 1024 bytes/workgroup (compile time only)
; SGPRBlocks: 3
; VGPRBlocks: 1
; NumSGPRsForWavesPerEU: 28
; NumVGPRsForWavesPerEU: 12
; Occupancy: 16
; WaveLimiterHint : 1
; COMPUTE_PGM_RSRC2:SCRATCH_EN: 0
; COMPUTE_PGM_RSRC2:USER_SGPR: 13
; COMPUTE_PGM_RSRC2:TRAP_HANDLER: 0
; COMPUTE_PGM_RSRC2:TGID_X_EN: 1
; COMPUTE_PGM_RSRC2:TGID_Y_EN: 1
; COMPUTE_PGM_RSRC2:TGID_Z_EN: 1
; COMPUTE_PGM_RSRC2:TIDIG_COMP_CNT: 0
	.section	.text._ZN2at6native6mbtopk10gatherTopKIsjLi3EEEvNS_4cuda6detail10TensorInfoIKT_T0_EES8_S8_bjS8_NS5_IS6_S8_EES8_NS5_IlS8_EES8_jjPS6_PjSD_j,"axG",@progbits,_ZN2at6native6mbtopk10gatherTopKIsjLi3EEEvNS_4cuda6detail10TensorInfoIKT_T0_EES8_S8_bjS8_NS5_IS6_S8_EES8_NS5_IlS8_EES8_jjPS6_PjSD_j,comdat
	.protected	_ZN2at6native6mbtopk10gatherTopKIsjLi3EEEvNS_4cuda6detail10TensorInfoIKT_T0_EES8_S8_bjS8_NS5_IS6_S8_EES8_NS5_IlS8_EES8_jjPS6_PjSD_j ; -- Begin function _ZN2at6native6mbtopk10gatherTopKIsjLi3EEEvNS_4cuda6detail10TensorInfoIKT_T0_EES8_S8_bjS8_NS5_IS6_S8_EES8_NS5_IlS8_EES8_jjPS6_PjSD_j
	.globl	_ZN2at6native6mbtopk10gatherTopKIsjLi3EEEvNS_4cuda6detail10TensorInfoIKT_T0_EES8_S8_bjS8_NS5_IS6_S8_EES8_NS5_IlS8_EES8_jjPS6_PjSD_j
	.p2align	8
	.type	_ZN2at6native6mbtopk10gatherTopKIsjLi3EEEvNS_4cuda6detail10TensorInfoIKT_T0_EES8_S8_bjS8_NS5_IS6_S8_EES8_NS5_IlS8_EES8_jjPS6_PjSD_j,@function
_ZN2at6native6mbtopk10gatherTopKIsjLi3EEEvNS_4cuda6detail10TensorInfoIKT_T0_EES8_S8_bjS8_NS5_IS6_S8_EES8_NS5_IlS8_EES8_jjPS6_PjSD_j: ; @_ZN2at6native6mbtopk10gatherTopKIsjLi3EEEvNS_4cuda6detail10TensorInfoIKT_T0_EES8_S8_bjS8_NS5_IS6_S8_EES8_NS5_IlS8_EES8_jjPS6_PjSD_j
; %bb.0:
	s_clause 0x1
	s_load_b64 s[2:3], s[0:1], 0x2d8
	s_load_b32 s4, s[0:1], 0x2d0
	s_waitcnt lgkmcnt(0)
	s_mul_i32 s3, s3, s15
	s_delay_alu instid0(SALU_CYCLE_1) | instskip(NEXT) | instid1(SALU_CYCLE_1)
	s_add_i32 s3, s3, s14
	s_mul_i32 s2, s3, s2
	s_delay_alu instid0(SALU_CYCLE_1) | instskip(NEXT) | instid1(SALU_CYCLE_1)
	s_add_i32 s2, s2, s13
	s_cmp_ge_u32 s2, s4
	s_cbranch_scc1 .LBB61_40
; %bb.1:
	s_clause 0x3
	s_load_b256 s[4:11], s[0:1], 0x2a8
	s_load_b64 s[36:37], s[0:1], 0xc
	s_load_b64 s[34:35], s[0:1], 0xfc
	;; [unrolled: 1-line block ×3, first 2 shown]
	s_mov_b32 s39, 0
	s_load_b64 s[28:29], s[0:1], 0x1d0
	s_waitcnt lgkmcnt(0)
	v_cvt_f32_u32_e32 v1, s6
	v_cvt_f32_u32_e32 v2, s37
	s_sub_i32 s3, 0, s6
	v_cvt_f32_u32_e32 v3, s36
	v_cvt_f32_u32_e32 v4, s35
	v_rcp_iflag_f32_e32 v1, v1
	v_rcp_iflag_f32_e32 v2, v2
	v_cvt_f32_u32_e32 v5, s34
	v_rcp_iflag_f32_e32 v3, v3
	v_rcp_iflag_f32_e32 v4, v4
	v_cvt_f32_u32_e32 v6, s31
	s_delay_alu instid0(VALU_DEP_2) | instskip(NEXT) | instid1(VALU_DEP_1)
	v_rcp_iflag_f32_e32 v5, v5
	v_rcp_iflag_f32_e32 v6, v6
	v_dual_mul_f32 v1, 0x4f7ffffe, v1 :: v_dual_mul_f32 v2, 0x4f7ffffe, v2
	v_mul_f32_e32 v3, 0x4f7ffffe, v3
	s_delay_alu instid0(VALU_DEP_2) | instskip(NEXT) | instid1(VALU_DEP_3)
	v_cvt_u32_f32_e32 v1, v1
	v_cvt_u32_f32_e32 v2, v2
	s_delay_alu instid0(VALU_DEP_2) | instskip(NEXT) | instid1(VALU_DEP_2)
	v_readfirstlane_b32 s7, v1
	v_readfirstlane_b32 s14, v2
	v_mul_f32_e32 v2, 0x4f7ffffe, v4
	v_cvt_u32_f32_e32 v3, v3
	s_delay_alu instid0(TRANS32_DEP_1) | instskip(SKIP_1) | instid1(VALU_DEP_3)
	v_dual_mul_f32 v4, 0x4f7ffffe, v5 :: v_dual_mul_f32 v5, 0x4f7ffffe, v6
	s_mul_i32 s3, s3, s7
	v_cvt_u32_f32_e32 v2, v2
	s_mul_hi_u32 s3, s7, s3
	v_cvt_f32_u32_e32 v1, s30
	s_add_i32 s7, s7, s3
	s_delay_alu instid0(SALU_CYCLE_1) | instskip(NEXT) | instid1(SALU_CYCLE_1)
	s_mul_hi_u32 s3, s2, s7
	s_mul_i32 s7, s3, s6
	s_add_i32 s12, s3, 1
	s_sub_i32 s7, s2, s7
	v_rcp_iflag_f32_e32 v1, v1
	s_sub_i32 s13, s7, s6
	s_cmp_ge_u32 s7, s6
	s_cselect_b32 s3, s12, s3
	s_cselect_b32 s7, s13, s7
	s_add_i32 s12, s3, 1
	s_cmp_ge_u32 s7, s6
	s_cselect_b32 s38, s12, s3
	s_sub_i32 s3, 0, s37
	s_mul_i32 s24, s38, s6
	s_mul_i32 s3, s3, s14
	s_sub_i32 s7, s2, s24
	s_mul_hi_u32 s3, s14, s3
	s_waitcnt_depctr 0xfff
	v_mul_f32_e32 v1, 0x4f7ffffe, v1
	s_add_i32 s14, s14, s3
	s_delay_alu instid0(SALU_CYCLE_1)
	s_mul_hi_u32 s3, s38, s14
	v_readfirstlane_b32 s14, v2
	s_mul_i32 s12, s3, s37
	v_cvt_u32_f32_e32 v2, v4
	s_sub_i32 s2, s38, s12
	s_add_i32 s12, s3, 1
	s_sub_i32 s13, s2, s37
	s_cmp_ge_u32 s2, s37
	v_cvt_u32_f32_e32 v1, v1
	s_cselect_b32 s3, s12, s3
	s_cselect_b32 s2, s13, s2
	s_add_i32 s12, s3, 1
	s_cmp_ge_u32 s2, s37
	s_cselect_b32 s49, s12, s3
	s_sub_i32 s2, 0, s35
	v_readfirstlane_b32 s3, v3
	s_mul_i32 s2, s2, s14
	s_sub_i32 s12, 0, s36
	s_mul_hi_u32 s2, s14, s2
	v_cvt_u32_f32_e32 v3, v5
	s_add_i32 s14, s14, s2
	s_mul_i32 s12, s12, s3
	s_mul_hi_u32 s2, s38, s14
	s_mul_hi_u32 s12, s3, s12
	s_mul_i32 s13, s2, s35
	s_add_i32 s25, s3, s12
	s_sub_i32 s3, s38, s13
	s_add_i32 s12, s2, 1
	s_sub_i32 s13, s3, s35
	s_cmp_ge_u32 s3, s35
	v_readfirstlane_b32 s14, v3
	s_cselect_b32 s2, s12, s2
	s_cselect_b32 s3, s13, s3
	s_add_i32 s12, s2, 1
	s_cmp_ge_u32 s3, s35
	v_readfirstlane_b32 s3, v2
	s_cselect_b32 s48, s12, s2
	s_sub_i32 s2, 0, s31
	s_sub_i32 s12, 0, s34
	s_mul_i32 s2, s2, s14
	s_mul_i32 s12, s12, s3
	s_mul_hi_u32 s2, s14, s2
	s_mul_hi_u32 s12, s3, s12
	s_add_i32 s14, s14, s2
	s_add_i32 s26, s3, s12
	s_mul_hi_u32 s2, s38, s14
	v_readfirstlane_b32 s14, v1
	s_mul_i32 s13, s2, s31
	s_add_i32 s12, s2, 1
	s_sub_i32 s3, s38, s13
	v_mov_b32_e32 v1, 0
	s_sub_i32 s13, s3, s31
	s_cmp_ge_u32 s3, s31
	s_cselect_b32 s2, s12, s2
	s_cselect_b32 s3, s13, s3
	s_add_i32 s12, s2, 1
	s_cmp_ge_u32 s3, s31
	s_cselect_b32 s33, s12, s2
	s_sub_i32 s2, 0, s30
	s_delay_alu instid0(SALU_CYCLE_1) | instskip(NEXT) | instid1(SALU_CYCLE_1)
	s_mul_i32 s2, s2, s14
	s_mul_hi_u32 s12, s14, s2
	s_lshl_b64 s[2:3], s[38:39], 1
	s_add_i32 s27, s14, s12
	s_add_u32 s2, s8, s2
	s_addc_u32 s3, s9, s3
	global_load_u16 v6, v1, s[2:3]
	s_clause 0x4
	s_load_b128 s[16:19], s[0:1], 0x15c
	s_load_b64 s[42:43], s[0:1], 0x0
	s_load_b128 s[12:15], s[0:1], 0x23c
	s_load_b64 s[40:41], s[0:1], 0xf0
	s_load_b128 s[20:23], s[0:1], 0x6c
	v_cmp_ne_u32_e64 s2, 0, v0
	v_cmp_eq_u32_e64 s3, 0, v0
	s_waitcnt lgkmcnt(0)
	s_mul_hi_u32 s23, s49, s25
	s_mul_hi_u32 s19, s48, s26
	;; [unrolled: 1-line block ×3, first 2 shown]
	s_and_saveexec_b32 s50, s3
	s_cbranch_execz .LBB61_17
; %bb.2:
	s_load_b64 s[8:9], s[0:1], 0x2c8
	s_mov_b32 s25, s39
	s_delay_alu instid0(SALU_CYCLE_1) | instskip(NEXT) | instid1(SALU_CYCLE_1)
	s_lshl_b64 s[44:45], s[24:25], 2
	s_add_u32 s24, s10, s44
	s_addc_u32 s25, s11, s45
	s_waitcnt lgkmcnt(0)
	s_add_u32 s26, s8, s44
	s_addc_u32 s27, s9, s45
	s_cmp_lt_u32 s6, 4
	s_cbranch_scc1 .LBB61_14
; %bb.3:
	s_mov_b32 s51, s39
	s_mov_b32 s52, s39
	;; [unrolled: 1-line block ×3, first 2 shown]
.LBB61_4:                               ; =>This Inner Loop Header: Depth=1
	s_add_u32 s24, s10, s44
	s_addc_u32 s25, s11, s45
	s_add_u32 s46, s8, s44
	s_load_b128 s[24:27], s[24:25], 0x0
	s_addc_u32 s47, s9, s45
	s_cmp_ge_u32 s53, s7
	s_cbranch_scc0 .LBB61_11
; %bb.5:                                ;   in Loop: Header=BB61_4 Depth=1
	s_add_i32 s54, s53, 1
	s_delay_alu instid0(SALU_CYCLE_1)
	s_cmp_ge_u32 s54, s7
	s_cbranch_scc0 .LBB61_12
.LBB61_6:                               ;   in Loop: Header=BB61_4 Depth=1
	s_add_i32 s54, s54, 1
	s_delay_alu instid0(SALU_CYCLE_1)
	s_cmp_ge_u32 s54, s7
	s_cbranch_scc0 .LBB61_13
.LBB61_7:                               ;   in Loop: Header=BB61_4 Depth=1
	s_add_i32 s54, s54, 1
	s_delay_alu instid0(SALU_CYCLE_1)
	s_cmp_ge_u32 s54, s7
	s_cbranch_scc1 .LBB61_9
.LBB61_8:                               ;   in Loop: Header=BB61_4 Depth=1
	s_load_b32 s46, s[46:47], 0xc
	s_waitcnt lgkmcnt(0)
	s_add_i32 s39, s39, s27
	s_add_i32 s51, s46, s51
.LBB61_9:                               ;   in Loop: Header=BB61_4 Depth=1
	s_waitcnt lgkmcnt(0)
	s_add_i32 s24, s24, s52
	s_delay_alu instid0(SALU_CYCLE_1) | instskip(NEXT) | instid1(SALU_CYCLE_1)
	s_add_i32 s24, s24, s25
	s_add_i32 s24, s24, s26
	s_delay_alu instid0(SALU_CYCLE_1)
	s_add_i32 s52, s24, s27
	s_add_u32 s10, s10, 16
	s_addc_u32 s11, s11, 0
	s_add_u32 s8, s8, 16
	s_addc_u32 s9, s9, 0
	s_add_i32 s47, s54, 4
	s_add_u32 s26, s8, s44
	s_addc_u32 s27, s9, s45
	s_add_u32 s24, s10, s44
	s_addc_u32 s25, s11, s45
	s_add_i32 s46, s54, 1
	s_cmp_ge_u32 s47, s6
	s_cbranch_scc1 .LBB61_15
; %bb.10:                               ;   in Loop: Header=BB61_4 Depth=1
	s_mov_b32 s53, s46
	s_branch .LBB61_4
.LBB61_11:                              ;   in Loop: Header=BB61_4 Depth=1
	s_load_b32 s54, s[46:47], 0x0
	s_waitcnt lgkmcnt(0)
	s_add_i32 s39, s24, s39
	s_add_i32 s51, s54, s51
	;; [unrolled: 1-line block ×3, first 2 shown]
	s_delay_alu instid0(SALU_CYCLE_1)
	s_cmp_ge_u32 s54, s7
	s_cbranch_scc1 .LBB61_6
.LBB61_12:                              ;   in Loop: Header=BB61_4 Depth=1
	s_load_b32 s55, s[46:47], 0x4
	s_waitcnt lgkmcnt(0)
	s_add_i32 s39, s39, s25
	s_add_i32 s51, s55, s51
	;; [unrolled: 1-line block ×3, first 2 shown]
	s_delay_alu instid0(SALU_CYCLE_1)
	s_cmp_ge_u32 s54, s7
	s_cbranch_scc1 .LBB61_7
.LBB61_13:                              ;   in Loop: Header=BB61_4 Depth=1
	s_load_b32 s55, s[46:47], 0x8
	s_waitcnt lgkmcnt(0)
	s_add_i32 s39, s39, s26
	s_add_i32 s51, s55, s51
	;; [unrolled: 1-line block ×3, first 2 shown]
	s_delay_alu instid0(SALU_CYCLE_1)
	s_cmp_ge_u32 s54, s7
	s_cbranch_scc0 .LBB61_8
	s_branch .LBB61_9
.LBB61_14:
	s_mov_b32 s51, 0
	s_mov_b32 s52, 0
	;; [unrolled: 1-line block ×3, first 2 shown]
	s_delay_alu instid0(SALU_CYCLE_1)
	s_cmp_ge_u32 s8, s6
	s_cbranch_scc0 .LBB61_38
	s_branch .LBB61_16
.LBB61_15:
	s_add_i32 s8, s53, 4
	s_delay_alu instid0(SALU_CYCLE_1)
	s_cmp_ge_u32 s8, s6
	s_cbranch_scc0 .LBB61_38
.LBB61_16:
	v_dual_mov_b32 v1, s51 :: v_dual_mov_b32 v2, s52
	v_dual_mov_b32 v3, s39 :: v_dual_mov_b32 v4, 0
	ds_store_b96 v4, v[1:3] offset:1056
.LBB61_17:
	s_or_b32 exec_lo, exec_lo, s50
	s_load_b128 s[8:11], s[0:1], 0xd8
	s_waitcnt lgkmcnt(0)
	s_mul_i32 s11, s5, s7
	s_add_i32 s7, s7, 1
	s_lshl_b32 s24, s11, 8
	s_waitcnt vmcnt(0)
	s_barrier
	buffer_gl0_inv
	s_sub_i32 s11, s8, s24
	s_delay_alu instid0(SALU_CYCLE_1) | instskip(SKIP_4) | instid1(VALU_DEP_1)
	s_add_u32 s11, s11, 0xff
	s_addc_u32 s25, 0, 0
	s_cmp_lt_u32 s7, s6
	v_alignbit_b32 v1, s25, s11, 8
	s_mov_b32 s7, 0
	v_readfirstlane_b32 s11, v1
	s_delay_alu instid0(VALU_DEP_1) | instskip(NEXT) | instid1(SALU_CYCLE_1)
	s_cselect_b32 s5, s5, s11
	s_cmp_eq_u32 s5, 0
	s_cbranch_scc1 .LBB61_40
; %bb.18:
	s_mul_i32 s11, s23, s36
	s_mul_i32 s6, s49, s37
	s_sub_i32 s11, s49, s11
	s_sub_i32 s6, s38, s6
	s_add_i32 s25, s23, 1
	s_sub_i32 s26, s11, s36
	s_cmp_ge_u32 s11, s36
	s_mul_i32 s6, s6, s22
	s_cselect_b32 s23, s25, s23
	s_cselect_b32 s11, s26, s11
	s_add_i32 s25, s23, 1
	s_cmp_ge_u32 s11, s36
	s_mul_i32 s11, s48, s35
	s_cselect_b32 s23, s25, s23
	s_mul_i32 s25, s19, s34
	s_mul_i32 s26, s23, s36
	;; [unrolled: 1-line block ×3, first 2 shown]
	s_sub_i32 s22, s49, s26
	s_sub_i32 s20, s48, s25
	s_mul_i32 s21, s22, s21
	s_sub_i32 s11, s38, s11
	s_add_i32 s6, s21, s6
	s_add_i32 s21, s19, 1
	;; [unrolled: 1-line block ×3, first 2 shown]
	s_sub_i32 s22, s20, s34
	s_cmp_ge_u32 s20, s34
	s_mul_i32 s11, s11, s18
	s_cselect_b32 s19, s21, s19
	s_cselect_b32 s20, s22, s20
	s_add_i32 s21, s19, 1
	s_cmp_ge_u32 s20, s34
	s_mul_i32 s22, s15, s30
	s_cselect_b32 s19, s21, s19
	s_mul_i32 s20, s33, s31
	s_mul_i32 s21, s19, s34
	;; [unrolled: 1-line block ×3, first 2 shown]
	s_sub_i32 s21, s48, s21
	s_add_i32 s18, s15, 1
	s_mul_i32 s17, s21, s17
	v_mov_b32_e32 v5, 0
	s_add_i32 s11, s17, s11
	s_sub_i32 s17, s38, s20
	s_add_i32 s16, s11, s19
	s_sub_i32 s11, s33, s22
	s_mul_i32 s17, s17, s14
	s_sub_i32 s19, s11, s30
	s_cmp_ge_u32 s11, s30
	ds_load_b96 v[1:3], v5 offset:1056
	s_cselect_b32 s15, s18, s15
	s_cselect_b32 s11, s19, s11
	s_add_i32 s18, s15, 1
	s_cmp_ge_u32 s11, s30
	v_bfe_i32 v4, v6, 0, 16
	s_cselect_b32 s11, s18, s15
	v_add_nc_u32_e32 v11, -1, v0
	s_mul_i32 s15, s11, s30
	s_mul_i32 s11, s11, s12
	s_sub_i32 s15, s33, s15
	v_add_nc_u32_e32 v7, 0x8000, v4
	s_mul_i32 s13, s15, s13
	s_mov_b32 s15, s7
	s_add_i32 s14, s13, s17
	s_lshl_b64 s[12:13], s[6:7], 1
	s_add_i32 s14, s14, s11
	s_mov_b32 s17, s7
	s_add_u32 s6, s42, s12
	s_addc_u32 s11, s43, s13
	s_waitcnt lgkmcnt(0)
	v_add_nc_u32_e32 v8, v1, v2
	s_lshl_b64 s[12:13], s[16:17], 1
	s_load_b32 s16, s[0:1], 0xe8
	s_add_u32 s12, s40, s12
	s_addc_u32 s13, s41, s13
	s_lshl_b64 s[14:15], s[14:15], 3
	v_lshrrev_b32_e32 v4, 5, v0
	s_add_u32 s7, s28, s14
	s_addc_u32 s14, s29, s15
	s_bitcmp1_b32 s10, 0
	s_load_b32 s10, s[0:1], 0x1c8
	v_add_lshl_u32 v9, v4, v0, 2
	v_lshlrev_b32_e32 v2, 3, v0
	v_lshrrev_b32_e32 v4, 2, v0
	v_add_nc_u32_e32 v1, s24, v0
	v_lshrrev_b32_e32 v12, 5, v11
	v_mbcnt_lo_u32_b32 v10, -1, 0
	v_cmp_gt_u32_e64 s0, 32, v0
	v_add_lshl_u32 v0, v4, v2, 2
	s_cselect_b32 s1, -1, 0
	v_add_lshl_u32 v11, v12, v11, 2
	v_and_b32_e32 v12, 15, v10
	s_waitcnt lgkmcnt(0)
	v_mul_lo_u32 v4, s16, v1
	v_bfe_i32 v13, v10, 4, 1
	v_add_nc_u32_e32 v14, -1, v10
	s_lshl_b32 s15, s16, 8
                                        ; implicit-def: $vgpr15
	s_branch .LBB61_21
.LBB61_19:                              ;   in Loop: Header=BB61_21 Depth=1
	s_or_b32 exec_lo, exec_lo, s16
	v_add_nc_u32_e32 v8, v18, v8
.LBB61_20:                              ;   in Loop: Header=BB61_21 Depth=1
	v_add_nc_u32_e32 v3, v17, v3
	v_add_nc_u32_e32 v4, s15, v4
	;; [unrolled: 1-line block ×3, first 2 shown]
	s_add_i32 s5, s5, -1
	s_delay_alu instid0(SALU_CYCLE_1)
	s_cmp_lg_u32 s5, 0
	s_cbranch_scc0 .LBB61_40
.LBB61_21:                              ; =>This Inner Loop Header: Depth=1
	v_mov_b32_e32 v2, 0
	v_mov_b32_e32 v16, 0
	s_mov_b32 s16, exec_lo
	v_cmpx_gt_u32_e64 s8, v1
	s_cbranch_execz .LBB61_23
; %bb.22:                               ;   in Loop: Header=BB61_21 Depth=1
	v_lshlrev_b64 v[15:16], 1, v[4:5]
	s_delay_alu instid0(VALU_DEP_1) | instskip(NEXT) | instid1(VALU_DEP_2)
	v_add_co_u32 v15, vcc_lo, s6, v15
	v_add_co_ci_u32_e32 v16, vcc_lo, s11, v16, vcc_lo
	global_load_u16 v15, v[15:16], off
	s_waitcnt vmcnt(0)
	v_bfe_i32 v2, v15, 0, 16
	s_delay_alu instid0(VALU_DEP_1) | instskip(NEXT) | instid1(VALU_DEP_1)
	v_add_nc_u32_e32 v2, 0x8000, v2
	v_cmp_gt_u32_e32 vcc_lo, v2, v7
	v_cndmask_b32_e64 v16, 0, 1, vcc_lo
	v_cmp_lt_u32_e32 vcc_lo, v2, v7
	v_cndmask_b32_e64 v2, 0, 1, vcc_lo
	v_cmp_eq_u16_e32 vcc_lo, v15, v6
	s_delay_alu instid0(VALU_DEP_2) | instskip(SKIP_1) | instid1(VALU_DEP_2)
	v_cndmask_b32_e64 v2, v2, v16, s1
	v_cndmask_b32_e64 v16, 0, 1, vcc_lo
	v_and_b32_e32 v2, 1, v2
.LBB61_23:                              ;   in Loop: Header=BB61_21 Depth=1
	s_or_b32 exec_lo, exec_lo, s16
	ds_store_b32 v9, v2
	s_waitcnt lgkmcnt(0)
	s_waitcnt_vscnt null, 0x0
	s_barrier
	buffer_gl0_inv
	s_and_saveexec_b32 s16, s0
	s_cbranch_execz .LBB61_25
; %bb.24:                               ;   in Loop: Header=BB61_21 Depth=1
	ds_load_2addr_b32 v[17:18], v0 offset1:1
	ds_load_2addr_b32 v[19:20], v0 offset0:2 offset1:3
	ds_load_2addr_b32 v[21:22], v0 offset0:4 offset1:5
	;; [unrolled: 1-line block ×3, first 2 shown]
	v_cmp_ne_u32_e32 vcc_lo, 0, v12
	; wave barrier
	s_waitcnt lgkmcnt(3)
	v_add_nc_u32_e32 v18, v18, v17
	s_waitcnt lgkmcnt(2)
	s_delay_alu instid0(VALU_DEP_1) | instskip(SKIP_1) | instid1(VALU_DEP_1)
	v_add3_u32 v18, v18, v19, v20
	s_waitcnt lgkmcnt(1)
	v_add3_u32 v18, v18, v21, v22
	s_waitcnt lgkmcnt(0)
	s_delay_alu instid0(VALU_DEP_1) | instskip(NEXT) | instid1(VALU_DEP_1)
	v_add3_u32 v18, v18, v23, v24
	v_mov_b32_dpp v19, v18 row_shr:1 row_mask:0xf bank_mask:0xf
	s_delay_alu instid0(VALU_DEP_1) | instskip(SKIP_1) | instid1(VALU_DEP_2)
	v_cndmask_b32_e32 v19, 0, v19, vcc_lo
	v_cmp_lt_u32_e32 vcc_lo, 1, v12
	v_add_nc_u32_e32 v18, v19, v18
	s_delay_alu instid0(VALU_DEP_1) | instskip(NEXT) | instid1(VALU_DEP_1)
	v_mov_b32_dpp v19, v18 row_shr:2 row_mask:0xf bank_mask:0xf
	v_cndmask_b32_e32 v19, 0, v19, vcc_lo
	v_cmp_lt_u32_e32 vcc_lo, 3, v12
	s_delay_alu instid0(VALU_DEP_2) | instskip(NEXT) | instid1(VALU_DEP_1)
	v_add_nc_u32_e32 v18, v18, v19
	v_mov_b32_dpp v19, v18 row_shr:4 row_mask:0xf bank_mask:0xf
	s_delay_alu instid0(VALU_DEP_1) | instskip(SKIP_1) | instid1(VALU_DEP_2)
	v_cndmask_b32_e32 v19, 0, v19, vcc_lo
	v_cmp_lt_u32_e32 vcc_lo, 7, v12
	v_add_nc_u32_e32 v18, v18, v19
	s_delay_alu instid0(VALU_DEP_1) | instskip(NEXT) | instid1(VALU_DEP_1)
	v_mov_b32_dpp v19, v18 row_shr:8 row_mask:0xf bank_mask:0xf
	v_cndmask_b32_e32 v19, 0, v19, vcc_lo
	v_cmp_gt_i32_e32 vcc_lo, 0, v14
	v_cndmask_b32_e32 v20, v14, v10, vcc_lo
	s_delay_alu instid0(VALU_DEP_1) | instskip(NEXT) | instid1(VALU_DEP_4)
	v_lshlrev_b32_e32 v20, 2, v20
	v_add_nc_u32_e32 v18, v18, v19
	ds_swizzle_b32 v19, v18 offset:swizzle(BROADCAST,32,15)
	s_waitcnt lgkmcnt(0)
	v_and_b32_e32 v19, v13, v19
	s_delay_alu instid0(VALU_DEP_1) | instskip(SKIP_3) | instid1(VALU_DEP_1)
	v_add_nc_u32_e32 v18, v18, v19
	ds_bpermute_b32 v18, v20, v18
	s_waitcnt lgkmcnt(0)
	v_add_nc_u32_e32 v17, v18, v17
	v_cndmask_b32_e64 v23, v17, v2, s3
	ds_store_b32 v0, v23
	; wave barrier
	ds_load_2addr_b32 v[17:18], v0 offset0:1 offset1:2
	ds_load_2addr_b32 v[19:20], v0 offset0:3 offset1:4
	;; [unrolled: 1-line block ×3, first 2 shown]
	ds_load_b32 v24, v0 offset:28
	s_waitcnt lgkmcnt(3)
	v_add_nc_u32_e32 v17, v17, v23
	s_delay_alu instid0(VALU_DEP_1) | instskip(SKIP_1) | instid1(VALU_DEP_1)
	v_add_nc_u32_e32 v18, v18, v17
	s_waitcnt lgkmcnt(2)
	v_add_nc_u32_e32 v19, v19, v18
	s_delay_alu instid0(VALU_DEP_1) | instskip(SKIP_1) | instid1(VALU_DEP_1)
	v_add_nc_u32_e32 v20, v20, v19
	;; [unrolled: 4-line block ×3, first 2 shown]
	s_waitcnt lgkmcnt(0)
	v_add_nc_u32_e32 v23, v24, v22
	ds_store_2addr_b32 v0, v17, v18 offset0:1 offset1:2
	ds_store_2addr_b32 v0, v19, v20 offset0:3 offset1:4
	;; [unrolled: 1-line block ×3, first 2 shown]
	ds_store_b32 v0, v23 offset:28
.LBB61_25:                              ;   in Loop: Header=BB61_21 Depth=1
	s_or_b32 exec_lo, exec_lo, s16
	v_mov_b32_e32 v18, 0
	s_waitcnt lgkmcnt(0)
	s_barrier
	buffer_gl0_inv
	s_and_saveexec_b32 s16, s2
	s_cbranch_execz .LBB61_27
; %bb.26:                               ;   in Loop: Header=BB61_21 Depth=1
	ds_load_b32 v18, v11
.LBB61_27:                              ;   in Loop: Header=BB61_21 Depth=1
	s_or_b32 exec_lo, exec_lo, s16
	ds_load_b32 v17, v5 offset:1048
	s_mov_b32 s16, exec_lo
	s_waitcnt lgkmcnt(0)
	s_barrier
	buffer_gl0_inv
	v_cmpx_ne_u32_e32 0, v2
	s_cbranch_execz .LBB61_29
; %bb.28:                               ;   in Loop: Header=BB61_21 Depth=1
	v_dual_mov_b32 v19, v5 :: v_dual_add_nc_u32 v2, v18, v3
	v_mov_b32_e32 v21, v5
	s_delay_alu instid0(VALU_DEP_2) | instskip(SKIP_2) | instid1(VALU_DEP_3)
	v_mul_lo_u32 v18, v2, s10
	v_mul_lo_u32 v20, v2, s4
	v_mov_b32_e32 v2, v5
	v_lshlrev_b64 v[18:19], 1, v[18:19]
	s_delay_alu instid0(VALU_DEP_3) | instskip(NEXT) | instid1(VALU_DEP_2)
	v_lshlrev_b64 v[20:21], 3, v[20:21]
	v_add_co_u32 v18, vcc_lo, s12, v18
	s_delay_alu instid0(VALU_DEP_3) | instskip(NEXT) | instid1(VALU_DEP_3)
	v_add_co_ci_u32_e32 v19, vcc_lo, s13, v19, vcc_lo
	v_add_co_u32 v20, vcc_lo, s7, v20
	s_delay_alu instid0(VALU_DEP_4)
	v_add_co_ci_u32_e32 v21, vcc_lo, s14, v21, vcc_lo
	global_store_b16 v[18:19], v15, off
	global_store_b64 v[20:21], v[1:2], off
.LBB61_29:                              ;   in Loop: Header=BB61_21 Depth=1
	s_or_b32 exec_lo, exec_lo, s16
	v_cmp_le_u32_e32 vcc_lo, s9, v8
	s_cbranch_vccnz .LBB61_20
; %bb.30:                               ;   in Loop: Header=BB61_21 Depth=1
	ds_store_b32 v9, v16
	s_waitcnt lgkmcnt(0)
	s_waitcnt_vscnt null, 0x0
	s_barrier
	buffer_gl0_inv
	s_and_saveexec_b32 s16, s0
	s_cbranch_execz .LBB61_32
; %bb.31:                               ;   in Loop: Header=BB61_21 Depth=1
	ds_load_2addr_b32 v[18:19], v0 offset1:1
	ds_load_2addr_b32 v[20:21], v0 offset0:2 offset1:3
	ds_load_2addr_b32 v[22:23], v0 offset0:4 offset1:5
	;; [unrolled: 1-line block ×3, first 2 shown]
	v_cmp_ne_u32_e32 vcc_lo, 0, v12
	; wave barrier
	s_waitcnt lgkmcnt(3)
	v_add_nc_u32_e32 v2, v19, v18
	s_waitcnt lgkmcnt(2)
	s_delay_alu instid0(VALU_DEP_1) | instskip(SKIP_1) | instid1(VALU_DEP_1)
	v_add3_u32 v2, v2, v20, v21
	s_waitcnt lgkmcnt(1)
	v_add3_u32 v2, v2, v22, v23
	s_waitcnt lgkmcnt(0)
	s_delay_alu instid0(VALU_DEP_1) | instskip(NEXT) | instid1(VALU_DEP_1)
	v_add3_u32 v2, v2, v24, v25
	v_mov_b32_dpp v19, v2 row_shr:1 row_mask:0xf bank_mask:0xf
	s_delay_alu instid0(VALU_DEP_1) | instskip(SKIP_1) | instid1(VALU_DEP_2)
	v_cndmask_b32_e32 v19, 0, v19, vcc_lo
	v_cmp_lt_u32_e32 vcc_lo, 1, v12
	v_add_nc_u32_e32 v2, v19, v2
	s_delay_alu instid0(VALU_DEP_1) | instskip(NEXT) | instid1(VALU_DEP_1)
	v_mov_b32_dpp v19, v2 row_shr:2 row_mask:0xf bank_mask:0xf
	v_cndmask_b32_e32 v19, 0, v19, vcc_lo
	v_cmp_lt_u32_e32 vcc_lo, 3, v12
	s_delay_alu instid0(VALU_DEP_2) | instskip(NEXT) | instid1(VALU_DEP_1)
	v_add_nc_u32_e32 v2, v2, v19
	v_mov_b32_dpp v19, v2 row_shr:4 row_mask:0xf bank_mask:0xf
	s_delay_alu instid0(VALU_DEP_1) | instskip(SKIP_1) | instid1(VALU_DEP_2)
	v_cndmask_b32_e32 v19, 0, v19, vcc_lo
	v_cmp_lt_u32_e32 vcc_lo, 7, v12
	v_add_nc_u32_e32 v2, v2, v19
	s_delay_alu instid0(VALU_DEP_1) | instskip(NEXT) | instid1(VALU_DEP_1)
	v_mov_b32_dpp v19, v2 row_shr:8 row_mask:0xf bank_mask:0xf
	v_cndmask_b32_e32 v19, 0, v19, vcc_lo
	v_cmp_gt_i32_e32 vcc_lo, 0, v14
	v_cndmask_b32_e32 v20, v14, v10, vcc_lo
	s_delay_alu instid0(VALU_DEP_1) | instskip(NEXT) | instid1(VALU_DEP_4)
	v_lshlrev_b32_e32 v20, 2, v20
	v_add_nc_u32_e32 v2, v2, v19
	ds_swizzle_b32 v19, v2 offset:swizzle(BROADCAST,32,15)
	s_waitcnt lgkmcnt(0)
	v_and_b32_e32 v19, v13, v19
	s_delay_alu instid0(VALU_DEP_1) | instskip(SKIP_3) | instid1(VALU_DEP_1)
	v_add_nc_u32_e32 v2, v2, v19
	ds_bpermute_b32 v2, v20, v2
	s_waitcnt lgkmcnt(0)
	v_add_nc_u32_e32 v2, v2, v18
	v_cndmask_b32_e64 v2, v2, v16, s3
	ds_store_b32 v0, v2
	; wave barrier
	ds_load_2addr_b32 v[18:19], v0 offset0:1 offset1:2
	ds_load_2addr_b32 v[20:21], v0 offset0:3 offset1:4
	;; [unrolled: 1-line block ×3, first 2 shown]
	ds_load_b32 v24, v0 offset:28
	s_waitcnt lgkmcnt(3)
	v_add_nc_u32_e32 v2, v18, v2
	s_delay_alu instid0(VALU_DEP_1) | instskip(SKIP_1) | instid1(VALU_DEP_1)
	v_add_nc_u32_e32 v18, v19, v2
	s_waitcnt lgkmcnt(2)
	v_add_nc_u32_e32 v19, v20, v18
	s_delay_alu instid0(VALU_DEP_1) | instskip(SKIP_1) | instid1(VALU_DEP_1)
	v_add_nc_u32_e32 v20, v21, v19
	;; [unrolled: 4-line block ×3, first 2 shown]
	s_waitcnt lgkmcnt(0)
	v_add_nc_u32_e32 v23, v24, v22
	ds_store_2addr_b32 v0, v2, v18 offset0:1 offset1:2
	ds_store_2addr_b32 v0, v19, v20 offset0:3 offset1:4
	;; [unrolled: 1-line block ×3, first 2 shown]
	ds_store_b32 v0, v23 offset:28
.LBB61_32:                              ;   in Loop: Header=BB61_21 Depth=1
	s_or_b32 exec_lo, exec_lo, s16
	v_mov_b32_e32 v2, 0
	s_waitcnt lgkmcnt(0)
	s_barrier
	buffer_gl0_inv
	s_and_saveexec_b32 s16, s2
	s_cbranch_execz .LBB61_34
; %bb.33:                               ;   in Loop: Header=BB61_21 Depth=1
	ds_load_b32 v2, v11
.LBB61_34:                              ;   in Loop: Header=BB61_21 Depth=1
	s_or_b32 exec_lo, exec_lo, s16
	ds_load_b32 v18, v5 offset:1048
	s_mov_b32 s16, exec_lo
	s_waitcnt lgkmcnt(0)
	s_barrier
	buffer_gl0_inv
	v_cmpx_ne_u32_e32 0, v16
	s_cbranch_execz .LBB61_19
; %bb.35:                               ;   in Loop: Header=BB61_21 Depth=1
	v_add_nc_u32_e32 v2, v2, v8
	s_delay_alu instid0(VALU_DEP_1)
	v_cmp_gt_u32_e32 vcc_lo, s9, v2
	s_and_b32 exec_lo, exec_lo, vcc_lo
	s_cbranch_execz .LBB61_19
; %bb.36:                               ;   in Loop: Header=BB61_21 Depth=1
	v_mul_lo_u32 v19, v2, s10
	v_mov_b32_e32 v20, v5
	v_mul_lo_u32 v21, v2, s4
	v_mov_b32_e32 v22, v5
	v_mov_b32_e32 v2, v5
	s_delay_alu instid0(VALU_DEP_4) | instskip(NEXT) | instid1(VALU_DEP_3)
	v_lshlrev_b64 v[19:20], 1, v[19:20]
	v_lshlrev_b64 v[21:22], 3, v[21:22]
	s_delay_alu instid0(VALU_DEP_2) | instskip(NEXT) | instid1(VALU_DEP_3)
	v_add_co_u32 v19, vcc_lo, s12, v19
	v_add_co_ci_u32_e32 v20, vcc_lo, s13, v20, vcc_lo
	s_delay_alu instid0(VALU_DEP_3) | instskip(NEXT) | instid1(VALU_DEP_4)
	v_add_co_u32 v21, vcc_lo, s7, v21
	v_add_co_ci_u32_e32 v22, vcc_lo, s14, v22, vcc_lo
	global_store_b16 v[19:20], v15, off
	global_store_b64 v[21:22], v[1:2], off
	s_branch .LBB61_19
	.p2align	6
.LBB61_37:                              ;   in Loop: Header=BB61_38 Depth=1
	s_add_u32 s24, s24, 4
	s_addc_u32 s25, s25, 0
	s_waitcnt lgkmcnt(0)
	s_add_i32 s52, s9, s52
	s_add_u32 s26, s26, 4
	s_addc_u32 s27, s27, 0
	s_add_i32 s8, s8, 1
	s_delay_alu instid0(SALU_CYCLE_1)
	s_cmp_lt_u32 s8, s6
	s_cbranch_scc0 .LBB61_16
.LBB61_38:                              ; =>This Inner Loop Header: Depth=1
	s_load_b32 s9, s[24:25], 0x0
	s_cmp_ge_u32 s8, s7
	s_cbranch_scc1 .LBB61_37
; %bb.39:                               ;   in Loop: Header=BB61_38 Depth=1
	s_load_b32 s10, s[26:27], 0x0
	s_waitcnt lgkmcnt(0)
	s_add_i32 s39, s9, s39
	s_add_i32 s51, s10, s51
	s_branch .LBB61_37
.LBB61_40:
	s_nop 0
	s_sendmsg sendmsg(MSG_DEALLOC_VGPRS)
	s_endpgm
	.section	.rodata,"a",@progbits
	.p2align	6, 0x0
	.amdhsa_kernel _ZN2at6native6mbtopk10gatherTopKIsjLi3EEEvNS_4cuda6detail10TensorInfoIKT_T0_EES8_S8_bjS8_NS5_IS6_S8_EES8_NS5_IlS8_EES8_jjPS6_PjSD_j
		.amdhsa_group_segment_fixed_size 1068
		.amdhsa_private_segment_fixed_size 0
		.amdhsa_kernarg_size 984
		.amdhsa_user_sgpr_count 13
		.amdhsa_user_sgpr_dispatch_ptr 0
		.amdhsa_user_sgpr_queue_ptr 0
		.amdhsa_user_sgpr_kernarg_segment_ptr 1
		.amdhsa_user_sgpr_dispatch_id 0
		.amdhsa_user_sgpr_private_segment_size 0
		.amdhsa_wavefront_size32 1
		.amdhsa_uses_dynamic_stack 0
		.amdhsa_enable_private_segment 0
		.amdhsa_system_sgpr_workgroup_id_x 1
		.amdhsa_system_sgpr_workgroup_id_y 1
		.amdhsa_system_sgpr_workgroup_id_z 1
		.amdhsa_system_sgpr_workgroup_info 0
		.amdhsa_system_vgpr_workitem_id 0
		.amdhsa_next_free_vgpr 26
		.amdhsa_next_free_sgpr 56
		.amdhsa_reserve_vcc 1
		.amdhsa_float_round_mode_32 0
		.amdhsa_float_round_mode_16_64 0
		.amdhsa_float_denorm_mode_32 3
		.amdhsa_float_denorm_mode_16_64 3
		.amdhsa_dx10_clamp 1
		.amdhsa_ieee_mode 1
		.amdhsa_fp16_overflow 0
		.amdhsa_workgroup_processor_mode 1
		.amdhsa_memory_ordered 1
		.amdhsa_forward_progress 0
		.amdhsa_shared_vgpr_count 0
		.amdhsa_exception_fp_ieee_invalid_op 0
		.amdhsa_exception_fp_denorm_src 0
		.amdhsa_exception_fp_ieee_div_zero 0
		.amdhsa_exception_fp_ieee_overflow 0
		.amdhsa_exception_fp_ieee_underflow 0
		.amdhsa_exception_fp_ieee_inexact 0
		.amdhsa_exception_int_div_zero 0
	.end_amdhsa_kernel
	.section	.text._ZN2at6native6mbtopk10gatherTopKIsjLi3EEEvNS_4cuda6detail10TensorInfoIKT_T0_EES8_S8_bjS8_NS5_IS6_S8_EES8_NS5_IlS8_EES8_jjPS6_PjSD_j,"axG",@progbits,_ZN2at6native6mbtopk10gatherTopKIsjLi3EEEvNS_4cuda6detail10TensorInfoIKT_T0_EES8_S8_bjS8_NS5_IS6_S8_EES8_NS5_IlS8_EES8_jjPS6_PjSD_j,comdat
.Lfunc_end61:
	.size	_ZN2at6native6mbtopk10gatherTopKIsjLi3EEEvNS_4cuda6detail10TensorInfoIKT_T0_EES8_S8_bjS8_NS5_IS6_S8_EES8_NS5_IlS8_EES8_jjPS6_PjSD_j, .Lfunc_end61-_ZN2at6native6mbtopk10gatherTopKIsjLi3EEEvNS_4cuda6detail10TensorInfoIKT_T0_EES8_S8_bjS8_NS5_IS6_S8_EES8_NS5_IlS8_EES8_jjPS6_PjSD_j
                                        ; -- End function
	.section	.AMDGPU.csdata,"",@progbits
; Kernel info:
; codeLenInByte = 3148
; NumSgprs: 58
; NumVgprs: 26
; ScratchSize: 0
; MemoryBound: 0
; FloatMode: 240
; IeeeMode: 1
; LDSByteSize: 1068 bytes/workgroup (compile time only)
; SGPRBlocks: 7
; VGPRBlocks: 3
; NumSGPRsForWavesPerEU: 58
; NumVGPRsForWavesPerEU: 26
; Occupancy: 16
; WaveLimiterHint : 1
; COMPUTE_PGM_RSRC2:SCRATCH_EN: 0
; COMPUTE_PGM_RSRC2:USER_SGPR: 13
; COMPUTE_PGM_RSRC2:TRAP_HANDLER: 0
; COMPUTE_PGM_RSRC2:TGID_X_EN: 1
; COMPUTE_PGM_RSRC2:TGID_Y_EN: 1
; COMPUTE_PGM_RSRC2:TGID_Z_EN: 1
; COMPUTE_PGM_RSRC2:TIDIG_COMP_CNT: 0
	.section	.text._ZN2at6native6sbtopk10gatherTopKIsjLi3ELb0EEEvNS_4cuda6detail10TensorInfoIKT_T0_EES8_S8_bS8_S8_NS5_IS6_S8_EES8_NS5_IlS8_EES8_PS6_,"axG",@progbits,_ZN2at6native6sbtopk10gatherTopKIsjLi3ELb0EEEvNS_4cuda6detail10TensorInfoIKT_T0_EES8_S8_bS8_S8_NS5_IS6_S8_EES8_NS5_IlS8_EES8_PS6_,comdat
	.protected	_ZN2at6native6sbtopk10gatherTopKIsjLi3ELb0EEEvNS_4cuda6detail10TensorInfoIKT_T0_EES8_S8_bS8_S8_NS5_IS6_S8_EES8_NS5_IlS8_EES8_PS6_ ; -- Begin function _ZN2at6native6sbtopk10gatherTopKIsjLi3ELb0EEEvNS_4cuda6detail10TensorInfoIKT_T0_EES8_S8_bS8_S8_NS5_IS6_S8_EES8_NS5_IlS8_EES8_PS6_
	.globl	_ZN2at6native6sbtopk10gatherTopKIsjLi3ELb0EEEvNS_4cuda6detail10TensorInfoIKT_T0_EES8_S8_bS8_S8_NS5_IS6_S8_EES8_NS5_IlS8_EES8_PS6_
	.p2align	8
	.type	_ZN2at6native6sbtopk10gatherTopKIsjLi3ELb0EEEvNS_4cuda6detail10TensorInfoIKT_T0_EES8_S8_bS8_S8_NS5_IS6_S8_EES8_NS5_IlS8_EES8_PS6_,@function
_ZN2at6native6sbtopk10gatherTopKIsjLi3ELb0EEEvNS_4cuda6detail10TensorInfoIKT_T0_EES8_S8_bS8_S8_NS5_IS6_S8_EES8_NS5_IlS8_EES8_PS6_: ; @_ZN2at6native6sbtopk10gatherTopKIsjLi3ELb0EEEvNS_4cuda6detail10TensorInfoIKT_T0_EES8_S8_bS8_S8_NS5_IS6_S8_EES8_NS5_IlS8_EES8_PS6_
; %bb.0:
	s_clause 0x1
	s_load_b64 s[4:5], s[0:1], 0x2b8
	s_load_b128 s[36:39], s[0:1], 0xd8
	s_add_u32 s6, s0, 0x2b8
	s_addc_u32 s7, s1, 0
	s_waitcnt lgkmcnt(0)
	s_mul_i32 s2, s5, s15
	s_delay_alu instid0(SALU_CYCLE_1) | instskip(NEXT) | instid1(SALU_CYCLE_1)
	s_add_i32 s2, s2, s14
	s_mul_i32 s56, s2, s4
	s_delay_alu instid0(SALU_CYCLE_1) | instskip(NEXT) | instid1(SALU_CYCLE_1)
	s_add_i32 s56, s56, s13
	s_cmp_ge_u32 s56, s39
	s_cbranch_scc1 .LBB62_463
; %bb.1:
	s_clause 0x9
	s_load_b64 s[14:15], s[0:1], 0xc
	s_load_b64 s[50:51], s[0:1], 0xfc
	;; [unrolled: 1-line block ×4, first 2 shown]
	s_load_b128 s[40:43], s[0:1], 0x23c
	s_load_b64 s[30:31], s[0:1], 0x1d0
	s_load_b128 s[44:47], s[0:1], 0x15c
	s_load_b64 s[34:35], s[0:1], 0xf0
	s_load_b32 s52, s[0:1], 0xe8
	s_load_b128 s[8:11], s[0:1], 0x6c
	s_mov_b32 s55, 0
	s_waitcnt lgkmcnt(0)
	v_cvt_f32_u32_e32 v1, s15
	v_cvt_f32_u32_e32 v2, s14
	;; [unrolled: 1-line block ×4, first 2 shown]
	s_sub_i32 s11, 0, s15
	v_rcp_iflag_f32_e32 v1, v1
	v_rcp_iflag_f32_e32 v2, v2
	;; [unrolled: 1-line block ×4, first 2 shown]
	v_cvt_f32_u32_e32 v5, s49
	v_cvt_f32_u32_e32 v6, s48
	s_delay_alu instid0(VALU_DEP_2)
	v_rcp_iflag_f32_e32 v5, v5
	v_dual_mul_f32 v1, 0x4f7ffffe, v1 :: v_dual_mul_f32 v2, 0x4f7ffffe, v2
	s_waitcnt_depctr 0xfff
	v_dual_mul_f32 v3, 0x4f7ffffe, v3 :: v_dual_mul_f32 v4, 0x4f7ffffe, v4
	v_cvt_u32_f32_e32 v1, v1
	v_cvt_u32_f32_e32 v2, v2
	s_delay_alu instid0(VALU_DEP_3) | instskip(SKIP_1) | instid1(VALU_DEP_4)
	v_cvt_u32_f32_e32 v3, v3
	v_mul_f32_e32 v5, 0x4f7ffffe, v5
	v_readfirstlane_b32 s5, v1
	v_rcp_iflag_f32_e32 v1, v6
	s_delay_alu instid0(VALU_DEP_3) | instskip(SKIP_1) | instid1(VALU_DEP_3)
	v_readfirstlane_b32 s17, v3
	v_cvt_u32_f32_e32 v3, v4
	s_mul_i32 s11, s11, s5
	s_delay_alu instid0(SALU_CYCLE_1) | instskip(NEXT) | instid1(SALU_CYCLE_1)
	s_mul_hi_u32 s11, s5, s11
	s_add_i32 s5, s5, s11
	s_waitcnt_depctr 0xfff
	v_mul_f32_e32 v1, 0x4f7ffffe, v1
	s_mul_hi_u32 s5, s56, s5
	s_delay_alu instid0(SALU_CYCLE_1)
	s_mul_i32 s11, s5, s15
	s_add_i32 s12, s5, 1
	s_sub_i32 s11, s56, s11
	v_cvt_u32_f32_e32 v1, v1
	s_sub_i32 s16, s11, s15
	s_cmp_ge_u32 s11, s15
	s_cselect_b32 s5, s12, s5
	s_cselect_b32 s11, s16, s11
	s_add_i32 s12, s5, 1
	s_cmp_ge_u32 s11, s15
	v_readfirstlane_b32 s20, v1
	s_cselect_b32 s11, s12, s5
	s_sub_i32 s5, 0, s51
	v_readfirstlane_b32 s12, v2
	s_mul_i32 s5, s5, s17
	s_sub_i32 s16, 0, s14
	s_mul_hi_u32 s5, s17, s5
	v_cvt_u32_f32_e32 v2, v5
	s_add_i32 s17, s17, s5
	s_mul_i32 s16, s16, s12
	s_mul_hi_u32 s5, s56, s17
	s_mul_hi_u32 s16, s12, s16
	s_mul_i32 s17, s5, s51
	s_add_i32 s12, s12, s16
	s_sub_i32 s16, s56, s17
	s_add_i32 s17, s5, 1
	s_sub_i32 s18, s16, s51
	s_cmp_ge_u32 s16, s51
	v_readfirstlane_b32 s19, v2
	s_cselect_b32 s5, s17, s5
	s_cselect_b32 s16, s18, s16
	s_add_i32 s17, s5, 1
	s_cmp_ge_u32 s16, s51
	v_readfirstlane_b32 s16, v3
	s_cselect_b32 s57, s17, s5
	s_sub_i32 s5, 0, s49
	s_sub_i32 s17, 0, s50
	s_mul_i32 s5, s5, s19
	s_mul_i32 s17, s17, s16
	s_mul_hi_u32 s5, s19, s5
	s_mul_hi_u32 s17, s16, s17
	s_add_i32 s19, s19, s5
	s_add_i32 s16, s16, s17
	s_mul_hi_u32 s5, s56, s19
	s_mul_hi_u32 s12, s11, s12
	s_mul_i32 s18, s5, s49
	s_mul_hi_u32 s60, s57, s16
	s_sub_i32 s17, s56, s18
	s_add_i32 s18, s5, 1
	s_sub_i32 s19, s17, s49
	s_cmp_ge_u32 s17, s49
	s_cselect_b32 s5, s18, s5
	s_cselect_b32 s17, s19, s17
	s_add_i32 s18, s5, 1
	s_cmp_ge_u32 s17, s49
	s_cselect_b32 s58, s18, s5
	s_sub_i32 s5, 0, s48
	s_delay_alu instid0(SALU_CYCLE_1) | instskip(NEXT) | instid1(SALU_CYCLE_1)
	s_mul_i32 s5, s5, s20
	s_mul_hi_u32 s17, s20, s5
	v_cmp_eq_u32_e64 s5, 0, v0
	s_add_i32 s20, s20, s17
	s_delay_alu instid0(SALU_CYCLE_1) | instskip(NEXT) | instid1(VALU_DEP_1)
	s_mul_hi_u32 s59, s58, s20
	s_and_saveexec_b32 s16, s5
	s_cbranch_execz .LBB62_3
; %bb.2:
	v_dual_mov_b32 v1, 0 :: v_dual_mov_b32 v2, s36
	s_delay_alu instid0(VALU_DEP_1)
	v_mov_b32_e32 v3, v1
	ds_store_b96 v1, v[1:3] offset:4096
.LBB62_3:
	s_or_b32 exec_lo, exec_lo, s16
	s_mul_i32 s16, s12, s14
	s_mul_i32 s15, s11, s15
	s_sub_i32 s16, s11, s16
	s_sub_i32 s15, s56, s15
	s_add_i32 s17, s12, 1
	s_sub_i32 s18, s16, s14
	s_cmp_ge_u32 s16, s14
	s_waitcnt lgkmcnt(0)
	s_cselect_b32 s12, s17, s12
	s_cselect_b32 s16, s18, s16
	s_add_i32 s17, s12, 1
	s_cmp_ge_u32 s16, s14
	s_barrier
	buffer_gl0_inv
	s_load_b32 s16, s[6:7], 0xc
	s_cselect_b32 s12, s17, s12
	s_mul_i32 s15, s15, s10
	s_mul_i32 s14, s12, s14
	;; [unrolled: 1-line block ×3, first 2 shown]
	s_sub_i32 s11, s11, s14
	v_mbcnt_lo_u32_b32 v15, -1, 0
	s_mul_i32 s9, s11, s9
	v_cmp_gt_u32_e32 vcc_lo, 32, v0
	s_add_i32 s8, s9, s15
	v_dual_mov_b32 v9, 0 :: v_dual_lshlrev_b32 v16, 2, v0
	s_add_i32 s54, s8, s12
	v_mul_lo_u32 v7, v0, s52
	s_lshl_b64 s[8:9], s[54:55], 1
	v_dual_mov_b32 v26, 0 :: v_dual_lshlrev_b32 v19, 1, v0
	s_add_u32 s33, s2, s8
	s_addc_u32 s43, s3, s9
	s_bitcmp1_b32 s38, 0
	v_cmp_gt_i32_e64 s2, 4, v15
	s_cselect_b32 s3, -1, 0
	s_waitcnt lgkmcnt(0)
	s_and_b32 s47, s16, 0xffff
	s_xor_b32 s54, s3, -1
	s_lshl_b32 s61, s47, 2
	s_bfe_u32 s8, s16, 0xb0005
	v_cvt_f32_u32_e32 v1, s61
	s_and_b32 s62, vcc_lo, s2
	s_cmpk_gt_u32 s36, 0x600
	v_cvt_f32_u32_e32 v3, s47
	s_cselect_b32 s63, -1, 0
	v_rcp_iflag_f32_e32 v1, v1
	s_cmp_gt_u32 s47, 31
	v_mad_u64_u32 v[12:13], null, s52, v16, s[52:53]
	s_cselect_b32 s64, -1, 0
	s_add_i32 s65, s47, -1
	v_mov_b32_e32 v8, v9
	s_add_i32 s9, s65, s36
	s_cmp_lt_u32 s13, s4
	v_rcp_iflag_f32_e32 v3, v3
	s_waitcnt_depctr 0xfff
	v_mul_f32_e32 v1, 0x4f7ffffe, v1
	s_cselect_b32 s2, 12, 18
	v_dual_mov_b32 v29, s37 :: v_dual_add_nc_u32 v20, 0xc00, v19
	s_add_u32 s38, s6, s2
	s_delay_alu instid0(VALU_DEP_2)
	v_cvt_u32_f32_e32 v1, v1
	s_addc_u32 s39, s7, 0
	s_add_i32 s2, s8, -1
	s_bfe_u32 s66, s47, 0x30005
	s_cmp_gt_u32 s2, 6
	v_readfirstlane_b32 s2, v1
	s_cselect_b32 s67, -1, 0
	s_and_b32 s68, s8, 0x7f8
	s_cmp_lg_u32 s66, 0
	v_lshlrev_b64 v[1:2], 1, v[7:8]
	s_cselect_b32 s69, -1, 0
	s_sub_i32 s4, 0, s61
	v_dual_mov_b32 v27, 0 :: v_dual_lshlrev_b32 v22, 2, v7
	s_mul_i32 s4, s4, s2
	s_delay_alu instid0(VALU_DEP_2)
	v_add_co_u32 v5, vcc_lo, s33, v1
	s_mul_hi_u32 s4, s2, s4
	v_add_co_ci_u32_e32 v6, vcc_lo, s43, v2, vcc_lo
	s_add_i32 s70, s2, s4
	v_lshrrev_b32_e32 v2, 3, v0
	s_mul_hi_u32 s4, s36, s70
	v_cmp_eq_u32_e64 s2, 0, v15
	s_mul_i32 s4, s4, s61
	v_lshlrev_b32_e32 v24, 3, v0
	s_sub_i32 s4, s36, s4
	v_dual_mov_b32 v28, 0 :: v_dual_and_b32 v17, 0x7c, v2
	s_sub_i32 s6, s4, s61
	s_cmp_ge_u32 s4, s61
	v_lshl_or_b32 v25, v15, 2, 0xc00
	s_cselect_b32 s6, s6, s4
	v_cmp_gt_u32_e64 s4, s36, v0
	s_sub_i32 s7, s6, s61
	s_cmp_ge_u32 s6, s61
	s_mul_i32 s53, s52, s47
	s_cselect_b32 s10, s7, s6
	s_sub_i32 s6, 0, s47
	s_sub_i32 s71, s36, s10
	s_delay_alu instid0(SALU_CYCLE_1) | instskip(SKIP_3) | instid1(VALU_DEP_2)
	v_dual_mul_f32 v1, 0x4f7ffffe, v3 :: v_dual_add_nc_u32 v18, s71, v0
	v_or_b32_e32 v3, 3, v16
	s_mov_b32 s83, 14
	s_mov_b32 s78, 0
	v_cvt_u32_f32_e32 v1, v1
	v_mul_lo_u32 v8, v18, s52
	v_mul_lo_u32 v21, s52, v3
                                        ; implicit-def: $sgpr77
                                        ; implicit-def: $sgpr81
                                        ; implicit-def: $sgpr80
                                        ; implicit-def: $sgpr82
                                        ; implicit-def: $sgpr79
                                        ; implicit-def: $sgpr84
                                        ; implicit-def: $sgpr86
                                        ; implicit-def: $sgpr85
                                        ; implicit-def: $sgpr87
                                        ; implicit-def: $sgpr88
	s_delay_alu instid0(VALU_DEP_3) | instskip(SKIP_1) | instid1(VALU_DEP_2)
	v_readfirstlane_b32 s8, v1
	v_lshlrev_b64 v[1:2], v15, -1
	s_mul_i32 s6, s6, s8
	s_delay_alu instid0(SALU_CYCLE_1) | instskip(NEXT) | instid1(VALU_DEP_1)
	s_mul_hi_u32 s6, s8, s6
	v_not_b32_e32 v14, v1
	s_add_i32 s72, s8, s6
	v_lshlrev_b64 v[1:2], 1, v[8:9]
	s_mul_hi_u32 s6, s9, s72
	s_delay_alu instid0(SALU_CYCLE_1) | instskip(SKIP_2) | instid1(VALU_DEP_2)
	s_mul_i32 s7, s6, s47
	v_cmp_gt_u32_e64 s6, 2, v0
	s_sub_i32 s7, s9, s7
	v_add_co_u32 v10, vcc_lo, s33, v1
	v_add3_u32 v1, s47, s36, v0
	s_sub_i32 s8, s7, s47
	s_cmp_ge_u32 s7, s47
	v_add_co_ci_u32_e32 v11, vcc_lo, s43, v2, vcc_lo
	s_cselect_b32 s8, s8, s7
	v_or_b32_e32 v2, 2, v16
	v_subrev_nc_u32_e32 v1, s10, v1
	s_sub_i32 s11, s8, s47
	s_cmp_ge_u32 s8, s47
	v_cmp_gt_u32_e64 s7, s71, v16
	s_cselect_b32 s11, s11, s8
	v_mul_lo_u32 v13, s52, v2
	v_mul_lo_u32 v23, s52, v1
	s_sub_i32 s73, s9, s11
	v_cmp_gt_u32_e64 s8, s36, v18
	v_cmp_gt_u32_e64 s9, s73, v0
	s_lshl_b32 s74, s53, 2
	s_lshl_b32 s75, s47, 3
	;; [unrolled: 1-line block ×3, first 2 shown]
	s_branch .LBB62_6
.LBB62_4:                               ;   in Loop: Header=BB62_6 Depth=1
	s_or_b32 exec_lo, exec_lo, s13
	v_dual_mov_b32 v26, v2 :: v_dual_mov_b32 v27, v1
	v_dual_mov_b32 v29, v3 :: v_dual_mov_b32 v28, v30
	s_and_not1_b32 s13, s88, exec_lo
	s_and_b32 s12, s12, exec_lo
	s_and_not1_b32 s87, s87, exec_lo
	s_or_b32 s88, s13, s12
	s_and_not1_b32 s85, s85, exec_lo
	s_and_not1_b32 s86, s86, exec_lo
	;; [unrolled: 1-line block ×3, first 2 shown]
	s_or_not1_b32 s12, s11, exec_lo
.LBB62_5:                               ;   in Loop: Header=BB62_6 Depth=1
	s_or_b32 exec_lo, exec_lo, s10
	s_delay_alu instid0(SALU_CYCLE_1) | instskip(NEXT) | instid1(SALU_CYCLE_1)
	s_and_b32 s10, exec_lo, s12
	s_or_b32 s55, s10, s55
	s_and_not1_b32 s10, s79, exec_lo
	s_and_b32 s11, s88, exec_lo
	s_and_not1_b32 s12, s82, exec_lo
	s_or_b32 s79, s10, s11
	s_and_b32 s10, s87, exec_lo
	s_and_not1_b32 s11, s80, exec_lo
	s_and_b32 s13, s85, exec_lo
	s_or_b32 s82, s12, s10
	s_or_b32 s80, s11, s13
	s_and_not1_b32 s10, s81, exec_lo
	s_and_b32 s11, s86, exec_lo
	s_and_not1_b32 s12, s77, exec_lo
	s_and_b32 s13, s84, exec_lo
	s_or_b32 s81, s10, s11
	s_or_b32 s77, s12, s13
	s_and_not1_b32 exec_lo, exec_lo, s55
	s_cbranch_execz .LBB62_403
.LBB62_6:                               ; =>This Loop Header: Depth=1
                                        ;     Child Loop BB62_11 Depth 2
                                        ;     Child Loop BB62_26 Depth 2
	;; [unrolled: 1-line block ×24, first 2 shown]
	ds_load_b64 v[1:2], v9 offset:4096
	s_waitcnt lgkmcnt(0)
	v_readfirstlane_b32 s89, v1
	s_delay_alu instid0(VALU_DEP_1)
	s_cmp_lg_u32 s89, 0
	s_cbranch_scc1 .LBB62_33
; %bb.7:                                ;   in Loop: Header=BB62_6 Depth=1
	s_and_b32 vcc_lo, exec_lo, s63
	s_cbranch_vccz .LBB62_19
; %bb.8:                                ;   in Loop: Header=BB62_6 Depth=1
	v_cmp_gt_u32_e32 vcc_lo, 0x601, v2
	s_mov_b32 s89, 0
	s_mov_b32 s10, 0
	s_cbranch_vccz .LBB62_20
; %bb.9:                                ;   in Loop: Header=BB62_6 Depth=1
	global_load_u16 v1, v9, s[38:39]
	global_load_u16 v3, v[5:6], off
	v_mov_b32_e32 v4, v0
	s_mov_b32 s12, 0
	s_waitcnt vmcnt(1)
	v_add_nc_u32_e32 v2, v0, v1
	s_delay_alu instid0(VALU_DEP_1)
	v_mul_lo_u32 v8, s52, v2
	v_mul_lo_u32 v2, s52, v1
	s_branch .LBB62_11
.LBB62_10:                              ;   in Loop: Header=BB62_11 Depth=2
	s_or_b32 exec_lo, exec_lo, s11
	v_dual_mov_b32 v3, v30 :: v_dual_add_nc_u32 v8, v8, v2
	s_and_not1_b32 exec_lo, exec_lo, s12
	s_cbranch_execz .LBB62_84
.LBB62_11:                              ;   Parent Loop BB62_6 Depth=1
                                        ; =>  This Inner Loop Header: Depth=2
	s_waitcnt lgkmcnt(0)
	v_dual_mov_b32 v31, 0 :: v_dual_add_nc_u32 v4, v4, v1
	v_mov_b32_e32 v30, 0
	s_mov_b32 s11, exec_lo
	s_delay_alu instid0(VALU_DEP_2)
	v_cmp_le_u32_e32 vcc_lo, s36, v4
	v_cmpx_gt_u32_e64 s36, v4
	s_cbranch_execz .LBB62_13
; %bb.12:                               ;   in Loop: Header=BB62_11 Depth=2
	v_lshlrev_b64 v[32:33], 1, v[8:9]
	s_delay_alu instid0(VALU_DEP_1) | instskip(NEXT) | instid1(VALU_DEP_1)
	v_add_co_u32 v32, s10, s33, v32
	v_add_co_ci_u32_e64 v33, s10, s43, v33, s10
	global_load_u16 v30, v[32:33], off
.LBB62_13:                              ;   in Loop: Header=BB62_11 Depth=2
	s_or_b32 exec_lo, exec_lo, s11
	s_waitcnt vmcnt(0)
	v_bfe_i32 v32, v3, 0, 16
	s_delay_alu instid0(VALU_DEP_1) | instskip(NEXT) | instid1(VALU_DEP_1)
	v_add_nc_u32_e32 v32, 0x8000, v32
	v_and_b32_e32 v32, v32, v26
	s_delay_alu instid0(VALU_DEP_1) | instskip(NEXT) | instid1(VALU_DEP_1)
	v_cmp_eq_u32_e64 s10, v32, v27
	s_cmp_lg_u32 s10, 0
	s_cselect_b32 s11, -1, 0
	s_delay_alu instid0(SALU_CYCLE_1) | instskip(NEXT) | instid1(SALU_CYCLE_1)
	s_and_b32 s11, s2, s11
	s_and_saveexec_b32 s13, s11
	s_cbranch_execz .LBB62_17
; %bb.14:                               ;   in Loop: Header=BB62_11 Depth=2
	s_mov_b32 s16, exec_lo
	s_bcnt1_i32_b32 s14, s10
	v_mbcnt_lo_u32_b32 v31, s16, 0
	s_mov_b32 s15, exec_lo
                                        ; implicit-def: $vgpr32
	s_delay_alu instid0(VALU_DEP_1)
	v_cmpx_eq_u32_e32 0, v31
	s_cbranch_execz .LBB62_16
; %bb.15:                               ;   in Loop: Header=BB62_11 Depth=2
	s_bcnt1_i32_b32 s11, s16
	s_delay_alu instid0(SALU_CYCLE_1) | instskip(NEXT) | instid1(SALU_CYCLE_1)
	s_mul_i32 s11, s14, s11
	v_mov_b32_e32 v32, s11
	ds_add_rtn_u32 v32, v9, v32 offset:4104
.LBB62_16:                              ;   in Loop: Header=BB62_11 Depth=2
	s_or_b32 exec_lo, exec_lo, s15
	s_waitcnt lgkmcnt(0)
	v_readfirstlane_b32 s11, v32
	s_delay_alu instid0(VALU_DEP_1)
	v_mad_u32_u24 v31, s14, v31, s11
.LBB62_17:                              ;   in Loop: Header=BB62_11 Depth=2
	s_or_b32 exec_lo, exec_lo, s13
	ds_bpermute_b32 v31, v9, v31
	s_and_b32 s11, exec_lo, vcc_lo
	s_delay_alu instid0(SALU_CYCLE_1)
	s_or_b32 s12, s11, s12
	s_and_saveexec_b32 s11, s10
	s_cbranch_execz .LBB62_10
; %bb.18:                               ;   in Loop: Header=BB62_11 Depth=2
	v_and_b32_e32 v32, s10, v14
	s_delay_alu instid0(VALU_DEP_1) | instskip(NEXT) | instid1(VALU_DEP_1)
	v_bcnt_u32_b32 v32, v32, 0
	v_lshlrev_b32_e32 v32, 1, v32
	s_waitcnt lgkmcnt(0)
	s_delay_alu instid0(VALU_DEP_1)
	v_lshl_add_u32 v31, v31, 1, v32
	ds_store_b16 v31, v3
	s_branch .LBB62_10
.LBB62_19:                              ;   in Loop: Header=BB62_6 Depth=1
	s_mov_b32 s89, -1
	s_mov_b32 s10, 0
.LBB62_20:                              ;   in Loop: Header=BB62_6 Depth=1
	s_and_b32 vcc_lo, exec_lo, s89
	s_cbranch_vccz .LBB62_31
.LBB62_21:                              ;   in Loop: Header=BB62_6 Depth=1
	v_mov_b32_e32 v1, 0
	s_and_saveexec_b32 s10, s4
	s_cbranch_execz .LBB62_23
; %bb.22:                               ;   in Loop: Header=BB62_6 Depth=1
	global_load_u16 v1, v[5:6], off
.LBB62_23:                              ;   in Loop: Header=BB62_6 Depth=1
	s_or_b32 exec_lo, exec_lo, s10
	s_and_saveexec_b32 s11, s4
	s_cbranch_execz .LBB62_28
; %bb.24:                               ;   in Loop: Header=BB62_6 Depth=1
	global_load_u16 v2, v9, s[38:39]
	s_mov_b32 s12, 0
	v_dual_mov_b32 v30, v19 :: v_dual_mov_b32 v31, v0
	s_waitcnt vmcnt(0)
	v_add_nc_u32_e32 v3, v0, v2
	v_lshlrev_b32_e32 v4, 1, v2
	s_delay_alu instid0(VALU_DEP_2)
	v_mul_lo_u32 v8, s52, v3
	v_mul_lo_u32 v3, s52, v2
	s_set_inst_prefetch_distance 0x1
	s_branch .LBB62_26
	.p2align	6
.LBB62_25:                              ;   in Loop: Header=BB62_26 Depth=2
	s_or_b32 exec_lo, exec_lo, s13
	ds_store_b16 v30, v1
	s_waitcnt vmcnt(0)
	v_dual_mov_b32 v1, v32 :: v_dual_add_nc_u32 v30, v30, v4
	v_add_nc_u32_e32 v8, v8, v3
	s_and_b32 s10, exec_lo, vcc_lo
	s_delay_alu instid0(SALU_CYCLE_1) | instskip(NEXT) | instid1(SALU_CYCLE_1)
	s_or_b32 s12, s10, s12
	s_and_not1_b32 exec_lo, exec_lo, s12
	s_cbranch_execz .LBB62_28
.LBB62_26:                              ;   Parent Loop BB62_6 Depth=1
                                        ; =>  This Inner Loop Header: Depth=2
	v_dual_mov_b32 v32, 0 :: v_dual_add_nc_u32 v31, v31, v2
	s_mov_b32 s13, exec_lo
	s_delay_alu instid0(VALU_DEP_1)
	v_cmp_le_u32_e32 vcc_lo, s36, v31
	v_cmpx_gt_u32_e64 s36, v31
	s_cbranch_execz .LBB62_25
; %bb.27:                               ;   in Loop: Header=BB62_26 Depth=2
	v_lshlrev_b64 v[32:33], 1, v[8:9]
	s_delay_alu instid0(VALU_DEP_1) | instskip(NEXT) | instid1(VALU_DEP_1)
	v_add_co_u32 v32, s10, s33, v32
	v_add_co_ci_u32_e64 v33, s10, s43, v33, s10
	global_load_u16 v32, v[32:33], off
	s_branch .LBB62_25
.LBB62_28:                              ;   in Loop: Header=BB62_6 Depth=1
	s_set_inst_prefetch_distance 0x2
	s_or_b32 exec_lo, exec_lo, s11
	s_waitcnt vmcnt(0) lgkmcnt(0)
	s_barrier
	buffer_gl0_inv
	s_and_saveexec_b32 s10, s5
	s_cbranch_execz .LBB62_30
; %bb.29:                               ;   in Loop: Header=BB62_6 Depth=1
	v_mov_b32_e32 v1, s36
	ds_store_b32 v9, v1 offset:4096
.LBB62_30:                              ;   in Loop: Header=BB62_6 Depth=1
	s_or_b32 exec_lo, exec_lo, s10
	s_mov_b32 s10, -1
	s_waitcnt lgkmcnt(0)
	s_barrier
                                        ; implicit-def: $sgpr89
.LBB62_31:                              ;   in Loop: Header=BB62_6 Depth=1
	s_and_b32 vcc_lo, exec_lo, s10
	s_cbranch_vccz .LBB62_33
; %bb.32:                               ;   in Loop: Header=BB62_6 Depth=1
	buffer_gl0_inv
	ds_load_b32 v1, v9 offset:4096
	s_waitcnt lgkmcnt(0)
	v_readfirstlane_b32 s89, v1
.LBB62_33:                              ;   in Loop: Header=BB62_6 Depth=1
	s_delay_alu instid0(VALU_DEP_1)
	s_cmp_lt_i32 s89, 1
	s_cbranch_scc0 .LBB62_37
; %bb.34:                               ;   in Loop: Header=BB62_6 Depth=1
	v_dual_mov_b32 v1, 0 :: v_dual_mov_b32 v2, 0
	v_dual_mov_b32 v3, 0 :: v_dual_mov_b32 v4, 0
	s_mov_b32 s22, 0
	s_and_saveexec_b32 s21, s7
	s_cbranch_execnz .LBB62_38
; %bb.35:                               ;   in Loop: Header=BB62_6 Depth=1
	s_or_b32 exec_lo, exec_lo, s21
	v_mov_b32_e32 v31, 0
	s_and_saveexec_b32 s10, s8
	s_cbranch_execnz .LBB62_41
.LBB62_36:                              ;   in Loop: Header=BB62_6 Depth=1
	s_or_b32 exec_lo, exec_lo, s10
	s_and_saveexec_b32 s14, s8
	s_cbranch_execnz .LBB62_42
	s_branch .LBB62_47
.LBB62_37:                              ;   in Loop: Header=BB62_6 Depth=1
                                        ; implicit-def: $vgpr4
	s_cbranch_execnz .LBB62_48
	s_branch .LBB62_57
.LBB62_38:                              ;   in Loop: Header=BB62_6 Depth=1
	v_mov_b32_e32 v30, v16
	s_and_b32 s23, s83, 0xfe
	s_mov_b32 s24, 0
	s_mov_b32 s25, 0
	;; [unrolled: 1-line block ×5, first 2 shown]
.LBB62_39:                              ;   Parent Loop BB62_6 Depth=1
                                        ; =>  This Inner Loop Header: Depth=2
	v_add_nc_u32_e32 v8, s24, v22
	v_add_nc_u32_e32 v30, s61, v30
	s_delay_alu instid0(VALU_DEP_2) | instskip(SKIP_1) | instid1(VALU_DEP_1)
	v_lshlrev_b64 v[1:2], 1, v[8:9]
	v_add_nc_u32_e32 v8, s24, v12
	v_lshlrev_b64 v[3:4], 1, v[8:9]
	v_add_nc_u32_e32 v8, s24, v13
	s_delay_alu instid0(VALU_DEP_4) | instskip(SKIP_1) | instid1(VALU_DEP_3)
	v_add_co_u32 v1, vcc_lo, s33, v1
	v_add_co_ci_u32_e32 v2, vcc_lo, s43, v2, vcc_lo
	v_lshlrev_b64 v[31:32], 1, v[8:9]
	v_add_nc_u32_e32 v8, s24, v21
	s_add_i32 s24, s24, s74
	global_load_i16 v33, v[1:2], off
	v_add_co_u32 v1, vcc_lo, s33, v3
	v_add_co_ci_u32_e32 v2, vcc_lo, s43, v4, vcc_lo
	v_add_co_u32 v31, vcc_lo, s33, v31
	v_add_co_ci_u32_e32 v32, vcc_lo, s43, v32, vcc_lo
	v_lshlrev_b64 v[3:4], 1, v[8:9]
	s_clause 0x1
	global_load_i16 v8, v[1:2], off
	global_load_i16 v31, v[31:32], off
	v_add_co_u32 v1, vcc_lo, s33, v3
	v_add_co_ci_u32_e32 v2, vcc_lo, s43, v4, vcc_lo
	v_cmp_le_u32_e32 vcc_lo, s71, v30
	global_load_i16 v1, v[1:2], off
	s_waitcnt vmcnt(3)
	v_add_nc_u32_e32 v2, 0x8000, v33
	s_delay_alu instid0(VALU_DEP_1) | instskip(SKIP_3) | instid1(VALU_DEP_3)
	v_and_b32_e32 v3, v2, v26
	v_bfe_u32 v2, v2, s23, 2
	s_waitcnt vmcnt(2)
	v_add_nc_u32_e32 v4, 0x8000, v8
	v_cmp_eq_u32_e64 s10, v3, v27
	s_delay_alu instid0(VALU_DEP_3)
	v_cmp_eq_u32_e64 s11, 0, v2
	s_waitcnt vmcnt(1)
	v_add_nc_u32_e32 v8, 0x8000, v31
	v_cmp_eq_u32_e64 s12, 1, v2
	v_and_b32_e32 v3, v4, v26
	v_bfe_u32 v4, v4, s23, 2
	v_cmp_eq_u32_e64 s13, 2, v2
	s_and_b32 s11, s10, s11
	v_cmp_eq_u32_e64 s14, 3, v2
	v_cmp_eq_u32_e64 s15, v3, v27
	v_and_b32_e32 v2, v8, v26
	v_bfe_u32 v3, v8, s23, 2
	v_cmp_eq_u32_e64 s16, 0, v4
	v_cndmask_b32_e64 v8, 0, 1, s11
	v_cmp_eq_u32_e64 s11, 1, v4
	s_and_b32 s12, s10, s12
	s_and_b32 s13, s10, s13
	v_cndmask_b32_e64 v31, 0, 1, s12
	v_cmp_eq_u32_e64 s12, 2, v4
	s_waitcnt vmcnt(0)
	v_add_nc_u32_e32 v1, 0x8000, v1
	v_cndmask_b32_e64 v32, 0, 1, s13
	s_and_b32 s10, s10, s14
	s_and_b32 s16, s15, s16
	s_and_b32 s11, s15, s11
	v_cmp_eq_u32_e64 s13, 3, v4
	v_cndmask_b32_e64 v4, 0, 1, s10
	v_cmp_eq_u32_e64 s10, v2, v27
	v_cmp_eq_u32_e64 s14, 0, v3
	v_cmp_ne_u32_e64 s17, 0, v8
	v_cndmask_b32_e64 v8, 0, 1, s16
	v_cmp_eq_u32_e64 s16, 1, v3
	v_cmp_ne_u32_e64 s18, 0, v31
	v_cndmask_b32_e64 v31, 0, 1, s11
	v_cmp_eq_u32_e64 s11, 2, v3
	s_and_b32 s12, s15, s12
	v_and_b32_e32 v2, v1, v26
	v_bfe_u32 v1, v1, s23, 2
	v_cmp_ne_u32_e64 s19, 0, v32
	v_cndmask_b32_e64 v32, 0, 1, s12
	v_cmp_eq_u32_e64 s12, 3, v3
	s_and_b32 s13, s15, s13
	s_and_b32 s14, s10, s14
	;; [unrolled: 1-line block ×4, first 2 shown]
	v_cmp_ne_u32_e64 s20, 0, v4
	v_cndmask_b32_e64 v3, 0, 1, s13
	v_cmp_eq_u32_e64 s13, v2, v27
	v_cmp_eq_u32_e64 s15, 0, v1
	s_bcnt1_i32_b32 s29, s17
	v_cmp_ne_u32_e64 s17, 0, v8
	v_cndmask_b32_e64 v2, 0, 1, s14
	v_cmp_eq_u32_e64 s14, 1, v1
	v_cndmask_b32_e64 v4, 0, 1, s16
	v_cmp_eq_u32_e64 s16, 2, v1
	;; [unrolled: 2-line block ×3, first 2 shown]
	s_and_b32 s10, s10, s12
	s_bcnt1_i32_b32 s92, s20
	v_cndmask_b32_e64 v1, 0, 1, s10
	v_cmp_ne_u32_e64 s20, 0, v3
	s_and_b32 s12, s13, s15
	s_and_b32 s14, s13, s14
	;; [unrolled: 1-line block ×4, first 2 shown]
	v_cmp_ne_u32_e64 s10, 0, v2
	v_cndmask_b32_e64 v2, 0, 1, s12
	v_cmp_ne_u32_e64 s12, 0, v4
	v_cndmask_b32_e64 v3, 0, 1, s14
	v_cndmask_b32_e64 v4, 0, 1, s15
	v_cmp_ne_u32_e64 s15, 0, v1
	v_cndmask_b32_e64 v1, 0, 1, s11
	s_bcnt1_i32_b32 s90, s18
	v_cmp_ne_u32_e64 s18, 0, v31
	s_bcnt1_i32_b32 s91, s19
	v_cmp_ne_u32_e64 s19, 0, v32
	s_add_i32 s25, s92, s25
	v_cmp_ne_u32_e64 s14, 0, v8
	s_bcnt1_i32_b32 s16, s20
	s_bcnt1_i32_b32 s20, s10
	s_add_i32 s16, s25, s16
	v_cmp_ne_u32_e64 s10, 0, v2
	s_bcnt1_i32_b32 s25, s12
	v_cmp_ne_u32_e64 s11, 0, v3
	v_cmp_ne_u32_e64 s12, 0, v4
	v_cmp_ne_u32_e64 s13, 0, v1
	s_add_i32 s28, s29, s28
	s_add_i32 s27, s90, s27
	;; [unrolled: 1-line block ×3, first 2 shown]
	s_bcnt1_i32_b32 s17, s17
	s_bcnt1_i32_b32 s18, s18
	;; [unrolled: 1-line block ×3, first 2 shown]
	s_add_i32 s17, s28, s17
	s_add_i32 s18, s27, s18
	;; [unrolled: 1-line block ×3, first 2 shown]
	s_bcnt1_i32_b32 s14, s14
	s_bcnt1_i32_b32 s15, s15
	s_add_i32 s17, s17, s20
	s_add_i32 s18, s18, s25
	;; [unrolled: 1-line block ×4, first 2 shown]
	s_bcnt1_i32_b32 s10, s10
	s_bcnt1_i32_b32 s11, s11
	;; [unrolled: 1-line block ×4, first 2 shown]
	s_add_i32 s28, s17, s10
	s_add_i32 s27, s18, s11
	;; [unrolled: 1-line block ×4, first 2 shown]
	s_delay_alu instid0(SALU_CYCLE_1) | instskip(SKIP_2) | instid1(SALU_CYCLE_1)
	v_dual_mov_b32 v1, s28 :: v_dual_mov_b32 v4, s25
	v_dual_mov_b32 v2, s27 :: v_dual_mov_b32 v3, s26
	s_or_b32 s22, vcc_lo, s22
	s_and_not1_b32 exec_lo, exec_lo, s22
	s_cbranch_execnz .LBB62_39
; %bb.40:                               ;   in Loop: Header=BB62_6 Depth=1
	s_or_b32 exec_lo, exec_lo, s22
	s_delay_alu instid0(SALU_CYCLE_1)
	s_or_b32 exec_lo, exec_lo, s21
	v_mov_b32_e32 v31, 0
	s_and_saveexec_b32 s10, s8
	s_cbranch_execz .LBB62_36
.LBB62_41:                              ;   in Loop: Header=BB62_6 Depth=1
	global_load_u16 v31, v[10:11], off
	s_or_b32 exec_lo, exec_lo, s10
	s_and_saveexec_b32 s14, s8
	s_cbranch_execz .LBB62_47
.LBB62_42:                              ;   in Loop: Header=BB62_6 Depth=1
	v_mov_b32_e32 v8, v23
	v_mov_b32_e32 v30, v18
	s_and_b32 s16, s83, 0xfe
	s_mov_b32 s15, 0
	s_branch .LBB62_44
.LBB62_43:                              ;   in Loop: Header=BB62_44 Depth=2
	s_or_b32 exec_lo, exec_lo, s11
	s_waitcnt vmcnt(0)
	v_bfe_i32 v31, v31, 0, 16
	s_and_b32 s11, exec_lo, vcc_lo
	v_add_nc_u32_e32 v8, s53, v8
	s_or_b32 s15, s11, s15
	s_delay_alu instid0(VALU_DEP_2) | instskip(NEXT) | instid1(VALU_DEP_1)
	v_add_nc_u32_e32 v31, 0x8000, v31
	v_and_b32_e32 v33, v31, v26
	v_bfe_u32 v31, v31, s16, 2
	s_delay_alu instid0(VALU_DEP_2) | instskip(NEXT) | instid1(VALU_DEP_2)
	v_cmp_eq_u32_e32 vcc_lo, v33, v27
	v_cmp_eq_u32_e64 s10, 0, v31
	v_cmp_eq_u32_e64 s11, 1, v31
	;; [unrolled: 1-line block ×4, first 2 shown]
	s_delay_alu instid0(VALU_DEP_4) | instskip(NEXT) | instid1(SALU_CYCLE_1)
	s_and_b32 s10, vcc_lo, s10
	v_cndmask_b32_e64 v31, 0, 1, s10
	s_and_b32 s10, vcc_lo, s11
	s_delay_alu instid0(SALU_CYCLE_1) | instskip(SKIP_1) | instid1(SALU_CYCLE_1)
	v_cndmask_b32_e64 v33, 0, 1, s10
	s_and_b32 s10, vcc_lo, s12
	v_cndmask_b32_e64 v34, 0, 1, s10
	s_and_b32 s10, vcc_lo, s13
	v_cmp_ne_u32_e32 vcc_lo, 0, v31
	v_mov_b32_e32 v31, v32
	v_cndmask_b32_e64 v35, 0, 1, s10
	v_cmp_ne_u32_e64 s10, 0, v33
	v_cmp_ne_u32_e64 s11, 0, v34
	s_bcnt1_i32_b32 s13, vcc_lo
	s_delay_alu instid0(VALU_DEP_3) | instskip(NEXT) | instid1(VALU_DEP_3)
	v_cmp_ne_u32_e64 s12, 0, v35
	s_bcnt1_i32_b32 s10, s10
	s_delay_alu instid0(VALU_DEP_2)
	s_bcnt1_i32_b32 s11, s11
	v_add_nc_u32_e32 v1, s13, v1
	v_add_nc_u32_e32 v2, s10, v2
	s_bcnt1_i32_b32 s12, s12
	v_add_nc_u32_e32 v3, s11, v3
	v_add_nc_u32_e32 v4, s12, v4
	s_and_not1_b32 exec_lo, exec_lo, s15
	s_cbranch_execz .LBB62_46
.LBB62_44:                              ;   Parent Loop BB62_6 Depth=1
                                        ; =>  This Inner Loop Header: Depth=2
	s_delay_alu instid0(VALU_DEP_1) | instskip(SKIP_2) | instid1(VALU_DEP_2)
	v_add_nc_u32_e32 v30, s47, v30
	v_mov_b32_e32 v32, 0
	s_mov_b32 s11, exec_lo
	v_cmp_le_u32_e32 vcc_lo, s36, v30
	v_cmpx_gt_u32_e64 s36, v30
	s_cbranch_execz .LBB62_43
; %bb.45:                               ;   in Loop: Header=BB62_44 Depth=2
	v_lshlrev_b64 v[32:33], 1, v[8:9]
	s_delay_alu instid0(VALU_DEP_1) | instskip(NEXT) | instid1(VALU_DEP_1)
	v_add_co_u32 v32, s10, s33, v32
	v_add_co_ci_u32_e64 v33, s10, s43, v33, s10
	global_load_u16 v32, v[32:33], off
	s_branch .LBB62_43
.LBB62_46:                              ;   in Loop: Header=BB62_6 Depth=1
	s_or_b32 exec_lo, exec_lo, s15
.LBB62_47:                              ;   in Loop: Header=BB62_6 Depth=1
	s_delay_alu instid0(SALU_CYCLE_1)
	s_or_b32 exec_lo, exec_lo, s14
	s_branch .LBB62_57
.LBB62_48:                              ;   in Loop: Header=BB62_6 Depth=1
	s_mul_hi_u32 s10, s89, s70
	v_dual_mov_b32 v1, 0 :: v_dual_mov_b32 v2, 0
	s_mul_i32 s10, s10, s61
	v_dual_mov_b32 v3, 0 :: v_dual_mov_b32 v4, 0
	s_sub_i32 s10, s89, s10
	s_mov_b32 s92, 0
	s_sub_i32 s11, s10, s61
	s_cmp_ge_u32 s10, s61
	s_mov_b32 s91, exec_lo
	s_cselect_b32 s10, s11, s10
	s_delay_alu instid0(SALU_CYCLE_1) | instskip(SKIP_2) | instid1(SALU_CYCLE_1)
	s_sub_i32 s11, s10, s61
	s_cmp_ge_u32 s10, s61
	s_cselect_b32 s10, s11, s10
	s_sub_i32 s90, s89, s10
	s_delay_alu instid0(SALU_CYCLE_1)
	v_cmpx_gt_u32_e64 s90, v16
	s_cbranch_execz .LBB62_52
; %bb.49:                               ;   in Loop: Header=BB62_6 Depth=1
	v_mov_b32_e32 v8, v24
	v_mov_b32_e32 v30, v16
	s_and_b32 s93, s83, 0xfe
	s_mov_b32 s94, 0
	s_mov_b32 s95, 0
	;; [unrolled: 1-line block ×4, first 2 shown]
.LBB62_50:                              ;   Parent Loop BB62_6 Depth=1
                                        ; =>  This Inner Loop Header: Depth=2
	ds_load_b64 v[1:2], v8
	s_waitcnt lgkmcnt(0)
	v_bfe_i32 v3, v1, 0, 16
	v_ashrrev_i32_e32 v1, 16, v1
	v_bfe_i32 v4, v2, 0, 16
	v_ashrrev_i32_e32 v2, 16, v2
	s_delay_alu instid0(VALU_DEP_4) | instskip(NEXT) | instid1(VALU_DEP_4)
	v_add_nc_u32_e32 v3, 0x8000, v3
	v_add_nc_u32_e32 v1, 0x8000, v1
	s_delay_alu instid0(VALU_DEP_4) | instskip(NEXT) | instid1(VALU_DEP_4)
	v_add_nc_u32_e32 v4, 0x8000, v4
	v_add_nc_u32_e32 v2, 0x8000, v2
	s_waitcnt vmcnt(0)
	v_and_b32_e32 v31, v3, v26
	v_bfe_u32 v3, v3, s93, 2
	v_and_b32_e32 v32, v1, v26
	v_bfe_u32 v1, v1, s93, 2
	;; [unrolled: 2-line block ×3, first 2 shown]
	v_cmp_eq_u32_e64 s10, v31, v27
	v_cmp_eq_u32_e64 s14, 0, v3
	v_and_b32_e32 v34, v2, v26
	v_bfe_u32 v2, v2, s93, 2
	v_cmp_eq_u32_e64 s11, v32, v27
	v_cmp_eq_u32_e64 s15, 0, v1
	v_cmp_eq_u32_e64 s12, v33, v27
	v_cmp_eq_u32_e64 s16, 0, v4
	s_and_b32 s14, s10, s14
	v_cmp_eq_u32_e64 s13, v34, v27
	v_cmp_eq_u32_e64 s17, 0, v2
	;; [unrolled: 1-line block ×5, first 2 shown]
	v_cndmask_b32_e64 v1, 0, 1, s14
	s_and_b32 s14, s11, s15
	v_cmp_eq_u32_e64 s18, 1, v3
	v_cmp_eq_u32_e64 s21, 1, v2
	;; [unrolled: 1-line block ×4, first 2 shown]
	v_cndmask_b32_e64 v2, 0, 1, s14
	s_and_b32 s14, s12, s16
	v_cmp_eq_u32_e64 s22, 2, v3
	v_cmp_eq_u32_e64 s26, 3, v3
	v_cndmask_b32_e64 v3, 0, 1, s14
	s_and_b32 s14, s13, s17
	v_cmp_eq_u32_e64 s20, 1, v4
	v_cmp_eq_u32_e64 s24, 2, v4
	;; [unrolled: 1-line block ×3, first 2 shown]
	v_cndmask_b32_e64 v4, 0, 1, s14
	s_and_b32 s14, s10, s18
	s_delay_alu instid0(SALU_CYCLE_1) | instskip(SKIP_1) | instid1(SALU_CYCLE_1)
	v_cndmask_b32_e64 v31, 0, 1, s14
	s_and_b32 s14, s11, s19
	v_cndmask_b32_e64 v32, 0, 1, s14
	s_and_b32 s14, s12, s20
	s_delay_alu instid0(SALU_CYCLE_1) | instskip(SKIP_1) | instid1(VALU_DEP_2)
	v_cndmask_b32_e64 v33, 0, 1, s14
	s_and_b32 s14, s13, s21
	v_cmp_ne_u32_e64 s15, 0, v32
	v_cndmask_b32_e64 v34, 0, 1, s14
	s_and_b32 s14, s10, s22
	s_and_b32 s10, s10, s26
	v_cndmask_b32_e64 v35, 0, 1, s14
	v_cndmask_b32_e64 v39, 0, 1, s10
	s_and_b32 s10, s11, s27
	s_and_b32 s14, s11, s23
	v_cndmask_b32_e64 v40, 0, 1, s10
	s_and_b32 s10, s12, s28
	v_cndmask_b32_e64 v36, 0, 1, s14
	v_cndmask_b32_e64 v41, 0, 1, s10
	s_and_b32 s10, s13, s29
	s_and_b32 s14, s12, s24
	v_cndmask_b32_e64 v42, 0, 1, s10
	v_cmp_ne_u32_e64 s10, 0, v1
	v_cmp_ne_u32_e64 s11, 0, v2
	v_cndmask_b32_e64 v37, 0, 1, s14
	s_and_b32 s14, s13, s25
	v_cmp_ne_u32_e64 s12, 0, v3
	v_cndmask_b32_e64 v38, 0, 1, s14
	v_cmp_ne_u32_e64 s14, 0, v31
	v_cmp_ne_u32_e64 s18, 0, v35
	;; [unrolled: 1-line block ×3, first 2 shown]
	s_bcnt1_i32_b32 s10, s10
	v_cmp_ne_u32_e64 s13, 0, v4
	v_cmp_ne_u32_e64 s19, 0, v36
	v_cmp_ne_u32_e64 s23, 0, v40
	s_bcnt1_i32_b32 s11, s11
	s_add_i32 s10, s10, s97
	v_cmp_ne_u32_e64 s16, 0, v33
	v_cmp_ne_u32_e64 s20, 0, v37
	;; [unrolled: 1-line block ×3, first 2 shown]
	s_bcnt1_i32_b32 s12, s12
	s_add_i32 s10, s10, s11
	s_bcnt1_i32_b32 s14, s14
	s_bcnt1_i32_b32 s18, s18
	;; [unrolled: 1-line block ×3, first 2 shown]
	v_cmp_ne_u32_e64 s17, 0, v34
	v_cmp_ne_u32_e64 s21, 0, v38
	;; [unrolled: 1-line block ×3, first 2 shown]
	s_bcnt1_i32_b32 s13, s13
	s_add_i32 s10, s10, s12
	s_bcnt1_i32_b32 s15, s15
	s_bcnt1_i32_b32 s19, s19
	s_bcnt1_i32_b32 s23, s23
	s_add_i32 s14, s14, s96
	s_add_i32 s18, s18, s95
	;; [unrolled: 1-line block ×4, first 2 shown]
	s_delay_alu instid0(SALU_CYCLE_1)
	v_dual_mov_b32 v1, s97 :: v_dual_add_nc_u32 v30, s61, v30
	s_bcnt1_i32_b32 s16, s16
	s_bcnt1_i32_b32 s20, s20
	;; [unrolled: 1-line block ×3, first 2 shown]
	s_add_i32 s11, s14, s15
	s_add_i32 s14, s18, s19
	;; [unrolled: 1-line block ×3, first 2 shown]
	s_bcnt1_i32_b32 s17, s17
	s_bcnt1_i32_b32 s21, s21
	;; [unrolled: 1-line block ×3, first 2 shown]
	s_add_i32 s11, s11, s16
	s_add_i32 s12, s14, s20
	;; [unrolled: 1-line block ×3, first 2 shown]
	v_cmp_le_u32_e32 vcc_lo, s90, v30
	s_add_i32 s96, s11, s17
	s_add_i32 s95, s12, s21
	;; [unrolled: 1-line block ×3, first 2 shown]
	v_dual_mov_b32 v3, s95 :: v_dual_add_nc_u32 v8, s75, v8
	v_mov_b32_e32 v2, s96
	v_mov_b32_e32 v4, s94
	s_or_b32 s92, vcc_lo, s92
	s_delay_alu instid0(SALU_CYCLE_1)
	s_and_not1_b32 exec_lo, exec_lo, s92
	s_cbranch_execnz .LBB62_50
; %bb.51:                               ;   in Loop: Header=BB62_6 Depth=1
	s_or_b32 exec_lo, exec_lo, s92
.LBB62_52:                              ;   in Loop: Header=BB62_6 Depth=1
	s_delay_alu instid0(SALU_CYCLE_1) | instskip(SKIP_2) | instid1(VALU_DEP_1)
	s_or_b32 exec_lo, exec_lo, s91
	v_add_nc_u32_e32 v8, s90, v0
	s_mov_b32 s15, exec_lo
	v_cmpx_gt_u32_e64 s89, v8
	s_cbranch_execz .LBB62_56
; %bb.53:                               ;   in Loop: Header=BB62_6 Depth=1
	v_lshlrev_b32_e32 v30, 1, v8
	s_and_b32 s17, s83, 0xfe
	s_mov_b32 s16, 0
.LBB62_54:                              ;   Parent Loop BB62_6 Depth=1
                                        ; =>  This Inner Loop Header: Depth=2
	s_waitcnt vmcnt(0)
	ds_load_i16 v31, v30
	v_add_nc_u32_e32 v8, s47, v8
	v_add_nc_u32_e32 v30, s76, v30
	s_delay_alu instid0(VALU_DEP_2) | instskip(SKIP_2) | instid1(VALU_DEP_1)
	v_cmp_le_u32_e32 vcc_lo, s89, v8
	s_waitcnt lgkmcnt(0)
	v_add_nc_u32_e32 v31, 0x8000, v31
	v_and_b32_e32 v32, v31, v26
	v_bfe_u32 v31, v31, s17, 2
	s_delay_alu instid0(VALU_DEP_2) | instskip(NEXT) | instid1(VALU_DEP_2)
	v_cmp_eq_u32_e64 s10, v32, v27
	v_cmp_eq_u32_e64 s11, 0, v31
	;; [unrolled: 1-line block ×5, first 2 shown]
	s_delay_alu instid0(VALU_DEP_4) | instskip(NEXT) | instid1(SALU_CYCLE_1)
	s_and_b32 s11, s10, s11
	v_cndmask_b32_e64 v31, 0, 1, s11
	s_and_b32 s11, s10, s12
	s_delay_alu instid0(SALU_CYCLE_1)
	v_cndmask_b32_e64 v32, 0, 1, s11
	s_and_b32 s11, s10, s13
	s_and_b32 s10, s10, s14
	v_cndmask_b32_e64 v33, 0, 1, s11
	v_cndmask_b32_e64 v34, 0, 1, s10
	v_cmp_ne_u32_e64 s10, 0, v31
	v_cmp_ne_u32_e64 s11, 0, v32
	s_delay_alu instid0(VALU_DEP_4) | instskip(NEXT) | instid1(VALU_DEP_4)
	v_cmp_ne_u32_e64 s12, 0, v33
	v_cmp_ne_u32_e64 s13, 0, v34
	s_delay_alu instid0(VALU_DEP_4) | instskip(NEXT) | instid1(VALU_DEP_3)
	s_bcnt1_i32_b32 s10, s10
	s_bcnt1_i32_b32 s11, s11
	v_add_nc_u32_e32 v1, s10, v1
	s_bcnt1_i32_b32 s12, s12
	s_bcnt1_i32_b32 s13, s13
	v_add_nc_u32_e32 v2, s11, v2
	v_add_nc_u32_e32 v3, s12, v3
	;; [unrolled: 1-line block ×3, first 2 shown]
	s_or_b32 s16, vcc_lo, s16
	s_delay_alu instid0(SALU_CYCLE_1)
	s_and_not1_b32 exec_lo, exec_lo, s16
	s_cbranch_execnz .LBB62_54
; %bb.55:                               ;   in Loop: Header=BB62_6 Depth=1
	s_or_b32 exec_lo, exec_lo, s16
.LBB62_56:                              ;   in Loop: Header=BB62_6 Depth=1
	s_delay_alu instid0(SALU_CYCLE_1)
	s_or_b32 exec_lo, exec_lo, s15
.LBB62_57:                              ;   in Loop: Header=BB62_6 Depth=1
	s_lshl_b32 s10, s78, 7
	s_and_saveexec_b32 s11, s2
	s_cbranch_execz .LBB62_59
; %bb.58:                               ;   in Loop: Header=BB62_6 Depth=1
	v_or_b32_e32 v8, s10, v17
	s_delay_alu instid0(VALU_DEP_1)
	v_lshlrev_b32_e32 v8, 2, v8
	ds_store_b128 v8, v[1:4] offset:3072
.LBB62_59:                              ;   in Loop: Header=BB62_6 Depth=1
	s_or_b32 exec_lo, exec_lo, s11
	s_waitcnt vmcnt(0) lgkmcnt(0)
	s_barrier
	buffer_gl0_inv
	s_and_saveexec_b32 s11, s62
	s_cbranch_execz .LBB62_69
; %bb.60:                               ;   in Loop: Header=BB62_6 Depth=1
	v_mov_b32_e32 v1, 0
	s_and_not1_b32 vcc_lo, exec_lo, s64
	s_cbranch_vccnz .LBB62_68
; %bb.61:                               ;   in Loop: Header=BB62_6 Depth=1
	v_mov_b32_e32 v1, 0
	s_and_not1_b32 vcc_lo, exec_lo, s67
	s_mov_b32 s12, 0
	s_cbranch_vccnz .LBB62_65
; %bb.62:                               ;   in Loop: Header=BB62_6 Depth=1
	v_lshl_add_u32 v2, s78, 9, v25
	v_mov_b32_e32 v1, 0
	.p2align	6
.LBB62_63:                              ;   Parent Loop BB62_6 Depth=1
                                        ; =>  This Inner Loop Header: Depth=2
	ds_load_2addr_b32 v[3:4], v2 offset1:4
	ds_load_2addr_b32 v[30:31], v2 offset0:8 offset1:12
	ds_load_2addr_b32 v[32:33], v2 offset0:16 offset1:20
	;; [unrolled: 1-line block ×3, first 2 shown]
	v_add_nc_u32_e32 v2, 0x80, v2
	s_add_i32 s12, s12, 8
	s_delay_alu instid0(SALU_CYCLE_1) | instskip(SKIP_3) | instid1(VALU_DEP_1)
	s_cmp_eq_u32 s68, s12
	s_waitcnt lgkmcnt(3)
	v_add3_u32 v1, v3, v1, v4
	s_waitcnt lgkmcnt(2)
	v_add3_u32 v1, v30, v1, v31
	s_waitcnt lgkmcnt(1)
	s_delay_alu instid0(VALU_DEP_1) | instskip(SKIP_1) | instid1(VALU_DEP_1)
	v_add3_u32 v1, v32, v1, v33
	s_waitcnt lgkmcnt(0)
	v_add3_u32 v1, v34, v1, v35
	s_cbranch_scc0 .LBB62_63
; %bb.64:                               ;   in Loop: Header=BB62_6 Depth=1
	s_mov_b32 s12, s68
.LBB62_65:                              ;   in Loop: Header=BB62_6 Depth=1
	s_and_not1_b32 vcc_lo, exec_lo, s69
	s_cbranch_vccnz .LBB62_68
; %bb.66:                               ;   in Loop: Header=BB62_6 Depth=1
	s_lshl_b32 s13, s78, 9
	s_lshl_b32 s12, s12, 4
	s_delay_alu instid0(SALU_CYCLE_1)
	v_add3_u32 v2, s13, s12, v25
	s_mov_b32 s12, s66
.LBB62_67:                              ;   Parent Loop BB62_6 Depth=1
                                        ; =>  This Inner Loop Header: Depth=2
	ds_load_b32 v3, v2
	v_add_nc_u32_e32 v2, 16, v2
	s_add_i32 s12, s12, -1
	s_delay_alu instid0(SALU_CYCLE_1)
	s_cmp_lg_u32 s12, 0
	s_waitcnt lgkmcnt(0)
	v_add_nc_u32_e32 v1, v3, v1
	s_cbranch_scc1 .LBB62_67
.LBB62_68:                              ;   in Loop: Header=BB62_6 Depth=1
	v_add_lshl_u32 v2, s10, v15, 2
	ds_store_b32 v2, v1 offset:3072
.LBB62_69:                              ;   in Loop: Header=BB62_6 Depth=1
	s_or_b32 exec_lo, exec_lo, s11
	s_lshl_b32 s10, s10, 2
	s_waitcnt lgkmcnt(0)
	v_mov_b32_e32 v1, s10
	s_barrier
	buffer_gl0_inv
	s_and_b32 s17, s83, 0xfe
	v_cmp_eq_u32_e64 s10, 1, v29
	ds_load_b128 v[1:4], v1 offset:3072
	s_lshl_b32 s13, 3, s17
	s_and_not1_b32 vcc_lo, exec_lo, s54
	s_not_b32 s14, s13
	s_waitcnt lgkmcnt(0)
	v_readfirstlane_b32 s12, v1
	v_readfirstlane_b32 s16, v2
	v_readfirstlane_b32 s18, v3
	v_readfirstlane_b32 s19, v4
	s_cbranch_vccnz .LBB62_82
; %bb.70:                               ;   in Loop: Header=BB62_6 Depth=1
	s_cmp_eq_u32 s12, 1
	v_dual_mov_b32 v1, v27 :: v_dual_mov_b32 v2, v26
	v_mov_b32_e32 v30, v28
	s_cselect_b32 s11, -1, 0
	s_mov_b32 s26, -1
	s_and_b32 s25, s11, s10
                                        ; implicit-def: $sgpr15
                                        ; implicit-def: $sgpr22
                                        ; implicit-def: $sgpr21
	s_delay_alu instid0(SALU_CYCLE_1)
	s_and_saveexec_b32 s20, s25
	s_cbranch_execz .LBB62_101
; %bb.71:                               ;   in Loop: Header=BB62_6 Depth=1
	ds_load_b32 v1, v9 offset:4096
	s_waitcnt lgkmcnt(0)
	s_barrier
	buffer_gl0_inv
	v_readfirstlane_b32 s15, v1
	s_and_saveexec_b32 s11, s6
	s_cbranch_execz .LBB62_73
; %bb.72:                               ;   in Loop: Header=BB62_6 Depth=1
	ds_store_b16 v20, v9
.LBB62_73:                              ;   in Loop: Header=BB62_6 Depth=1
	s_or_b32 exec_lo, exec_lo, s11
	v_and_b32_e32 v1, s14, v27
	v_or_b32_e32 v2, s13, v26
	s_cmp_eq_u32 s15, 0
	s_waitcnt lgkmcnt(0)
	s_barrier
	buffer_gl0_inv
	s_cbranch_scc1 .LBB62_87
; %bb.74:                               ;   in Loop: Header=BB62_6 Depth=1
	s_add_i32 s11, s15, s65
                                        ; implicit-def: $vgpr30
	s_delay_alu instid0(SALU_CYCLE_1) | instskip(NEXT) | instid1(SALU_CYCLE_1)
	s_mul_hi_u32 s21, s11, s72
	s_mul_i32 s21, s21, s47
	s_delay_alu instid0(SALU_CYCLE_1) | instskip(NEXT) | instid1(SALU_CYCLE_1)
	s_sub_i32 s21, s11, s21
	s_sub_i32 s22, s21, s47
	s_cmp_ge_u32 s21, s47
	s_cselect_b32 s21, s22, s21
	s_delay_alu instid0(SALU_CYCLE_1) | instskip(SKIP_2) | instid1(SALU_CYCLE_1)
	s_sub_i32 s22, s21, s47
	s_cmp_ge_u32 s21, s47
	s_cselect_b32 s21, s22, s21
	s_sub_i32 s22, s11, s21
	s_mov_b32 s11, 0
	s_mov_b32 s21, exec_lo
	v_cmpx_gt_u32_e64 s22, v0
	s_cbranch_execz .LBB62_89
; %bb.75:                               ;   in Loop: Header=BB62_6 Depth=1
	v_dual_mov_b32 v3, v19 :: v_dual_mov_b32 v4, v0
	s_mov_b32 s23, 0
                                        ; implicit-def: $sgpr24
	s_set_inst_prefetch_distance 0x1
	s_branch .LBB62_77
	.p2align	6
.LBB62_76:                              ;   in Loop: Header=BB62_77 Depth=2
	s_or_b32 exec_lo, exec_lo, s11
	s_waitcnt lgkmcnt(0)
	s_barrier
	buffer_gl0_inv
	ds_load_b32 v8, v9 offset:3072
	v_add_nc_u32_e32 v4, s47, v4
	v_add_nc_u32_e32 v3, s76, v3
	s_waitcnt lgkmcnt(0)
	s_barrier
	buffer_gl0_inv
	v_cmp_le_u32_e32 vcc_lo, s22, v4
	v_cmp_ne_u16_e64 s11, 0, v8
	s_delay_alu instid0(VALU_DEP_1) | instskip(NEXT) | instid1(SALU_CYCLE_1)
	s_or_b32 s26, vcc_lo, s11
	s_and_b32 s26, exec_lo, s26
	s_delay_alu instid0(SALU_CYCLE_1) | instskip(SKIP_2) | instid1(SALU_CYCLE_1)
	s_or_b32 s23, s26, s23
	s_and_not1_b32 s24, s24, exec_lo
	s_and_b32 s11, s11, exec_lo
	s_or_b32 s24, s24, s11
	s_and_not1_b32 exec_lo, exec_lo, s23
	s_cbranch_execz .LBB62_88
.LBB62_77:                              ;   Parent Loop BB62_6 Depth=1
                                        ; =>  This Inner Loop Header: Depth=2
	s_delay_alu instid0(VALU_DEP_1)
	v_cmp_gt_u32_e32 vcc_lo, s15, v4
	v_mov_b32_e32 v8, 0
	s_and_saveexec_b32 s11, vcc_lo
	s_cbranch_execz .LBB62_79
; %bb.78:                               ;   in Loop: Header=BB62_77 Depth=2
	ds_load_u16 v8, v3
.LBB62_79:                              ;   in Loop: Header=BB62_77 Depth=2
	s_or_b32 exec_lo, exec_lo, s11
	s_and_saveexec_b32 s11, vcc_lo
	s_cbranch_execz .LBB62_76
; %bb.80:                               ;   in Loop: Header=BB62_77 Depth=2
	s_waitcnt lgkmcnt(0)
	v_bfe_i32 v30, v8, 0, 16
	s_delay_alu instid0(VALU_DEP_1) | instskip(NEXT) | instid1(VALU_DEP_1)
	v_add_nc_u32_e32 v30, 0x8000, v30
	v_and_b32_e32 v30, v30, v2
	s_delay_alu instid0(VALU_DEP_1)
	v_cmp_eq_u32_e32 vcc_lo, v30, v1
	s_and_b32 exec_lo, exec_lo, vcc_lo
	s_cbranch_execz .LBB62_76
; %bb.81:                               ;   in Loop: Header=BB62_77 Depth=2
	v_perm_b32 v8, v8, 1, 0x5040100
	ds_store_b32 v9, v8 offset:3072
	s_branch .LBB62_76
.LBB62_82:                              ;   in Loop: Header=BB62_6 Depth=1
	s_mov_b32 s20, 0
	s_mov_b32 s11, 0
                                        ; implicit-def: $sgpr21
                                        ; implicit-def: $sgpr22
                                        ; implicit-def: $sgpr15
                                        ; implicit-def: $vgpr4
                                        ; implicit-def: $vgpr3
                                        ; implicit-def: $vgpr1
                                        ; implicit-def: $vgpr2
                                        ; implicit-def: $vgpr30
	s_cbranch_execnz .LBB62_237
.LBB62_83:                              ;   in Loop: Header=BB62_6 Depth=1
	s_mov_b32 s23, s15
	s_mov_b32 s24, s15
	s_and_saveexec_b32 s10, s20
	s_cbranch_execnz .LBB62_399
	s_branch .LBB62_400
.LBB62_84:                              ;   in Loop: Header=BB62_6 Depth=1
	s_or_b32 exec_lo, exec_lo, s12
	s_waitcnt lgkmcnt(0)
	s_barrier
	buffer_gl0_inv
	s_and_saveexec_b32 s10, s5
	s_cbranch_execz .LBB62_86
; %bb.85:                               ;   in Loop: Header=BB62_6 Depth=1
	ds_load_b32 v1, v9 offset:4104
	s_waitcnt lgkmcnt(0)
	ds_store_b32 v9, v1 offset:4096
.LBB62_86:                              ;   in Loop: Header=BB62_6 Depth=1
	s_or_b32 exec_lo, exec_lo, s10
	s_waitcnt lgkmcnt(0)
	s_mov_b32 s10, -1
	s_barrier
	s_and_b32 vcc_lo, exec_lo, s89
	s_cbranch_vccnz .LBB62_21
	s_branch .LBB62_31
.LBB62_87:                              ;   in Loop: Header=BB62_6 Depth=1
	s_mov_b32 s15, -1
	s_mov_b32 s11, 0
                                        ; implicit-def: $sgpr21
                                        ; implicit-def: $vgpr30
	s_mov_b32 s22, s15
	s_cbranch_execnz .LBB62_90
	s_branch .LBB62_100
.LBB62_88:                              ;   in Loop: Header=BB62_6 Depth=1
	s_set_inst_prefetch_distance 0x2
	s_or_b32 exec_lo, exec_lo, s23
	v_lshrrev_b32_e32 v30, 16, v8
	s_and_b32 s11, s24, exec_lo
.LBB62_89:                              ;   in Loop: Header=BB62_6 Depth=1
	s_or_b32 exec_lo, exec_lo, s21
	s_mov_b32 s21, -1
	s_mov_b32 s15, 0
	s_delay_alu instid0(SALU_CYCLE_1)
	s_mov_b32 s22, s15
	s_branch .LBB62_100
.LBB62_90:                              ;   in Loop: Header=BB62_6 Depth=1
	s_mov_b32 s11, 0
                                        ; implicit-def: $vgpr30
	s_and_saveexec_b32 s15, s9
	s_cbranch_execz .LBB62_99
; %bb.91:                               ;   in Loop: Header=BB62_6 Depth=1
	v_dual_mov_b32 v8, v7 :: v_dual_mov_b32 v3, v0
	s_mov_b32 s21, 0
                                        ; implicit-def: $sgpr22
	s_set_inst_prefetch_distance 0x1
	s_branch .LBB62_93
	.p2align	6
.LBB62_92:                              ;   in Loop: Header=BB62_93 Depth=2
	s_or_b32 exec_lo, exec_lo, s11
	s_waitcnt vmcnt(0) lgkmcnt(0)
	s_barrier
	buffer_gl0_inv
	ds_load_b32 v4, v9 offset:3072
	v_add_nc_u32_e32 v3, s47, v3
	v_add_nc_u32_e32 v8, s53, v8
	s_waitcnt lgkmcnt(0)
	s_barrier
	buffer_gl0_inv
	v_cmp_le_u32_e32 vcc_lo, s73, v3
	v_cmp_ne_u16_e64 s11, 0, v4
	s_delay_alu instid0(VALU_DEP_1) | instskip(NEXT) | instid1(SALU_CYCLE_1)
	s_or_b32 s23, vcc_lo, s11
	s_and_b32 s23, exec_lo, s23
	s_delay_alu instid0(SALU_CYCLE_1) | instskip(SKIP_2) | instid1(SALU_CYCLE_1)
	s_or_b32 s21, s23, s21
	s_and_not1_b32 s22, s22, exec_lo
	s_and_b32 s11, s11, exec_lo
	s_or_b32 s22, s22, s11
	s_and_not1_b32 exec_lo, exec_lo, s21
	s_cbranch_execz .LBB62_98
.LBB62_93:                              ;   Parent Loop BB62_6 Depth=1
                                        ; =>  This Inner Loop Header: Depth=2
	s_delay_alu instid0(VALU_DEP_1)
	v_cmp_gt_u32_e32 vcc_lo, s36, v3
	v_mov_b32_e32 v4, 0
	s_and_saveexec_b32 s23, vcc_lo
	s_cbranch_execz .LBB62_95
; %bb.94:                               ;   in Loop: Header=BB62_93 Depth=2
	v_lshlrev_b64 v[30:31], 1, v[8:9]
	s_delay_alu instid0(VALU_DEP_1) | instskip(NEXT) | instid1(VALU_DEP_1)
	v_add_co_u32 v30, s11, s33, v30
	v_add_co_ci_u32_e64 v31, s11, s43, v31, s11
	global_load_u16 v4, v[30:31], off
.LBB62_95:                              ;   in Loop: Header=BB62_93 Depth=2
	s_or_b32 exec_lo, exec_lo, s23
	s_and_saveexec_b32 s11, vcc_lo
	s_cbranch_execz .LBB62_92
; %bb.96:                               ;   in Loop: Header=BB62_93 Depth=2
	s_waitcnt vmcnt(0)
	v_bfe_i32 v30, v4, 0, 16
	s_delay_alu instid0(VALU_DEP_1) | instskip(NEXT) | instid1(VALU_DEP_1)
	v_add_nc_u32_e32 v30, 0x8000, v30
	v_and_b32_e32 v30, v30, v2
	s_delay_alu instid0(VALU_DEP_1)
	v_cmp_eq_u32_e32 vcc_lo, v30, v1
	s_and_b32 exec_lo, exec_lo, vcc_lo
	s_cbranch_execz .LBB62_92
; %bb.97:                               ;   in Loop: Header=BB62_93 Depth=2
	v_perm_b32 v4, v4, 1, 0x5040100
	ds_store_b32 v9, v4 offset:3072
	s_branch .LBB62_92
.LBB62_98:                              ;   in Loop: Header=BB62_6 Depth=1
	s_set_inst_prefetch_distance 0x2
	s_or_b32 exec_lo, exec_lo, s21
	v_lshrrev_b32_e32 v30, 16, v4
	s_and_b32 s11, s22, exec_lo
.LBB62_99:                              ;   in Loop: Header=BB62_6 Depth=1
	s_or_b32 exec_lo, exec_lo, s15
	s_mov_b32 s22, -1
	s_mov_b32 s15, 0
	s_mov_b32 s21, 0
.LBB62_100:                             ;   in Loop: Header=BB62_6 Depth=1
	s_or_not1_b32 s26, s11, exec_lo
.LBB62_101:                             ;   in Loop: Header=BB62_6 Depth=1
	s_or_b32 exec_lo, exec_lo, s20
	s_mov_b32 s23, 0
	s_mov_b32 s20, 0
	;; [unrolled: 1-line block ×3, first 2 shown]
                                        ; implicit-def: $vgpr4
                                        ; implicit-def: $vgpr3
	s_and_saveexec_b32 s24, s26
	s_cbranch_execz .LBB62_236
; %bb.102:                              ;   in Loop: Header=BB62_6 Depth=1
	v_dual_mov_b32 v3, 1 :: v_dual_mov_b32 v4, 1
	s_xor_b32 s25, s25, -1
	s_delay_alu instid0(SALU_CYCLE_1)
	s_and_saveexec_b32 s11, s25
	s_cbranch_execz .LBB62_112
; %bb.103:                              ;   in Loop: Header=BB62_6 Depth=1
	s_mov_b32 s25, exec_lo
                                        ; implicit-def: $sgpr26
                                        ; implicit-def: $sgpr20
	v_cmpx_ge_u32_e64 s12, v29
	s_xor_b32 s25, exec_lo, s25
	s_cbranch_execz .LBB62_109
; %bb.104:                              ;   in Loop: Header=BB62_6 Depth=1
	ds_load_b32 v3, v9 offset:4096
	s_waitcnt lgkmcnt(0)
	v_cmp_ne_u32_e32 vcc_lo, 0, v3
	s_cbranch_vccnz .LBB62_108
; %bb.105:                              ;   in Loop: Header=BB62_6 Depth=1
	s_and_saveexec_b32 s20, s5
	s_cbranch_execz .LBB62_107
; %bb.106:                              ;   in Loop: Header=BB62_6 Depth=1
	v_mov_b32_e32 v3, s12
	ds_store_b32 v9, v3 offset:4100
.LBB62_107:                             ;   in Loop: Header=BB62_6 Depth=1
	s_or_b32 exec_lo, exec_lo, s20
	s_waitcnt lgkmcnt(0)
	s_barrier
	buffer_gl0_inv
.LBB62_108:                             ;   in Loop: Header=BB62_6 Depth=1
	v_and_b32_e32 v1, s14, v1
	v_or_b32_e32 v2, s13, v2
	s_mov_b32 s20, 0
	s_mov_b32 s26, 8
.LBB62_109:                             ;   in Loop: Header=BB62_6 Depth=1
	s_or_saveexec_b32 s25, s25
	v_dual_mov_b32 v4, s26 :: v_dual_mov_b32 v3, v29
	s_xor_b32 exec_lo, exec_lo, s25
; %bb.110:                              ;   in Loop: Header=BB62_6 Depth=1
	v_subrev_nc_u32_e32 v3, s12, v29
	v_mov_b32_e32 v4, 0
	s_or_b32 s20, s20, exec_lo
; %bb.111:                              ;   in Loop: Header=BB62_6 Depth=1
	s_or_b32 exec_lo, exec_lo, s25
	s_delay_alu instid0(SALU_CYCLE_1)
	s_and_b32 s20, s20, exec_lo
.LBB62_112:                             ;   in Loop: Header=BB62_6 Depth=1
	s_or_b32 exec_lo, exec_lo, s11
	s_mov_b32 s11, -1
                                        ; implicit-def: $sgpr25
                                        ; implicit-def: $sgpr27
                                        ; implicit-def: $sgpr28
	s_and_saveexec_b32 s26, s20
	s_delay_alu instid0(SALU_CYCLE_1)
	s_xor_b32 s20, exec_lo, s26
	s_cbranch_execz .LBB62_233
; %bb.113:                              ;   in Loop: Header=BB62_6 Depth=1
	v_cmp_eq_u32_e32 vcc_lo, 1, v3
	s_cmp_eq_u32 s16, 1
                                        ; implicit-def: $sgpr25
                                        ; implicit-def: $sgpr27
                                        ; implicit-def: $sgpr26
	s_cselect_b32 s11, -1, 0
	s_delay_alu instid0(SALU_CYCLE_1)
	s_and_b32 s29, s11, vcc_lo
	s_mov_b32 s11, -1
	s_and_saveexec_b32 s28, s29
	s_cbranch_execz .LBB62_139
; %bb.114:                              ;   in Loop: Header=BB62_6 Depth=1
	ds_load_b32 v4, v9 offset:4096
	s_waitcnt lgkmcnt(0)
	s_barrier
	buffer_gl0_inv
	v_readfirstlane_b32 s25, v4
	s_and_saveexec_b32 s11, s6
	s_cbranch_execz .LBB62_116
; %bb.115:                              ;   in Loop: Header=BB62_6 Depth=1
	ds_store_b16 v20, v9
.LBB62_116:                             ;   in Loop: Header=BB62_6 Depth=1
	s_or_b32 exec_lo, exec_lo, s11
	s_lshl_b32 s11, 1, s17
	v_or_b32_e32 v2, s13, v2
	v_and_or_b32 v1, v1, s14, s11
	s_cmp_eq_u32 s25, 0
	s_waitcnt lgkmcnt(0)
	s_barrier
	buffer_gl0_inv
	s_cbranch_scc1 .LBB62_125
; %bb.117:                              ;   in Loop: Header=BB62_6 Depth=1
	s_add_i32 s11, s25, s65
                                        ; implicit-def: $vgpr30
	s_delay_alu instid0(SALU_CYCLE_1) | instskip(NEXT) | instid1(SALU_CYCLE_1)
	s_mul_hi_u32 s26, s11, s72
	s_mul_i32 s26, s26, s47
	s_delay_alu instid0(SALU_CYCLE_1) | instskip(NEXT) | instid1(SALU_CYCLE_1)
	s_sub_i32 s26, s11, s26
	s_sub_i32 s27, s26, s47
	s_cmp_ge_u32 s26, s47
	s_cselect_b32 s26, s27, s26
	s_delay_alu instid0(SALU_CYCLE_1) | instskip(SKIP_2) | instid1(SALU_CYCLE_1)
	s_sub_i32 s27, s26, s47
	s_cmp_ge_u32 s26, s47
	s_cselect_b32 s26, s27, s26
	s_sub_i32 s27, s11, s26
	s_mov_b32 s11, 0
	s_mov_b32 s26, exec_lo
	v_cmpx_gt_u32_e64 s27, v0
	s_cbranch_execz .LBB62_127
; %bb.118:                              ;   in Loop: Header=BB62_6 Depth=1
	v_mov_b32_e32 v4, v19
	v_mov_b32_e32 v8, v0
	s_mov_b32 s89, 0
                                        ; implicit-def: $sgpr90
	s_set_inst_prefetch_distance 0x1
	s_branch .LBB62_120
	.p2align	6
.LBB62_119:                             ;   in Loop: Header=BB62_120 Depth=2
	s_or_b32 exec_lo, exec_lo, s11
	s_waitcnt lgkmcnt(0)
	s_barrier
	buffer_gl0_inv
	ds_load_b32 v30, v9 offset:3072
	v_add_nc_u32_e32 v8, s47, v8
	v_add_nc_u32_e32 v4, s76, v4
	s_waitcnt lgkmcnt(0)
	s_barrier
	buffer_gl0_inv
	v_cmp_le_u32_e32 vcc_lo, s27, v8
	v_cmp_ne_u16_e64 s11, 0, v30
	s_delay_alu instid0(VALU_DEP_1) | instskip(NEXT) | instid1(SALU_CYCLE_1)
	s_or_b32 s91, vcc_lo, s11
	s_and_b32 s91, exec_lo, s91
	s_delay_alu instid0(SALU_CYCLE_1) | instskip(SKIP_2) | instid1(SALU_CYCLE_1)
	s_or_b32 s89, s91, s89
	s_and_not1_b32 s90, s90, exec_lo
	s_and_b32 s11, s11, exec_lo
	s_or_b32 s90, s90, s11
	s_and_not1_b32 exec_lo, exec_lo, s89
	s_cbranch_execz .LBB62_126
.LBB62_120:                             ;   Parent Loop BB62_6 Depth=1
                                        ; =>  This Inner Loop Header: Depth=2
	s_delay_alu instid0(VALU_DEP_1)
	v_cmp_gt_u32_e32 vcc_lo, s25, v8
	v_mov_b32_e32 v30, 0
	s_and_saveexec_b32 s11, vcc_lo
	s_cbranch_execz .LBB62_122
; %bb.121:                              ;   in Loop: Header=BB62_120 Depth=2
	ds_load_u16 v30, v4
.LBB62_122:                             ;   in Loop: Header=BB62_120 Depth=2
	s_or_b32 exec_lo, exec_lo, s11
	s_and_saveexec_b32 s11, vcc_lo
	s_cbranch_execz .LBB62_119
; %bb.123:                              ;   in Loop: Header=BB62_120 Depth=2
	s_waitcnt lgkmcnt(0)
	v_bfe_i32 v31, v30, 0, 16
	s_delay_alu instid0(VALU_DEP_1) | instskip(NEXT) | instid1(VALU_DEP_1)
	v_add_nc_u32_e32 v31, 0x8000, v31
	v_and_b32_e32 v31, v31, v2
	s_delay_alu instid0(VALU_DEP_1)
	v_cmp_eq_u32_e32 vcc_lo, v31, v1
	s_and_b32 exec_lo, exec_lo, vcc_lo
	s_cbranch_execz .LBB62_119
; %bb.124:                              ;   in Loop: Header=BB62_120 Depth=2
	v_perm_b32 v30, v30, 1, 0x5040100
	ds_store_b32 v9, v30 offset:3072
	s_branch .LBB62_119
.LBB62_125:                             ;   in Loop: Header=BB62_6 Depth=1
	s_mov_b32 s25, -1
	s_mov_b32 s11, 0
                                        ; implicit-def: $sgpr26
                                        ; implicit-def: $vgpr30
	s_mov_b32 s27, s25
	s_cbranch_execnz .LBB62_128
	s_branch .LBB62_138
.LBB62_126:                             ;   in Loop: Header=BB62_6 Depth=1
	s_set_inst_prefetch_distance 0x2
	s_or_b32 exec_lo, exec_lo, s89
	v_lshrrev_b32_e32 v30, 16, v30
	s_and_b32 s11, s90, exec_lo
.LBB62_127:                             ;   in Loop: Header=BB62_6 Depth=1
	s_or_b32 exec_lo, exec_lo, s26
	s_mov_b32 s26, -1
	s_mov_b32 s25, 0
	s_delay_alu instid0(SALU_CYCLE_1)
	s_mov_b32 s27, s25
	s_branch .LBB62_138
.LBB62_128:                             ;   in Loop: Header=BB62_6 Depth=1
	s_mov_b32 s11, 0
                                        ; implicit-def: $vgpr30
	s_and_saveexec_b32 s25, s9
	s_cbranch_execz .LBB62_137
; %bb.129:                              ;   in Loop: Header=BB62_6 Depth=1
	v_mov_b32_e32 v8, v7
	v_mov_b32_e32 v4, v0
	s_mov_b32 s26, 0
                                        ; implicit-def: $sgpr27
	s_set_inst_prefetch_distance 0x1
	s_branch .LBB62_131
	.p2align	6
.LBB62_130:                             ;   in Loop: Header=BB62_131 Depth=2
	s_or_b32 exec_lo, exec_lo, s11
	s_waitcnt vmcnt(0) lgkmcnt(0)
	s_barrier
	buffer_gl0_inv
	ds_load_b32 v30, v9 offset:3072
	v_add_nc_u32_e32 v4, s47, v4
	v_add_nc_u32_e32 v8, s53, v8
	s_waitcnt lgkmcnt(0)
	s_barrier
	buffer_gl0_inv
	v_cmp_le_u32_e32 vcc_lo, s73, v4
	v_cmp_ne_u16_e64 s11, 0, v30
	s_delay_alu instid0(VALU_DEP_1) | instskip(NEXT) | instid1(SALU_CYCLE_1)
	s_or_b32 s89, vcc_lo, s11
	s_and_b32 s89, exec_lo, s89
	s_delay_alu instid0(SALU_CYCLE_1) | instskip(SKIP_2) | instid1(SALU_CYCLE_1)
	s_or_b32 s26, s89, s26
	s_and_not1_b32 s27, s27, exec_lo
	s_and_b32 s11, s11, exec_lo
	s_or_b32 s27, s27, s11
	s_and_not1_b32 exec_lo, exec_lo, s26
	s_cbranch_execz .LBB62_136
.LBB62_131:                             ;   Parent Loop BB62_6 Depth=1
                                        ; =>  This Inner Loop Header: Depth=2
	s_delay_alu instid0(VALU_DEP_1)
	v_cmp_gt_u32_e32 vcc_lo, s36, v4
	v_mov_b32_e32 v30, 0
	s_and_saveexec_b32 s89, vcc_lo
	s_cbranch_execz .LBB62_133
; %bb.132:                              ;   in Loop: Header=BB62_131 Depth=2
	v_lshlrev_b64 v[30:31], 1, v[8:9]
	s_delay_alu instid0(VALU_DEP_1) | instskip(NEXT) | instid1(VALU_DEP_1)
	v_add_co_u32 v30, s11, s33, v30
	v_add_co_ci_u32_e64 v31, s11, s43, v31, s11
	global_load_u16 v30, v[30:31], off
.LBB62_133:                             ;   in Loop: Header=BB62_131 Depth=2
	s_or_b32 exec_lo, exec_lo, s89
	s_and_saveexec_b32 s11, vcc_lo
	s_cbranch_execz .LBB62_130
; %bb.134:                              ;   in Loop: Header=BB62_131 Depth=2
	s_waitcnt vmcnt(0)
	v_bfe_i32 v31, v30, 0, 16
	s_delay_alu instid0(VALU_DEP_1) | instskip(NEXT) | instid1(VALU_DEP_1)
	v_add_nc_u32_e32 v31, 0x8000, v31
	v_and_b32_e32 v31, v31, v2
	s_delay_alu instid0(VALU_DEP_1)
	v_cmp_eq_u32_e32 vcc_lo, v31, v1
	s_and_b32 exec_lo, exec_lo, vcc_lo
	s_cbranch_execz .LBB62_130
; %bb.135:                              ;   in Loop: Header=BB62_131 Depth=2
	v_perm_b32 v30, v30, 1, 0x5040100
	ds_store_b32 v9, v30 offset:3072
	s_branch .LBB62_130
.LBB62_136:                             ;   in Loop: Header=BB62_6 Depth=1
	s_set_inst_prefetch_distance 0x2
	s_or_b32 exec_lo, exec_lo, s26
	v_lshrrev_b32_e32 v30, 16, v30
	s_and_b32 s11, s27, exec_lo
.LBB62_137:                             ;   in Loop: Header=BB62_6 Depth=1
	s_or_b32 exec_lo, exec_lo, s25
	s_mov_b32 s27, -1
	s_mov_b32 s25, 0
	s_mov_b32 s26, 0
.LBB62_138:                             ;   in Loop: Header=BB62_6 Depth=1
	s_or_not1_b32 s11, s11, exec_lo
.LBB62_139:                             ;   in Loop: Header=BB62_6 Depth=1
	s_or_b32 exec_lo, exec_lo, s28
	s_mov_b32 s89, 0
                                        ; implicit-def: $vgpr4
	s_and_saveexec_b32 s28, s11
	s_cbranch_execz .LBB62_232
; %bb.140:                              ;   in Loop: Header=BB62_6 Depth=1
	v_dual_mov_b32 v31, 1 :: v_dual_mov_b32 v4, 1
	s_xor_b32 s29, s29, -1
	s_mov_b32 s90, 0
	s_and_saveexec_b32 s11, s29
	s_cbranch_execz .LBB62_150
; %bb.141:                              ;   in Loop: Header=BB62_6 Depth=1
	s_mov_b32 s89, exec_lo
                                        ; implicit-def: $sgpr90
                                        ; implicit-def: $sgpr29
	v_cmpx_ge_u32_e64 s16, v3
	s_xor_b32 s89, exec_lo, s89
	s_cbranch_execz .LBB62_147
; %bb.142:                              ;   in Loop: Header=BB62_6 Depth=1
	ds_load_b32 v4, v9 offset:4096
	s_waitcnt lgkmcnt(0)
	v_cmp_ne_u32_e32 vcc_lo, 0, v4
	s_cbranch_vccnz .LBB62_146
; %bb.143:                              ;   in Loop: Header=BB62_6 Depth=1
	s_and_saveexec_b32 s29, s5
	s_cbranch_execz .LBB62_145
; %bb.144:                              ;   in Loop: Header=BB62_6 Depth=1
	v_mov_b32_e32 v4, s16
	ds_store_b32 v9, v4 offset:4100
.LBB62_145:                             ;   in Loop: Header=BB62_6 Depth=1
	s_or_b32 exec_lo, exec_lo, s29
	s_waitcnt lgkmcnt(0)
	s_barrier
	buffer_gl0_inv
.LBB62_146:                             ;   in Loop: Header=BB62_6 Depth=1
	s_lshl_b32 s29, 1, s17
	v_or_b32_e32 v2, s13, v2
	v_and_or_b32 v1, v1, s14, s29
	s_mov_b32 s29, 0
	s_mov_b32 s90, 8
.LBB62_147:                             ;   in Loop: Header=BB62_6 Depth=1
	s_or_saveexec_b32 s89, s89
	v_mov_b32_e32 v4, s90
	s_xor_b32 exec_lo, exec_lo, s89
; %bb.148:                              ;   in Loop: Header=BB62_6 Depth=1
	v_subrev_nc_u32_e32 v3, s16, v3
	v_mov_b32_e32 v4, 0
	s_or_b32 s29, s29, exec_lo
; %bb.149:                              ;   in Loop: Header=BB62_6 Depth=1
	s_or_b32 exec_lo, exec_lo, s89
	s_delay_alu instid0(VALU_DEP_2)
	v_mov_b32_e32 v31, v3
	s_and_b32 s90, s29, exec_lo
.LBB62_150:                             ;   in Loop: Header=BB62_6 Depth=1
	s_or_b32 exec_lo, exec_lo, s11
	s_mov_b32 s11, -1
                                        ; implicit-def: $sgpr89
                                        ; implicit-def: $sgpr91
                                        ; implicit-def: $sgpr92
	s_and_saveexec_b32 s29, s90
	s_cbranch_execz .LBB62_231
; %bb.151:                              ;   in Loop: Header=BB62_6 Depth=1
	v_cmp_eq_u32_e32 vcc_lo, 1, v31
	s_cmp_eq_u32 s18, 1
                                        ; implicit-def: $sgpr89
                                        ; implicit-def: $sgpr91
                                        ; implicit-def: $sgpr90
	s_cselect_b32 s11, -1, 0
	s_delay_alu instid0(SALU_CYCLE_1)
	s_and_b32 s93, s11, vcc_lo
	s_mov_b32 s11, -1
	s_and_saveexec_b32 s92, s93
	s_cbranch_execz .LBB62_177
; %bb.152:                              ;   in Loop: Header=BB62_6 Depth=1
	ds_load_b32 v3, v9 offset:4096
	s_waitcnt lgkmcnt(0)
	s_barrier
	buffer_gl0_inv
	v_readfirstlane_b32 s89, v3
	s_and_saveexec_b32 s11, s6
	s_cbranch_execz .LBB62_154
; %bb.153:                              ;   in Loop: Header=BB62_6 Depth=1
	ds_store_b16 v20, v9
.LBB62_154:                             ;   in Loop: Header=BB62_6 Depth=1
	s_or_b32 exec_lo, exec_lo, s11
	s_lshl_b32 s11, 2, s17
	v_or_b32_e32 v2, s13, v2
	v_and_or_b32 v1, v1, s14, s11
	s_cmp_eq_u32 s89, 0
	s_waitcnt lgkmcnt(0)
	s_barrier
	buffer_gl0_inv
	s_cbranch_scc1 .LBB62_163
; %bb.155:                              ;   in Loop: Header=BB62_6 Depth=1
	s_add_i32 s11, s89, s65
                                        ; implicit-def: $vgpr30
	s_delay_alu instid0(SALU_CYCLE_1) | instskip(NEXT) | instid1(SALU_CYCLE_1)
	s_mul_hi_u32 s90, s11, s72
	s_mul_i32 s90, s90, s47
	s_delay_alu instid0(SALU_CYCLE_1) | instskip(NEXT) | instid1(SALU_CYCLE_1)
	s_sub_i32 s90, s11, s90
	s_sub_i32 s91, s90, s47
	s_cmp_ge_u32 s90, s47
	s_cselect_b32 s90, s91, s90
	s_delay_alu instid0(SALU_CYCLE_1) | instskip(SKIP_2) | instid1(SALU_CYCLE_1)
	s_sub_i32 s91, s90, s47
	s_cmp_ge_u32 s90, s47
	s_cselect_b32 s90, s91, s90
	s_sub_i32 s91, s11, s90
	s_mov_b32 s11, 0
	s_mov_b32 s90, exec_lo
	v_cmpx_gt_u32_e64 s91, v0
	s_cbranch_execz .LBB62_165
; %bb.156:                              ;   in Loop: Header=BB62_6 Depth=1
	v_dual_mov_b32 v3, v19 :: v_dual_mov_b32 v4, v0
	s_mov_b32 s94, 0
                                        ; implicit-def: $sgpr95
	s_set_inst_prefetch_distance 0x1
	s_branch .LBB62_158
	.p2align	6
.LBB62_157:                             ;   in Loop: Header=BB62_158 Depth=2
	s_or_b32 exec_lo, exec_lo, s11
	s_waitcnt lgkmcnt(0)
	s_barrier
	buffer_gl0_inv
	ds_load_b32 v8, v9 offset:3072
	v_add_nc_u32_e32 v4, s47, v4
	v_add_nc_u32_e32 v3, s76, v3
	s_waitcnt lgkmcnt(0)
	s_barrier
	buffer_gl0_inv
	v_cmp_le_u32_e32 vcc_lo, s91, v4
	v_cmp_ne_u16_e64 s11, 0, v8
	s_delay_alu instid0(VALU_DEP_1) | instskip(NEXT) | instid1(SALU_CYCLE_1)
	s_or_b32 s96, vcc_lo, s11
	s_and_b32 s96, exec_lo, s96
	s_delay_alu instid0(SALU_CYCLE_1) | instskip(SKIP_2) | instid1(SALU_CYCLE_1)
	s_or_b32 s94, s96, s94
	s_and_not1_b32 s95, s95, exec_lo
	s_and_b32 s11, s11, exec_lo
	s_or_b32 s95, s95, s11
	s_and_not1_b32 exec_lo, exec_lo, s94
	s_cbranch_execz .LBB62_164
.LBB62_158:                             ;   Parent Loop BB62_6 Depth=1
                                        ; =>  This Inner Loop Header: Depth=2
	s_delay_alu instid0(VALU_DEP_1)
	v_cmp_gt_u32_e32 vcc_lo, s89, v4
	v_mov_b32_e32 v8, 0
	s_and_saveexec_b32 s11, vcc_lo
	s_cbranch_execz .LBB62_160
; %bb.159:                              ;   in Loop: Header=BB62_158 Depth=2
	ds_load_u16 v8, v3
.LBB62_160:                             ;   in Loop: Header=BB62_158 Depth=2
	s_or_b32 exec_lo, exec_lo, s11
	s_and_saveexec_b32 s11, vcc_lo
	s_cbranch_execz .LBB62_157
; %bb.161:                              ;   in Loop: Header=BB62_158 Depth=2
	s_waitcnt lgkmcnt(0)
	v_bfe_i32 v30, v8, 0, 16
	s_delay_alu instid0(VALU_DEP_1) | instskip(NEXT) | instid1(VALU_DEP_1)
	v_add_nc_u32_e32 v30, 0x8000, v30
	v_and_b32_e32 v30, v30, v2
	s_delay_alu instid0(VALU_DEP_1)
	v_cmp_eq_u32_e32 vcc_lo, v30, v1
	s_and_b32 exec_lo, exec_lo, vcc_lo
	s_cbranch_execz .LBB62_157
; %bb.162:                              ;   in Loop: Header=BB62_158 Depth=2
	v_perm_b32 v8, v8, 1, 0x5040100
	ds_store_b32 v9, v8 offset:3072
	s_branch .LBB62_157
.LBB62_163:                             ;   in Loop: Header=BB62_6 Depth=1
	s_mov_b32 s89, -1
	s_mov_b32 s11, 0
                                        ; implicit-def: $sgpr90
                                        ; implicit-def: $vgpr30
	s_mov_b32 s91, s89
	s_cbranch_execnz .LBB62_166
	s_branch .LBB62_176
.LBB62_164:                             ;   in Loop: Header=BB62_6 Depth=1
	s_set_inst_prefetch_distance 0x2
	s_or_b32 exec_lo, exec_lo, s94
	v_lshrrev_b32_e32 v30, 16, v8
	s_and_b32 s11, s95, exec_lo
.LBB62_165:                             ;   in Loop: Header=BB62_6 Depth=1
	s_or_b32 exec_lo, exec_lo, s90
	s_mov_b32 s90, -1
	s_mov_b32 s89, 0
	s_delay_alu instid0(SALU_CYCLE_1)
	s_mov_b32 s91, s89
	s_branch .LBB62_176
.LBB62_166:                             ;   in Loop: Header=BB62_6 Depth=1
	s_mov_b32 s11, 0
                                        ; implicit-def: $vgpr30
	s_and_saveexec_b32 s89, s9
	s_cbranch_execz .LBB62_175
; %bb.167:                              ;   in Loop: Header=BB62_6 Depth=1
	v_dual_mov_b32 v8, v7 :: v_dual_mov_b32 v3, v0
	s_mov_b32 s90, 0
                                        ; implicit-def: $sgpr91
	s_set_inst_prefetch_distance 0x1
	s_branch .LBB62_169
	.p2align	6
.LBB62_168:                             ;   in Loop: Header=BB62_169 Depth=2
	s_or_b32 exec_lo, exec_lo, s11
	s_waitcnt vmcnt(0) lgkmcnt(0)
	s_barrier
	buffer_gl0_inv
	ds_load_b32 v4, v9 offset:3072
	v_add_nc_u32_e32 v3, s47, v3
	v_add_nc_u32_e32 v8, s53, v8
	s_waitcnt lgkmcnt(0)
	s_barrier
	buffer_gl0_inv
	v_cmp_le_u32_e32 vcc_lo, s73, v3
	v_cmp_ne_u16_e64 s11, 0, v4
	s_delay_alu instid0(VALU_DEP_1) | instskip(NEXT) | instid1(SALU_CYCLE_1)
	s_or_b32 s94, vcc_lo, s11
	s_and_b32 s94, exec_lo, s94
	s_delay_alu instid0(SALU_CYCLE_1) | instskip(SKIP_2) | instid1(SALU_CYCLE_1)
	s_or_b32 s90, s94, s90
	s_and_not1_b32 s91, s91, exec_lo
	s_and_b32 s11, s11, exec_lo
	s_or_b32 s91, s91, s11
	s_and_not1_b32 exec_lo, exec_lo, s90
	s_cbranch_execz .LBB62_174
.LBB62_169:                             ;   Parent Loop BB62_6 Depth=1
                                        ; =>  This Inner Loop Header: Depth=2
	s_delay_alu instid0(VALU_DEP_1)
	v_cmp_gt_u32_e32 vcc_lo, s36, v3
	v_mov_b32_e32 v4, 0
	s_and_saveexec_b32 s94, vcc_lo
	s_cbranch_execz .LBB62_171
; %bb.170:                              ;   in Loop: Header=BB62_169 Depth=2
	v_lshlrev_b64 v[32:33], 1, v[8:9]
	s_delay_alu instid0(VALU_DEP_1) | instskip(NEXT) | instid1(VALU_DEP_1)
	v_add_co_u32 v32, s11, s33, v32
	v_add_co_ci_u32_e64 v33, s11, s43, v33, s11
	global_load_u16 v4, v[32:33], off
.LBB62_171:                             ;   in Loop: Header=BB62_169 Depth=2
	s_or_b32 exec_lo, exec_lo, s94
	s_and_saveexec_b32 s11, vcc_lo
	s_cbranch_execz .LBB62_168
; %bb.172:                              ;   in Loop: Header=BB62_169 Depth=2
	s_waitcnt vmcnt(0)
	v_bfe_i32 v30, v4, 0, 16
	s_delay_alu instid0(VALU_DEP_1) | instskip(NEXT) | instid1(VALU_DEP_1)
	v_add_nc_u32_e32 v30, 0x8000, v30
	v_and_b32_e32 v30, v30, v2
	s_delay_alu instid0(VALU_DEP_1)
	v_cmp_eq_u32_e32 vcc_lo, v30, v1
	s_and_b32 exec_lo, exec_lo, vcc_lo
	s_cbranch_execz .LBB62_168
; %bb.173:                              ;   in Loop: Header=BB62_169 Depth=2
	v_perm_b32 v4, v4, 1, 0x5040100
	ds_store_b32 v9, v4 offset:3072
	s_branch .LBB62_168
.LBB62_174:                             ;   in Loop: Header=BB62_6 Depth=1
	s_set_inst_prefetch_distance 0x2
	s_or_b32 exec_lo, exec_lo, s90
	v_lshrrev_b32_e32 v30, 16, v4
	s_and_b32 s11, s91, exec_lo
.LBB62_175:                             ;   in Loop: Header=BB62_6 Depth=1
	s_or_b32 exec_lo, exec_lo, s89
	s_mov_b32 s91, -1
	s_mov_b32 s89, 0
	s_mov_b32 s90, 0
.LBB62_176:                             ;   in Loop: Header=BB62_6 Depth=1
	s_or_not1_b32 s11, s11, exec_lo
.LBB62_177:                             ;   in Loop: Header=BB62_6 Depth=1
	s_or_b32 exec_lo, exec_lo, s92
	s_mov_b32 s94, 0
                                        ; implicit-def: $vgpr4
	s_and_saveexec_b32 s92, s11
	s_cbranch_execz .LBB62_230
; %bb.178:                              ;   in Loop: Header=BB62_6 Depth=1
	v_dual_mov_b32 v3, 1 :: v_dual_mov_b32 v4, 1
	s_xor_b32 s93, s93, -1
	s_mov_b32 s95, 0
	s_and_saveexec_b32 s11, s93
	s_cbranch_execz .LBB62_188
; %bb.179:                              ;   in Loop: Header=BB62_6 Depth=1
	s_mov_b32 s94, exec_lo
                                        ; implicit-def: $sgpr95
                                        ; implicit-def: $sgpr93
	v_cmpx_ge_u32_e64 s18, v31
	s_xor_b32 s94, exec_lo, s94
	s_cbranch_execz .LBB62_185
; %bb.180:                              ;   in Loop: Header=BB62_6 Depth=1
	ds_load_b32 v3, v9 offset:4096
	s_waitcnt lgkmcnt(0)
	v_cmp_ne_u32_e32 vcc_lo, 0, v3
	s_cbranch_vccnz .LBB62_184
; %bb.181:                              ;   in Loop: Header=BB62_6 Depth=1
	s_and_saveexec_b32 s93, s5
	s_cbranch_execz .LBB62_183
; %bb.182:                              ;   in Loop: Header=BB62_6 Depth=1
	v_mov_b32_e32 v3, s18
	ds_store_b32 v9, v3 offset:4100
.LBB62_183:                             ;   in Loop: Header=BB62_6 Depth=1
	s_or_b32 exec_lo, exec_lo, s93
	s_waitcnt lgkmcnt(0)
	s_barrier
	buffer_gl0_inv
.LBB62_184:                             ;   in Loop: Header=BB62_6 Depth=1
	s_lshl_b32 s93, 2, s17
	v_or_b32_e32 v2, s13, v2
	v_and_or_b32 v1, v1, s14, s93
	s_mov_b32 s93, 0
	s_mov_b32 s95, 8
.LBB62_185:                             ;   in Loop: Header=BB62_6 Depth=1
	s_or_saveexec_b32 s94, s94
	v_mov_b32_e32 v4, s95
	s_xor_b32 exec_lo, exec_lo, s94
; %bb.186:                              ;   in Loop: Header=BB62_6 Depth=1
	v_subrev_nc_u32_e32 v31, s18, v31
	v_mov_b32_e32 v4, 0
	s_or_b32 s93, s93, exec_lo
; %bb.187:                              ;   in Loop: Header=BB62_6 Depth=1
	s_or_b32 exec_lo, exec_lo, s94
	s_delay_alu instid0(VALU_DEP_2)
	v_mov_b32_e32 v3, v31
	s_and_b32 s95, s93, exec_lo
.LBB62_188:                             ;   in Loop: Header=BB62_6 Depth=1
	s_or_b32 exec_lo, exec_lo, s11
	s_mov_b32 s94, -1
                                        ; implicit-def: $sgpr11
                                        ; implicit-def: $sgpr97
                                        ; implicit-def: $sgpr96
	s_and_saveexec_b32 s93, s95
	s_cbranch_execz .LBB62_229
; %bb.189:                              ;   in Loop: Header=BB62_6 Depth=1
	v_cmp_eq_u32_e32 vcc_lo, 1, v3
	s_cmp_eq_u32 s19, 1
	s_mov_b32 s98, -1
	s_cselect_b32 s11, -1, 0
                                        ; implicit-def: $sgpr97
                                        ; implicit-def: $sgpr96
	s_delay_alu instid0(SALU_CYCLE_1) | instskip(NEXT) | instid1(SALU_CYCLE_1)
	s_and_b32 s94, s11, vcc_lo
                                        ; implicit-def: $sgpr11
	s_and_saveexec_b32 s95, s94
	s_cbranch_execz .LBB62_216
; %bb.190:                              ;   in Loop: Header=BB62_6 Depth=1
	ds_load_b32 v4, v9 offset:4096
	s_waitcnt lgkmcnt(0)
	s_barrier
	buffer_gl0_inv
	v_readfirstlane_b32 s96, v4
	s_and_saveexec_b32 s11, s6
	s_cbranch_execz .LBB62_192
; %bb.191:                              ;   in Loop: Header=BB62_6 Depth=1
	ds_store_b16 v20, v9
.LBB62_192:                             ;   in Loop: Header=BB62_6 Depth=1
	s_or_b32 exec_lo, exec_lo, s11
	v_or_b32_e32 v1, s13, v1
	v_or_b32_e32 v2, s13, v2
	s_cmp_eq_u32 s96, 0
	s_waitcnt lgkmcnt(0)
	s_barrier
	buffer_gl0_inv
	s_cbranch_scc1 .LBB62_201
; %bb.193:                              ;   in Loop: Header=BB62_6 Depth=1
	s_add_i32 s11, s96, s65
                                        ; implicit-def: $vgpr30
	s_delay_alu instid0(SALU_CYCLE_1) | instskip(NEXT) | instid1(SALU_CYCLE_1)
	s_mul_hi_u32 s97, s11, s72
	s_mul_i32 s97, s97, s47
	s_delay_alu instid0(SALU_CYCLE_1) | instskip(NEXT) | instid1(SALU_CYCLE_1)
	s_sub_i32 s97, s11, s97
	s_sub_i32 s98, s97, s47
	s_cmp_ge_u32 s97, s47
	s_cselect_b32 s97, s98, s97
	s_delay_alu instid0(SALU_CYCLE_1)
	s_sub_i32 s98, s97, s47
	s_cmp_ge_u32 s97, s47
	s_cselect_b32 s97, s98, s97
	s_mov_b32 s98, 0
	s_sub_i32 s99, s11, s97
	s_mov_b32 s97, exec_lo
	v_cmpx_gt_u32_e64 s99, v0
	s_cbranch_execz .LBB62_203
; %bb.194:                              ;   in Loop: Header=BB62_6 Depth=1
	v_mov_b32_e32 v4, v19
	v_mov_b32_e32 v8, v0
                                        ; implicit-def: $sgpr100
	s_set_inst_prefetch_distance 0x1
	s_branch .LBB62_196
	.p2align	6
.LBB62_195:                             ;   in Loop: Header=BB62_196 Depth=2
	s_or_b32 exec_lo, exec_lo, s11
	s_waitcnt lgkmcnt(0)
	s_barrier
	buffer_gl0_inv
	ds_load_b32 v30, v9 offset:3072
	v_add_nc_u32_e32 v8, s47, v8
	v_add_nc_u32_e32 v4, s76, v4
	s_waitcnt lgkmcnt(0)
	s_barrier
	buffer_gl0_inv
	v_cmp_le_u32_e32 vcc_lo, s99, v8
	v_cmp_ne_u16_e64 s11, 0, v30
	s_delay_alu instid0(VALU_DEP_1) | instskip(NEXT) | instid1(SALU_CYCLE_1)
	s_or_b32 s101, vcc_lo, s11
	s_and_b32 s101, exec_lo, s101
	s_delay_alu instid0(SALU_CYCLE_1) | instskip(SKIP_2) | instid1(SALU_CYCLE_1)
	s_or_b32 s98, s101, s98
	s_and_not1_b32 s100, s100, exec_lo
	s_and_b32 s11, s11, exec_lo
	s_or_b32 s100, s100, s11
	s_and_not1_b32 exec_lo, exec_lo, s98
	s_cbranch_execz .LBB62_202
.LBB62_196:                             ;   Parent Loop BB62_6 Depth=1
                                        ; =>  This Inner Loop Header: Depth=2
	s_delay_alu instid0(VALU_DEP_1)
	v_cmp_gt_u32_e32 vcc_lo, s96, v8
	v_mov_b32_e32 v30, 0
	s_and_saveexec_b32 s11, vcc_lo
	s_cbranch_execz .LBB62_198
; %bb.197:                              ;   in Loop: Header=BB62_196 Depth=2
	ds_load_u16 v30, v4
.LBB62_198:                             ;   in Loop: Header=BB62_196 Depth=2
	s_or_b32 exec_lo, exec_lo, s11
	s_and_saveexec_b32 s11, vcc_lo
	s_cbranch_execz .LBB62_195
; %bb.199:                              ;   in Loop: Header=BB62_196 Depth=2
	s_waitcnt lgkmcnt(0)
	v_bfe_i32 v31, v30, 0, 16
	s_delay_alu instid0(VALU_DEP_1) | instskip(NEXT) | instid1(VALU_DEP_1)
	v_add_nc_u32_e32 v31, 0x8000, v31
	v_and_b32_e32 v31, v31, v2
	s_delay_alu instid0(VALU_DEP_1)
	v_cmp_eq_u32_e32 vcc_lo, v31, v1
	s_and_b32 exec_lo, exec_lo, vcc_lo
	s_cbranch_execz .LBB62_195
; %bb.200:                              ;   in Loop: Header=BB62_196 Depth=2
	v_perm_b32 v30, v30, 1, 0x5040100
	ds_store_b32 v9, v30 offset:3072
	s_branch .LBB62_195
.LBB62_201:                             ;   in Loop: Header=BB62_6 Depth=1
	s_mov_b32 s11, -1
	s_mov_b32 s98, 0
                                        ; implicit-def: $sgpr96
                                        ; implicit-def: $vgpr30
	s_branch .LBB62_204
.LBB62_202:                             ;   in Loop: Header=BB62_6 Depth=1
	s_set_inst_prefetch_distance 0x2
	s_or_b32 exec_lo, exec_lo, s98
	v_lshrrev_b32_e32 v30, 16, v30
	s_and_b32 s98, s100, exec_lo
.LBB62_203:                             ;   in Loop: Header=BB62_6 Depth=1
	s_or_b32 exec_lo, exec_lo, s97
	s_mov_b32 s96, -1
	s_mov_b32 s11, 0
.LBB62_204:                             ;   in Loop: Header=BB62_6 Depth=1
	s_delay_alu instid0(SALU_CYCLE_1)
	s_and_b32 vcc_lo, exec_lo, s11
	s_mov_b32 s97, s11
	s_cbranch_vccz .LBB62_215
; %bb.205:                              ;   in Loop: Header=BB62_6 Depth=1
	s_mov_b32 s98, 0
                                        ; implicit-def: $vgpr30
	s_and_saveexec_b32 s96, s9
	s_cbranch_execz .LBB62_214
; %bb.206:                              ;   in Loop: Header=BB62_6 Depth=1
	v_mov_b32_e32 v8, v7
	v_mov_b32_e32 v4, v0
	s_mov_b32 s97, 0
                                        ; implicit-def: $sgpr98
	s_set_inst_prefetch_distance 0x1
	s_branch .LBB62_208
	.p2align	6
.LBB62_207:                             ;   in Loop: Header=BB62_208 Depth=2
	s_or_b32 exec_lo, exec_lo, s11
	s_waitcnt vmcnt(0) lgkmcnt(0)
	s_barrier
	buffer_gl0_inv
	ds_load_b32 v30, v9 offset:3072
	v_add_nc_u32_e32 v4, s47, v4
	v_add_nc_u32_e32 v8, s53, v8
	s_waitcnt lgkmcnt(0)
	s_barrier
	buffer_gl0_inv
	v_cmp_le_u32_e32 vcc_lo, s73, v4
	v_cmp_ne_u16_e64 s11, 0, v30
	s_delay_alu instid0(VALU_DEP_1) | instskip(NEXT) | instid1(SALU_CYCLE_1)
	s_or_b32 s99, vcc_lo, s11
	s_and_b32 s99, exec_lo, s99
	s_delay_alu instid0(SALU_CYCLE_1) | instskip(SKIP_2) | instid1(SALU_CYCLE_1)
	s_or_b32 s97, s99, s97
	s_and_not1_b32 s98, s98, exec_lo
	s_and_b32 s11, s11, exec_lo
	s_or_b32 s98, s98, s11
	s_and_not1_b32 exec_lo, exec_lo, s97
	s_cbranch_execz .LBB62_213
.LBB62_208:                             ;   Parent Loop BB62_6 Depth=1
                                        ; =>  This Inner Loop Header: Depth=2
	s_delay_alu instid0(VALU_DEP_1)
	v_cmp_gt_u32_e32 vcc_lo, s36, v4
	v_mov_b32_e32 v30, 0
	s_and_saveexec_b32 s99, vcc_lo
	s_cbranch_execz .LBB62_210
; %bb.209:                              ;   in Loop: Header=BB62_208 Depth=2
	v_lshlrev_b64 v[30:31], 1, v[8:9]
	s_delay_alu instid0(VALU_DEP_1) | instskip(NEXT) | instid1(VALU_DEP_1)
	v_add_co_u32 v30, s11, s33, v30
	v_add_co_ci_u32_e64 v31, s11, s43, v31, s11
	global_load_u16 v30, v[30:31], off
.LBB62_210:                             ;   in Loop: Header=BB62_208 Depth=2
	s_or_b32 exec_lo, exec_lo, s99
	s_and_saveexec_b32 s11, vcc_lo
	s_cbranch_execz .LBB62_207
; %bb.211:                              ;   in Loop: Header=BB62_208 Depth=2
	s_waitcnt vmcnt(0)
	v_bfe_i32 v31, v30, 0, 16
	s_delay_alu instid0(VALU_DEP_1) | instskip(NEXT) | instid1(VALU_DEP_1)
	v_add_nc_u32_e32 v31, 0x8000, v31
	v_and_b32_e32 v31, v31, v2
	s_delay_alu instid0(VALU_DEP_1)
	v_cmp_eq_u32_e32 vcc_lo, v31, v1
	s_and_b32 exec_lo, exec_lo, vcc_lo
	s_cbranch_execz .LBB62_207
; %bb.212:                              ;   in Loop: Header=BB62_208 Depth=2
	v_perm_b32 v30, v30, 1, 0x5040100
	ds_store_b32 v9, v30 offset:3072
	s_branch .LBB62_207
.LBB62_213:                             ;   in Loop: Header=BB62_6 Depth=1
	s_set_inst_prefetch_distance 0x2
	s_or_b32 exec_lo, exec_lo, s97
	v_lshrrev_b32_e32 v30, 16, v30
	s_and_b32 s98, s98, exec_lo
.LBB62_214:                             ;   in Loop: Header=BB62_6 Depth=1
	s_or_b32 exec_lo, exec_lo, s96
	s_mov_b32 s97, -1
	s_mov_b32 s11, 0
	s_mov_b32 s96, 0
.LBB62_215:                             ;   in Loop: Header=BB62_6 Depth=1
	s_or_not1_b32 s98, s98, exec_lo
.LBB62_216:                             ;   in Loop: Header=BB62_6 Depth=1
	s_or_b32 exec_lo, exec_lo, s95
	s_mov_b32 s99, 0
                                        ; implicit-def: $vgpr4
                                        ; implicit-def: $vgpr8
	s_and_saveexec_b32 s95, s98
	s_cbranch_execz .LBB62_228
; %bb.217:                              ;   in Loop: Header=BB62_6 Depth=1
	v_mov_b32_e32 v4, 1
	v_mov_b32_e32 v8, 1
	s_xor_b32 s98, s94, -1
	s_delay_alu instid0(SALU_CYCLE_1)
	s_and_saveexec_b32 s94, s98
	s_cbranch_execz .LBB62_227
; %bb.218:                              ;   in Loop: Header=BB62_6 Depth=1
	s_mov_b32 s98, exec_lo
                                        ; implicit-def: $sgpr99
	v_cmpx_ge_u32_e64 s19, v3
	s_xor_b32 s98, exec_lo, s98
	s_cbranch_execz .LBB62_224
; %bb.219:                              ;   in Loop: Header=BB62_6 Depth=1
	ds_load_b32 v4, v9 offset:4096
	s_waitcnt lgkmcnt(0)
	v_cmp_ne_u32_e32 vcc_lo, 0, v4
	s_cbranch_vccnz .LBB62_223
; %bb.220:                              ;   in Loop: Header=BB62_6 Depth=1
	s_and_saveexec_b32 s99, s5
	s_cbranch_execz .LBB62_222
; %bb.221:                              ;   in Loop: Header=BB62_6 Depth=1
	v_mov_b32_e32 v4, s19
	ds_store_b32 v9, v4 offset:4100
.LBB62_222:                             ;   in Loop: Header=BB62_6 Depth=1
	s_or_b32 exec_lo, exec_lo, s99
	s_waitcnt lgkmcnt(0)
	s_barrier
	buffer_gl0_inv
.LBB62_223:                             ;   in Loop: Header=BB62_6 Depth=1
	v_or_b32_e32 v1, s13, v1
	v_or_b32_e32 v2, s13, v2
	s_mov_b32 s99, 8
.LBB62_224:                             ;   in Loop: Header=BB62_6 Depth=1
	s_or_saveexec_b32 s98, s98
	v_mov_b32_e32 v4, s99
	s_xor_b32 exec_lo, exec_lo, s98
; %bb.225:                              ;   in Loop: Header=BB62_6 Depth=1
	v_subrev_nc_u32_e32 v3, s19, v3
	v_mov_b32_e32 v4, 8
; %bb.226:                              ;   in Loop: Header=BB62_6 Depth=1
	s_or_b32 exec_lo, exec_lo, s98
	s_delay_alu instid0(VALU_DEP_2)
	v_mov_b32_e32 v8, v3
.LBB62_227:                             ;   in Loop: Header=BB62_6 Depth=1
	s_or_b32 exec_lo, exec_lo, s94
	s_delay_alu instid0(SALU_CYCLE_1)
	s_mov_b32 s99, exec_lo
.LBB62_228:                             ;   in Loop: Header=BB62_6 Depth=1
	s_or_b32 exec_lo, exec_lo, s95
	s_delay_alu instid0(VALU_DEP_1)
	v_mov_b32_e32 v3, v8
	s_or_not1_b32 s94, s99, exec_lo
.LBB62_229:                             ;   in Loop: Header=BB62_6 Depth=1
	s_or_b32 exec_lo, exec_lo, s93
	s_delay_alu instid0(SALU_CYCLE_1)
	s_and_not1_b32 s89, s89, exec_lo
	s_and_b32 s11, s11, exec_lo
	v_mov_b32_e32 v31, v3
	s_or_b32 s89, s89, s11
	s_and_not1_b32 s11, s91, exec_lo
	s_and_b32 s91, s97, exec_lo
	s_and_not1_b32 s90, s90, exec_lo
	s_and_b32 s93, s96, exec_lo
	s_or_b32 s91, s11, s91
	s_or_b32 s90, s90, s93
	s_and_b32 s94, s94, exec_lo
.LBB62_230:                             ;   in Loop: Header=BB62_6 Depth=1
	s_or_b32 exec_lo, exec_lo, s92
	s_delay_alu instid0(SALU_CYCLE_1)
	s_and_b32 s92, s89, exec_lo
	s_and_b32 s91, s91, exec_lo
	;; [unrolled: 1-line block ×3, first 2 shown]
	s_or_not1_b32 s11, s94, exec_lo
.LBB62_231:                             ;   in Loop: Header=BB62_6 Depth=1
	s_or_b32 exec_lo, exec_lo, s29
	s_delay_alu instid0(SALU_CYCLE_1)
	s_and_not1_b32 s25, s25, exec_lo
	s_and_b32 s29, s92, exec_lo
	v_mov_b32_e32 v3, v31
	s_or_b32 s25, s25, s29
	s_and_not1_b32 s27, s27, exec_lo
	s_and_b32 s29, s91, exec_lo
	s_and_not1_b32 s26, s26, exec_lo
	s_and_b32 s89, s89, exec_lo
	s_or_b32 s27, s27, s29
	s_or_b32 s26, s26, s89
	s_and_b32 s89, s11, exec_lo
.LBB62_232:                             ;   in Loop: Header=BB62_6 Depth=1
	s_or_b32 exec_lo, exec_lo, s28
	s_delay_alu instid0(SALU_CYCLE_1)
	s_and_b32 s28, s25, exec_lo
	s_and_b32 s27, s27, exec_lo
	;; [unrolled: 1-line block ×3, first 2 shown]
	s_or_not1_b32 s11, s89, exec_lo
.LBB62_233:                             ;   in Loop: Header=BB62_6 Depth=1
	s_or_b32 exec_lo, exec_lo, s20
	s_mov_b32 s20, 0
	s_mov_b32 s26, 0
	s_and_saveexec_b32 s29, s11
	s_delay_alu instid0(SALU_CYCLE_1)
	s_xor_b32 s29, exec_lo, s29
; %bb.234:                              ;   in Loop: Header=BB62_6 Depth=1
	v_cmp_ne_u32_e32 vcc_lo, 8, v4
	v_cmp_eq_u32_e64 s11, 8, v4
	s_and_not1_b32 s28, s28, exec_lo
	s_and_not1_b32 s27, s27, exec_lo
	;; [unrolled: 1-line block ×3, first 2 shown]
	s_and_b32 s26, vcc_lo, exec_lo
	s_and_b32 s20, s11, exec_lo
; %bb.235:                              ;   in Loop: Header=BB62_6 Depth=1
	s_or_b32 exec_lo, exec_lo, s29
	s_delay_alu instid0(SALU_CYCLE_1)
	s_and_not1_b32 s11, s15, exec_lo
	s_and_b32 s15, s28, exec_lo
	s_and_not1_b32 s21, s21, exec_lo
	s_or_b32 s15, s11, s15
	s_and_not1_b32 s11, s22, exec_lo
	s_and_b32 s22, s27, exec_lo
	s_and_b32 s25, s25, exec_lo
	s_or_b32 s22, s11, s22
	s_or_b32 s21, s21, s25
	s_and_b32 s11, s26, exec_lo
	s_and_b32 s20, s20, exec_lo
.LBB62_236:                             ;   in Loop: Header=BB62_6 Depth=1
	s_or_b32 exec_lo, exec_lo, s24
	s_delay_alu instid0(SALU_CYCLE_1)
	s_and_b32 vcc_lo, exec_lo, s23
	s_cbranch_vccz .LBB62_83
.LBB62_237:                             ;   in Loop: Header=BB62_6 Depth=1
	s_cmp_eq_u32 s19, 1
                                        ; implicit-def: $sgpr23
                                        ; implicit-def: $sgpr24
	s_cselect_b32 s15, -1, 0
	s_delay_alu instid0(SALU_CYCLE_1)
	s_and_b32 s22, s15, s10
	s_mov_b32 s10, -1
                                        ; implicit-def: $sgpr15
	s_and_saveexec_b32 s21, s22
	s_cbranch_execz .LBB62_263
; %bb.238:                              ;   in Loop: Header=BB62_6 Depth=1
	ds_load_b32 v1, v9 offset:4096
	s_waitcnt lgkmcnt(0)
	s_barrier
	buffer_gl0_inv
	v_readfirstlane_b32 s15, v1
	s_and_saveexec_b32 s10, s6
	s_cbranch_execz .LBB62_240
; %bb.239:                              ;   in Loop: Header=BB62_6 Depth=1
	ds_store_b16 v20, v9
.LBB62_240:                             ;   in Loop: Header=BB62_6 Depth=1
	s_or_b32 exec_lo, exec_lo, s10
	v_or_b32_e32 v27, s13, v27
	v_or_b32_e32 v26, s13, v26
	s_cmp_eq_u32 s15, 0
	s_waitcnt lgkmcnt(0)
	s_barrier
	buffer_gl0_inv
	s_cbranch_scc1 .LBB62_249
; %bb.241:                              ;   in Loop: Header=BB62_6 Depth=1
	s_add_i32 s10, s15, s65
                                        ; implicit-def: $vgpr28
	s_delay_alu instid0(SALU_CYCLE_1) | instskip(NEXT) | instid1(SALU_CYCLE_1)
	s_mul_hi_u32 s23, s10, s72
	s_mul_i32 s23, s23, s47
	s_delay_alu instid0(SALU_CYCLE_1) | instskip(NEXT) | instid1(SALU_CYCLE_1)
	s_sub_i32 s23, s10, s23
	s_sub_i32 s24, s23, s47
	s_cmp_ge_u32 s23, s47
	s_cselect_b32 s23, s24, s23
	s_delay_alu instid0(SALU_CYCLE_1) | instskip(SKIP_2) | instid1(SALU_CYCLE_1)
	s_sub_i32 s24, s23, s47
	s_cmp_ge_u32 s23, s47
	s_cselect_b32 s23, s24, s23
	s_sub_i32 s24, s10, s23
	s_mov_b32 s10, 0
	s_mov_b32 s23, exec_lo
	v_cmpx_gt_u32_e64 s24, v0
	s_cbranch_execz .LBB62_251
; %bb.242:                              ;   in Loop: Header=BB62_6 Depth=1
	v_dual_mov_b32 v1, v19 :: v_dual_mov_b32 v2, v0
	s_mov_b32 s25, 0
                                        ; implicit-def: $sgpr26
	s_set_inst_prefetch_distance 0x1
	s_branch .LBB62_244
	.p2align	6
.LBB62_243:                             ;   in Loop: Header=BB62_244 Depth=2
	s_or_b32 exec_lo, exec_lo, s10
	s_waitcnt lgkmcnt(0)
	s_barrier
	buffer_gl0_inv
	ds_load_b32 v3, v9 offset:3072
	v_add_nc_u32_e32 v2, s47, v2
	v_add_nc_u32_e32 v1, s76, v1
	s_waitcnt lgkmcnt(0)
	s_barrier
	buffer_gl0_inv
	v_cmp_le_u32_e32 vcc_lo, s24, v2
	v_cmp_ne_u16_e64 s10, 0, v3
	s_delay_alu instid0(VALU_DEP_1) | instskip(NEXT) | instid1(SALU_CYCLE_1)
	s_or_b32 s27, vcc_lo, s10
	s_and_b32 s27, exec_lo, s27
	s_delay_alu instid0(SALU_CYCLE_1) | instskip(SKIP_2) | instid1(SALU_CYCLE_1)
	s_or_b32 s25, s27, s25
	s_and_not1_b32 s26, s26, exec_lo
	s_and_b32 s10, s10, exec_lo
	s_or_b32 s26, s26, s10
	s_and_not1_b32 exec_lo, exec_lo, s25
	s_cbranch_execz .LBB62_250
.LBB62_244:                             ;   Parent Loop BB62_6 Depth=1
                                        ; =>  This Inner Loop Header: Depth=2
	s_delay_alu instid0(VALU_DEP_1)
	v_cmp_gt_u32_e32 vcc_lo, s15, v2
	v_mov_b32_e32 v3, 0
	s_and_saveexec_b32 s10, vcc_lo
	s_cbranch_execz .LBB62_246
; %bb.245:                              ;   in Loop: Header=BB62_244 Depth=2
	ds_load_u16 v3, v1
.LBB62_246:                             ;   in Loop: Header=BB62_244 Depth=2
	s_or_b32 exec_lo, exec_lo, s10
	s_and_saveexec_b32 s10, vcc_lo
	s_cbranch_execz .LBB62_243
; %bb.247:                              ;   in Loop: Header=BB62_244 Depth=2
	s_waitcnt lgkmcnt(0)
	v_bfe_i32 v4, v3, 0, 16
	s_delay_alu instid0(VALU_DEP_1) | instskip(NEXT) | instid1(VALU_DEP_1)
	v_add_nc_u32_e32 v4, 0x8000, v4
	v_and_b32_e32 v4, v4, v26
	s_delay_alu instid0(VALU_DEP_1)
	v_cmp_eq_u32_e32 vcc_lo, v4, v27
	s_and_b32 exec_lo, exec_lo, vcc_lo
	s_cbranch_execz .LBB62_243
; %bb.248:                              ;   in Loop: Header=BB62_244 Depth=2
	v_perm_b32 v3, v3, 1, 0x5040100
	ds_store_b32 v9, v3 offset:3072
	s_branch .LBB62_243
.LBB62_249:                             ;   in Loop: Header=BB62_6 Depth=1
	s_mov_b32 s23, -1
	s_mov_b32 s10, 0
                                        ; implicit-def: $sgpr24
                                        ; implicit-def: $vgpr28
	s_mov_b32 s15, s23
	s_cbranch_execnz .LBB62_252
	s_branch .LBB62_262
.LBB62_250:                             ;   in Loop: Header=BB62_6 Depth=1
	s_set_inst_prefetch_distance 0x2
	s_or_b32 exec_lo, exec_lo, s25
	v_lshrrev_b32_e32 v28, 16, v3
	s_and_b32 s10, s26, exec_lo
.LBB62_251:                             ;   in Loop: Header=BB62_6 Depth=1
	s_or_b32 exec_lo, exec_lo, s23
	s_mov_b32 s23, 0
	s_mov_b32 s24, -1
	s_mov_b32 s15, s23
	s_branch .LBB62_262
.LBB62_252:                             ;   in Loop: Header=BB62_6 Depth=1
	s_mov_b32 s10, 0
                                        ; implicit-def: $vgpr28
	s_and_saveexec_b32 s15, s9
	s_cbranch_execz .LBB62_261
; %bb.253:                              ;   in Loop: Header=BB62_6 Depth=1
	v_dual_mov_b32 v8, v7 :: v_dual_mov_b32 v1, v0
	s_mov_b32 s23, 0
                                        ; implicit-def: $sgpr24
	s_set_inst_prefetch_distance 0x1
	s_branch .LBB62_255
	.p2align	6
.LBB62_254:                             ;   in Loop: Header=BB62_255 Depth=2
	s_or_b32 exec_lo, exec_lo, s10
	s_waitcnt vmcnt(0) lgkmcnt(0)
	s_barrier
	buffer_gl0_inv
	ds_load_b32 v2, v9 offset:3072
	v_add_nc_u32_e32 v1, s47, v1
	v_add_nc_u32_e32 v8, s53, v8
	s_waitcnt lgkmcnt(0)
	s_barrier
	buffer_gl0_inv
	v_cmp_le_u32_e32 vcc_lo, s73, v1
	v_cmp_ne_u16_e64 s10, 0, v2
	s_delay_alu instid0(VALU_DEP_1) | instskip(NEXT) | instid1(SALU_CYCLE_1)
	s_or_b32 s25, vcc_lo, s10
	s_and_b32 s25, exec_lo, s25
	s_delay_alu instid0(SALU_CYCLE_1) | instskip(SKIP_2) | instid1(SALU_CYCLE_1)
	s_or_b32 s23, s25, s23
	s_and_not1_b32 s24, s24, exec_lo
	s_and_b32 s10, s10, exec_lo
	s_or_b32 s24, s24, s10
	s_and_not1_b32 exec_lo, exec_lo, s23
	s_cbranch_execz .LBB62_260
.LBB62_255:                             ;   Parent Loop BB62_6 Depth=1
                                        ; =>  This Inner Loop Header: Depth=2
	s_delay_alu instid0(VALU_DEP_1)
	v_cmp_gt_u32_e32 vcc_lo, s36, v1
	v_mov_b32_e32 v2, 0
	s_and_saveexec_b32 s25, vcc_lo
	s_cbranch_execz .LBB62_257
; %bb.256:                              ;   in Loop: Header=BB62_255 Depth=2
	v_lshlrev_b64 v[2:3], 1, v[8:9]
	s_delay_alu instid0(VALU_DEP_1) | instskip(NEXT) | instid1(VALU_DEP_1)
	v_add_co_u32 v2, s10, s33, v2
	v_add_co_ci_u32_e64 v3, s10, s43, v3, s10
	global_load_u16 v2, v[2:3], off
.LBB62_257:                             ;   in Loop: Header=BB62_255 Depth=2
	s_or_b32 exec_lo, exec_lo, s25
	s_and_saveexec_b32 s10, vcc_lo
	s_cbranch_execz .LBB62_254
; %bb.258:                              ;   in Loop: Header=BB62_255 Depth=2
	s_waitcnt vmcnt(0)
	v_bfe_i32 v3, v2, 0, 16
	s_delay_alu instid0(VALU_DEP_1) | instskip(NEXT) | instid1(VALU_DEP_1)
	v_add_nc_u32_e32 v3, 0x8000, v3
	v_and_b32_e32 v3, v3, v26
	s_delay_alu instid0(VALU_DEP_1)
	v_cmp_eq_u32_e32 vcc_lo, v3, v27
	s_and_b32 exec_lo, exec_lo, vcc_lo
	s_cbranch_execz .LBB62_254
; %bb.259:                              ;   in Loop: Header=BB62_255 Depth=2
	v_perm_b32 v2, v2, 1, 0x5040100
	ds_store_b32 v9, v2 offset:3072
	s_branch .LBB62_254
.LBB62_260:                             ;   in Loop: Header=BB62_6 Depth=1
	s_set_inst_prefetch_distance 0x2
	s_or_b32 exec_lo, exec_lo, s23
	v_lshrrev_b32_e32 v28, 16, v2
	s_and_b32 s10, s24, exec_lo
.LBB62_261:                             ;   in Loop: Header=BB62_6 Depth=1
	s_or_b32 exec_lo, exec_lo, s15
	s_mov_b32 s24, 0
	s_mov_b32 s23, -1
	s_mov_b32 s15, 0
.LBB62_262:                             ;   in Loop: Header=BB62_6 Depth=1
	s_or_not1_b32 s10, s10, exec_lo
.LBB62_263:                             ;   in Loop: Header=BB62_6 Depth=1
	s_or_b32 exec_lo, exec_lo, s21
                                        ; implicit-def: $vgpr4
                                        ; implicit-def: $vgpr3
                                        ; implicit-def: $vgpr1
                                        ; implicit-def: $vgpr2
                                        ; implicit-def: $vgpr30
	s_and_saveexec_b32 s21, s10
	s_cbranch_execz .LBB62_398
; %bb.264:                              ;   in Loop: Header=BB62_6 Depth=1
	v_dual_mov_b32 v3, 1 :: v_dual_mov_b32 v4, 1
	s_xor_b32 s22, s22, -1
	s_mov_b32 s28, 0
	s_and_saveexec_b32 s10, s22
	s_cbranch_execz .LBB62_274
; %bb.265:                              ;   in Loop: Header=BB62_6 Depth=1
	s_mov_b32 s25, exec_lo
                                        ; implicit-def: $sgpr26
                                        ; implicit-def: $sgpr22
	v_cmpx_ge_u32_e64 s19, v29
	s_xor_b32 s25, exec_lo, s25
	s_cbranch_execz .LBB62_271
; %bb.266:                              ;   in Loop: Header=BB62_6 Depth=1
	ds_load_b32 v1, v9 offset:4096
	s_waitcnt lgkmcnt(0)
	v_cmp_ne_u32_e32 vcc_lo, 0, v1
	s_cbranch_vccnz .LBB62_270
; %bb.267:                              ;   in Loop: Header=BB62_6 Depth=1
	s_and_saveexec_b32 s22, s5
	s_cbranch_execz .LBB62_269
; %bb.268:                              ;   in Loop: Header=BB62_6 Depth=1
	v_mov_b32_e32 v1, s19
	ds_store_b32 v9, v1 offset:4100
.LBB62_269:                             ;   in Loop: Header=BB62_6 Depth=1
	s_or_b32 exec_lo, exec_lo, s22
	s_waitcnt lgkmcnt(0)
	s_barrier
	buffer_gl0_inv
.LBB62_270:                             ;   in Loop: Header=BB62_6 Depth=1
	v_or_b32_e32 v27, s13, v27
	v_or_b32_e32 v26, s13, v26
	s_mov_b32 s22, 0
	s_mov_b32 s26, 5
.LBB62_271:                             ;   in Loop: Header=BB62_6 Depth=1
	s_or_saveexec_b32 s25, s25
	v_mov_b32_e32 v4, s26
	s_xor_b32 exec_lo, exec_lo, s25
; %bb.272:                              ;   in Loop: Header=BB62_6 Depth=1
	v_subrev_nc_u32_e32 v29, s19, v29
	v_mov_b32_e32 v4, 0
	s_or_b32 s22, s22, exec_lo
; %bb.273:                              ;   in Loop: Header=BB62_6 Depth=1
	s_or_b32 exec_lo, exec_lo, s25
	s_delay_alu instid0(VALU_DEP_2)
	v_mov_b32_e32 v3, v29
	s_and_b32 s28, s22, exec_lo
.LBB62_274:                             ;   in Loop: Header=BB62_6 Depth=1
	s_or_b32 exec_lo, exec_lo, s10
	s_mov_b32 s26, -1
                                        ; implicit-def: $sgpr22
                                        ; implicit-def: $sgpr25
                                        ; implicit-def: $sgpr27
	s_and_saveexec_b32 s10, s28
	s_delay_alu instid0(SALU_CYCLE_1)
	s_xor_b32 s19, exec_lo, s10
	s_cbranch_execz .LBB62_395
; %bb.275:                              ;   in Loop: Header=BB62_6 Depth=1
	v_cmp_eq_u32_e32 vcc_lo, 1, v3
	s_cmp_eq_u32 s18, 1
                                        ; implicit-def: $sgpr22
                                        ; implicit-def: $sgpr25
                                        ; implicit-def: $sgpr26
	s_cselect_b32 s10, -1, 0
	s_delay_alu instid0(SALU_CYCLE_1)
	s_and_b32 s28, s10, vcc_lo
	s_mov_b32 s10, -1
	s_and_saveexec_b32 s27, s28
	s_cbranch_execz .LBB62_301
; %bb.276:                              ;   in Loop: Header=BB62_6 Depth=1
	ds_load_b32 v1, v9 offset:4096
	s_waitcnt lgkmcnt(0)
	s_barrier
	buffer_gl0_inv
	v_readfirstlane_b32 s22, v1
	s_and_saveexec_b32 s10, s6
	s_cbranch_execz .LBB62_278
; %bb.277:                              ;   in Loop: Header=BB62_6 Depth=1
	ds_store_b16 v20, v9
.LBB62_278:                             ;   in Loop: Header=BB62_6 Depth=1
	s_or_b32 exec_lo, exec_lo, s10
	s_lshl_b32 s10, 2, s17
	v_or_b32_e32 v26, s13, v26
	v_and_or_b32 v27, v27, s14, s10
	s_cmp_eq_u32 s22, 0
	s_waitcnt lgkmcnt(0)
	s_barrier
	buffer_gl0_inv
	s_cbranch_scc1 .LBB62_287
; %bb.279:                              ;   in Loop: Header=BB62_6 Depth=1
	s_add_i32 s10, s22, s65
                                        ; implicit-def: $vgpr28
	s_delay_alu instid0(SALU_CYCLE_1) | instskip(NEXT) | instid1(SALU_CYCLE_1)
	s_mul_hi_u32 s25, s10, s72
	s_mul_i32 s25, s25, s47
	s_delay_alu instid0(SALU_CYCLE_1) | instskip(NEXT) | instid1(SALU_CYCLE_1)
	s_sub_i32 s25, s10, s25
	s_sub_i32 s26, s25, s47
	s_cmp_ge_u32 s25, s47
	s_cselect_b32 s25, s26, s25
	s_delay_alu instid0(SALU_CYCLE_1) | instskip(SKIP_2) | instid1(SALU_CYCLE_1)
	s_sub_i32 s26, s25, s47
	s_cmp_ge_u32 s25, s47
	s_cselect_b32 s25, s26, s25
	s_sub_i32 s26, s10, s25
	s_mov_b32 s10, 0
	s_mov_b32 s25, exec_lo
	v_cmpx_gt_u32_e64 s26, v0
	s_cbranch_execz .LBB62_289
; %bb.280:                              ;   in Loop: Header=BB62_6 Depth=1
	v_dual_mov_b32 v1, v19 :: v_dual_mov_b32 v2, v0
	s_mov_b32 s29, 0
                                        ; implicit-def: $sgpr89
	s_set_inst_prefetch_distance 0x1
	s_branch .LBB62_282
	.p2align	6
.LBB62_281:                             ;   in Loop: Header=BB62_282 Depth=2
	s_or_b32 exec_lo, exec_lo, s10
	s_waitcnt lgkmcnt(0)
	s_barrier
	buffer_gl0_inv
	ds_load_b32 v4, v9 offset:3072
	v_add_nc_u32_e32 v2, s47, v2
	v_add_nc_u32_e32 v1, s76, v1
	s_waitcnt lgkmcnt(0)
	s_barrier
	buffer_gl0_inv
	v_cmp_le_u32_e32 vcc_lo, s26, v2
	v_cmp_ne_u16_e64 s10, 0, v4
	s_delay_alu instid0(VALU_DEP_1) | instskip(NEXT) | instid1(SALU_CYCLE_1)
	s_or_b32 s90, vcc_lo, s10
	s_and_b32 s90, exec_lo, s90
	s_delay_alu instid0(SALU_CYCLE_1) | instskip(SKIP_2) | instid1(SALU_CYCLE_1)
	s_or_b32 s29, s90, s29
	s_and_not1_b32 s89, s89, exec_lo
	s_and_b32 s10, s10, exec_lo
	s_or_b32 s89, s89, s10
	s_and_not1_b32 exec_lo, exec_lo, s29
	s_cbranch_execz .LBB62_288
.LBB62_282:                             ;   Parent Loop BB62_6 Depth=1
                                        ; =>  This Inner Loop Header: Depth=2
	s_delay_alu instid0(VALU_DEP_1)
	v_cmp_gt_u32_e32 vcc_lo, s22, v2
	v_mov_b32_e32 v4, 0
	s_and_saveexec_b32 s10, vcc_lo
	s_cbranch_execz .LBB62_284
; %bb.283:                              ;   in Loop: Header=BB62_282 Depth=2
	ds_load_u16 v4, v1
.LBB62_284:                             ;   in Loop: Header=BB62_282 Depth=2
	s_or_b32 exec_lo, exec_lo, s10
	s_and_saveexec_b32 s10, vcc_lo
	s_cbranch_execz .LBB62_281
; %bb.285:                              ;   in Loop: Header=BB62_282 Depth=2
	s_waitcnt lgkmcnt(0)
	v_bfe_i32 v8, v4, 0, 16
	s_delay_alu instid0(VALU_DEP_1) | instskip(NEXT) | instid1(VALU_DEP_1)
	v_add_nc_u32_e32 v8, 0x8000, v8
	v_and_b32_e32 v8, v8, v26
	s_delay_alu instid0(VALU_DEP_1)
	v_cmp_eq_u32_e32 vcc_lo, v8, v27
	s_and_b32 exec_lo, exec_lo, vcc_lo
	s_cbranch_execz .LBB62_281
; %bb.286:                              ;   in Loop: Header=BB62_282 Depth=2
	v_perm_b32 v4, v4, 1, 0x5040100
	ds_store_b32 v9, v4 offset:3072
	s_branch .LBB62_281
.LBB62_287:                             ;   in Loop: Header=BB62_6 Depth=1
	s_mov_b32 s22, -1
	s_mov_b32 s10, 0
                                        ; implicit-def: $sgpr25
                                        ; implicit-def: $vgpr28
	s_mov_b32 s26, s22
	s_cbranch_execnz .LBB62_290
	s_branch .LBB62_300
.LBB62_288:                             ;   in Loop: Header=BB62_6 Depth=1
	s_set_inst_prefetch_distance 0x2
	s_or_b32 exec_lo, exec_lo, s29
	v_lshrrev_b32_e32 v28, 16, v4
	s_and_b32 s10, s89, exec_lo
.LBB62_289:                             ;   in Loop: Header=BB62_6 Depth=1
	s_or_b32 exec_lo, exec_lo, s25
	s_mov_b32 s22, 0
	s_mov_b32 s25, -1
	s_mov_b32 s26, s22
	s_branch .LBB62_300
.LBB62_290:                             ;   in Loop: Header=BB62_6 Depth=1
	s_mov_b32 s10, 0
                                        ; implicit-def: $vgpr28
	s_and_saveexec_b32 s22, s9
	s_cbranch_execz .LBB62_299
; %bb.291:                              ;   in Loop: Header=BB62_6 Depth=1
	v_dual_mov_b32 v8, v7 :: v_dual_mov_b32 v1, v0
	s_mov_b32 s25, 0
                                        ; implicit-def: $sgpr26
	s_set_inst_prefetch_distance 0x1
	s_branch .LBB62_293
	.p2align	6
.LBB62_292:                             ;   in Loop: Header=BB62_293 Depth=2
	s_or_b32 exec_lo, exec_lo, s10
	s_waitcnt vmcnt(0) lgkmcnt(0)
	s_barrier
	buffer_gl0_inv
	ds_load_b32 v2, v9 offset:3072
	v_add_nc_u32_e32 v1, s47, v1
	v_add_nc_u32_e32 v8, s53, v8
	s_waitcnt lgkmcnt(0)
	s_barrier
	buffer_gl0_inv
	v_cmp_le_u32_e32 vcc_lo, s73, v1
	v_cmp_ne_u16_e64 s10, 0, v2
	s_delay_alu instid0(VALU_DEP_1) | instskip(NEXT) | instid1(SALU_CYCLE_1)
	s_or_b32 s29, vcc_lo, s10
	s_and_b32 s29, exec_lo, s29
	s_delay_alu instid0(SALU_CYCLE_1) | instskip(SKIP_2) | instid1(SALU_CYCLE_1)
	s_or_b32 s25, s29, s25
	s_and_not1_b32 s26, s26, exec_lo
	s_and_b32 s10, s10, exec_lo
	s_or_b32 s26, s26, s10
	s_and_not1_b32 exec_lo, exec_lo, s25
	s_cbranch_execz .LBB62_298
.LBB62_293:                             ;   Parent Loop BB62_6 Depth=1
                                        ; =>  This Inner Loop Header: Depth=2
	s_delay_alu instid0(VALU_DEP_1)
	v_cmp_gt_u32_e32 vcc_lo, s36, v1
	v_mov_b32_e32 v2, 0
	s_and_saveexec_b32 s29, vcc_lo
	s_cbranch_execz .LBB62_295
; %bb.294:                              ;   in Loop: Header=BB62_293 Depth=2
	v_lshlrev_b64 v[28:29], 1, v[8:9]
	s_delay_alu instid0(VALU_DEP_1) | instskip(NEXT) | instid1(VALU_DEP_1)
	v_add_co_u32 v28, s10, s33, v28
	v_add_co_ci_u32_e64 v29, s10, s43, v29, s10
	global_load_u16 v2, v[28:29], off
.LBB62_295:                             ;   in Loop: Header=BB62_293 Depth=2
	s_or_b32 exec_lo, exec_lo, s29
	s_and_saveexec_b32 s10, vcc_lo
	s_cbranch_execz .LBB62_292
; %bb.296:                              ;   in Loop: Header=BB62_293 Depth=2
	s_waitcnt vmcnt(0)
	v_bfe_i32 v4, v2, 0, 16
	s_delay_alu instid0(VALU_DEP_1) | instskip(NEXT) | instid1(VALU_DEP_1)
	v_add_nc_u32_e32 v4, 0x8000, v4
	v_and_b32_e32 v4, v4, v26
	s_delay_alu instid0(VALU_DEP_1)
	v_cmp_eq_u32_e32 vcc_lo, v4, v27
	s_and_b32 exec_lo, exec_lo, vcc_lo
	s_cbranch_execz .LBB62_292
; %bb.297:                              ;   in Loop: Header=BB62_293 Depth=2
	v_perm_b32 v2, v2, 1, 0x5040100
	ds_store_b32 v9, v2 offset:3072
	s_branch .LBB62_292
.LBB62_298:                             ;   in Loop: Header=BB62_6 Depth=1
	s_set_inst_prefetch_distance 0x2
	s_or_b32 exec_lo, exec_lo, s25
	v_lshrrev_b32_e32 v28, 16, v2
	s_and_b32 s10, s26, exec_lo
.LBB62_299:                             ;   in Loop: Header=BB62_6 Depth=1
	s_or_b32 exec_lo, exec_lo, s22
	s_mov_b32 s25, 0
	s_mov_b32 s22, -1
	s_mov_b32 s26, 0
.LBB62_300:                             ;   in Loop: Header=BB62_6 Depth=1
	s_or_not1_b32 s10, s10, exec_lo
.LBB62_301:                             ;   in Loop: Header=BB62_6 Depth=1
	s_or_b32 exec_lo, exec_lo, s27
	s_mov_b32 s29, 0
                                        ; implicit-def: $vgpr4
	s_and_saveexec_b32 s27, s10
	s_cbranch_execz .LBB62_394
; %bb.302:                              ;   in Loop: Header=BB62_6 Depth=1
	v_dual_mov_b32 v1, 1 :: v_dual_mov_b32 v4, 1
	s_xor_b32 s28, s28, -1
	s_mov_b32 s89, 0
	s_and_saveexec_b32 s10, s28
	s_cbranch_execz .LBB62_312
; %bb.303:                              ;   in Loop: Header=BB62_6 Depth=1
	s_mov_b32 s29, exec_lo
                                        ; implicit-def: $sgpr89
                                        ; implicit-def: $sgpr28
	v_cmpx_ge_u32_e64 s18, v3
	s_xor_b32 s29, exec_lo, s29
	s_cbranch_execz .LBB62_309
; %bb.304:                              ;   in Loop: Header=BB62_6 Depth=1
	ds_load_b32 v1, v9 offset:4096
	s_waitcnt lgkmcnt(0)
	v_cmp_ne_u32_e32 vcc_lo, 0, v1
	s_cbranch_vccnz .LBB62_308
; %bb.305:                              ;   in Loop: Header=BB62_6 Depth=1
	s_and_saveexec_b32 s28, s5
	s_cbranch_execz .LBB62_307
; %bb.306:                              ;   in Loop: Header=BB62_6 Depth=1
	v_mov_b32_e32 v1, s18
	ds_store_b32 v9, v1 offset:4100
.LBB62_307:                             ;   in Loop: Header=BB62_6 Depth=1
	s_or_b32 exec_lo, exec_lo, s28
	s_waitcnt lgkmcnt(0)
	s_barrier
	buffer_gl0_inv
.LBB62_308:                             ;   in Loop: Header=BB62_6 Depth=1
	s_lshl_b32 s28, 2, s17
	v_or_b32_e32 v26, s13, v26
	v_and_or_b32 v27, v27, s14, s28
	s_mov_b32 s28, 0
	s_mov_b32 s89, 5
.LBB62_309:                             ;   in Loop: Header=BB62_6 Depth=1
	s_or_saveexec_b32 s29, s29
	v_mov_b32_e32 v4, s89
	s_xor_b32 exec_lo, exec_lo, s29
; %bb.310:                              ;   in Loop: Header=BB62_6 Depth=1
	v_subrev_nc_u32_e32 v3, s18, v3
	v_mov_b32_e32 v4, 0
	s_or_b32 s28, s28, exec_lo
; %bb.311:                              ;   in Loop: Header=BB62_6 Depth=1
	s_or_b32 exec_lo, exec_lo, s29
	s_delay_alu instid0(VALU_DEP_2)
	v_mov_b32_e32 v1, v3
	s_and_b32 s89, s28, exec_lo
.LBB62_312:                             ;   in Loop: Header=BB62_6 Depth=1
	s_or_b32 exec_lo, exec_lo, s10
	s_mov_b32 s10, -1
                                        ; implicit-def: $sgpr28
                                        ; implicit-def: $sgpr29
                                        ; implicit-def: $sgpr90
	s_and_saveexec_b32 s18, s89
	s_cbranch_execz .LBB62_393
; %bb.313:                              ;   in Loop: Header=BB62_6 Depth=1
	v_cmp_eq_u32_e32 vcc_lo, 1, v1
	s_cmp_eq_u32 s16, 1
                                        ; implicit-def: $sgpr28
                                        ; implicit-def: $sgpr29
                                        ; implicit-def: $sgpr89
	s_cselect_b32 s10, -1, 0
	s_delay_alu instid0(SALU_CYCLE_1)
	s_and_b32 s91, s10, vcc_lo
	s_mov_b32 s10, -1
	s_and_saveexec_b32 s90, s91
	s_cbranch_execz .LBB62_339
; %bb.314:                              ;   in Loop: Header=BB62_6 Depth=1
	ds_load_b32 v2, v9 offset:4096
	s_waitcnt lgkmcnt(0)
	s_barrier
	buffer_gl0_inv
	v_readfirstlane_b32 s28, v2
	s_and_saveexec_b32 s10, s6
	s_cbranch_execz .LBB62_316
; %bb.315:                              ;   in Loop: Header=BB62_6 Depth=1
	ds_store_b16 v20, v9
.LBB62_316:                             ;   in Loop: Header=BB62_6 Depth=1
	s_or_b32 exec_lo, exec_lo, s10
	s_lshl_b32 s10, 1, s17
	v_or_b32_e32 v26, s13, v26
	v_and_or_b32 v27, v27, s14, s10
	s_cmp_eq_u32 s28, 0
	s_waitcnt lgkmcnt(0)
	s_barrier
	buffer_gl0_inv
	s_cbranch_scc1 .LBB62_325
; %bb.317:                              ;   in Loop: Header=BB62_6 Depth=1
	s_add_i32 s10, s28, s65
                                        ; implicit-def: $vgpr28
	s_delay_alu instid0(SALU_CYCLE_1) | instskip(NEXT) | instid1(SALU_CYCLE_1)
	s_mul_hi_u32 s29, s10, s72
	s_mul_i32 s29, s29, s47
	s_delay_alu instid0(SALU_CYCLE_1) | instskip(NEXT) | instid1(SALU_CYCLE_1)
	s_sub_i32 s29, s10, s29
	s_sub_i32 s89, s29, s47
	s_cmp_ge_u32 s29, s47
	s_cselect_b32 s29, s89, s29
	s_delay_alu instid0(SALU_CYCLE_1) | instskip(SKIP_2) | instid1(SALU_CYCLE_1)
	s_sub_i32 s89, s29, s47
	s_cmp_ge_u32 s29, s47
	s_cselect_b32 s29, s89, s29
	s_sub_i32 s89, s10, s29
	s_mov_b32 s10, 0
	s_mov_b32 s29, exec_lo
	v_cmpx_gt_u32_e64 s89, v0
	s_cbranch_execz .LBB62_327
; %bb.318:                              ;   in Loop: Header=BB62_6 Depth=1
	v_dual_mov_b32 v2, v19 :: v_dual_mov_b32 v3, v0
	s_mov_b32 s92, 0
                                        ; implicit-def: $sgpr93
	s_set_inst_prefetch_distance 0x1
	s_branch .LBB62_320
	.p2align	6
.LBB62_319:                             ;   in Loop: Header=BB62_320 Depth=2
	s_or_b32 exec_lo, exec_lo, s10
	s_waitcnt lgkmcnt(0)
	s_barrier
	buffer_gl0_inv
	ds_load_b32 v4, v9 offset:3072
	v_add_nc_u32_e32 v3, s47, v3
	v_add_nc_u32_e32 v2, s76, v2
	s_waitcnt lgkmcnt(0)
	s_barrier
	buffer_gl0_inv
	v_cmp_le_u32_e32 vcc_lo, s89, v3
	v_cmp_ne_u16_e64 s10, 0, v4
	s_delay_alu instid0(VALU_DEP_1) | instskip(NEXT) | instid1(SALU_CYCLE_1)
	s_or_b32 s94, vcc_lo, s10
	s_and_b32 s94, exec_lo, s94
	s_delay_alu instid0(SALU_CYCLE_1) | instskip(SKIP_2) | instid1(SALU_CYCLE_1)
	s_or_b32 s92, s94, s92
	s_and_not1_b32 s93, s93, exec_lo
	s_and_b32 s10, s10, exec_lo
	s_or_b32 s93, s93, s10
	s_and_not1_b32 exec_lo, exec_lo, s92
	s_cbranch_execz .LBB62_326
.LBB62_320:                             ;   Parent Loop BB62_6 Depth=1
                                        ; =>  This Inner Loop Header: Depth=2
	s_delay_alu instid0(VALU_DEP_1)
	v_cmp_gt_u32_e32 vcc_lo, s28, v3
	v_mov_b32_e32 v4, 0
	s_and_saveexec_b32 s10, vcc_lo
	s_cbranch_execz .LBB62_322
; %bb.321:                              ;   in Loop: Header=BB62_320 Depth=2
	ds_load_u16 v4, v2
.LBB62_322:                             ;   in Loop: Header=BB62_320 Depth=2
	s_or_b32 exec_lo, exec_lo, s10
	s_and_saveexec_b32 s10, vcc_lo
	s_cbranch_execz .LBB62_319
; %bb.323:                              ;   in Loop: Header=BB62_320 Depth=2
	s_waitcnt lgkmcnt(0)
	v_bfe_i32 v8, v4, 0, 16
	s_delay_alu instid0(VALU_DEP_1) | instskip(NEXT) | instid1(VALU_DEP_1)
	v_add_nc_u32_e32 v8, 0x8000, v8
	v_and_b32_e32 v8, v8, v26
	s_delay_alu instid0(VALU_DEP_1)
	v_cmp_eq_u32_e32 vcc_lo, v8, v27
	s_and_b32 exec_lo, exec_lo, vcc_lo
	s_cbranch_execz .LBB62_319
; %bb.324:                              ;   in Loop: Header=BB62_320 Depth=2
	v_perm_b32 v4, v4, 1, 0x5040100
	ds_store_b32 v9, v4 offset:3072
	s_branch .LBB62_319
.LBB62_325:                             ;   in Loop: Header=BB62_6 Depth=1
	s_mov_b32 s28, -1
	s_mov_b32 s10, 0
                                        ; implicit-def: $sgpr29
                                        ; implicit-def: $vgpr28
	s_mov_b32 s89, s28
	s_cbranch_execnz .LBB62_328
	s_branch .LBB62_338
.LBB62_326:                             ;   in Loop: Header=BB62_6 Depth=1
	s_set_inst_prefetch_distance 0x2
	s_or_b32 exec_lo, exec_lo, s92
	v_lshrrev_b32_e32 v28, 16, v4
	s_and_b32 s10, s93, exec_lo
.LBB62_327:                             ;   in Loop: Header=BB62_6 Depth=1
	s_or_b32 exec_lo, exec_lo, s29
	s_mov_b32 s28, 0
	s_mov_b32 s29, -1
	s_mov_b32 s89, s28
	s_branch .LBB62_338
.LBB62_328:                             ;   in Loop: Header=BB62_6 Depth=1
	s_mov_b32 s10, 0
                                        ; implicit-def: $vgpr28
	s_and_saveexec_b32 s28, s9
	s_cbranch_execz .LBB62_337
; %bb.329:                              ;   in Loop: Header=BB62_6 Depth=1
	v_mov_b32_e32 v8, v7
	v_mov_b32_e32 v2, v0
	s_mov_b32 s29, 0
                                        ; implicit-def: $sgpr89
	s_set_inst_prefetch_distance 0x1
	s_branch .LBB62_331
	.p2align	6
.LBB62_330:                             ;   in Loop: Header=BB62_331 Depth=2
	s_or_b32 exec_lo, exec_lo, s10
	s_waitcnt vmcnt(0) lgkmcnt(0)
	s_barrier
	buffer_gl0_inv
	ds_load_b32 v3, v9 offset:3072
	v_add_nc_u32_e32 v2, s47, v2
	v_add_nc_u32_e32 v8, s53, v8
	s_waitcnt lgkmcnt(0)
	s_barrier
	buffer_gl0_inv
	v_cmp_le_u32_e32 vcc_lo, s73, v2
	v_cmp_ne_u16_e64 s10, 0, v3
	s_delay_alu instid0(VALU_DEP_1) | instskip(NEXT) | instid1(SALU_CYCLE_1)
	s_or_b32 s92, vcc_lo, s10
	s_and_b32 s92, exec_lo, s92
	s_delay_alu instid0(SALU_CYCLE_1) | instskip(SKIP_2) | instid1(SALU_CYCLE_1)
	s_or_b32 s29, s92, s29
	s_and_not1_b32 s89, s89, exec_lo
	s_and_b32 s10, s10, exec_lo
	s_or_b32 s89, s89, s10
	s_and_not1_b32 exec_lo, exec_lo, s29
	s_cbranch_execz .LBB62_336
.LBB62_331:                             ;   Parent Loop BB62_6 Depth=1
                                        ; =>  This Inner Loop Header: Depth=2
	s_delay_alu instid0(VALU_DEP_1)
	v_cmp_gt_u32_e32 vcc_lo, s36, v2
	v_mov_b32_e32 v3, 0
	s_and_saveexec_b32 s92, vcc_lo
	s_cbranch_execz .LBB62_333
; %bb.332:                              ;   in Loop: Header=BB62_331 Depth=2
	v_lshlrev_b64 v[3:4], 1, v[8:9]
	s_delay_alu instid0(VALU_DEP_1) | instskip(NEXT) | instid1(VALU_DEP_1)
	v_add_co_u32 v3, s10, s33, v3
	v_add_co_ci_u32_e64 v4, s10, s43, v4, s10
	global_load_u16 v3, v[3:4], off
.LBB62_333:                             ;   in Loop: Header=BB62_331 Depth=2
	s_or_b32 exec_lo, exec_lo, s92
	s_and_saveexec_b32 s10, vcc_lo
	s_cbranch_execz .LBB62_330
; %bb.334:                              ;   in Loop: Header=BB62_331 Depth=2
	s_waitcnt vmcnt(0)
	v_bfe_i32 v4, v3, 0, 16
	s_delay_alu instid0(VALU_DEP_1) | instskip(NEXT) | instid1(VALU_DEP_1)
	v_add_nc_u32_e32 v4, 0x8000, v4
	v_and_b32_e32 v4, v4, v26
	s_delay_alu instid0(VALU_DEP_1)
	v_cmp_eq_u32_e32 vcc_lo, v4, v27
	s_and_b32 exec_lo, exec_lo, vcc_lo
	s_cbranch_execz .LBB62_330
; %bb.335:                              ;   in Loop: Header=BB62_331 Depth=2
	v_perm_b32 v3, v3, 1, 0x5040100
	ds_store_b32 v9, v3 offset:3072
	s_branch .LBB62_330
.LBB62_336:                             ;   in Loop: Header=BB62_6 Depth=1
	s_set_inst_prefetch_distance 0x2
	s_or_b32 exec_lo, exec_lo, s29
	v_lshrrev_b32_e32 v28, 16, v3
	s_and_b32 s10, s89, exec_lo
.LBB62_337:                             ;   in Loop: Header=BB62_6 Depth=1
	s_or_b32 exec_lo, exec_lo, s28
	s_mov_b32 s29, 0
	s_mov_b32 s28, -1
	s_mov_b32 s89, 0
.LBB62_338:                             ;   in Loop: Header=BB62_6 Depth=1
	s_or_not1_b32 s10, s10, exec_lo
.LBB62_339:                             ;   in Loop: Header=BB62_6 Depth=1
	s_or_b32 exec_lo, exec_lo, s90
	s_mov_b32 s92, 0
                                        ; implicit-def: $vgpr4
	s_and_saveexec_b32 s90, s10
	s_cbranch_execz .LBB62_392
; %bb.340:                              ;   in Loop: Header=BB62_6 Depth=1
	v_mov_b32_e32 v2, 1
	v_mov_b32_e32 v4, 1
	s_xor_b32 s92, s91, -1
	s_mov_b32 s91, 0
	s_and_saveexec_b32 s10, s92
	s_cbranch_execz .LBB62_350
; %bb.341:                              ;   in Loop: Header=BB62_6 Depth=1
	s_mov_b32 s92, exec_lo
                                        ; implicit-def: $sgpr93
                                        ; implicit-def: $sgpr91
	v_cmpx_ge_u32_e64 s16, v1
	s_xor_b32 s92, exec_lo, s92
	s_cbranch_execz .LBB62_347
; %bb.342:                              ;   in Loop: Header=BB62_6 Depth=1
	ds_load_b32 v2, v9 offset:4096
	s_waitcnt lgkmcnt(0)
	v_cmp_ne_u32_e32 vcc_lo, 0, v2
	s_cbranch_vccnz .LBB62_346
; %bb.343:                              ;   in Loop: Header=BB62_6 Depth=1
	s_and_saveexec_b32 s91, s5
	s_cbranch_execz .LBB62_345
; %bb.344:                              ;   in Loop: Header=BB62_6 Depth=1
	v_mov_b32_e32 v2, s16
	ds_store_b32 v9, v2 offset:4100
.LBB62_345:                             ;   in Loop: Header=BB62_6 Depth=1
	s_or_b32 exec_lo, exec_lo, s91
	s_waitcnt lgkmcnt(0)
	s_barrier
	buffer_gl0_inv
.LBB62_346:                             ;   in Loop: Header=BB62_6 Depth=1
	s_lshl_b32 s17, 1, s17
	v_or_b32_e32 v26, s13, v26
	v_and_or_b32 v27, v27, s14, s17
	s_mov_b32 s91, 0
	s_mov_b32 s93, 5
.LBB62_347:                             ;   in Loop: Header=BB62_6 Depth=1
	s_or_saveexec_b32 s17, s92
	v_mov_b32_e32 v4, s93
	s_xor_b32 exec_lo, exec_lo, s17
; %bb.348:                              ;   in Loop: Header=BB62_6 Depth=1
	v_subrev_nc_u32_e32 v1, s16, v1
	v_mov_b32_e32 v4, 0
	s_or_b32 s91, s91, exec_lo
; %bb.349:                              ;   in Loop: Header=BB62_6 Depth=1
	s_or_b32 exec_lo, exec_lo, s17
	s_delay_alu instid0(VALU_DEP_2)
	v_mov_b32_e32 v2, v1
	s_and_b32 s91, s91, exec_lo
.LBB62_350:                             ;   in Loop: Header=BB62_6 Depth=1
	s_or_b32 exec_lo, exec_lo, s10
	s_mov_b32 s17, -1
                                        ; implicit-def: $sgpr10
                                        ; implicit-def: $sgpr92
                                        ; implicit-def: $sgpr93
	s_and_saveexec_b32 s16, s91
	s_cbranch_execz .LBB62_391
; %bb.351:                              ;   in Loop: Header=BB62_6 Depth=1
	v_cmp_eq_u32_e32 vcc_lo, 1, v2
	s_cmp_eq_u32 s12, 1
	s_mov_b32 s94, -1
	s_cselect_b32 s10, -1, 0
                                        ; implicit-def: $sgpr92
                                        ; implicit-def: $sgpr93
	s_delay_alu instid0(SALU_CYCLE_1) | instskip(NEXT) | instid1(SALU_CYCLE_1)
	s_and_b32 s17, s10, vcc_lo
                                        ; implicit-def: $sgpr10
	s_and_saveexec_b32 s91, s17
	s_cbranch_execz .LBB62_378
; %bb.352:                              ;   in Loop: Header=BB62_6 Depth=1
	ds_load_b32 v1, v9 offset:4096
	s_waitcnt lgkmcnt(0)
	s_barrier
	buffer_gl0_inv
	v_readfirstlane_b32 s92, v1
	s_and_saveexec_b32 s10, s6
	s_cbranch_execz .LBB62_354
; %bb.353:                              ;   in Loop: Header=BB62_6 Depth=1
	ds_store_b16 v20, v9
.LBB62_354:                             ;   in Loop: Header=BB62_6 Depth=1
	s_or_b32 exec_lo, exec_lo, s10
	v_and_b32_e32 v27, s14, v27
	v_or_b32_e32 v26, s13, v26
	s_cmp_eq_u32 s92, 0
	s_waitcnt lgkmcnt(0)
	s_barrier
	buffer_gl0_inv
	s_cbranch_scc1 .LBB62_363
; %bb.355:                              ;   in Loop: Header=BB62_6 Depth=1
	s_add_i32 s10, s92, s65
                                        ; implicit-def: $vgpr28
	s_delay_alu instid0(SALU_CYCLE_1) | instskip(NEXT) | instid1(SALU_CYCLE_1)
	s_mul_hi_u32 s93, s10, s72
	s_mul_i32 s93, s93, s47
	s_delay_alu instid0(SALU_CYCLE_1) | instskip(NEXT) | instid1(SALU_CYCLE_1)
	s_sub_i32 s93, s10, s93
	s_sub_i32 s94, s93, s47
	s_cmp_ge_u32 s93, s47
	s_cselect_b32 s93, s94, s93
	s_delay_alu instid0(SALU_CYCLE_1)
	s_sub_i32 s94, s93, s47
	s_cmp_ge_u32 s93, s47
	s_cselect_b32 s93, s94, s93
	s_mov_b32 s94, 0
	s_sub_i32 s95, s10, s93
	s_mov_b32 s93, exec_lo
	v_cmpx_gt_u32_e64 s95, v0
	s_cbranch_execz .LBB62_365
; %bb.356:                              ;   in Loop: Header=BB62_6 Depth=1
	v_mov_b32_e32 v1, v19
	v_mov_b32_e32 v3, v0
                                        ; implicit-def: $sgpr96
	s_set_inst_prefetch_distance 0x1
	s_branch .LBB62_358
	.p2align	6
.LBB62_357:                             ;   in Loop: Header=BB62_358 Depth=2
	s_or_b32 exec_lo, exec_lo, s10
	s_waitcnt lgkmcnt(0)
	s_barrier
	buffer_gl0_inv
	ds_load_b32 v4, v9 offset:3072
	v_add_nc_u32_e32 v3, s47, v3
	v_add_nc_u32_e32 v1, s76, v1
	s_waitcnt lgkmcnt(0)
	s_barrier
	buffer_gl0_inv
	v_cmp_le_u32_e32 vcc_lo, s95, v3
	v_cmp_ne_u16_e64 s10, 0, v4
	s_delay_alu instid0(VALU_DEP_1) | instskip(NEXT) | instid1(SALU_CYCLE_1)
	s_or_b32 s97, vcc_lo, s10
	s_and_b32 s97, exec_lo, s97
	s_delay_alu instid0(SALU_CYCLE_1) | instskip(SKIP_2) | instid1(SALU_CYCLE_1)
	s_or_b32 s94, s97, s94
	s_and_not1_b32 s96, s96, exec_lo
	s_and_b32 s10, s10, exec_lo
	s_or_b32 s96, s96, s10
	s_and_not1_b32 exec_lo, exec_lo, s94
	s_cbranch_execz .LBB62_364
.LBB62_358:                             ;   Parent Loop BB62_6 Depth=1
                                        ; =>  This Inner Loop Header: Depth=2
	s_delay_alu instid0(VALU_DEP_1)
	v_cmp_gt_u32_e32 vcc_lo, s92, v3
	v_mov_b32_e32 v4, 0
	s_and_saveexec_b32 s10, vcc_lo
	s_cbranch_execz .LBB62_360
; %bb.359:                              ;   in Loop: Header=BB62_358 Depth=2
	ds_load_u16 v4, v1
.LBB62_360:                             ;   in Loop: Header=BB62_358 Depth=2
	s_or_b32 exec_lo, exec_lo, s10
	s_and_saveexec_b32 s10, vcc_lo
	s_cbranch_execz .LBB62_357
; %bb.361:                              ;   in Loop: Header=BB62_358 Depth=2
	s_waitcnt lgkmcnt(0)
	v_bfe_i32 v8, v4, 0, 16
	s_delay_alu instid0(VALU_DEP_1) | instskip(NEXT) | instid1(VALU_DEP_1)
	v_add_nc_u32_e32 v8, 0x8000, v8
	v_and_b32_e32 v8, v8, v26
	s_delay_alu instid0(VALU_DEP_1)
	v_cmp_eq_u32_e32 vcc_lo, v8, v27
	s_and_b32 exec_lo, exec_lo, vcc_lo
	s_cbranch_execz .LBB62_357
; %bb.362:                              ;   in Loop: Header=BB62_358 Depth=2
	v_perm_b32 v4, v4, 1, 0x5040100
	ds_store_b32 v9, v4 offset:3072
	s_branch .LBB62_357
.LBB62_363:                             ;   in Loop: Header=BB62_6 Depth=1
	s_mov_b32 s10, -1
	s_mov_b32 s94, 0
                                        ; implicit-def: $sgpr92
                                        ; implicit-def: $vgpr28
	s_branch .LBB62_366
.LBB62_364:                             ;   in Loop: Header=BB62_6 Depth=1
	s_set_inst_prefetch_distance 0x2
	s_or_b32 exec_lo, exec_lo, s94
	v_lshrrev_b32_e32 v28, 16, v4
	s_and_b32 s94, s96, exec_lo
.LBB62_365:                             ;   in Loop: Header=BB62_6 Depth=1
	s_or_b32 exec_lo, exec_lo, s93
	s_mov_b32 s10, 0
	s_mov_b32 s92, -1
.LBB62_366:                             ;   in Loop: Header=BB62_6 Depth=1
	s_and_b32 vcc_lo, exec_lo, s10
	s_mov_b32 s93, s10
	s_cbranch_vccz .LBB62_377
; %bb.367:                              ;   in Loop: Header=BB62_6 Depth=1
	s_mov_b32 s94, 0
                                        ; implicit-def: $vgpr28
	s_and_saveexec_b32 s92, s9
	s_cbranch_execz .LBB62_376
; %bb.368:                              ;   in Loop: Header=BB62_6 Depth=1
	v_dual_mov_b32 v8, v7 :: v_dual_mov_b32 v1, v0
	s_mov_b32 s93, 0
                                        ; implicit-def: $sgpr94
	s_set_inst_prefetch_distance 0x1
	s_branch .LBB62_370
	.p2align	6
.LBB62_369:                             ;   in Loop: Header=BB62_370 Depth=2
	s_or_b32 exec_lo, exec_lo, s10
	s_waitcnt vmcnt(0) lgkmcnt(0)
	s_barrier
	buffer_gl0_inv
	ds_load_b32 v3, v9 offset:3072
	v_add_nc_u32_e32 v1, s47, v1
	v_add_nc_u32_e32 v8, s53, v8
	s_waitcnt lgkmcnt(0)
	s_barrier
	buffer_gl0_inv
	v_cmp_le_u32_e32 vcc_lo, s73, v1
	v_cmp_ne_u16_e64 s10, 0, v3
	s_delay_alu instid0(VALU_DEP_1) | instskip(NEXT) | instid1(SALU_CYCLE_1)
	s_or_b32 s95, vcc_lo, s10
	s_and_b32 s95, exec_lo, s95
	s_delay_alu instid0(SALU_CYCLE_1) | instskip(SKIP_2) | instid1(SALU_CYCLE_1)
	s_or_b32 s93, s95, s93
	s_and_not1_b32 s94, s94, exec_lo
	s_and_b32 s10, s10, exec_lo
	s_or_b32 s94, s94, s10
	s_and_not1_b32 exec_lo, exec_lo, s93
	s_cbranch_execz .LBB62_375
.LBB62_370:                             ;   Parent Loop BB62_6 Depth=1
                                        ; =>  This Inner Loop Header: Depth=2
	s_delay_alu instid0(VALU_DEP_1)
	v_cmp_gt_u32_e32 vcc_lo, s36, v1
	v_mov_b32_e32 v3, 0
	s_and_saveexec_b32 s95, vcc_lo
	s_cbranch_execz .LBB62_372
; %bb.371:                              ;   in Loop: Header=BB62_370 Depth=2
	v_lshlrev_b64 v[3:4], 1, v[8:9]
	s_delay_alu instid0(VALU_DEP_1) | instskip(NEXT) | instid1(VALU_DEP_1)
	v_add_co_u32 v3, s10, s33, v3
	v_add_co_ci_u32_e64 v4, s10, s43, v4, s10
	global_load_u16 v3, v[3:4], off
.LBB62_372:                             ;   in Loop: Header=BB62_370 Depth=2
	s_or_b32 exec_lo, exec_lo, s95
	s_and_saveexec_b32 s10, vcc_lo
	s_cbranch_execz .LBB62_369
; %bb.373:                              ;   in Loop: Header=BB62_370 Depth=2
	s_waitcnt vmcnt(0)
	v_bfe_i32 v4, v3, 0, 16
	s_delay_alu instid0(VALU_DEP_1) | instskip(NEXT) | instid1(VALU_DEP_1)
	v_add_nc_u32_e32 v4, 0x8000, v4
	v_and_b32_e32 v4, v4, v26
	s_delay_alu instid0(VALU_DEP_1)
	v_cmp_eq_u32_e32 vcc_lo, v4, v27
	s_and_b32 exec_lo, exec_lo, vcc_lo
	s_cbranch_execz .LBB62_369
; %bb.374:                              ;   in Loop: Header=BB62_370 Depth=2
	v_perm_b32 v3, v3, 1, 0x5040100
	ds_store_b32 v9, v3 offset:3072
	s_branch .LBB62_369
.LBB62_375:                             ;   in Loop: Header=BB62_6 Depth=1
	s_set_inst_prefetch_distance 0x2
	s_or_b32 exec_lo, exec_lo, s93
	v_lshrrev_b32_e32 v28, 16, v3
	s_and_b32 s94, s94, exec_lo
.LBB62_376:                             ;   in Loop: Header=BB62_6 Depth=1
	s_or_b32 exec_lo, exec_lo, s92
	s_mov_b32 s92, 0
	s_mov_b32 s10, -1
	s_mov_b32 s93, 0
.LBB62_377:                             ;   in Loop: Header=BB62_6 Depth=1
	s_or_not1_b32 s94, s94, exec_lo
.LBB62_378:                             ;   in Loop: Header=BB62_6 Depth=1
	s_or_b32 exec_lo, exec_lo, s91
	s_mov_b32 s95, 0
                                        ; implicit-def: $vgpr4
                                        ; implicit-def: $vgpr1
	s_and_saveexec_b32 s91, s94
	s_cbranch_execz .LBB62_390
; %bb.379:                              ;   in Loop: Header=BB62_6 Depth=1
	v_dual_mov_b32 v4, 1 :: v_dual_mov_b32 v1, 1
	s_xor_b32 s94, s17, -1
	s_delay_alu instid0(SALU_CYCLE_1)
	s_and_saveexec_b32 s17, s94
	s_cbranch_execz .LBB62_389
; %bb.380:                              ;   in Loop: Header=BB62_6 Depth=1
	s_mov_b32 s94, exec_lo
                                        ; implicit-def: $sgpr95
	v_cmpx_ge_u32_e64 s12, v2
	s_xor_b32 s94, exec_lo, s94
	s_cbranch_execz .LBB62_386
; %bb.381:                              ;   in Loop: Header=BB62_6 Depth=1
	ds_load_b32 v1, v9 offset:4096
	s_waitcnt lgkmcnt(0)
	v_cmp_ne_u32_e32 vcc_lo, 0, v1
	s_cbranch_vccnz .LBB62_385
; %bb.382:                              ;   in Loop: Header=BB62_6 Depth=1
	s_and_saveexec_b32 s95, s5
	s_cbranch_execz .LBB62_384
; %bb.383:                              ;   in Loop: Header=BB62_6 Depth=1
	v_mov_b32_e32 v1, s12
	ds_store_b32 v9, v1 offset:4100
.LBB62_384:                             ;   in Loop: Header=BB62_6 Depth=1
	s_or_b32 exec_lo, exec_lo, s95
	s_waitcnt lgkmcnt(0)
	s_barrier
	buffer_gl0_inv
.LBB62_385:                             ;   in Loop: Header=BB62_6 Depth=1
	v_and_b32_e32 v27, s14, v27
	v_or_b32_e32 v26, s13, v26
	s_mov_b32 s95, 5
.LBB62_386:                             ;   in Loop: Header=BB62_6 Depth=1
	s_or_saveexec_b32 s13, s94
	v_mov_b32_e32 v4, s95
	s_xor_b32 exec_lo, exec_lo, s13
; %bb.387:                              ;   in Loop: Header=BB62_6 Depth=1
	v_subrev_nc_u32_e32 v2, s12, v2
	v_mov_b32_e32 v4, 5
; %bb.388:                              ;   in Loop: Header=BB62_6 Depth=1
	s_or_b32 exec_lo, exec_lo, s13
	s_delay_alu instid0(VALU_DEP_2)
	v_mov_b32_e32 v1, v2
.LBB62_389:                             ;   in Loop: Header=BB62_6 Depth=1
	s_or_b32 exec_lo, exec_lo, s17
	s_delay_alu instid0(SALU_CYCLE_1)
	s_mov_b32 s95, exec_lo
.LBB62_390:                             ;   in Loop: Header=BB62_6 Depth=1
	s_or_b32 exec_lo, exec_lo, s91
	s_delay_alu instid0(VALU_DEP_1)
	v_mov_b32_e32 v2, v1
	s_or_not1_b32 s17, s95, exec_lo
.LBB62_391:                             ;   in Loop: Header=BB62_6 Depth=1
	s_or_b32 exec_lo, exec_lo, s16
	s_delay_alu instid0(SALU_CYCLE_1)
	s_and_not1_b32 s12, s28, exec_lo
	s_and_b32 s10, s10, exec_lo
	s_and_not1_b32 s13, s89, exec_lo
	s_or_b32 s28, s12, s10
	s_and_not1_b32 s10, s29, exec_lo
	s_and_b32 s12, s92, exec_lo
	s_and_b32 s14, s93, exec_lo
	v_mov_b32_e32 v1, v2
	s_or_b32 s29, s10, s12
	s_or_b32 s89, s13, s14
	s_and_b32 s92, s17, exec_lo
.LBB62_392:                             ;   in Loop: Header=BB62_6 Depth=1
	s_or_b32 exec_lo, exec_lo, s90
	s_delay_alu instid0(SALU_CYCLE_1)
	s_and_b32 s90, s28, exec_lo
	s_and_b32 s29, s29, exec_lo
	s_and_b32 s28, s89, exec_lo
	s_or_not1_b32 s10, s92, exec_lo
.LBB62_393:                             ;   in Loop: Header=BB62_6 Depth=1
	s_or_b32 exec_lo, exec_lo, s18
	s_delay_alu instid0(SALU_CYCLE_1)
	s_and_not1_b32 s12, s22, exec_lo
	s_and_b32 s13, s90, exec_lo
	s_and_not1_b32 s14, s26, exec_lo
	s_or_b32 s22, s12, s13
	s_and_not1_b32 s12, s25, exec_lo
	s_and_b32 s13, s29, exec_lo
	s_and_b32 s16, s28, exec_lo
	v_mov_b32_e32 v3, v1
	s_or_b32 s25, s12, s13
	s_or_b32 s26, s14, s16
	s_and_b32 s29, s10, exec_lo
.LBB62_394:                             ;   in Loop: Header=BB62_6 Depth=1
	s_or_b32 exec_lo, exec_lo, s27
	s_delay_alu instid0(SALU_CYCLE_1)
	s_and_b32 s27, s22, exec_lo
	s_and_b32 s25, s25, exec_lo
	;; [unrolled: 1-line block ×3, first 2 shown]
	s_or_not1_b32 s26, s29, exec_lo
.LBB62_395:                             ;   in Loop: Header=BB62_6 Depth=1
	s_or_b32 exec_lo, exec_lo, s19
	s_mov_b32 s10, s20
	s_mov_b32 s12, s11
	s_and_saveexec_b32 s13, s26
; %bb.396:                              ;   in Loop: Header=BB62_6 Depth=1
	v_cmp_eq_u32_e32 vcc_lo, 5, v4
	v_cmp_ne_u32_e64 s10, 5, v4
	s_and_not1_b32 s12, s11, exec_lo
	s_and_not1_b32 s14, s20, exec_lo
	;; [unrolled: 1-line block ×3, first 2 shown]
	s_and_b32 s16, vcc_lo, exec_lo
	s_and_b32 s10, s10, exec_lo
	s_and_not1_b32 s25, s25, exec_lo
	s_and_not1_b32 s22, s22, exec_lo
	s_or_b32 s12, s12, s10
	s_or_b32 s10, s14, s16
; %bb.397:                              ;   in Loop: Header=BB62_6 Depth=1
	s_or_b32 exec_lo, exec_lo, s13
	s_delay_alu instid0(SALU_CYCLE_1)
	s_and_not1_b32 s13, s23, exec_lo
	s_and_b32 s14, s27, exec_lo
	v_dual_mov_b32 v1, v27 :: v_dual_mov_b32 v2, v26
	s_or_b32 s23, s13, s14
	s_and_not1_b32 s13, s24, exec_lo
	s_and_b32 s14, s25, exec_lo
	v_mov_b32_e32 v30, v28
	s_and_not1_b32 s15, s15, exec_lo
	s_and_b32 s16, s22, exec_lo
	s_or_b32 s24, s13, s14
	s_and_not1_b32 s11, s11, exec_lo
	s_and_b32 s12, s12, exec_lo
	s_and_not1_b32 s13, s20, exec_lo
	s_and_b32 s10, s10, exec_lo
	s_or_b32 s15, s15, s16
	s_or_b32 s11, s11, s12
	;; [unrolled: 1-line block ×3, first 2 shown]
.LBB62_398:                             ;   in Loop: Header=BB62_6 Depth=1
	s_or_b32 exec_lo, exec_lo, s21
	s_mov_b32 s22, s15
	s_mov_b32 s21, s15
	s_and_saveexec_b32 s10, s20
.LBB62_399:                             ;   in Loop: Header=BB62_6 Depth=1
	v_mov_b32_e32 v4, 0
	s_and_not1_b32 s15, s15, exec_lo
	s_and_not1_b32 s23, s23, exec_lo
	s_and_not1_b32 s24, s24, exec_lo
	s_and_not1_b32 s22, s22, exec_lo
	s_and_not1_b32 s21, s21, exec_lo
	s_or_b32 s11, s11, exec_lo
.LBB62_400:                             ;   in Loop: Header=BB62_6 Depth=1
	s_or_b32 exec_lo, exec_lo, s10
	s_delay_alu instid0(SALU_CYCLE_1)
	s_and_not1_b32 s10, s88, exec_lo
	s_and_b32 s13, s15, exec_lo
	s_and_not1_b32 s14, s85, exec_lo
	s_or_b32 s88, s10, s13
	s_and_not1_b32 s10, s87, exec_lo
	s_and_b32 s13, s23, exec_lo
	s_and_b32 s15, s24, exec_lo
	s_or_b32 s87, s10, s13
	s_or_b32 s85, s14, s15
	s_and_not1_b32 s10, s86, exec_lo
	s_and_b32 s13, s22, exec_lo
	s_and_not1_b32 s14, s84, exec_lo
	s_and_b32 s15, s21, exec_lo
	s_mov_b32 s12, -1
	s_or_b32 s86, s10, s13
	s_or_b32 s84, s14, s15
                                        ; implicit-def: $vgpr26
                                        ; implicit-def: $vgpr27
                                        ; implicit-def: $vgpr29
                                        ; implicit-def: $vgpr28
	s_and_saveexec_b32 s10, s11
	s_delay_alu instid0(SALU_CYCLE_1)
	s_xor_b32 s10, exec_lo, s10
	s_cbranch_execz .LBB62_5
; %bb.401:                              ;   in Loop: Header=BB62_6 Depth=1
	s_mov_b32 s11, -1
	s_mov_b32 s13, exec_lo
	v_cmpx_eq_u32_e32 0, v4
	s_cbranch_execz .LBB62_4
; %bb.402:                              ;   in Loop: Header=BB62_6 Depth=1
	s_xor_b32 s78, s78, 1
	s_add_i32 s14, s83, -2
	s_cmp_eq_u32 s83, 0
	s_mov_b32 s83, s14
	s_cselect_b32 s11, -1, 0
	s_xor_b32 s12, exec_lo, -1
	s_or_not1_b32 s11, s11, exec_lo
	s_branch .LBB62_4
.LBB62_403:
	s_or_b32 exec_lo, exec_lo, s55
	s_xor_b32 s7, s82, -1
	s_xor_b32 s12, s80, -1
	;; [unrolled: 1-line block ×5, first 2 shown]
	s_mov_b32 s9, 0
	s_and_saveexec_b32 s10, s8
	s_delay_alu instid0(SALU_CYCLE_1)
	s_xor_b32 s8, exec_lo, s10
	s_cbranch_execz .LBB62_460
; %bb.404:
	s_mov_b32 s10, 0
	s_and_saveexec_b32 s9, s11
	s_delay_alu instid0(SALU_CYCLE_1)
	s_xor_b32 s9, exec_lo, s9
	s_cbranch_execz .LBB62_458
; %bb.405:
	;; [unrolled: 6-line block ×4, first 2 shown]
	s_and_saveexec_b32 s7, s6
	s_delay_alu instid0(SALU_CYCLE_1)
	s_xor_b32 s6, exec_lo, s7
; %bb.408:
	v_xor_b32_e32 v30, 0xffff8000, v1
; %bb.409:
	s_or_b32 exec_lo, exec_lo, s6
	s_and_saveexec_b32 s6, s5
	s_cbranch_execz .LBB62_411
; %bb.410:
	v_mov_b32_e32 v1, 0
	ds_store_b32 v1, v1 offset:4108
.LBB62_411:
	s_or_b32 exec_lo, exec_lo, s6
	v_mov_b32_e32 v1, 0
	s_waitcnt lgkmcnt(0)
	s_barrier
	buffer_gl0_inv
	s_and_saveexec_b32 s5, s4
	s_cbranch_execz .LBB62_413
; %bb.412:
	global_load_u16 v1, v[5:6], off
.LBB62_413:
	s_or_b32 exec_lo, exec_lo, s5
	s_mul_i32 s7, s60, s50
	s_add_i32 s5, s36, 31
	s_mul_i32 s6, s57, s51
	s_sub_i32 s7, s57, s7
	s_and_not1_b32 s5, s5, 31
	s_sub_i32 s6, s56, s6
	s_add_i32 s12, s60, 1
	s_sub_i32 s13, s7, s50
	s_cmp_ge_u32 s7, s50
	s_mul_i32 s6, s6, s46
	s_cselect_b32 s12, s12, s60
	s_cselect_b32 s7, s13, s7
	s_add_i32 s13, s12, 1
	s_cmp_ge_u32 s7, s50
	v_add_nc_u32_e32 v3, s47, v0
	s_cselect_b32 s7, s13, s12
	s_mul_i32 s13, s58, s49
	s_mul_i32 s12, s7, s50
	;; [unrolled: 1-line block ×3, first 2 shown]
	s_sub_i32 s12, s57, s12
	v_mul_lo_u32 v2, s52, v3
	s_mul_i32 s12, s12, s45
	s_delay_alu instid0(SALU_CYCLE_1)
	s_add_i32 s6, s12, s6
	s_mul_i32 s12, s59, s48
	s_add_i32 s6, s6, s7
	s_sub_i32 s12, s58, s12
	s_sub_i32 s7, s56, s13
	s_add_i32 s13, s59, 1
	s_sub_i32 s14, s12, s48
	s_cmp_ge_u32 s12, s48
	s_mul_i32 s7, s7, s42
	s_cselect_b32 s13, s13, s59
	s_cselect_b32 s12, s14, s12
	s_add_i32 s14, s13, 1
	s_cmp_ge_u32 s12, s48
	s_cselect_b32 s13, s14, s13
	s_delay_alu instid0(SALU_CYCLE_1) | instskip(SKIP_2) | instid1(SALU_CYCLE_1)
	s_mul_i32 s12, s13, s48
	s_mul_i32 s13, s13, s40
	s_sub_i32 s12, s58, s12
	s_mul_i32 s14, s12, s41
	s_clause 0x1
	s_load_b32 s12, s[0:1], 0x1c8
	s_load_b32 s1, s[0:1], 0x2a8
	s_add_i32 s0, s14, s7
	s_mov_b32 s7, 0
	s_add_i32 s14, s0, s13
	s_lshl_b64 s[16:17], s[6:7], 1
	s_mov_b32 s15, s7
	s_add_u32 s6, s34, s16
	s_addc_u32 s13, s35, s17
	s_lshl_b64 s[14:15], s[14:15], 3
	s_mov_b32 s0, -1
	s_add_u32 s14, s30, s14
	s_addc_u32 s15, s31, s15
	s_mov_b32 s16, 0
	s_mov_b32 s17, exec_lo
	v_cmpx_gt_u32_e64 s5, v0
	s_cbranch_execz .LBB62_429
; %bb.414:
	v_bfe_i32 v7, v30, 0, 16
	v_mul_lo_u32 v3, s52, v3
	v_mov_b32_e32 v4, 0
                                        ; implicit-def: $sgpr18
                                        ; implicit-def: $vgpr11
	s_delay_alu instid0(VALU_DEP_3)
	v_add_nc_u32_e32 v9, 0x8000, v7
	v_mov_b32_e32 v7, v0
	s_branch .LBB62_416
.LBB62_415:                             ;   in Loop: Header=BB62_416 Depth=1
	s_or_b32 exec_lo, exec_lo, s19
	s_xor_b32 s19, s21, -1
	s_and_b32 s0, exec_lo, s0
	v_mov_b32_e32 v1, v12
	s_or_b32 s16, s0, s16
	v_mov_b32_e32 v7, v10
	s_and_not1_b32 s0, s18, exec_lo
	s_and_b32 s18, s19, exec_lo
	s_delay_alu instid0(SALU_CYCLE_1)
	s_or_b32 s18, s0, s18
	s_and_not1_b32 exec_lo, exec_lo, s16
	s_cbranch_execz .LBB62_428
.LBB62_416:                             ; =>This Inner Loop Header: Depth=1
	s_delay_alu instid0(VALU_DEP_1) | instskip(SKIP_2) | instid1(VALU_DEP_2)
	v_add_nc_u32_e32 v10, s47, v7
	v_mov_b32_e32 v12, 0
	s_mov_b32 s0, exec_lo
	v_cmpx_gt_u32_e64 s36, v10
	s_cbranch_execz .LBB62_418
; %bb.417:                              ;   in Loop: Header=BB62_416 Depth=1
	v_lshlrev_b64 v[12:13], 1, v[3:4]
	s_delay_alu instid0(VALU_DEP_1) | instskip(NEXT) | instid1(VALU_DEP_2)
	v_add_co_u32 v12, vcc_lo, s33, v12
	v_add_co_ci_u32_e32 v13, vcc_lo, s43, v13, vcc_lo
	global_load_u16 v12, v[12:13], off
.LBB62_418:                             ;   in Loop: Header=BB62_416 Depth=1
	s_or_b32 exec_lo, exec_lo, s0
	s_waitcnt vmcnt(0)
	v_bfe_i32 v8, v1, 0, 16
	s_delay_alu instid0(VALU_DEP_1) | instskip(NEXT) | instid1(VALU_DEP_1)
	v_add_nc_u32_e32 v8, 0x8000, v8
	v_cmp_gt_u32_e32 vcc_lo, v8, v9
	v_cndmask_b32_e64 v13, 0, 1, vcc_lo
	v_cmp_lt_u32_e32 vcc_lo, v8, v9
	v_cndmask_b32_e64 v8, 0, 1, vcc_lo
	v_cmp_gt_u32_e32 vcc_lo, s36, v7
	s_delay_alu instid0(VALU_DEP_2) | instskip(NEXT) | instid1(VALU_DEP_1)
	v_cndmask_b32_e64 v8, v8, v13, s3
	v_and_b32_e32 v8, 1, v8
	s_delay_alu instid0(VALU_DEP_1) | instskip(NEXT) | instid1(VALU_DEP_1)
	v_cmp_eq_u32_e64 s0, 1, v8
	s_and_b32 s20, vcc_lo, s0
	s_delay_alu instid0(SALU_CYCLE_1) | instskip(NEXT) | instid1(VALU_DEP_1)
	v_cndmask_b32_e64 v8, 0, 1, s20
	v_cmp_ne_u32_e32 vcc_lo, 0, v8
	s_cmp_lg_u32 vcc_lo, 0
	s_cselect_b32 s0, -1, 0
	s_delay_alu instid0(SALU_CYCLE_1) | instskip(NEXT) | instid1(SALU_CYCLE_1)
	s_and_b32 s0, s2, s0
	s_and_saveexec_b32 s19, s0
	s_cbranch_execz .LBB62_422
; %bb.419:                              ;   in Loop: Header=BB62_416 Depth=1
	s_mov_b32 s23, exec_lo
	s_bcnt1_i32_b32 s21, vcc_lo
	v_mbcnt_lo_u32_b32 v8, s23, 0
	s_mov_b32 s22, exec_lo
                                        ; implicit-def: $vgpr11
	s_delay_alu instid0(VALU_DEP_1)
	v_cmpx_eq_u32_e32 0, v8
	s_cbranch_execz .LBB62_421
; %bb.420:                              ;   in Loop: Header=BB62_416 Depth=1
	s_bcnt1_i32_b32 s0, s23
	s_delay_alu instid0(SALU_CYCLE_1)
	s_mul_i32 s0, s21, s0
	s_waitcnt lgkmcnt(0)
	v_mov_b32_e32 v11, s0
	ds_add_rtn_u32 v11, v4, v11 offset:4108
.LBB62_421:                             ;   in Loop: Header=BB62_416 Depth=1
	s_or_b32 exec_lo, exec_lo, s22
	s_waitcnt lgkmcnt(0)
	v_readfirstlane_b32 s0, v11
	s_delay_alu instid0(VALU_DEP_1)
	v_mad_u32_u24 v11, s21, v8, s0
.LBB62_422:                             ;   in Loop: Header=BB62_416 Depth=1
	s_or_b32 exec_lo, exec_lo, s19
	s_waitcnt lgkmcnt(0)
	ds_bpermute_b32 v11, v4, v11
	s_mov_b32 s0, -1
	s_mov_b32 s22, -1
                                        ; implicit-def: $sgpr21
	s_and_saveexec_b32 s19, s20
	s_cbranch_execz .LBB62_426
; %bb.423:                              ;   in Loop: Header=BB62_416 Depth=1
	v_and_b32_e32 v8, vcc_lo, v14
	s_mov_b32 s20, 0
	s_mov_b32 s21, exec_lo
	s_waitcnt lgkmcnt(0)
	s_delay_alu instid0(VALU_DEP_1) | instskip(NEXT) | instid1(VALU_DEP_1)
	v_bcnt_u32_b32 v8, v8, v11
	v_cmpx_gt_u32_e64 s37, v8
	s_cbranch_execz .LBB62_425
; %bb.424:                              ;   in Loop: Header=BB62_416 Depth=1
	v_mul_lo_u32 v15, v8, s12
	v_mov_b32_e32 v16, v4
	v_mul_lo_u32 v17, v8, s1
	v_mov_b32_e32 v18, v4
	v_mov_b32_e32 v8, v4
	s_mov_b32 s20, exec_lo
	v_lshlrev_b64 v[15:16], 1, v[15:16]
	s_delay_alu instid0(VALU_DEP_3) | instskip(NEXT) | instid1(VALU_DEP_2)
	v_lshlrev_b64 v[17:18], 3, v[17:18]
	v_add_co_u32 v15, vcc_lo, s6, v15
	s_delay_alu instid0(VALU_DEP_3) | instskip(NEXT) | instid1(VALU_DEP_3)
	v_add_co_ci_u32_e32 v16, vcc_lo, s13, v16, vcc_lo
	v_add_co_u32 v17, vcc_lo, s14, v17
	s_delay_alu instid0(VALU_DEP_4)
	v_add_co_ci_u32_e32 v18, vcc_lo, s15, v18, vcc_lo
	global_store_b16 v[15:16], v1, off
	global_store_b64 v[17:18], v[7:8], off
.LBB62_425:                             ;   in Loop: Header=BB62_416 Depth=1
	s_or_b32 exec_lo, exec_lo, s21
	s_mov_b32 s21, -1
	s_or_not1_b32 s22, s20, exec_lo
.LBB62_426:                             ;   in Loop: Header=BB62_416 Depth=1
	s_or_b32 exec_lo, exec_lo, s19
	s_and_saveexec_b32 s19, s22
	s_cbranch_execz .LBB62_415
; %bb.427:                              ;   in Loop: Header=BB62_416 Depth=1
	v_cmp_le_u32_e32 vcc_lo, s5, v10
	v_add_nc_u32_e32 v3, s53, v3
	s_and_not1_b32 s21, s21, exec_lo
	s_or_not1_b32 s0, vcc_lo, exec_lo
	s_branch .LBB62_415
.LBB62_428:
	s_or_b32 exec_lo, exec_lo, s16
	s_delay_alu instid0(SALU_CYCLE_1)
	s_mov_b32 s16, exec_lo
	s_or_not1_b32 s0, s18, exec_lo
.LBB62_429:
	s_or_b32 exec_lo, exec_lo, s17
	s_and_saveexec_b32 s3, s0
	s_cbranch_execz .LBB62_452
; %bb.430:
	v_mov_b32_e32 v3, 0
	s_waitcnt vmcnt(0)
	v_mov_b32_e32 v1, 0
	s_waitcnt lgkmcnt(0)
	s_waitcnt_vscnt null, 0x0
	s_barrier
	buffer_gl0_inv
	s_and_saveexec_b32 s0, s4
	s_cbranch_execz .LBB62_432
; %bb.431:
	global_load_u16 v1, v[5:6], off
.LBB62_432:
	s_or_b32 exec_lo, exec_lo, s0
	s_mov_b32 s7, 0
                                        ; implicit-def: $sgpr4
                                        ; implicit-def: $sgpr17
                                        ; implicit-def: $sgpr18
                                        ; implicit-def: $vgpr4
	s_branch .LBB62_435
.LBB62_433:                             ;   in Loop: Header=BB62_435 Depth=1
	s_or_b32 exec_lo, exec_lo, s21
	v_mov_b32_e32 v0, v5
	s_and_not1_b32 s0, s18, exec_lo
	s_and_b32 s18, s23, exec_lo
	s_and_not1_b32 s17, s17, exec_lo
	s_and_b32 s20, s20, exec_lo
	s_or_b32 s18, s0, s18
	s_or_b32 s17, s17, s20
.LBB62_434:                             ;   in Loop: Header=BB62_435 Depth=1
	s_or_b32 exec_lo, exec_lo, s19
	s_xor_b32 s0, s18, -1
	s_and_b32 s19, exec_lo, s17
	s_delay_alu instid0(SALU_CYCLE_1) | instskip(SKIP_2) | instid1(SALU_CYCLE_1)
	s_or_b32 s7, s19, s7
	s_and_not1_b32 s4, s4, exec_lo
	s_and_b32 s0, s0, exec_lo
	s_or_b32 s4, s4, s0
	s_and_not1_b32 exec_lo, exec_lo, s7
	s_cbranch_execz .LBB62_450
.LBB62_435:                             ; =>This Inner Loop Header: Depth=1
	s_or_b32 s18, s18, exec_lo
	s_or_b32 s17, s17, exec_lo
	s_mov_b32 s19, exec_lo
	v_cmpx_gt_u32_e64 s5, v0
	s_cbranch_execz .LBB62_434
; %bb.436:                              ;   in Loop: Header=BB62_435 Depth=1
	v_dual_mov_b32 v6, 0 :: v_dual_add_nc_u32 v5, s47, v0
	s_mov_b32 s0, exec_lo
	s_delay_alu instid0(VALU_DEP_1)
	v_cmpx_gt_u32_e64 s36, v5
	s_cbranch_execz .LBB62_438
; %bb.437:                              ;   in Loop: Header=BB62_435 Depth=1
	v_lshlrev_b64 v[6:7], 1, v[2:3]
	s_delay_alu instid0(VALU_DEP_1) | instskip(NEXT) | instid1(VALU_DEP_2)
	v_add_co_u32 v6, vcc_lo, s33, v6
	v_add_co_ci_u32_e32 v7, vcc_lo, s43, v7, vcc_lo
	global_load_u16 v6, v[6:7], off
.LBB62_438:                             ;   in Loop: Header=BB62_435 Depth=1
	s_or_b32 exec_lo, exec_lo, s0
	v_cmp_gt_u32_e32 vcc_lo, s36, v0
	s_waitcnt vmcnt(0)
	v_cmp_eq_u16_e64 s0, v1, v30
	s_delay_alu instid0(VALU_DEP_1) | instskip(NEXT) | instid1(SALU_CYCLE_1)
	s_and_b32 s21, vcc_lo, s0
	v_cndmask_b32_e64 v7, 0, 1, s21
	s_delay_alu instid0(VALU_DEP_1) | instskip(SKIP_2) | instid1(SALU_CYCLE_1)
	v_cmp_ne_u32_e32 vcc_lo, 0, v7
	s_cmp_lg_u32 vcc_lo, 0
	s_cselect_b32 s0, -1, 0
	s_and_b32 s0, s2, s0
	s_delay_alu instid0(SALU_CYCLE_1)
	s_and_saveexec_b32 s20, s0
	s_cbranch_execz .LBB62_442
; %bb.439:                              ;   in Loop: Header=BB62_435 Depth=1
	s_mov_b32 s24, exec_lo
	s_bcnt1_i32_b32 s22, vcc_lo
	v_mbcnt_lo_u32_b32 v4, s24, 0
	s_mov_b32 s23, exec_lo
                                        ; implicit-def: $vgpr7
	s_delay_alu instid0(VALU_DEP_1)
	v_cmpx_eq_u32_e32 0, v4
	s_cbranch_execz .LBB62_441
; %bb.440:                              ;   in Loop: Header=BB62_435 Depth=1
	s_bcnt1_i32_b32 s0, s24
	s_delay_alu instid0(SALU_CYCLE_1) | instskip(NEXT) | instid1(SALU_CYCLE_1)
	s_mul_i32 s0, s22, s0
	v_mov_b32_e32 v7, s0
	ds_add_rtn_u32 v7, v3, v7 offset:4108
.LBB62_441:                             ;   in Loop: Header=BB62_435 Depth=1
	s_or_b32 exec_lo, exec_lo, s23
	s_waitcnt lgkmcnt(0)
	v_readfirstlane_b32 s0, v7
	s_delay_alu instid0(VALU_DEP_1)
	v_mad_u32_u24 v4, s22, v4, s0
.LBB62_442:                             ;   in Loop: Header=BB62_435 Depth=1
	s_or_b32 exec_lo, exec_lo, s20
	ds_bpermute_b32 v4, v3, v4
	s_cmp_eq_u32 vcc_lo, 0
	s_mov_b32 s20, -1
	s_cselect_b32 s22, -1, 0
	s_mov_b32 s23, -1
	s_waitcnt lgkmcnt(0)
	v_cmp_gt_u32_e64 s0, s37, v4
	s_delay_alu instid0(VALU_DEP_1) | instskip(SKIP_3) | instid1(SALU_CYCLE_1)
	s_or_b32 s0, s22, s0
	s_mov_b32 s22, -1
	v_cndmask_b32_e64 v1, v1, v6, s0
	s_and_b32 s24, s21, s0
	s_and_saveexec_b32 s21, s24
	s_cbranch_execz .LBB62_448
; %bb.443:                              ;   in Loop: Header=BB62_435 Depth=1
	v_and_b32_e32 v1, vcc_lo, v14
	v_sub_nc_u32_e32 v7, s37, v4
	s_mov_b32 s24, -1
	s_mov_b32 s23, exec_lo
	s_delay_alu instid0(VALU_DEP_2) | instskip(NEXT) | instid1(VALU_DEP_1)
	v_bcnt_u32_b32 v1, v1, 0
	v_cmp_le_u32_e64 s22, v7, v1
	v_cmpx_gt_u32_e64 v7, v1
	s_cbranch_execz .LBB62_447
; %bb.444:                              ;   in Loop: Header=BB62_435 Depth=1
	v_add_nc_u32_e32 v1, v4, v1
	s_delay_alu instid0(VALU_DEP_3) | instskip(SKIP_1) | instid1(VALU_DEP_1)
	s_mov_b32 s25, s22
	s_mov_b32 s24, exec_lo
	v_cmpx_gt_u32_e64 s37, v1
	s_cbranch_execz .LBB62_446
; %bb.445:                              ;   in Loop: Header=BB62_435 Depth=1
	v_mul_lo_u32 v7, v1, s12
	v_mov_b32_e32 v8, v3
	v_mul_lo_u32 v9, v1, s1
	v_mov_b32_e32 v10, v3
	v_mov_b32_e32 v1, v3
	s_or_b32 s25, s22, exec_lo
	v_lshlrev_b64 v[7:8], 1, v[7:8]
	s_delay_alu instid0(VALU_DEP_3) | instskip(NEXT) | instid1(VALU_DEP_2)
	v_lshlrev_b64 v[9:10], 3, v[9:10]
	v_add_co_u32 v7, vcc_lo, s6, v7
	s_delay_alu instid0(VALU_DEP_3) | instskip(NEXT) | instid1(VALU_DEP_3)
	v_add_co_ci_u32_e32 v8, vcc_lo, s13, v8, vcc_lo
	v_add_co_u32 v9, vcc_lo, s14, v9
	s_delay_alu instid0(VALU_DEP_4)
	v_add_co_ci_u32_e32 v10, vcc_lo, s15, v10, vcc_lo
	global_store_b16 v[7:8], v30, off
	global_store_b64 v[9:10], v[0:1], off
.LBB62_446:                             ;   in Loop: Header=BB62_435 Depth=1
	s_or_b32 exec_lo, exec_lo, s24
	s_delay_alu instid0(SALU_CYCLE_1)
	s_and_not1_b32 s22, s22, exec_lo
	s_and_b32 s25, s25, exec_lo
	s_xor_b32 s24, exec_lo, -1
	s_or_b32 s22, s22, s25
.LBB62_447:                             ;   in Loop: Header=BB62_435 Depth=1
	s_or_b32 exec_lo, exec_lo, s23
	v_mov_b32_e32 v1, v6
	s_or_not1_b32 s23, s24, exec_lo
	s_or_b32 s0, s0, exec_lo
	s_or_not1_b32 s22, s22, exec_lo
.LBB62_448:                             ;   in Loop: Header=BB62_435 Depth=1
	s_or_b32 exec_lo, exec_lo, s21
	s_and_saveexec_b32 s21, s22
	s_cbranch_execz .LBB62_433
; %bb.449:                              ;   in Loop: Header=BB62_435 Depth=1
	v_add_nc_u32_e32 v2, s53, v2
	s_xor_b32 s0, s0, -1
	s_or_b32 s23, s23, exec_lo
	s_or_not1_b32 s20, s0, exec_lo
	s_branch .LBB62_433
.LBB62_450:
	s_or_b32 exec_lo, exec_lo, s7
	s_mov_b32 s0, 0
	s_and_saveexec_b32 s1, s4
	s_delay_alu instid0(SALU_CYCLE_1)
	s_xor_b32 s1, exec_lo, s1
	s_cbranch_execnz .LBB62_482
.LBB62_451:
	s_or_b32 exec_lo, exec_lo, s1
	s_delay_alu instid0(SALU_CYCLE_1)
	s_and_b32 s7, s0, exec_lo
	s_and_not1_b32 s16, s16, exec_lo
.LBB62_452:
	s_or_b32 exec_lo, exec_lo, s3
	s_and_saveexec_b32 s0, s16
	s_delay_alu instid0(SALU_CYCLE_1)
	s_xor_b32 s0, exec_lo, s0
	s_cbranch_execnz .LBB62_478
.LBB62_453:
	s_or_b32 exec_lo, exec_lo, s0
	s_waitcnt lgkmcnt(0)
	s_and_b32 s12, s7, exec_lo
.LBB62_454:
	s_and_not1_saveexec_b32 s0, s11
	s_cbranch_execnz .LBB62_474
.LBB62_455:
	s_or_b32 exec_lo, exec_lo, s0
	s_delay_alu instid0(SALU_CYCLE_1)
	s_and_b32 s11, s12, exec_lo
.LBB62_456:
	s_and_not1_saveexec_b32 s0, s10
	s_cbranch_execnz .LBB62_470
.LBB62_457:
	s_or_b32 exec_lo, exec_lo, s0
	s_delay_alu instid0(SALU_CYCLE_1)
	s_and_b32 s10, s11, exec_lo
.LBB62_458:
	s_and_not1_saveexec_b32 s0, s9
	s_cbranch_execnz .LBB62_466
.LBB62_459:
	s_or_b32 exec_lo, exec_lo, s0
	s_delay_alu instid0(SALU_CYCLE_1)
	s_and_b32 s9, s10, exec_lo
.LBB62_460:
	s_and_not1_saveexec_b32 s0, s8
	s_cbranch_execnz .LBB62_464
; %bb.461:
	s_or_b32 exec_lo, exec_lo, s0
	s_and_saveexec_b32 s0, s9
.LBB62_462:
	; divergent unreachable
.LBB62_463:
	s_nop 0
	s_sendmsg sendmsg(MSG_DEALLOC_VGPRS)
	s_endpgm
.LBB62_464:
	s_cbranch_execnz .LBB62_468
; %bb.465:
	s_or_b32 s9, s9, exec_lo
	s_or_b32 exec_lo, exec_lo, s0
	s_and_saveexec_b32 s0, s9
	s_cbranch_execnz .LBB62_462
	s_branch .LBB62_463
.LBB62_466:
	s_cbranch_execnz .LBB62_472
; %bb.467:
	s_or_b32 s10, s10, exec_lo
	s_branch .LBB62_459
.LBB62_468:
	s_trap 2
	s_sendmsg_rtn_b32 s0, sendmsg(MSG_RTN_GET_DOORBELL)
	s_mov_b32 ttmp2, m0
	s_waitcnt lgkmcnt(0)
	s_and_b32 s0, s0, 0x3ff
	s_delay_alu instid0(SALU_CYCLE_1) | instskip(NEXT) | instid1(SALU_CYCLE_1)
	s_bitset1_b32 s0, 10
	s_mov_b32 m0, s0
	s_sendmsg sendmsg(MSG_INTERRUPT)
	s_mov_b32 m0, ttmp2
.LBB62_469:                             ; =>This Inner Loop Header: Depth=1
	s_sethalt 5
	s_branch .LBB62_469
.LBB62_470:
	s_cbranch_execnz .LBB62_476
; %bb.471:
	s_or_b32 s11, s11, exec_lo
	s_branch .LBB62_457
.LBB62_472:
	s_trap 2
	s_sendmsg_rtn_b32 s0, sendmsg(MSG_RTN_GET_DOORBELL)
	s_mov_b32 ttmp2, m0
	s_waitcnt lgkmcnt(0)
	s_and_b32 s0, s0, 0x3ff
	s_delay_alu instid0(SALU_CYCLE_1) | instskip(NEXT) | instid1(SALU_CYCLE_1)
	s_bitset1_b32 s0, 10
	s_mov_b32 m0, s0
	s_sendmsg sendmsg(MSG_INTERRUPT)
	s_mov_b32 m0, ttmp2
.LBB62_473:                             ; =>This Inner Loop Header: Depth=1
	s_sethalt 5
	s_branch .LBB62_473
.LBB62_474:
	s_cbranch_execnz .LBB62_480
; %bb.475:
	s_or_b32 s12, s12, exec_lo
	s_branch .LBB62_455
.LBB62_476:
	s_trap 2
	s_sendmsg_rtn_b32 s0, sendmsg(MSG_RTN_GET_DOORBELL)
	s_mov_b32 ttmp2, m0
	s_waitcnt lgkmcnt(0)
	s_and_b32 s0, s0, 0x3ff
	s_delay_alu instid0(SALU_CYCLE_1) | instskip(NEXT) | instid1(SALU_CYCLE_1)
	s_bitset1_b32 s0, 10
	s_mov_b32 m0, s0
	s_sendmsg sendmsg(MSG_INTERRUPT)
	s_mov_b32 m0, ttmp2
.LBB62_477:                             ; =>This Inner Loop Header: Depth=1
	s_sethalt 5
	s_branch .LBB62_477
.LBB62_478:
	s_cbranch_execnz .LBB62_484
; %bb.479:
	s_or_b32 s7, s7, exec_lo
	s_branch .LBB62_453
.LBB62_480:
	s_trap 2
	s_sendmsg_rtn_b32 s0, sendmsg(MSG_RTN_GET_DOORBELL)
	s_mov_b32 ttmp2, m0
	s_waitcnt lgkmcnt(0)
	s_and_b32 s0, s0, 0x3ff
	s_delay_alu instid0(SALU_CYCLE_1) | instskip(NEXT) | instid1(SALU_CYCLE_1)
	s_bitset1_b32 s0, 10
	s_mov_b32 m0, s0
	s_sendmsg sendmsg(MSG_INTERRUPT)
	s_mov_b32 m0, ttmp2
.LBB62_481:                             ; =>This Inner Loop Header: Depth=1
	s_sethalt 5
	s_branch .LBB62_481
.LBB62_482:
	s_cbranch_execnz .LBB62_486
; %bb.483:
	s_mov_b32 s0, exec_lo
	s_branch .LBB62_451
.LBB62_484:
	s_trap 2
	s_sendmsg_rtn_b32 s0, sendmsg(MSG_RTN_GET_DOORBELL)
	s_mov_b32 ttmp2, m0
	s_waitcnt lgkmcnt(0)
	s_and_b32 s0, s0, 0x3ff
	s_delay_alu instid0(SALU_CYCLE_1) | instskip(NEXT) | instid1(SALU_CYCLE_1)
	s_bitset1_b32 s0, 10
	s_mov_b32 m0, s0
	s_sendmsg sendmsg(MSG_INTERRUPT)
	s_mov_b32 m0, ttmp2
.LBB62_485:                             ; =>This Inner Loop Header: Depth=1
	s_sethalt 5
	s_branch .LBB62_485
.LBB62_486:
	s_trap 2
	s_sendmsg_rtn_b32 s0, sendmsg(MSG_RTN_GET_DOORBELL)
	s_mov_b32 ttmp2, m0
	s_waitcnt lgkmcnt(0)
	s_and_b32 s0, s0, 0x3ff
	s_delay_alu instid0(SALU_CYCLE_1) | instskip(NEXT) | instid1(SALU_CYCLE_1)
	s_bitset1_b32 s0, 10
	s_mov_b32 m0, s0
	s_sendmsg sendmsg(MSG_INTERRUPT)
	s_mov_b32 m0, ttmp2
.LBB62_487:                             ; =>This Inner Loop Header: Depth=1
	s_sethalt 5
	s_branch .LBB62_487
	.section	.rodata,"a",@progbits
	.p2align	6, 0x0
	.amdhsa_kernel _ZN2at6native6sbtopk10gatherTopKIsjLi3ELb0EEEvNS_4cuda6detail10TensorInfoIKT_T0_EES8_S8_bS8_S8_NS5_IS6_S8_EES8_NS5_IlS8_EES8_PS6_
		.amdhsa_group_segment_fixed_size 4112
		.amdhsa_private_segment_fixed_size 0
		.amdhsa_kernarg_size 952
		.amdhsa_user_sgpr_count 13
		.amdhsa_user_sgpr_dispatch_ptr 0
		.amdhsa_user_sgpr_queue_ptr 0
		.amdhsa_user_sgpr_kernarg_segment_ptr 1
		.amdhsa_user_sgpr_dispatch_id 0
		.amdhsa_user_sgpr_private_segment_size 0
		.amdhsa_wavefront_size32 1
		.amdhsa_uses_dynamic_stack 0
		.amdhsa_enable_private_segment 0
		.amdhsa_system_sgpr_workgroup_id_x 1
		.amdhsa_system_sgpr_workgroup_id_y 1
		.amdhsa_system_sgpr_workgroup_id_z 1
		.amdhsa_system_sgpr_workgroup_info 0
		.amdhsa_system_vgpr_workitem_id 0
		.amdhsa_next_free_vgpr 43
		.amdhsa_next_free_sgpr 102
		.amdhsa_reserve_vcc 1
		.amdhsa_float_round_mode_32 0
		.amdhsa_float_round_mode_16_64 0
		.amdhsa_float_denorm_mode_32 3
		.amdhsa_float_denorm_mode_16_64 3
		.amdhsa_dx10_clamp 1
		.amdhsa_ieee_mode 1
		.amdhsa_fp16_overflow 0
		.amdhsa_workgroup_processor_mode 1
		.amdhsa_memory_ordered 1
		.amdhsa_forward_progress 0
		.amdhsa_shared_vgpr_count 0
		.amdhsa_exception_fp_ieee_invalid_op 0
		.amdhsa_exception_fp_denorm_src 0
		.amdhsa_exception_fp_ieee_div_zero 0
		.amdhsa_exception_fp_ieee_overflow 0
		.amdhsa_exception_fp_ieee_underflow 0
		.amdhsa_exception_fp_ieee_inexact 0
		.amdhsa_exception_int_div_zero 0
	.end_amdhsa_kernel
	.section	.text._ZN2at6native6sbtopk10gatherTopKIsjLi3ELb0EEEvNS_4cuda6detail10TensorInfoIKT_T0_EES8_S8_bS8_S8_NS5_IS6_S8_EES8_NS5_IlS8_EES8_PS6_,"axG",@progbits,_ZN2at6native6sbtopk10gatherTopKIsjLi3ELb0EEEvNS_4cuda6detail10TensorInfoIKT_T0_EES8_S8_bS8_S8_NS5_IS6_S8_EES8_NS5_IlS8_EES8_PS6_,comdat
.Lfunc_end62:
	.size	_ZN2at6native6sbtopk10gatherTopKIsjLi3ELb0EEEvNS_4cuda6detail10TensorInfoIKT_T0_EES8_S8_bS8_S8_NS5_IS6_S8_EES8_NS5_IlS8_EES8_PS6_, .Lfunc_end62-_ZN2at6native6sbtopk10gatherTopKIsjLi3ELb0EEEvNS_4cuda6detail10TensorInfoIKT_T0_EES8_S8_bS8_S8_NS5_IS6_S8_EES8_NS5_IlS8_EES8_PS6_
                                        ; -- End function
	.section	.AMDGPU.csdata,"",@progbits
; Kernel info:
; codeLenInByte = 16252
; NumSgprs: 104
; NumVgprs: 43
; ScratchSize: 0
; MemoryBound: 0
; FloatMode: 240
; IeeeMode: 1
; LDSByteSize: 4112 bytes/workgroup (compile time only)
; SGPRBlocks: 12
; VGPRBlocks: 5
; NumSGPRsForWavesPerEU: 104
; NumVGPRsForWavesPerEU: 43
; Occupancy: 16
; WaveLimiterHint : 1
; COMPUTE_PGM_RSRC2:SCRATCH_EN: 0
; COMPUTE_PGM_RSRC2:USER_SGPR: 13
; COMPUTE_PGM_RSRC2:TRAP_HANDLER: 0
; COMPUTE_PGM_RSRC2:TGID_X_EN: 1
; COMPUTE_PGM_RSRC2:TGID_Y_EN: 1
; COMPUTE_PGM_RSRC2:TGID_Z_EN: 1
; COMPUTE_PGM_RSRC2:TIDIG_COMP_CNT: 0
	.section	.text._ZN2at6native6mbtopk23computeBlockDigitCountsIsjjLin1EEEvNS_4cuda6detail10TensorInfoIKT_T0_EEjPjjS8_iijT1_PSB_Ps,"axG",@progbits,_ZN2at6native6mbtopk23computeBlockDigitCountsIsjjLin1EEEvNS_4cuda6detail10TensorInfoIKT_T0_EEjPjjS8_iijT1_PSB_Ps,comdat
	.protected	_ZN2at6native6mbtopk23computeBlockDigitCountsIsjjLin1EEEvNS_4cuda6detail10TensorInfoIKT_T0_EEjPjjS8_iijT1_PSB_Ps ; -- Begin function _ZN2at6native6mbtopk23computeBlockDigitCountsIsjjLin1EEEvNS_4cuda6detail10TensorInfoIKT_T0_EEjPjjS8_iijT1_PSB_Ps
	.globl	_ZN2at6native6mbtopk23computeBlockDigitCountsIsjjLin1EEEvNS_4cuda6detail10TensorInfoIKT_T0_EEjPjjS8_iijT1_PSB_Ps
	.p2align	8
	.type	_ZN2at6native6mbtopk23computeBlockDigitCountsIsjjLin1EEEvNS_4cuda6detail10TensorInfoIKT_T0_EEjPjjS8_iijT1_PSB_Ps,@function
_ZN2at6native6mbtopk23computeBlockDigitCountsIsjjLin1EEEvNS_4cuda6detail10TensorInfoIKT_T0_EEjPjjS8_iijT1_PSB_Ps: ; @_ZN2at6native6mbtopk23computeBlockDigitCountsIsjjLin1EEEvNS_4cuda6detail10TensorInfoIKT_T0_EEjPjjS8_iijT1_PSB_Ps
; %bb.0:
	s_clause 0x2
	s_load_b64 s[2:3], s[0:1], 0xf8
	s_load_b128 s[8:11], s[0:1], 0xe8
	s_load_b64 s[4:5], s[0:1], 0x110
	s_waitcnt lgkmcnt(0)
	v_cvt_f32_u32_e32 v1, s2
	s_sub_i32 s7, 0, s2
	s_mul_i32 s5, s5, s15
	s_delay_alu instid0(SALU_CYCLE_1) | instskip(NEXT) | instid1(VALU_DEP_1)
	s_add_i32 s5, s5, s14
	v_rcp_iflag_f32_e32 v1, v1
	s_mul_i32 s16, s5, s4
	s_delay_alu instid0(SALU_CYCLE_1) | instskip(SKIP_3) | instid1(VALU_DEP_1)
	s_add_i32 s16, s16, s13
	s_mov_b32 s13, 0
	s_waitcnt_depctr 0xfff
	v_mul_f32_e32 v1, 0x4f7ffffe, v1
	v_cvt_u32_f32_e32 v1, v1
	s_delay_alu instid0(VALU_DEP_1) | instskip(NEXT) | instid1(VALU_DEP_1)
	v_readfirstlane_b32 s6, v1
	s_mul_i32 s7, s7, s6
	s_delay_alu instid0(SALU_CYCLE_1) | instskip(NEXT) | instid1(SALU_CYCLE_1)
	s_mul_hi_u32 s4, s6, s7
	s_add_i32 s6, s6, s4
	s_delay_alu instid0(SALU_CYCLE_1) | instskip(NEXT) | instid1(SALU_CYCLE_1)
	s_mul_hi_u32 s4, s16, s6
	s_mul_i32 s5, s4, s2
	s_add_i32 s6, s4, 1
	s_sub_i32 s5, s16, s5
	s_delay_alu instid0(SALU_CYCLE_1)
	s_sub_i32 s7, s5, s2
	s_cmp_ge_u32 s5, s2
	s_cselect_b32 s4, s6, s4
	s_cselect_b32 s5, s7, s5
	s_add_i32 s6, s4, 1
	s_cmp_ge_u32 s5, s2
	s_cselect_b32 s12, s6, s4
	s_delay_alu instid0(SALU_CYCLE_1)
	s_cmp_ge_u32 s12, s8
	s_cbranch_scc1 .LBB63_32
; %bb.1:
	s_clause 0x1
	s_load_b128 s[4:7], s[0:1], 0x100
	s_load_b32 s8, s[0:1], 0xd0
	s_lshl_b64 s[14:15], s[12:13], 2
	s_mov_b32 s17, s12
	s_waitcnt lgkmcnt(0)
	s_add_u32 s4, s4, s14
	s_addc_u32 s5, s5, s15
	s_cmp_lt_i32 s8, 2
	s_cbranch_scc1 .LBB63_4
; %bb.2:
	s_add_i32 s18, s8, -1
	s_mov_b32 s19, 0
	s_add_i32 s8, s8, 1
	s_lshl_b64 s[14:15], s[18:19], 2
	s_mov_b32 s17, s12
	s_add_u32 s13, s14, s0
	s_addc_u32 s15, s15, s1
	s_add_u32 s14, s13, 8
	s_addc_u32 s15, s15, 0
	s_mov_b32 s13, s19
	s_set_inst_prefetch_distance 0x1
	.p2align	6
.LBB63_3:                               ; =>This Inner Loop Header: Depth=1
	s_clause 0x1
	s_load_b32 s18, s[14:15], 0x0
	s_load_b32 s19, s[14:15], 0x64
	s_mov_b32 s22, s17
	s_waitcnt lgkmcnt(0)
	v_cvt_f32_u32_e32 v1, s18
	s_sub_i32 s21, 0, s18
	s_waitcnt_depctr 0xfff
	v_rcp_iflag_f32_e32 v1, v1
	s_waitcnt_depctr 0xfff
	v_mul_f32_e32 v1, 0x4f7ffffe, v1
	s_delay_alu instid0(VALU_DEP_1) | instskip(NEXT) | instid1(VALU_DEP_1)
	v_cvt_u32_f32_e32 v1, v1
	v_readfirstlane_b32 s20, v1
	s_delay_alu instid0(VALU_DEP_1) | instskip(NEXT) | instid1(SALU_CYCLE_1)
	s_mul_i32 s21, s21, s20
	s_mul_hi_u32 s21, s20, s21
	s_delay_alu instid0(SALU_CYCLE_1) | instskip(NEXT) | instid1(SALU_CYCLE_1)
	s_add_i32 s20, s20, s21
	s_mul_hi_u32 s17, s17, s20
	s_delay_alu instid0(SALU_CYCLE_1) | instskip(SKIP_2) | instid1(SALU_CYCLE_1)
	s_mul_i32 s20, s17, s18
	s_add_i32 s21, s17, 1
	s_sub_i32 s20, s22, s20
	s_sub_i32 s23, s20, s18
	s_cmp_ge_u32 s20, s18
	s_cselect_b32 s17, s21, s17
	s_cselect_b32 s20, s23, s20
	s_add_i32 s21, s17, 1
	s_cmp_ge_u32 s20, s18
	s_cselect_b32 s17, s21, s17
	s_add_i32 s8, s8, -1
	s_mul_i32 s18, s17, s18
	s_delay_alu instid0(SALU_CYCLE_1) | instskip(NEXT) | instid1(SALU_CYCLE_1)
	s_sub_i32 s18, s22, s18
	s_mul_i32 s18, s19, s18
	s_delay_alu instid0(SALU_CYCLE_1)
	s_add_i32 s13, s18, s13
	s_add_u32 s14, s14, -4
	s_addc_u32 s15, s15, -1
	s_cmp_gt_u32 s8, 2
	s_cbranch_scc1 .LBB63_3
.LBB63_4:
	s_set_inst_prefetch_distance 0x2
	s_load_b32 s8, s[4:5], 0x0
	v_cmp_gt_u32_e32 vcc_lo, 0x100, v0
	v_lshlrev_b32_e32 v3, 2, v0
	s_and_saveexec_b32 s4, vcc_lo
	s_cbranch_execz .LBB63_6
; %bb.5:
	v_mov_b32_e32 v1, 0
	ds_store_b32 v3, v1
.LBB63_6:
	s_or_b32 exec_lo, exec_lo, s4
	s_load_b32 s14, s[0:1], 0xd8
	s_mul_i32 s4, s12, s2
	s_waitcnt lgkmcnt(0)
	s_sub_i32 s4, s16, s4
	s_barrier
	s_mul_i32 s5, s11, s4
	s_add_i32 s4, s4, 1
	s_lshl_b32 s12, s5, 8
	buffer_gl0_inv
	s_sub_i32 s5, s14, s12
	s_delay_alu instid0(SALU_CYCLE_1) | instskip(SKIP_3) | instid1(VALU_DEP_1)
	s_add_u32 s5, s5, 0xff
	s_addc_u32 s15, 0, 0
	s_cmp_lt_u32 s4, s2
	v_alignbit_b32 v1, s15, s5, 8
	v_readfirstlane_b32 s5, v1
	s_delay_alu instid0(VALU_DEP_1)
	s_cselect_b32 s11, s11, s5
	s_mov_b32 s5, 0
	s_cmp_lt_i32 s11, 1
	s_cbranch_scc1 .LBB63_28
; %bb.7:
	s_clause 0x1
	s_load_b32 s2, s[0:1], 0x6c
	s_load_b64 s[18:19], s[0:1], 0x0
	s_waitcnt lgkmcnt(0)
	s_mul_i32 s0, s2, s17
	s_delay_alu instid0(SALU_CYCLE_1) | instskip(NEXT) | instid1(SALU_CYCLE_1)
	s_add_i32 s4, s0, s13
	s_lshl_b64 s[20:21], s[4:5], 1
	s_delay_alu instid0(SALU_CYCLE_1)
	s_add_u32 s1, s18, s20
	s_addc_u32 s2, s19, s21
	s_and_b32 s4, s10, 0xff
	s_cmp_lt_u32 s11, 4
	s_cbranch_scc1 .LBB63_22
; %bb.8:
	v_add_nc_u32_e32 v1, s12, v0
	s_and_b32 s5, s11, 0x7ffffffc
	s_lshl_b32 s10, s9, 10
	s_mov_b32 s13, 0
	s_mov_b32 s15, 0
	v_dual_mov_b32 v9, 1 :: v_dual_add_nc_u32 v2, 0x200, v1
	s_delay_alu instid0(VALU_DEP_1) | instskip(SKIP_4) | instid1(VALU_DEP_3)
	v_mul_lo_u32 v6, s9, v2
	v_mov_b32_e32 v2, 0
	v_add_nc_u32_e32 v4, 0x300, v1
	v_add_nc_u32_e32 v7, 0x100, v1
	v_mul_lo_u32 v8, s9, v1
	v_mul_lo_u32 v5, s9, v4
	s_delay_alu instid0(VALU_DEP_3)
	v_mul_lo_u32 v7, s9, v7
	s_branch .LBB63_10
.LBB63_9:                               ;   in Loop: Header=BB63_10 Depth=1
	s_or_b32 exec_lo, exec_lo, s17
	v_add_nc_u32_e32 v4, 0x400, v4
	s_add_i32 s15, s15, 4
	s_add_i32 s13, s13, s10
	s_cmp_eq_u32 s5, s15
	s_cbranch_scc1 .LBB63_22
.LBB63_10:                              ; =>This Inner Loop Header: Depth=1
	v_add_nc_u32_e32 v1, 0xfffffd00, v4
	s_mov_b32 s17, exec_lo
	s_delay_alu instid0(VALU_DEP_1)
	v_cmpx_gt_u32_e64 s14, v1
	s_cbranch_execz .LBB63_13
; %bb.11:                               ;   in Loop: Header=BB63_10 Depth=1
	v_add_nc_u32_e32 v1, s13, v8
	s_delay_alu instid0(VALU_DEP_1) | instskip(NEXT) | instid1(VALU_DEP_1)
	v_lshlrev_b64 v[10:11], 1, v[1:2]
	v_add_co_u32 v10, s0, s1, v10
	s_delay_alu instid0(VALU_DEP_1) | instskip(SKIP_3) | instid1(VALU_DEP_1)
	v_add_co_ci_u32_e64 v11, s0, s2, v11, s0
	global_load_i16 v1, v[10:11], off
	s_waitcnt vmcnt(0)
	v_add_nc_u32_e32 v1, 0x8000, v1
	v_xor_b32_e32 v10, s8, v1
	s_delay_alu instid0(VALU_DEP_1) | instskip(NEXT) | instid1(VALU_DEP_1)
	v_and_b32_e32 v10, s3, v10
	v_cmp_eq_u32_e64 s0, 0, v10
	s_delay_alu instid0(VALU_DEP_1)
	s_and_b32 exec_lo, exec_lo, s0
	s_cbranch_execz .LBB63_13
; %bb.12:                               ;   in Loop: Header=BB63_10 Depth=1
	v_bfe_u32 v1, v1, s4, 8
	s_delay_alu instid0(VALU_DEP_1)
	v_lshlrev_b32_e32 v1, 2, v1
	ds_add_u32 v1, v9
.LBB63_13:                              ;   in Loop: Header=BB63_10 Depth=1
	s_or_b32 exec_lo, exec_lo, s17
	v_add_nc_u32_e32 v1, 0xfffffe00, v4
	s_mov_b32 s17, exec_lo
	s_delay_alu instid0(VALU_DEP_1)
	v_cmpx_gt_u32_e64 s14, v1
	s_cbranch_execz .LBB63_16
; %bb.14:                               ;   in Loop: Header=BB63_10 Depth=1
	v_add_nc_u32_e32 v1, s13, v7
	s_delay_alu instid0(VALU_DEP_1) | instskip(NEXT) | instid1(VALU_DEP_1)
	v_lshlrev_b64 v[10:11], 1, v[1:2]
	v_add_co_u32 v10, s0, s1, v10
	s_delay_alu instid0(VALU_DEP_1) | instskip(SKIP_3) | instid1(VALU_DEP_1)
	v_add_co_ci_u32_e64 v11, s0, s2, v11, s0
	global_load_i16 v1, v[10:11], off
	s_waitcnt vmcnt(0)
	v_add_nc_u32_e32 v1, 0x8000, v1
	v_xor_b32_e32 v10, s8, v1
	s_delay_alu instid0(VALU_DEP_1) | instskip(NEXT) | instid1(VALU_DEP_1)
	v_and_b32_e32 v10, s3, v10
	v_cmp_eq_u32_e64 s0, 0, v10
	s_delay_alu instid0(VALU_DEP_1)
	s_and_b32 exec_lo, exec_lo, s0
	s_cbranch_execz .LBB63_16
; %bb.15:                               ;   in Loop: Header=BB63_10 Depth=1
	v_bfe_u32 v1, v1, s4, 8
	s_delay_alu instid0(VALU_DEP_1)
	v_lshlrev_b32_e32 v1, 2, v1
	ds_add_u32 v1, v9
.LBB63_16:                              ;   in Loop: Header=BB63_10 Depth=1
	s_or_b32 exec_lo, exec_lo, s17
	v_add_nc_u32_e32 v1, 0xffffff00, v4
	s_mov_b32 s17, exec_lo
	s_delay_alu instid0(VALU_DEP_1)
	v_cmpx_gt_u32_e64 s14, v1
	s_cbranch_execz .LBB63_19
; %bb.17:                               ;   in Loop: Header=BB63_10 Depth=1
	v_add_nc_u32_e32 v1, s13, v6
	s_delay_alu instid0(VALU_DEP_1) | instskip(NEXT) | instid1(VALU_DEP_1)
	v_lshlrev_b64 v[10:11], 1, v[1:2]
	v_add_co_u32 v10, s0, s1, v10
	s_delay_alu instid0(VALU_DEP_1) | instskip(SKIP_3) | instid1(VALU_DEP_1)
	v_add_co_ci_u32_e64 v11, s0, s2, v11, s0
	global_load_i16 v1, v[10:11], off
	s_waitcnt vmcnt(0)
	v_add_nc_u32_e32 v1, 0x8000, v1
	v_xor_b32_e32 v10, s8, v1
	s_delay_alu instid0(VALU_DEP_1) | instskip(NEXT) | instid1(VALU_DEP_1)
	v_and_b32_e32 v10, s3, v10
	v_cmp_eq_u32_e64 s0, 0, v10
	s_delay_alu instid0(VALU_DEP_1)
	s_and_b32 exec_lo, exec_lo, s0
	s_cbranch_execz .LBB63_19
; %bb.18:                               ;   in Loop: Header=BB63_10 Depth=1
	v_bfe_u32 v1, v1, s4, 8
	s_delay_alu instid0(VALU_DEP_1)
	v_lshlrev_b32_e32 v1, 2, v1
	ds_add_u32 v1, v9
.LBB63_19:                              ;   in Loop: Header=BB63_10 Depth=1
	s_or_b32 exec_lo, exec_lo, s17
	s_delay_alu instid0(SALU_CYCLE_1)
	s_mov_b32 s17, exec_lo
	v_cmpx_gt_u32_e64 s14, v4
	s_cbranch_execz .LBB63_9
; %bb.20:                               ;   in Loop: Header=BB63_10 Depth=1
	v_add_nc_u32_e32 v1, s13, v5
	s_delay_alu instid0(VALU_DEP_1) | instskip(NEXT) | instid1(VALU_DEP_1)
	v_lshlrev_b64 v[10:11], 1, v[1:2]
	v_add_co_u32 v10, s0, s1, v10
	s_delay_alu instid0(VALU_DEP_1) | instskip(SKIP_3) | instid1(VALU_DEP_1)
	v_add_co_ci_u32_e64 v11, s0, s2, v11, s0
	global_load_i16 v1, v[10:11], off
	s_waitcnt vmcnt(0)
	v_add_nc_u32_e32 v1, 0x8000, v1
	v_xor_b32_e32 v10, s8, v1
	s_delay_alu instid0(VALU_DEP_1) | instskip(NEXT) | instid1(VALU_DEP_1)
	v_and_b32_e32 v10, s3, v10
	v_cmp_eq_u32_e64 s0, 0, v10
	s_delay_alu instid0(VALU_DEP_1)
	s_and_b32 exec_lo, exec_lo, s0
	s_cbranch_execz .LBB63_9
; %bb.21:                               ;   in Loop: Header=BB63_10 Depth=1
	v_bfe_u32 v1, v1, s4, 8
	s_delay_alu instid0(VALU_DEP_1)
	v_lshlrev_b32_e32 v1, 2, v1
	ds_add_u32 v1, v9
	s_branch .LBB63_9
.LBB63_22:
	s_and_b32 s10, s11, 3
	s_delay_alu instid0(SALU_CYCLE_1)
	s_cmp_eq_u32 s10, 0
	s_cbranch_scc1 .LBB63_28
; %bb.23:
	s_lshl_b32 s0, s5, 8
	v_dual_mov_b32 v2, 0 :: v_dual_mov_b32 v5, 1
	v_add3_u32 v4, s0, s12, v0
	s_lshl_b32 s5, s9, 8
	s_delay_alu instid0(VALU_DEP_1)
	v_mul_lo_u32 v1, s9, v4
	s_set_inst_prefetch_distance 0x1
	s_branch .LBB63_25
	.p2align	6
.LBB63_24:                              ;   in Loop: Header=BB63_25 Depth=1
	s_or_b32 exec_lo, exec_lo, s9
	s_delay_alu instid0(VALU_DEP_2) | instskip(SKIP_2) | instid1(SALU_CYCLE_1)
	v_add_nc_u32_e32 v1, s5, v1
	v_add_nc_u32_e32 v4, 0x100, v4
	s_add_i32 s10, s10, -1
	s_cmp_lg_u32 s10, 0
	s_cbranch_scc0 .LBB63_28
.LBB63_25:                              ; =>This Inner Loop Header: Depth=1
	s_mov_b32 s9, exec_lo
	v_cmpx_gt_u32_e64 s14, v4
	s_cbranch_execz .LBB63_24
; %bb.26:                               ;   in Loop: Header=BB63_25 Depth=1
	s_delay_alu instid0(VALU_DEP_2) | instskip(NEXT) | instid1(VALU_DEP_1)
	v_lshlrev_b64 v[6:7], 1, v[1:2]
	v_add_co_u32 v6, s0, s1, v6
	s_delay_alu instid0(VALU_DEP_1) | instskip(SKIP_3) | instid1(VALU_DEP_1)
	v_add_co_ci_u32_e64 v7, s0, s2, v7, s0
	global_load_i16 v6, v[6:7], off
	s_waitcnt vmcnt(0)
	v_add_nc_u32_e32 v6, 0x8000, v6
	v_xor_b32_e32 v7, s8, v6
	s_delay_alu instid0(VALU_DEP_1) | instskip(NEXT) | instid1(VALU_DEP_1)
	v_and_b32_e32 v7, s3, v7
	v_cmp_eq_u32_e64 s0, 0, v7
	s_delay_alu instid0(VALU_DEP_1)
	s_and_b32 exec_lo, exec_lo, s0
	s_cbranch_execz .LBB63_24
; %bb.27:                               ;   in Loop: Header=BB63_25 Depth=1
	v_bfe_u32 v6, v6, s4, 8
	s_delay_alu instid0(VALU_DEP_1)
	v_lshlrev_b32_e32 v6, 2, v6
	ds_add_u32 v6, v5
	s_branch .LBB63_24
.LBB63_28:
	s_set_inst_prefetch_distance 0x2
	v_mov_b32_e32 v1, 0
	s_waitcnt lgkmcnt(0)
	s_barrier
	buffer_gl0_inv
	s_and_saveexec_b32 s0, vcc_lo
	s_cbranch_execz .LBB63_30
; %bb.29:
	ds_load_b32 v1, v3
.LBB63_30:
	s_or_b32 exec_lo, exec_lo, s0
	s_and_saveexec_b32 s0, vcc_lo
	s_cbranch_execz .LBB63_32
; %bb.31:
	v_lshl_or_b32 v2, s16, 8, v0
	v_mov_b32_e32 v3, 0
	s_delay_alu instid0(VALU_DEP_1) | instskip(NEXT) | instid1(VALU_DEP_1)
	v_lshlrev_b64 v[2:3], 1, v[2:3]
	v_add_co_u32 v2, vcc_lo, s6, v2
	s_delay_alu instid0(VALU_DEP_2)
	v_add_co_ci_u32_e32 v3, vcc_lo, s7, v3, vcc_lo
	s_waitcnt lgkmcnt(0)
	global_store_b16 v[2:3], v1, off
.LBB63_32:
	s_nop 0
	s_sendmsg sendmsg(MSG_DEALLOC_VGPRS)
	s_endpgm
	.section	.rodata,"a",@progbits
	.p2align	6, 0x0
	.amdhsa_kernel _ZN2at6native6mbtopk23computeBlockDigitCountsIsjjLin1EEEvNS_4cuda6detail10TensorInfoIKT_T0_EEjPjjS8_iijT1_PSB_Ps
		.amdhsa_group_segment_fixed_size 1024
		.amdhsa_private_segment_fixed_size 0
		.amdhsa_kernarg_size 528
		.amdhsa_user_sgpr_count 13
		.amdhsa_user_sgpr_dispatch_ptr 0
		.amdhsa_user_sgpr_queue_ptr 0
		.amdhsa_user_sgpr_kernarg_segment_ptr 1
		.amdhsa_user_sgpr_dispatch_id 0
		.amdhsa_user_sgpr_private_segment_size 0
		.amdhsa_wavefront_size32 1
		.amdhsa_uses_dynamic_stack 0
		.amdhsa_enable_private_segment 0
		.amdhsa_system_sgpr_workgroup_id_x 1
		.amdhsa_system_sgpr_workgroup_id_y 1
		.amdhsa_system_sgpr_workgroup_id_z 1
		.amdhsa_system_sgpr_workgroup_info 0
		.amdhsa_system_vgpr_workitem_id 0
		.amdhsa_next_free_vgpr 12
		.amdhsa_next_free_sgpr 24
		.amdhsa_reserve_vcc 1
		.amdhsa_float_round_mode_32 0
		.amdhsa_float_round_mode_16_64 0
		.amdhsa_float_denorm_mode_32 3
		.amdhsa_float_denorm_mode_16_64 3
		.amdhsa_dx10_clamp 1
		.amdhsa_ieee_mode 1
		.amdhsa_fp16_overflow 0
		.amdhsa_workgroup_processor_mode 1
		.amdhsa_memory_ordered 1
		.amdhsa_forward_progress 0
		.amdhsa_shared_vgpr_count 0
		.amdhsa_exception_fp_ieee_invalid_op 0
		.amdhsa_exception_fp_denorm_src 0
		.amdhsa_exception_fp_ieee_div_zero 0
		.amdhsa_exception_fp_ieee_overflow 0
		.amdhsa_exception_fp_ieee_underflow 0
		.amdhsa_exception_fp_ieee_inexact 0
		.amdhsa_exception_int_div_zero 0
	.end_amdhsa_kernel
	.section	.text._ZN2at6native6mbtopk23computeBlockDigitCountsIsjjLin1EEEvNS_4cuda6detail10TensorInfoIKT_T0_EEjPjjS8_iijT1_PSB_Ps,"axG",@progbits,_ZN2at6native6mbtopk23computeBlockDigitCountsIsjjLin1EEEvNS_4cuda6detail10TensorInfoIKT_T0_EEjPjjS8_iijT1_PSB_Ps,comdat
.Lfunc_end63:
	.size	_ZN2at6native6mbtopk23computeBlockDigitCountsIsjjLin1EEEvNS_4cuda6detail10TensorInfoIKT_T0_EEjPjjS8_iijT1_PSB_Ps, .Lfunc_end63-_ZN2at6native6mbtopk23computeBlockDigitCountsIsjjLin1EEEvNS_4cuda6detail10TensorInfoIKT_T0_EEjPjjS8_iijT1_PSB_Ps
                                        ; -- End function
	.section	.AMDGPU.csdata,"",@progbits
; Kernel info:
; codeLenInByte = 1696
; NumSgprs: 26
; NumVgprs: 12
; ScratchSize: 0
; MemoryBound: 0
; FloatMode: 240
; IeeeMode: 1
; LDSByteSize: 1024 bytes/workgroup (compile time only)
; SGPRBlocks: 3
; VGPRBlocks: 1
; NumSGPRsForWavesPerEU: 26
; NumVGPRsForWavesPerEU: 12
; Occupancy: 16
; WaveLimiterHint : 1
; COMPUTE_PGM_RSRC2:SCRATCH_EN: 0
; COMPUTE_PGM_RSRC2:USER_SGPR: 13
; COMPUTE_PGM_RSRC2:TRAP_HANDLER: 0
; COMPUTE_PGM_RSRC2:TGID_X_EN: 1
; COMPUTE_PGM_RSRC2:TGID_Y_EN: 1
; COMPUTE_PGM_RSRC2:TGID_Z_EN: 1
; COMPUTE_PGM_RSRC2:TIDIG_COMP_CNT: 0
	.section	.text._ZN2at6native6mbtopk10gatherTopKIsjLin1EEEvNS_4cuda6detail10TensorInfoIKT_T0_EES8_S8_bjS8_NS5_IS6_S8_EES8_NS5_IlS8_EES8_jjPS6_PjSD_j,"axG",@progbits,_ZN2at6native6mbtopk10gatherTopKIsjLin1EEEvNS_4cuda6detail10TensorInfoIKT_T0_EES8_S8_bjS8_NS5_IS6_S8_EES8_NS5_IlS8_EES8_jjPS6_PjSD_j,comdat
	.protected	_ZN2at6native6mbtopk10gatherTopKIsjLin1EEEvNS_4cuda6detail10TensorInfoIKT_T0_EES8_S8_bjS8_NS5_IS6_S8_EES8_NS5_IlS8_EES8_jjPS6_PjSD_j ; -- Begin function _ZN2at6native6mbtopk10gatherTopKIsjLin1EEEvNS_4cuda6detail10TensorInfoIKT_T0_EES8_S8_bjS8_NS5_IS6_S8_EES8_NS5_IlS8_EES8_jjPS6_PjSD_j
	.globl	_ZN2at6native6mbtopk10gatherTopKIsjLin1EEEvNS_4cuda6detail10TensorInfoIKT_T0_EES8_S8_bjS8_NS5_IS6_S8_EES8_NS5_IlS8_EES8_jjPS6_PjSD_j
	.p2align	8
	.type	_ZN2at6native6mbtopk10gatherTopKIsjLin1EEEvNS_4cuda6detail10TensorInfoIKT_T0_EES8_S8_bjS8_NS5_IS6_S8_EES8_NS5_IlS8_EES8_jjPS6_PjSD_j,@function
_ZN2at6native6mbtopk10gatherTopKIsjLin1EEEvNS_4cuda6detail10TensorInfoIKT_T0_EES8_S8_bjS8_NS5_IS6_S8_EES8_NS5_IlS8_EES8_jjPS6_PjSD_j: ; @_ZN2at6native6mbtopk10gatherTopKIsjLin1EEEvNS_4cuda6detail10TensorInfoIKT_T0_EES8_S8_bjS8_NS5_IS6_S8_EES8_NS5_IlS8_EES8_jjPS6_PjSD_j
; %bb.0:
	s_clause 0x1
	s_load_b64 s[2:3], s[0:1], 0x2d8
	s_load_b32 s4, s[0:1], 0x2d0
	s_waitcnt lgkmcnt(0)
	s_mul_i32 s3, s3, s15
	s_delay_alu instid0(SALU_CYCLE_1) | instskip(NEXT) | instid1(SALU_CYCLE_1)
	s_add_i32 s3, s3, s14
	s_mul_i32 s2, s3, s2
	s_delay_alu instid0(SALU_CYCLE_1) | instskip(NEXT) | instid1(SALU_CYCLE_1)
	s_add_i32 s13, s2, s13
	s_cmp_ge_u32 s13, s4
	s_cbranch_scc1 .LBB64_49
; %bb.1:
	s_clause 0x1
	s_load_b128 s[4:7], s[0:1], 0x2a8
	s_load_b32 s2, s[0:1], 0xd0
	s_mov_b32 s17, 0
	s_waitcnt lgkmcnt(0)
	v_cvt_f32_u32_e32 v1, s6
	s_sub_i32 s7, 0, s6
	s_delay_alu instid0(VALU_DEP_1) | instskip(SKIP_2) | instid1(VALU_DEP_1)
	v_rcp_iflag_f32_e32 v1, v1
	s_waitcnt_depctr 0xfff
	v_mul_f32_e32 v1, 0x4f7ffffe, v1
	v_cvt_u32_f32_e32 v1, v1
	s_delay_alu instid0(VALU_DEP_1) | instskip(NEXT) | instid1(VALU_DEP_1)
	v_readfirstlane_b32 s3, v1
	s_mul_i32 s7, s7, s3
	s_delay_alu instid0(SALU_CYCLE_1) | instskip(NEXT) | instid1(SALU_CYCLE_1)
	s_mul_hi_u32 s7, s3, s7
	s_add_i32 s3, s3, s7
	s_delay_alu instid0(SALU_CYCLE_1) | instskip(NEXT) | instid1(SALU_CYCLE_1)
	s_mul_hi_u32 s3, s13, s3
	s_mul_i32 s7, s3, s6
	s_add_i32 s8, s3, 1
	s_sub_i32 s7, s13, s7
	s_delay_alu instid0(SALU_CYCLE_1)
	s_sub_i32 s9, s7, s6
	s_cmp_ge_u32 s7, s6
	s_cselect_b32 s3, s8, s3
	s_cselect_b32 s7, s9, s7
	s_add_i32 s8, s3, 1
	s_cmp_ge_u32 s7, s6
	s_cselect_b32 s18, s8, s3
	s_cmp_lt_i32 s2, 2
	s_mov_b32 s16, s18
	s_cbranch_scc1 .LBB64_4
; %bb.2:
	s_add_i32 s16, s2, -1
	s_add_i32 s7, s2, 1
	s_lshl_b64 s[8:9], s[16:17], 2
	s_mov_b32 s16, s18
	s_add_u32 s2, s8, s0
	s_addc_u32 s3, s9, s1
	s_add_u32 s2, s2, 8
	s_addc_u32 s3, s3, 0
	s_set_inst_prefetch_distance 0x1
	.p2align	6
.LBB64_3:                               ; =>This Inner Loop Header: Depth=1
	s_clause 0x1
	s_load_b32 s8, s[2:3], 0x0
	s_load_b32 s9, s[2:3], 0x64
	s_mov_b32 s12, s16
	s_waitcnt lgkmcnt(0)
	v_cvt_f32_u32_e32 v1, s8
	s_sub_i32 s11, 0, s8
	s_waitcnt_depctr 0xfff
	v_rcp_iflag_f32_e32 v1, v1
	s_waitcnt_depctr 0xfff
	v_mul_f32_e32 v1, 0x4f7ffffe, v1
	s_delay_alu instid0(VALU_DEP_1) | instskip(NEXT) | instid1(VALU_DEP_1)
	v_cvt_u32_f32_e32 v1, v1
	v_readfirstlane_b32 s10, v1
	s_delay_alu instid0(VALU_DEP_1) | instskip(NEXT) | instid1(SALU_CYCLE_1)
	s_mul_i32 s11, s11, s10
	s_mul_hi_u32 s11, s10, s11
	s_delay_alu instid0(SALU_CYCLE_1) | instskip(NEXT) | instid1(SALU_CYCLE_1)
	s_add_i32 s10, s10, s11
	s_mul_hi_u32 s10, s16, s10
	s_delay_alu instid0(SALU_CYCLE_1) | instskip(SKIP_2) | instid1(SALU_CYCLE_1)
	s_mul_i32 s11, s10, s8
	s_add_i32 s14, s10, 1
	s_sub_i32 s11, s16, s11
	s_sub_i32 s15, s11, s8
	s_cmp_ge_u32 s11, s8
	s_cselect_b32 s10, s14, s10
	s_cselect_b32 s11, s15, s11
	s_add_i32 s14, s10, 1
	s_cmp_ge_u32 s11, s8
	s_cselect_b32 s16, s14, s10
	s_add_i32 s7, s7, -1
	s_mul_i32 s8, s16, s8
	s_delay_alu instid0(SALU_CYCLE_1) | instskip(NEXT) | instid1(SALU_CYCLE_1)
	s_sub_i32 s8, s12, s8
	s_mul_i32 s8, s9, s8
	s_delay_alu instid0(SALU_CYCLE_1)
	s_add_i32 s17, s8, s17
	s_add_u32 s2, s2, -4
	s_addc_u32 s3, s3, -1
	s_cmp_gt_u32 s7, 2
	s_cbranch_scc1 .LBB64_3
.LBB64_4:
	s_set_inst_prefetch_distance 0x2
	s_load_b32 s7, s[0:1], 0x1c0
	s_add_u32 s2, s0, 0xf0
	s_addc_u32 s3, s1, 0
	s_mov_b32 s21, 0
	s_mov_b32 s20, s18
	s_waitcnt lgkmcnt(0)
	s_cmp_lt_i32 s7, 2
	s_cbranch_scc1 .LBB64_7
; %bb.5:
	s_add_i32 s20, s7, -1
	s_add_i32 s7, s7, 1
	s_lshl_b64 s[8:9], s[20:21], 2
	s_mov_b32 s20, s18
	s_add_u32 s8, s8, s2
	s_addc_u32 s9, s9, s3
	s_add_u32 s8, s8, 8
	s_addc_u32 s9, s9, 0
	s_set_inst_prefetch_distance 0x1
	.p2align	6
.LBB64_6:                               ; =>This Inner Loop Header: Depth=1
	s_clause 0x1
	s_load_b32 s10, s[8:9], 0x0
	s_load_b32 s11, s[8:9], 0x64
	s_mov_b32 s15, s20
	s_waitcnt lgkmcnt(0)
	v_cvt_f32_u32_e32 v1, s10
	s_sub_i32 s14, 0, s10
	s_waitcnt_depctr 0xfff
	v_rcp_iflag_f32_e32 v1, v1
	s_waitcnt_depctr 0xfff
	v_mul_f32_e32 v1, 0x4f7ffffe, v1
	s_delay_alu instid0(VALU_DEP_1) | instskip(NEXT) | instid1(VALU_DEP_1)
	v_cvt_u32_f32_e32 v1, v1
	v_readfirstlane_b32 s12, v1
	s_delay_alu instid0(VALU_DEP_1) | instskip(NEXT) | instid1(SALU_CYCLE_1)
	s_mul_i32 s14, s14, s12
	s_mul_hi_u32 s14, s12, s14
	s_delay_alu instid0(SALU_CYCLE_1) | instskip(NEXT) | instid1(SALU_CYCLE_1)
	s_add_i32 s12, s12, s14
	s_mul_hi_u32 s12, s20, s12
	s_delay_alu instid0(SALU_CYCLE_1) | instskip(SKIP_2) | instid1(SALU_CYCLE_1)
	s_mul_i32 s14, s12, s10
	s_add_i32 s19, s12, 1
	s_sub_i32 s14, s20, s14
	s_sub_i32 s20, s14, s10
	s_cmp_ge_u32 s14, s10
	s_cselect_b32 s12, s19, s12
	s_cselect_b32 s14, s20, s14
	s_add_i32 s19, s12, 1
	s_cmp_ge_u32 s14, s10
	s_cselect_b32 s20, s19, s12
	s_add_i32 s7, s7, -1
	s_mul_i32 s10, s20, s10
	s_delay_alu instid0(SALU_CYCLE_1) | instskip(NEXT) | instid1(SALU_CYCLE_1)
	s_sub_i32 s10, s15, s10
	s_mul_i32 s10, s11, s10
	s_delay_alu instid0(SALU_CYCLE_1)
	s_add_i32 s21, s10, s21
	s_add_u32 s8, s8, -4
	s_addc_u32 s9, s9, -1
	s_cmp_gt_u32 s7, 2
	s_cbranch_scc1 .LBB64_6
.LBB64_7:
	s_set_inst_prefetch_distance 0x2
	s_clause 0x1
	s_load_b32 s33, s[0:1], 0x6c
	s_load_b32 s7, s[0:1], 0x2a0
	s_add_u32 s8, s0, 0x1d0
	s_addc_u32 s9, s1, 0
	s_mov_b32 s23, 0
	s_mov_b32 s22, s18
	s_waitcnt lgkmcnt(0)
	s_cmp_lt_i32 s7, 2
	s_cbranch_scc1 .LBB64_10
; %bb.8:
	s_add_i32 s22, s7, -1
	s_add_i32 s7, s7, 1
	s_lshl_b64 s[10:11], s[22:23], 2
	s_mov_b32 s22, s18
	s_add_u32 s8, s10, s8
	s_addc_u32 s9, s11, s9
	s_add_u32 s8, s8, 8
	s_addc_u32 s9, s9, 0
	s_set_inst_prefetch_distance 0x1
	.p2align	6
.LBB64_9:                               ; =>This Inner Loop Header: Depth=1
	s_clause 0x1
	s_load_b32 s10, s[8:9], 0x0
	s_load_b32 s11, s[8:9], 0x64
	s_mov_b32 s15, s22
	s_waitcnt lgkmcnt(0)
	v_cvt_f32_u32_e32 v1, s10
	s_sub_i32 s14, 0, s10
	s_waitcnt_depctr 0xfff
	v_rcp_iflag_f32_e32 v1, v1
	s_waitcnt_depctr 0xfff
	v_mul_f32_e32 v1, 0x4f7ffffe, v1
	s_delay_alu instid0(VALU_DEP_1) | instskip(NEXT) | instid1(VALU_DEP_1)
	v_cvt_u32_f32_e32 v1, v1
	v_readfirstlane_b32 s12, v1
	s_delay_alu instid0(VALU_DEP_1) | instskip(NEXT) | instid1(SALU_CYCLE_1)
	s_mul_i32 s14, s14, s12
	s_mul_hi_u32 s14, s12, s14
	s_delay_alu instid0(SALU_CYCLE_1) | instskip(NEXT) | instid1(SALU_CYCLE_1)
	s_add_i32 s12, s12, s14
	s_mul_hi_u32 s12, s22, s12
	s_delay_alu instid0(SALU_CYCLE_1) | instskip(SKIP_2) | instid1(SALU_CYCLE_1)
	s_mul_i32 s14, s12, s10
	s_add_i32 s19, s12, 1
	s_sub_i32 s14, s22, s14
	s_sub_i32 s22, s14, s10
	s_cmp_ge_u32 s14, s10
	s_cselect_b32 s12, s19, s12
	s_cselect_b32 s14, s22, s14
	s_add_i32 s19, s12, 1
	s_cmp_ge_u32 s14, s10
	s_cselect_b32 s22, s19, s12
	s_add_i32 s7, s7, -1
	s_mul_i32 s10, s22, s10
	s_delay_alu instid0(SALU_CYCLE_1) | instskip(NEXT) | instid1(SALU_CYCLE_1)
	s_sub_i32 s10, s15, s10
	s_mul_i32 s10, s11, s10
	s_delay_alu instid0(SALU_CYCLE_1)
	s_add_i32 s23, s10, s23
	s_add_u32 s8, s8, -4
	s_addc_u32 s9, s9, -1
	s_cmp_gt_u32 s7, 2
	s_cbranch_scc1 .LBB64_9
.LBB64_10:
	s_set_inst_prefetch_distance 0x2
	s_clause 0x1
	s_load_b32 s36, s[2:3], 0x6c
	s_load_b128 s[8:11], s[0:1], 0x2b8
	s_mov_b32 s19, 0
	s_mul_i32 s12, s18, s6
	s_lshl_b64 s[2:3], s[18:19], 1
	v_mov_b32_e32 v1, 0
	s_sub_i32 s7, s13, s12
	s_waitcnt lgkmcnt(0)
	s_add_u32 s2, s8, s2
	s_addc_u32 s3, s9, s3
	global_load_u16 v6, v1, s[2:3]
	s_clause 0x2
	s_load_b64 s[28:29], s[0:1], 0x0
	s_load_b64 s[26:27], s[0:1], 0xf0
	;; [unrolled: 1-line block ×3, first 2 shown]
	v_cmp_ne_u32_e64 s2, 0, v0
	v_cmp_eq_u32_e64 s3, 0, v0
	s_delay_alu instid0(VALU_DEP_1)
	s_and_saveexec_b32 s18, s3
	s_cbranch_execz .LBB64_26
; %bb.11:
	s_load_b64 s[8:9], s[0:1], 0x2c8
	s_mov_b32 s13, s19
	s_mov_b32 s37, 0
	s_lshl_b64 s[30:31], s[12:13], 2
	s_mov_b32 s38, 0
	s_add_u32 s12, s10, s30
	s_addc_u32 s13, s11, s31
	s_waitcnt lgkmcnt(0)
	s_add_u32 s14, s8, s30
	s_addc_u32 s15, s9, s31
	s_cmp_lt_u32 s6, 4
	s_cbranch_scc1 .LBB64_23
; %bb.12:
	s_mov_b32 s39, 0
.LBB64_13:                              ; =>This Inner Loop Header: Depth=1
	s_add_u32 s12, s10, s30
	s_addc_u32 s13, s11, s31
	s_add_u32 s34, s8, s30
	s_load_b128 s[12:15], s[12:13], 0x0
	s_addc_u32 s35, s9, s31
	s_cmp_ge_u32 s39, s7
	s_cbranch_scc0 .LBB64_20
; %bb.14:                               ;   in Loop: Header=BB64_13 Depth=1
	s_add_i32 s40, s39, 1
	s_delay_alu instid0(SALU_CYCLE_1)
	s_cmp_ge_u32 s40, s7
	s_cbranch_scc0 .LBB64_21
.LBB64_15:                              ;   in Loop: Header=BB64_13 Depth=1
	s_add_i32 s40, s40, 1
	s_delay_alu instid0(SALU_CYCLE_1)
	s_cmp_ge_u32 s40, s7
	s_cbranch_scc0 .LBB64_22
.LBB64_16:                              ;   in Loop: Header=BB64_13 Depth=1
	s_add_i32 s40, s40, 1
	s_delay_alu instid0(SALU_CYCLE_1)
	s_cmp_ge_u32 s40, s7
	s_cbranch_scc1 .LBB64_18
.LBB64_17:                              ;   in Loop: Header=BB64_13 Depth=1
	s_load_b32 s34, s[34:35], 0xc
	s_waitcnt lgkmcnt(0)
	s_add_i32 s19, s19, s15
	s_add_i32 s37, s34, s37
.LBB64_18:                              ;   in Loop: Header=BB64_13 Depth=1
	s_waitcnt lgkmcnt(0)
	s_add_i32 s12, s12, s38
	s_delay_alu instid0(SALU_CYCLE_1) | instskip(NEXT) | instid1(SALU_CYCLE_1)
	s_add_i32 s12, s12, s13
	s_add_i32 s12, s12, s14
	s_delay_alu instid0(SALU_CYCLE_1)
	s_add_i32 s38, s12, s15
	s_add_u32 s10, s10, 16
	s_addc_u32 s11, s11, 0
	s_add_u32 s8, s8, 16
	s_addc_u32 s9, s9, 0
	s_add_i32 s35, s40, 4
	s_add_u32 s14, s8, s30
	s_addc_u32 s15, s9, s31
	s_add_u32 s12, s10, s30
	s_addc_u32 s13, s11, s31
	s_add_i32 s34, s40, 1
	s_cmp_ge_u32 s35, s6
	s_cbranch_scc1 .LBB64_24
; %bb.19:                               ;   in Loop: Header=BB64_13 Depth=1
	s_mov_b32 s39, s34
	s_branch .LBB64_13
.LBB64_20:                              ;   in Loop: Header=BB64_13 Depth=1
	s_load_b32 s40, s[34:35], 0x0
	s_waitcnt lgkmcnt(0)
	s_add_i32 s19, s12, s19
	s_add_i32 s37, s40, s37
	;; [unrolled: 1-line block ×3, first 2 shown]
	s_delay_alu instid0(SALU_CYCLE_1)
	s_cmp_ge_u32 s40, s7
	s_cbranch_scc1 .LBB64_15
.LBB64_21:                              ;   in Loop: Header=BB64_13 Depth=1
	s_load_b32 s41, s[34:35], 0x4
	s_waitcnt lgkmcnt(0)
	s_add_i32 s19, s19, s13
	s_add_i32 s37, s41, s37
	;; [unrolled: 1-line block ×3, first 2 shown]
	s_delay_alu instid0(SALU_CYCLE_1)
	s_cmp_ge_u32 s40, s7
	s_cbranch_scc1 .LBB64_16
.LBB64_22:                              ;   in Loop: Header=BB64_13 Depth=1
	s_load_b32 s41, s[34:35], 0x8
	s_waitcnt lgkmcnt(0)
	s_add_i32 s19, s19, s14
	s_add_i32 s37, s41, s37
	s_add_i32 s40, s40, 1
	s_delay_alu instid0(SALU_CYCLE_1)
	s_cmp_ge_u32 s40, s7
	s_cbranch_scc0 .LBB64_17
	s_branch .LBB64_18
.LBB64_23:
	s_mov_b32 s8, 0
	s_delay_alu instid0(SALU_CYCLE_1)
	s_cmp_ge_u32 s8, s6
	s_cbranch_scc0 .LBB64_47
	s_branch .LBB64_25
.LBB64_24:
	s_add_i32 s8, s39, 4
	s_delay_alu instid0(SALU_CYCLE_1)
	s_cmp_ge_u32 s8, s6
	s_cbranch_scc0 .LBB64_47
.LBB64_25:
	v_dual_mov_b32 v1, s37 :: v_dual_mov_b32 v2, s38
	v_dual_mov_b32 v3, s19 :: v_dual_mov_b32 v4, 0
	ds_store_b96 v4, v[1:3] offset:1056
.LBB64_26:
	s_or_b32 exec_lo, exec_lo, s18
	s_clause 0x1
	s_load_b32 s12, s[0:1], 0x23c
	s_load_b128 s[8:11], s[0:1], 0xd8
	s_waitcnt lgkmcnt(0)
	s_mul_i32 s11, s5, s7
	s_add_i32 s7, s7, 1
	s_lshl_b32 s15, s11, 8
	s_waitcnt vmcnt(0)
	s_barrier
	buffer_gl0_inv
	s_sub_i32 s11, s8, s15
	s_delay_alu instid0(SALU_CYCLE_1) | instskip(SKIP_4) | instid1(VALU_DEP_1)
	s_add_u32 s11, s11, 0xff
	s_addc_u32 s13, 0, 0
	s_cmp_lt_u32 s7, s6
	v_alignbit_b32 v1, s13, s11, 8
	s_mov_b32 s7, 0
	v_readfirstlane_b32 s11, v1
	s_delay_alu instid0(VALU_DEP_1) | instskip(NEXT) | instid1(SALU_CYCLE_1)
	s_cselect_b32 s5, s5, s11
	s_cmp_eq_u32 s5, 0
	s_cbranch_scc1 .LBB64_49
; %bb.27:
	v_mov_b32_e32 v5, 0
	s_mul_i32 s6, s36, s20
	s_mul_i32 s11, s33, s16
	s_add_i32 s16, s6, s21
	s_mul_i32 s12, s12, s22
	ds_load_b96 v[1:3], v5 offset:1056
	s_add_i32 s6, s11, s17
	s_add_i32 s18, s12, s23
	s_lshl_b64 s[12:13], s[6:7], 1
	s_mov_b32 s17, s7
	s_add_u32 s6, s28, s12
	s_load_b32 s20, s[0:1], 0xe8
	s_addc_u32 s11, s29, s13
	s_lshl_b64 s[12:13], s[16:17], 1
	s_mov_b32 s19, s7
	s_add_u32 s12, s26, s12
	s_addc_u32 s13, s27, s13
	s_lshl_b64 s[16:17], s[18:19], 3
	v_bfe_i32 v4, v6, 0, 16
	s_add_u32 s7, s24, s16
	s_addc_u32 s14, s25, s17
	s_bitcmp1_b32 s10, 0
	s_load_b32 s10, s[0:1], 0x1c8
	v_add_nc_u32_e32 v7, 0x8000, v4
	v_lshrrev_b32_e32 v4, 5, v0
	v_add_nc_u32_e32 v11, -1, v0
	s_waitcnt lgkmcnt(0)
	v_add_nc_u32_e32 v8, v1, v2
	v_lshlrev_b32_e32 v2, 3, v0
	v_add_nc_u32_e32 v1, s15, v0
	v_add_lshl_u32 v9, v4, v0, 2
	v_lshrrev_b32_e32 v4, 2, v0
	v_lshrrev_b32_e32 v12, 5, v11
	v_mbcnt_lo_u32_b32 v10, -1, 0
	v_cmp_gt_u32_e64 s0, 32, v0
	s_cselect_b32 s1, -1, 0
	v_add_lshl_u32 v0, v4, v2, 2
	v_mul_lo_u32 v4, s20, v1
	v_add_lshl_u32 v11, v12, v11, 2
	v_and_b32_e32 v12, 15, v10
	v_bfe_i32 v13, v10, 4, 1
	v_add_nc_u32_e32 v14, -1, v10
	s_lshl_b32 s15, s20, 8
                                        ; implicit-def: $vgpr15
	s_branch .LBB64_30
.LBB64_28:                              ;   in Loop: Header=BB64_30 Depth=1
	s_or_b32 exec_lo, exec_lo, s16
	v_add_nc_u32_e32 v8, v18, v8
.LBB64_29:                              ;   in Loop: Header=BB64_30 Depth=1
	v_add_nc_u32_e32 v3, v17, v3
	v_add_nc_u32_e32 v4, s15, v4
	;; [unrolled: 1-line block ×3, first 2 shown]
	s_add_i32 s5, s5, -1
	s_delay_alu instid0(SALU_CYCLE_1)
	s_cmp_lg_u32 s5, 0
	s_cbranch_scc0 .LBB64_49
.LBB64_30:                              ; =>This Inner Loop Header: Depth=1
	v_mov_b32_e32 v2, 0
	v_mov_b32_e32 v16, 0
	s_mov_b32 s16, exec_lo
	v_cmpx_gt_u32_e64 s8, v1
	s_cbranch_execz .LBB64_32
; %bb.31:                               ;   in Loop: Header=BB64_30 Depth=1
	v_lshlrev_b64 v[15:16], 1, v[4:5]
	s_delay_alu instid0(VALU_DEP_1) | instskip(NEXT) | instid1(VALU_DEP_2)
	v_add_co_u32 v15, vcc_lo, s6, v15
	v_add_co_ci_u32_e32 v16, vcc_lo, s11, v16, vcc_lo
	global_load_u16 v15, v[15:16], off
	s_waitcnt vmcnt(0)
	v_bfe_i32 v2, v15, 0, 16
	s_delay_alu instid0(VALU_DEP_1) | instskip(NEXT) | instid1(VALU_DEP_1)
	v_add_nc_u32_e32 v2, 0x8000, v2
	v_cmp_gt_u32_e32 vcc_lo, v2, v7
	v_cndmask_b32_e64 v16, 0, 1, vcc_lo
	v_cmp_lt_u32_e32 vcc_lo, v2, v7
	v_cndmask_b32_e64 v2, 0, 1, vcc_lo
	v_cmp_eq_u16_e32 vcc_lo, v15, v6
	s_delay_alu instid0(VALU_DEP_2) | instskip(SKIP_1) | instid1(VALU_DEP_2)
	v_cndmask_b32_e64 v2, v2, v16, s1
	v_cndmask_b32_e64 v16, 0, 1, vcc_lo
	v_and_b32_e32 v2, 1, v2
.LBB64_32:                              ;   in Loop: Header=BB64_30 Depth=1
	s_or_b32 exec_lo, exec_lo, s16
	ds_store_b32 v9, v2
	s_waitcnt lgkmcnt(0)
	s_waitcnt_vscnt null, 0x0
	s_barrier
	buffer_gl0_inv
	s_and_saveexec_b32 s16, s0
	s_cbranch_execz .LBB64_34
; %bb.33:                               ;   in Loop: Header=BB64_30 Depth=1
	ds_load_2addr_b32 v[17:18], v0 offset1:1
	ds_load_2addr_b32 v[19:20], v0 offset0:2 offset1:3
	ds_load_2addr_b32 v[21:22], v0 offset0:4 offset1:5
	;; [unrolled: 1-line block ×3, first 2 shown]
	v_cmp_ne_u32_e32 vcc_lo, 0, v12
	; wave barrier
	s_waitcnt lgkmcnt(3)
	v_add_nc_u32_e32 v18, v18, v17
	s_waitcnt lgkmcnt(2)
	s_delay_alu instid0(VALU_DEP_1) | instskip(SKIP_1) | instid1(VALU_DEP_1)
	v_add3_u32 v18, v18, v19, v20
	s_waitcnt lgkmcnt(1)
	v_add3_u32 v18, v18, v21, v22
	s_waitcnt lgkmcnt(0)
	s_delay_alu instid0(VALU_DEP_1) | instskip(NEXT) | instid1(VALU_DEP_1)
	v_add3_u32 v18, v18, v23, v24
	v_mov_b32_dpp v19, v18 row_shr:1 row_mask:0xf bank_mask:0xf
	s_delay_alu instid0(VALU_DEP_1) | instskip(SKIP_1) | instid1(VALU_DEP_2)
	v_cndmask_b32_e32 v19, 0, v19, vcc_lo
	v_cmp_lt_u32_e32 vcc_lo, 1, v12
	v_add_nc_u32_e32 v18, v19, v18
	s_delay_alu instid0(VALU_DEP_1) | instskip(NEXT) | instid1(VALU_DEP_1)
	v_mov_b32_dpp v19, v18 row_shr:2 row_mask:0xf bank_mask:0xf
	v_cndmask_b32_e32 v19, 0, v19, vcc_lo
	v_cmp_lt_u32_e32 vcc_lo, 3, v12
	s_delay_alu instid0(VALU_DEP_2) | instskip(NEXT) | instid1(VALU_DEP_1)
	v_add_nc_u32_e32 v18, v18, v19
	v_mov_b32_dpp v19, v18 row_shr:4 row_mask:0xf bank_mask:0xf
	s_delay_alu instid0(VALU_DEP_1) | instskip(SKIP_1) | instid1(VALU_DEP_2)
	v_cndmask_b32_e32 v19, 0, v19, vcc_lo
	v_cmp_lt_u32_e32 vcc_lo, 7, v12
	v_add_nc_u32_e32 v18, v18, v19
	s_delay_alu instid0(VALU_DEP_1) | instskip(NEXT) | instid1(VALU_DEP_1)
	v_mov_b32_dpp v19, v18 row_shr:8 row_mask:0xf bank_mask:0xf
	v_cndmask_b32_e32 v19, 0, v19, vcc_lo
	v_cmp_gt_i32_e32 vcc_lo, 0, v14
	v_cndmask_b32_e32 v20, v14, v10, vcc_lo
	s_delay_alu instid0(VALU_DEP_1) | instskip(NEXT) | instid1(VALU_DEP_4)
	v_lshlrev_b32_e32 v20, 2, v20
	v_add_nc_u32_e32 v18, v18, v19
	ds_swizzle_b32 v19, v18 offset:swizzle(BROADCAST,32,15)
	s_waitcnt lgkmcnt(0)
	v_and_b32_e32 v19, v13, v19
	s_delay_alu instid0(VALU_DEP_1) | instskip(SKIP_3) | instid1(VALU_DEP_1)
	v_add_nc_u32_e32 v18, v18, v19
	ds_bpermute_b32 v18, v20, v18
	s_waitcnt lgkmcnt(0)
	v_add_nc_u32_e32 v17, v18, v17
	v_cndmask_b32_e64 v23, v17, v2, s3
	ds_store_b32 v0, v23
	; wave barrier
	ds_load_2addr_b32 v[17:18], v0 offset0:1 offset1:2
	ds_load_2addr_b32 v[19:20], v0 offset0:3 offset1:4
	;; [unrolled: 1-line block ×3, first 2 shown]
	ds_load_b32 v24, v0 offset:28
	s_waitcnt lgkmcnt(3)
	v_add_nc_u32_e32 v17, v17, v23
	s_delay_alu instid0(VALU_DEP_1) | instskip(SKIP_1) | instid1(VALU_DEP_1)
	v_add_nc_u32_e32 v18, v18, v17
	s_waitcnt lgkmcnt(2)
	v_add_nc_u32_e32 v19, v19, v18
	s_delay_alu instid0(VALU_DEP_1) | instskip(SKIP_1) | instid1(VALU_DEP_1)
	v_add_nc_u32_e32 v20, v20, v19
	;; [unrolled: 4-line block ×3, first 2 shown]
	s_waitcnt lgkmcnt(0)
	v_add_nc_u32_e32 v23, v24, v22
	ds_store_2addr_b32 v0, v17, v18 offset0:1 offset1:2
	ds_store_2addr_b32 v0, v19, v20 offset0:3 offset1:4
	;; [unrolled: 1-line block ×3, first 2 shown]
	ds_store_b32 v0, v23 offset:28
.LBB64_34:                              ;   in Loop: Header=BB64_30 Depth=1
	s_or_b32 exec_lo, exec_lo, s16
	v_mov_b32_e32 v18, 0
	s_waitcnt lgkmcnt(0)
	s_barrier
	buffer_gl0_inv
	s_and_saveexec_b32 s16, s2
	s_cbranch_execz .LBB64_36
; %bb.35:                               ;   in Loop: Header=BB64_30 Depth=1
	ds_load_b32 v18, v11
.LBB64_36:                              ;   in Loop: Header=BB64_30 Depth=1
	s_or_b32 exec_lo, exec_lo, s16
	ds_load_b32 v17, v5 offset:1048
	s_mov_b32 s16, exec_lo
	s_waitcnt lgkmcnt(0)
	s_barrier
	buffer_gl0_inv
	v_cmpx_ne_u32_e32 0, v2
	s_cbranch_execz .LBB64_38
; %bb.37:                               ;   in Loop: Header=BB64_30 Depth=1
	v_dual_mov_b32 v19, v5 :: v_dual_add_nc_u32 v2, v18, v3
	v_mov_b32_e32 v21, v5
	s_delay_alu instid0(VALU_DEP_2) | instskip(SKIP_2) | instid1(VALU_DEP_3)
	v_mul_lo_u32 v18, v2, s10
	v_mul_lo_u32 v20, v2, s4
	v_mov_b32_e32 v2, v5
	v_lshlrev_b64 v[18:19], 1, v[18:19]
	s_delay_alu instid0(VALU_DEP_3) | instskip(NEXT) | instid1(VALU_DEP_2)
	v_lshlrev_b64 v[20:21], 3, v[20:21]
	v_add_co_u32 v18, vcc_lo, s12, v18
	s_delay_alu instid0(VALU_DEP_3) | instskip(NEXT) | instid1(VALU_DEP_3)
	v_add_co_ci_u32_e32 v19, vcc_lo, s13, v19, vcc_lo
	v_add_co_u32 v20, vcc_lo, s7, v20
	s_delay_alu instid0(VALU_DEP_4)
	v_add_co_ci_u32_e32 v21, vcc_lo, s14, v21, vcc_lo
	global_store_b16 v[18:19], v15, off
	global_store_b64 v[20:21], v[1:2], off
.LBB64_38:                              ;   in Loop: Header=BB64_30 Depth=1
	s_or_b32 exec_lo, exec_lo, s16
	v_cmp_le_u32_e32 vcc_lo, s9, v8
	s_cbranch_vccnz .LBB64_29
; %bb.39:                               ;   in Loop: Header=BB64_30 Depth=1
	ds_store_b32 v9, v16
	s_waitcnt lgkmcnt(0)
	s_waitcnt_vscnt null, 0x0
	s_barrier
	buffer_gl0_inv
	s_and_saveexec_b32 s16, s0
	s_cbranch_execz .LBB64_41
; %bb.40:                               ;   in Loop: Header=BB64_30 Depth=1
	ds_load_2addr_b32 v[18:19], v0 offset1:1
	ds_load_2addr_b32 v[20:21], v0 offset0:2 offset1:3
	ds_load_2addr_b32 v[22:23], v0 offset0:4 offset1:5
	;; [unrolled: 1-line block ×3, first 2 shown]
	v_cmp_ne_u32_e32 vcc_lo, 0, v12
	; wave barrier
	s_waitcnt lgkmcnt(3)
	v_add_nc_u32_e32 v2, v19, v18
	s_waitcnt lgkmcnt(2)
	s_delay_alu instid0(VALU_DEP_1) | instskip(SKIP_1) | instid1(VALU_DEP_1)
	v_add3_u32 v2, v2, v20, v21
	s_waitcnt lgkmcnt(1)
	v_add3_u32 v2, v2, v22, v23
	s_waitcnt lgkmcnt(0)
	s_delay_alu instid0(VALU_DEP_1) | instskip(NEXT) | instid1(VALU_DEP_1)
	v_add3_u32 v2, v2, v24, v25
	v_mov_b32_dpp v19, v2 row_shr:1 row_mask:0xf bank_mask:0xf
	s_delay_alu instid0(VALU_DEP_1) | instskip(SKIP_1) | instid1(VALU_DEP_2)
	v_cndmask_b32_e32 v19, 0, v19, vcc_lo
	v_cmp_lt_u32_e32 vcc_lo, 1, v12
	v_add_nc_u32_e32 v2, v19, v2
	s_delay_alu instid0(VALU_DEP_1) | instskip(NEXT) | instid1(VALU_DEP_1)
	v_mov_b32_dpp v19, v2 row_shr:2 row_mask:0xf bank_mask:0xf
	v_cndmask_b32_e32 v19, 0, v19, vcc_lo
	v_cmp_lt_u32_e32 vcc_lo, 3, v12
	s_delay_alu instid0(VALU_DEP_2) | instskip(NEXT) | instid1(VALU_DEP_1)
	v_add_nc_u32_e32 v2, v2, v19
	v_mov_b32_dpp v19, v2 row_shr:4 row_mask:0xf bank_mask:0xf
	s_delay_alu instid0(VALU_DEP_1) | instskip(SKIP_1) | instid1(VALU_DEP_2)
	v_cndmask_b32_e32 v19, 0, v19, vcc_lo
	v_cmp_lt_u32_e32 vcc_lo, 7, v12
	v_add_nc_u32_e32 v2, v2, v19
	s_delay_alu instid0(VALU_DEP_1) | instskip(NEXT) | instid1(VALU_DEP_1)
	v_mov_b32_dpp v19, v2 row_shr:8 row_mask:0xf bank_mask:0xf
	v_cndmask_b32_e32 v19, 0, v19, vcc_lo
	v_cmp_gt_i32_e32 vcc_lo, 0, v14
	v_cndmask_b32_e32 v20, v14, v10, vcc_lo
	s_delay_alu instid0(VALU_DEP_1) | instskip(NEXT) | instid1(VALU_DEP_4)
	v_lshlrev_b32_e32 v20, 2, v20
	v_add_nc_u32_e32 v2, v2, v19
	ds_swizzle_b32 v19, v2 offset:swizzle(BROADCAST,32,15)
	s_waitcnt lgkmcnt(0)
	v_and_b32_e32 v19, v13, v19
	s_delay_alu instid0(VALU_DEP_1) | instskip(SKIP_3) | instid1(VALU_DEP_1)
	v_add_nc_u32_e32 v2, v2, v19
	ds_bpermute_b32 v2, v20, v2
	s_waitcnt lgkmcnt(0)
	v_add_nc_u32_e32 v2, v2, v18
	v_cndmask_b32_e64 v2, v2, v16, s3
	ds_store_b32 v0, v2
	; wave barrier
	ds_load_2addr_b32 v[18:19], v0 offset0:1 offset1:2
	ds_load_2addr_b32 v[20:21], v0 offset0:3 offset1:4
	;; [unrolled: 1-line block ×3, first 2 shown]
	ds_load_b32 v24, v0 offset:28
	s_waitcnt lgkmcnt(3)
	v_add_nc_u32_e32 v2, v18, v2
	s_delay_alu instid0(VALU_DEP_1) | instskip(SKIP_1) | instid1(VALU_DEP_1)
	v_add_nc_u32_e32 v18, v19, v2
	s_waitcnt lgkmcnt(2)
	v_add_nc_u32_e32 v19, v20, v18
	s_delay_alu instid0(VALU_DEP_1) | instskip(SKIP_1) | instid1(VALU_DEP_1)
	v_add_nc_u32_e32 v20, v21, v19
	;; [unrolled: 4-line block ×3, first 2 shown]
	s_waitcnt lgkmcnt(0)
	v_add_nc_u32_e32 v23, v24, v22
	ds_store_2addr_b32 v0, v2, v18 offset0:1 offset1:2
	ds_store_2addr_b32 v0, v19, v20 offset0:3 offset1:4
	ds_store_2addr_b32 v0, v21, v22 offset0:5 offset1:6
	ds_store_b32 v0, v23 offset:28
.LBB64_41:                              ;   in Loop: Header=BB64_30 Depth=1
	s_or_b32 exec_lo, exec_lo, s16
	v_mov_b32_e32 v2, 0
	s_waitcnt lgkmcnt(0)
	s_barrier
	buffer_gl0_inv
	s_and_saveexec_b32 s16, s2
	s_cbranch_execz .LBB64_43
; %bb.42:                               ;   in Loop: Header=BB64_30 Depth=1
	ds_load_b32 v2, v11
.LBB64_43:                              ;   in Loop: Header=BB64_30 Depth=1
	s_or_b32 exec_lo, exec_lo, s16
	ds_load_b32 v18, v5 offset:1048
	s_mov_b32 s16, exec_lo
	s_waitcnt lgkmcnt(0)
	s_barrier
	buffer_gl0_inv
	v_cmpx_ne_u32_e32 0, v16
	s_cbranch_execz .LBB64_28
; %bb.44:                               ;   in Loop: Header=BB64_30 Depth=1
	v_add_nc_u32_e32 v2, v2, v8
	s_delay_alu instid0(VALU_DEP_1)
	v_cmp_gt_u32_e32 vcc_lo, s9, v2
	s_and_b32 exec_lo, exec_lo, vcc_lo
	s_cbranch_execz .LBB64_28
; %bb.45:                               ;   in Loop: Header=BB64_30 Depth=1
	v_mul_lo_u32 v19, v2, s10
	v_mov_b32_e32 v20, v5
	v_mul_lo_u32 v21, v2, s4
	v_mov_b32_e32 v22, v5
	v_mov_b32_e32 v2, v5
	s_delay_alu instid0(VALU_DEP_4) | instskip(NEXT) | instid1(VALU_DEP_3)
	v_lshlrev_b64 v[19:20], 1, v[19:20]
	v_lshlrev_b64 v[21:22], 3, v[21:22]
	s_delay_alu instid0(VALU_DEP_2) | instskip(NEXT) | instid1(VALU_DEP_3)
	v_add_co_u32 v19, vcc_lo, s12, v19
	v_add_co_ci_u32_e32 v20, vcc_lo, s13, v20, vcc_lo
	s_delay_alu instid0(VALU_DEP_3) | instskip(NEXT) | instid1(VALU_DEP_4)
	v_add_co_u32 v21, vcc_lo, s7, v21
	v_add_co_ci_u32_e32 v22, vcc_lo, s14, v22, vcc_lo
	global_store_b16 v[19:20], v15, off
	global_store_b64 v[21:22], v[1:2], off
	s_branch .LBB64_28
	.p2align	6
.LBB64_46:                              ;   in Loop: Header=BB64_47 Depth=1
	s_add_u32 s12, s12, 4
	s_addc_u32 s13, s13, 0
	s_waitcnt lgkmcnt(0)
	s_add_i32 s38, s9, s38
	s_add_u32 s14, s14, 4
	s_addc_u32 s15, s15, 0
	s_add_i32 s8, s8, 1
	s_delay_alu instid0(SALU_CYCLE_1)
	s_cmp_lt_u32 s8, s6
	s_cbranch_scc0 .LBB64_25
.LBB64_47:                              ; =>This Inner Loop Header: Depth=1
	s_load_b32 s9, s[12:13], 0x0
	s_cmp_ge_u32 s8, s7
	s_cbranch_scc1 .LBB64_46
; %bb.48:                               ;   in Loop: Header=BB64_47 Depth=1
	s_load_b32 s10, s[14:15], 0x0
	s_waitcnt lgkmcnt(0)
	s_add_i32 s19, s9, s19
	s_add_i32 s37, s10, s37
	s_branch .LBB64_46
.LBB64_49:
	s_nop 0
	s_sendmsg sendmsg(MSG_DEALLOC_VGPRS)
	s_endpgm
	.section	.rodata,"a",@progbits
	.p2align	6, 0x0
	.amdhsa_kernel _ZN2at6native6mbtopk10gatherTopKIsjLin1EEEvNS_4cuda6detail10TensorInfoIKT_T0_EES8_S8_bjS8_NS5_IS6_S8_EES8_NS5_IlS8_EES8_jjPS6_PjSD_j
		.amdhsa_group_segment_fixed_size 1068
		.amdhsa_private_segment_fixed_size 0
		.amdhsa_kernarg_size 984
		.amdhsa_user_sgpr_count 13
		.amdhsa_user_sgpr_dispatch_ptr 0
		.amdhsa_user_sgpr_queue_ptr 0
		.amdhsa_user_sgpr_kernarg_segment_ptr 1
		.amdhsa_user_sgpr_dispatch_id 0
		.amdhsa_user_sgpr_private_segment_size 0
		.amdhsa_wavefront_size32 1
		.amdhsa_uses_dynamic_stack 0
		.amdhsa_enable_private_segment 0
		.amdhsa_system_sgpr_workgroup_id_x 1
		.amdhsa_system_sgpr_workgroup_id_y 1
		.amdhsa_system_sgpr_workgroup_id_z 1
		.amdhsa_system_sgpr_workgroup_info 0
		.amdhsa_system_vgpr_workitem_id 0
		.amdhsa_next_free_vgpr 26
		.amdhsa_next_free_sgpr 42
		.amdhsa_reserve_vcc 1
		.amdhsa_float_round_mode_32 0
		.amdhsa_float_round_mode_16_64 0
		.amdhsa_float_denorm_mode_32 3
		.amdhsa_float_denorm_mode_16_64 3
		.amdhsa_dx10_clamp 1
		.amdhsa_ieee_mode 1
		.amdhsa_fp16_overflow 0
		.amdhsa_workgroup_processor_mode 1
		.amdhsa_memory_ordered 1
		.amdhsa_forward_progress 0
		.amdhsa_shared_vgpr_count 0
		.amdhsa_exception_fp_ieee_invalid_op 0
		.amdhsa_exception_fp_denorm_src 0
		.amdhsa_exception_fp_ieee_div_zero 0
		.amdhsa_exception_fp_ieee_overflow 0
		.amdhsa_exception_fp_ieee_underflow 0
		.amdhsa_exception_fp_ieee_inexact 0
		.amdhsa_exception_int_div_zero 0
	.end_amdhsa_kernel
	.section	.text._ZN2at6native6mbtopk10gatherTopKIsjLin1EEEvNS_4cuda6detail10TensorInfoIKT_T0_EES8_S8_bjS8_NS5_IS6_S8_EES8_NS5_IlS8_EES8_jjPS6_PjSD_j,"axG",@progbits,_ZN2at6native6mbtopk10gatherTopKIsjLin1EEEvNS_4cuda6detail10TensorInfoIKT_T0_EES8_S8_bjS8_NS5_IS6_S8_EES8_NS5_IlS8_EES8_jjPS6_PjSD_j,comdat
.Lfunc_end64:
	.size	_ZN2at6native6mbtopk10gatherTopKIsjLin1EEEvNS_4cuda6detail10TensorInfoIKT_T0_EES8_S8_bjS8_NS5_IS6_S8_EES8_NS5_IlS8_EES8_jjPS6_PjSD_j, .Lfunc_end64-_ZN2at6native6mbtopk10gatherTopKIsjLin1EEEvNS_4cuda6detail10TensorInfoIKT_T0_EES8_S8_bjS8_NS5_IS6_S8_EES8_NS5_IlS8_EES8_jjPS6_PjSD_j
                                        ; -- End function
	.section	.AMDGPU.csdata,"",@progbits
; Kernel info:
; codeLenInByte = 3308
; NumSgprs: 44
; NumVgprs: 26
; ScratchSize: 0
; MemoryBound: 0
; FloatMode: 240
; IeeeMode: 1
; LDSByteSize: 1068 bytes/workgroup (compile time only)
; SGPRBlocks: 5
; VGPRBlocks: 3
; NumSGPRsForWavesPerEU: 44
; NumVGPRsForWavesPerEU: 26
; Occupancy: 16
; WaveLimiterHint : 1
; COMPUTE_PGM_RSRC2:SCRATCH_EN: 0
; COMPUTE_PGM_RSRC2:USER_SGPR: 13
; COMPUTE_PGM_RSRC2:TRAP_HANDLER: 0
; COMPUTE_PGM_RSRC2:TGID_X_EN: 1
; COMPUTE_PGM_RSRC2:TGID_Y_EN: 1
; COMPUTE_PGM_RSRC2:TGID_Z_EN: 1
; COMPUTE_PGM_RSRC2:TIDIG_COMP_CNT: 0
	.section	.text._ZN2at6native6sbtopk10gatherTopKIsjLin1ELb0EEEvNS_4cuda6detail10TensorInfoIKT_T0_EES8_S8_bS8_S8_NS5_IS6_S8_EES8_NS5_IlS8_EES8_PS6_,"axG",@progbits,_ZN2at6native6sbtopk10gatherTopKIsjLin1ELb0EEEvNS_4cuda6detail10TensorInfoIKT_T0_EES8_S8_bS8_S8_NS5_IS6_S8_EES8_NS5_IlS8_EES8_PS6_,comdat
	.protected	_ZN2at6native6sbtopk10gatherTopKIsjLin1ELb0EEEvNS_4cuda6detail10TensorInfoIKT_T0_EES8_S8_bS8_S8_NS5_IS6_S8_EES8_NS5_IlS8_EES8_PS6_ ; -- Begin function _ZN2at6native6sbtopk10gatherTopKIsjLin1ELb0EEEvNS_4cuda6detail10TensorInfoIKT_T0_EES8_S8_bS8_S8_NS5_IS6_S8_EES8_NS5_IlS8_EES8_PS6_
	.globl	_ZN2at6native6sbtopk10gatherTopKIsjLin1ELb0EEEvNS_4cuda6detail10TensorInfoIKT_T0_EES8_S8_bS8_S8_NS5_IS6_S8_EES8_NS5_IlS8_EES8_PS6_
	.p2align	8
	.type	_ZN2at6native6sbtopk10gatherTopKIsjLin1ELb0EEEvNS_4cuda6detail10TensorInfoIKT_T0_EES8_S8_bS8_S8_NS5_IS6_S8_EES8_NS5_IlS8_EES8_PS6_,@function
_ZN2at6native6sbtopk10gatherTopKIsjLin1ELb0EEEvNS_4cuda6detail10TensorInfoIKT_T0_EES8_S8_bS8_S8_NS5_IS6_S8_EES8_NS5_IlS8_EES8_PS6_: ; @_ZN2at6native6sbtopk10gatherTopKIsjLin1ELb0EEEvNS_4cuda6detail10TensorInfoIKT_T0_EES8_S8_bS8_S8_NS5_IS6_S8_EES8_NS5_IlS8_EES8_PS6_
; %bb.0:
	s_clause 0x1
	s_load_b64 s[4:5], s[0:1], 0x2b8
	s_load_b128 s[36:39], s[0:1], 0xd8
	s_add_u32 s6, s0, 0x2b8
	s_addc_u32 s7, s1, 0
	s_waitcnt lgkmcnt(0)
	s_mul_i32 s2, s5, s15
	s_delay_alu instid0(SALU_CYCLE_1) | instskip(NEXT) | instid1(SALU_CYCLE_1)
	s_add_i32 s2, s2, s14
	s_mul_i32 s2, s2, s4
	s_delay_alu instid0(SALU_CYCLE_1) | instskip(NEXT) | instid1(SALU_CYCLE_1)
	s_add_i32 s48, s2, s13
	s_cmp_ge_u32 s48, s39
	s_cbranch_scc1 .LBB65_472
; %bb.1:
	s_clause 0x1
	s_load_b32 s5, s[0:1], 0xd0
	s_load_b32 s30, s[0:1], 0xe8
	s_mov_b32 s3, 0
	s_mov_b32 s2, s48
	s_waitcnt lgkmcnt(0)
	s_cmp_lt_i32 s5, 2
	s_cbranch_scc1 .LBB65_4
; %bb.2:
	s_add_i32 s2, s5, -1
	s_add_i32 s5, s5, 1
	s_lshl_b64 s[8:9], s[2:3], 2
	s_delay_alu instid0(SALU_CYCLE_1)
	s_add_u32 s2, s8, s0
	s_addc_u32 s9, s9, s1
	s_add_u32 s8, s2, 8
	s_addc_u32 s9, s9, 0
	s_mov_b32 s2, s48
	s_set_inst_prefetch_distance 0x1
	.p2align	6
.LBB65_3:                               ; =>This Inner Loop Header: Depth=1
	s_clause 0x1
	s_load_b32 s10, s[8:9], 0x0
	s_load_b32 s11, s[8:9], 0x64
	s_mov_b32 s15, s2
	s_waitcnt lgkmcnt(0)
	v_cvt_f32_u32_e32 v1, s10
	s_sub_i32 s14, 0, s10
	s_waitcnt_depctr 0xfff
	v_rcp_iflag_f32_e32 v1, v1
	s_waitcnt_depctr 0xfff
	v_mul_f32_e32 v1, 0x4f7ffffe, v1
	s_delay_alu instid0(VALU_DEP_1) | instskip(NEXT) | instid1(VALU_DEP_1)
	v_cvt_u32_f32_e32 v1, v1
	v_readfirstlane_b32 s12, v1
	s_delay_alu instid0(VALU_DEP_1) | instskip(NEXT) | instid1(SALU_CYCLE_1)
	s_mul_i32 s14, s14, s12
	s_mul_hi_u32 s14, s12, s14
	s_delay_alu instid0(SALU_CYCLE_1) | instskip(NEXT) | instid1(SALU_CYCLE_1)
	s_add_i32 s12, s12, s14
	s_mul_hi_u32 s2, s2, s12
	s_delay_alu instid0(SALU_CYCLE_1) | instskip(SKIP_2) | instid1(SALU_CYCLE_1)
	s_mul_i32 s12, s2, s10
	s_add_i32 s14, s2, 1
	s_sub_i32 s12, s15, s12
	s_sub_i32 s16, s12, s10
	s_cmp_ge_u32 s12, s10
	s_cselect_b32 s2, s14, s2
	s_cselect_b32 s12, s16, s12
	s_add_i32 s14, s2, 1
	s_cmp_ge_u32 s12, s10
	s_cselect_b32 s2, s14, s2
	s_add_i32 s5, s5, -1
	s_mul_i32 s10, s2, s10
	s_delay_alu instid0(SALU_CYCLE_1) | instskip(NEXT) | instid1(SALU_CYCLE_1)
	s_sub_i32 s10, s15, s10
	s_mul_i32 s10, s11, s10
	s_delay_alu instid0(SALU_CYCLE_1)
	s_add_i32 s3, s10, s3
	s_add_u32 s8, s8, -4
	s_addc_u32 s9, s9, -1
	s_cmp_gt_u32 s5, 2
	s_cbranch_scc1 .LBB65_3
.LBB65_4:
	s_set_inst_prefetch_distance 0x2
	s_load_b32 s5, s[0:1], 0x1c0
	s_add_u32 s8, s0, 0xf0
	s_addc_u32 s9, s1, 0
	s_mov_b32 s35, 0
	s_mov_b32 s49, s48
	s_waitcnt lgkmcnt(0)
	s_cmp_lt_i32 s5, 2
	s_cbranch_scc1 .LBB65_7
; %bb.5:
	s_add_i32 s34, s5, -1
	s_add_i32 s5, s5, 1
	s_lshl_b64 s[10:11], s[34:35], 2
	s_mov_b32 s49, s48
	s_add_u32 s10, s10, s8
	s_addc_u32 s11, s11, s9
	s_add_u32 s10, s10, 8
	s_addc_u32 s11, s11, 0
	s_set_inst_prefetch_distance 0x1
	.p2align	6
.LBB65_6:                               ; =>This Inner Loop Header: Depth=1
	s_clause 0x1
	s_load_b32 s12, s[10:11], 0x0
	s_load_b32 s14, s[10:11], 0x64
	s_mov_b32 s17, s49
	s_waitcnt lgkmcnt(0)
	v_cvt_f32_u32_e32 v1, s12
	s_sub_i32 s16, 0, s12
	s_waitcnt_depctr 0xfff
	v_rcp_iflag_f32_e32 v1, v1
	s_waitcnt_depctr 0xfff
	v_mul_f32_e32 v1, 0x4f7ffffe, v1
	s_delay_alu instid0(VALU_DEP_1) | instskip(NEXT) | instid1(VALU_DEP_1)
	v_cvt_u32_f32_e32 v1, v1
	v_readfirstlane_b32 s15, v1
	s_delay_alu instid0(VALU_DEP_1) | instskip(NEXT) | instid1(SALU_CYCLE_1)
	s_mul_i32 s16, s16, s15
	s_mul_hi_u32 s16, s15, s16
	s_delay_alu instid0(SALU_CYCLE_1) | instskip(NEXT) | instid1(SALU_CYCLE_1)
	s_add_i32 s15, s15, s16
	s_mul_hi_u32 s15, s49, s15
	s_delay_alu instid0(SALU_CYCLE_1) | instskip(SKIP_2) | instid1(SALU_CYCLE_1)
	s_mul_i32 s16, s15, s12
	s_add_i32 s18, s15, 1
	s_sub_i32 s16, s49, s16
	s_sub_i32 s19, s16, s12
	s_cmp_ge_u32 s16, s12
	s_cselect_b32 s15, s18, s15
	s_cselect_b32 s16, s19, s16
	s_add_i32 s18, s15, 1
	s_cmp_ge_u32 s16, s12
	s_cselect_b32 s49, s18, s15
	s_add_i32 s5, s5, -1
	s_mul_i32 s12, s49, s12
	s_delay_alu instid0(SALU_CYCLE_1) | instskip(NEXT) | instid1(SALU_CYCLE_1)
	s_sub_i32 s12, s17, s12
	s_mul_i32 s12, s14, s12
	s_delay_alu instid0(SALU_CYCLE_1)
	s_add_i32 s35, s12, s35
	s_add_u32 s10, s10, -4
	s_addc_u32 s11, s11, -1
	s_cmp_gt_u32 s5, 2
	s_cbranch_scc1 .LBB65_6
.LBB65_7:
	s_set_inst_prefetch_distance 0x2
	s_clause 0x1
	s_load_b32 s12, s[0:1], 0x6c
	s_load_b32 s5, s[0:1], 0x2a0
	s_add_u32 s10, s0, 0x1d0
	s_addc_u32 s11, s1, 0
	s_mov_b32 s41, 0
	s_waitcnt lgkmcnt(0)
	s_cmp_lt_i32 s5, 2
	s_cbranch_scc1 .LBB65_10
; %bb.8:
	s_add_i32 s40, s5, -1
	s_add_i32 s5, s5, 1
	s_lshl_b64 s[14:15], s[40:41], 2
	s_delay_alu instid0(SALU_CYCLE_1)
	s_add_u32 s10, s14, s10
	s_addc_u32 s11, s15, s11
	s_add_u32 s10, s10, 8
	s_addc_u32 s11, s11, 0
	s_set_inst_prefetch_distance 0x1
	.p2align	6
.LBB65_9:                               ; =>This Inner Loop Header: Depth=1
	s_clause 0x1
	s_load_b32 s14, s[10:11], 0x0
	s_load_b32 s15, s[10:11], 0x64
	s_mov_b32 s18, s48
	s_waitcnt lgkmcnt(0)
	v_cvt_f32_u32_e32 v1, s14
	s_sub_i32 s17, 0, s14
	s_waitcnt_depctr 0xfff
	v_rcp_iflag_f32_e32 v1, v1
	s_waitcnt_depctr 0xfff
	v_mul_f32_e32 v1, 0x4f7ffffe, v1
	s_delay_alu instid0(VALU_DEP_1) | instskip(NEXT) | instid1(VALU_DEP_1)
	v_cvt_u32_f32_e32 v1, v1
	v_readfirstlane_b32 s16, v1
	s_delay_alu instid0(VALU_DEP_1) | instskip(NEXT) | instid1(SALU_CYCLE_1)
	s_mul_i32 s17, s17, s16
	s_mul_hi_u32 s17, s16, s17
	s_delay_alu instid0(SALU_CYCLE_1) | instskip(NEXT) | instid1(SALU_CYCLE_1)
	s_add_i32 s16, s16, s17
	s_mul_hi_u32 s16, s48, s16
	s_delay_alu instid0(SALU_CYCLE_1) | instskip(SKIP_2) | instid1(SALU_CYCLE_1)
	s_mul_i32 s17, s16, s14
	s_add_i32 s19, s16, 1
	s_sub_i32 s17, s48, s17
	s_sub_i32 s20, s17, s14
	s_cmp_ge_u32 s17, s14
	s_cselect_b32 s16, s19, s16
	s_cselect_b32 s17, s20, s17
	s_add_i32 s19, s16, 1
	s_cmp_ge_u32 s17, s14
	s_cselect_b32 s48, s19, s16
	s_add_i32 s5, s5, -1
	s_mul_i32 s14, s48, s14
	s_delay_alu instid0(SALU_CYCLE_1) | instskip(NEXT) | instid1(SALU_CYCLE_1)
	s_sub_i32 s14, s18, s14
	s_mul_i32 s14, s15, s14
	s_delay_alu instid0(SALU_CYCLE_1)
	s_add_i32 s41, s14, s41
	s_add_u32 s10, s10, -4
	s_addc_u32 s11, s11, -1
	s_cmp_gt_u32 s5, 2
	s_cbranch_scc1 .LBB65_9
.LBB65_10:
	s_set_inst_prefetch_distance 0x2
	s_clause 0x3
	s_load_b32 s50, s[8:9], 0x6c
	s_load_b64 s[8:9], s[0:1], 0x0
	s_load_b64 s[44:45], s[0:1], 0xf0
	;; [unrolled: 1-line block ×3, first 2 shown]
	v_cmp_eq_u32_e64 s5, 0, v0
	s_mov_b32 s47, 0
	s_delay_alu instid0(VALU_DEP_1)
	s_and_saveexec_b32 s10, s5
	s_cbranch_execz .LBB65_12
; %bb.11:
	v_dual_mov_b32 v1, 0 :: v_dual_mov_b32 v2, s36
	s_delay_alu instid0(VALU_DEP_1)
	v_mov_b32_e32 v3, v1
	ds_store_b96 v1, v[1:3] offset:4096
.LBB65_12:
	s_or_b32 exec_lo, exec_lo, s10
	s_waitcnt lgkmcnt(0)
	s_barrier
	buffer_gl0_inv
	s_load_b32 s14, s[6:7], 0xc
	s_mul_i32 s2, s12, s2
	v_mbcnt_lo_u32_b32 v15, -1, 0
	s_add_i32 s46, s2, s3
	v_cmp_gt_u32_e32 vcc_lo, 32, v0
	s_lshl_b64 s[10:11], s[46:47], 1
	v_mul_lo_u32 v7, v0, s30
	s_add_u32 s31, s8, s10
	s_addc_u32 s33, s9, s11
	s_bitcmp1_b32 s38, 0
	v_cmp_gt_i32_e64 s2, 4, v15
	s_cselect_b32 s3, -1, 0
	s_load_b32 s46, s[0:1], 0x23c
	s_xor_b32 s52, s3, -1
	v_lshlrev_b32_e32 v22, 2, v7
	s_and_b32 s51, vcc_lo, s2
	v_lshlrev_b32_e32 v24, 3, v0
	v_lshl_or_b32 v25, v15, 2, 0xc00
	v_mov_b32_e32 v26, 0
	s_mov_b32 s74, 14
	s_waitcnt lgkmcnt(0)
	s_and_b32 s34, s14, 0xffff
	s_bfe_u32 s2, s14, 0xb0005
	s_lshl_b32 s53, s34, 2
	s_cmpk_gt_u32 s36, 0x600
	v_cvt_f32_u32_e32 v1, s53
	s_cselect_b32 s54, -1, 0
	s_cmp_gt_u32 s34, 31
	v_cvt_f32_u32_e32 v2, s34
	s_cselect_b32 s55, -1, 0
	v_rcp_iflag_f32_e32 v1, v1
	s_add_i32 s56, s34, -1
	v_lshlrev_b32_e32 v16, 2, v0
	s_add_i32 s9, s56, s36
	s_cmp_lt_u32 s13, s4
	v_rcp_iflag_f32_e32 v2, v2
	s_cselect_b32 s4, 12, 18
	v_mov_b32_e32 v9, 0
	s_add_u32 s38, s6, s4
	s_addc_u32 s39, s7, 0
	s_waitcnt_depctr 0xfff
	v_mul_f32_e32 v1, 0x4f7ffffe, v1
	s_add_i32 s4, s2, -1
	s_bfe_u32 s57, s34, 0x30005
	s_cmp_gt_u32 s4, 6
	v_mad_u64_u32 v[12:13], null, s30, v16, s[30:31]
	v_mul_f32_e32 v2, 0x4f7ffffe, v2
	v_cvt_u32_f32_e32 v1, v1
	s_cselect_b32 s58, -1, 0
	s_and_b32 s59, s2, 0x7f8
	s_cmp_lg_u32 s57, 0
	v_cvt_u32_f32_e32 v2, v2
	v_readfirstlane_b32 s2, v1
	s_cselect_b32 s60, -1, 0
	s_sub_i32 s6, 0, s53
	v_lshrrev_b32_e32 v1, 3, v0
	v_dual_mov_b32 v8, v9 :: v_dual_lshlrev_b32 v17, 1, v0
	s_mul_i32 s6, s6, s2
	v_cmp_gt_u32_e64 s4, s36, v0
	s_mul_hi_u32 s7, s2, s6
	v_dual_mov_b32 v29, s37 :: v_dual_and_b32 v18, 0x7c, v1
	s_add_i32 s61, s2, s7
	v_cmp_gt_u32_e64 s6, 2, v0
	s_mul_hi_u32 s2, s36, s61
	v_dual_mov_b32 v28, 0 :: v_dual_add_nc_u32 v19, 0xc00, v17
	s_mul_i32 s7, s2, s53
	v_cmp_eq_u32_e64 s2, 0, v15
	s_sub_i32 s7, s36, s7
	s_mul_i32 s40, s30, s34
	s_sub_i32 s8, s7, s53
	s_cmp_ge_u32 s7, s53
	s_mov_b32 s69, 0
	s_cselect_b32 s7, s8, s7
	v_readfirstlane_b32 s8, v2
	s_sub_i32 s10, s7, s53
	s_cmp_ge_u32 s7, s53
	v_lshlrev_b64 v[1:2], v15, -1
	s_cselect_b32 s10, s10, s7
	v_lshlrev_b64 v[2:3], 1, v[7:8]
	s_sub_i32 s62, s36, s10
	s_delay_alu instid0(SALU_CYCLE_1)
	v_dual_mov_b32 v27, 0 :: v_dual_add_nc_u32 v20, s62, v0
	s_sub_i32 s7, 0, s34
	v_not_b32_e32 v14, v1
	s_mul_i32 s7, s7, s8
	v_add_co_u32 v5, vcc_lo, s31, v2
	v_mul_lo_u32 v8, v20, s30
	s_mul_hi_u32 s7, s8, s7
	v_add_co_ci_u32_e32 v6, vcc_lo, s33, v3, vcc_lo
	s_add_i32 s63, s8, s7
	v_or_b32_e32 v3, 3, v16
	s_mul_hi_u32 s7, s9, s63
                                        ; implicit-def: $sgpr68
                                        ; implicit-def: $sgpr72
                                        ; implicit-def: $sgpr71
                                        ; implicit-def: $sgpr73
                                        ; implicit-def: $sgpr70
                                        ; implicit-def: $sgpr75
                                        ; implicit-def: $sgpr77
                                        ; implicit-def: $sgpr76
                                        ; implicit-def: $sgpr78
                                        ; implicit-def: $sgpr79
	s_delay_alu instid0(VALU_DEP_3) | instskip(SKIP_1) | instid1(VALU_DEP_2)
	v_lshlrev_b64 v[1:2], 1, v[8:9]
	s_mul_i32 s7, s7, s34
	v_mul_lo_u32 v21, s30, v3
	s_sub_i32 s7, s9, s7
	s_delay_alu instid0(SALU_CYCLE_1) | instskip(NEXT) | instid1(VALU_DEP_2)
	s_sub_i32 s8, s7, s34
	v_add_co_u32 v10, vcc_lo, s31, v1
	v_add3_u32 v1, s34, s36, v0
	s_cmp_ge_u32 s7, s34
	v_add_co_ci_u32_e32 v11, vcc_lo, s33, v2, vcc_lo
	s_cselect_b32 s8, s8, s7
	v_or_b32_e32 v2, 2, v16
	v_subrev_nc_u32_e32 v1, s10, v1
	s_sub_i32 s11, s8, s34
	s_cmp_ge_u32 s8, s34
	v_cmp_gt_u32_e64 s7, s62, v16
	s_cselect_b32 s11, s11, s8
	v_mul_lo_u32 v13, s30, v2
	v_mul_lo_u32 v23, s30, v1
	s_sub_i32 s64, s9, s11
	v_cmp_gt_u32_e64 s8, s36, v20
	v_cmp_gt_u32_e64 s9, s64, v0
	s_lshl_b32 s65, s40, 2
	s_lshl_b32 s66, s34, 3
	;; [unrolled: 1-line block ×3, first 2 shown]
	s_branch .LBB65_15
.LBB65_13:                              ;   in Loop: Header=BB65_15 Depth=1
	s_or_b32 exec_lo, exec_lo, s13
	v_dual_mov_b32 v26, v2 :: v_dual_mov_b32 v27, v1
	v_dual_mov_b32 v29, v3 :: v_dual_mov_b32 v28, v30
	s_and_not1_b32 s13, s79, exec_lo
	s_and_b32 s12, s12, exec_lo
	s_and_not1_b32 s78, s78, exec_lo
	s_or_b32 s79, s13, s12
	s_and_not1_b32 s76, s76, exec_lo
	s_and_not1_b32 s77, s77, exec_lo
	;; [unrolled: 1-line block ×3, first 2 shown]
	s_or_not1_b32 s12, s11, exec_lo
.LBB65_14:                              ;   in Loop: Header=BB65_15 Depth=1
	s_or_b32 exec_lo, exec_lo, s10
	s_delay_alu instid0(SALU_CYCLE_1) | instskip(NEXT) | instid1(SALU_CYCLE_1)
	s_and_b32 s10, exec_lo, s12
	s_or_b32 s47, s10, s47
	s_and_not1_b32 s10, s70, exec_lo
	s_and_b32 s11, s79, exec_lo
	s_and_not1_b32 s12, s73, exec_lo
	s_or_b32 s70, s10, s11
	s_and_b32 s10, s78, exec_lo
	s_and_not1_b32 s11, s71, exec_lo
	s_and_b32 s13, s76, exec_lo
	s_or_b32 s73, s12, s10
	s_or_b32 s71, s11, s13
	s_and_not1_b32 s10, s72, exec_lo
	s_and_b32 s11, s77, exec_lo
	s_and_not1_b32 s12, s68, exec_lo
	s_and_b32 s13, s75, exec_lo
	s_or_b32 s72, s10, s11
	s_or_b32 s68, s12, s13
	s_and_not1_b32 exec_lo, exec_lo, s47
	s_cbranch_execz .LBB65_412
.LBB65_15:                              ; =>This Loop Header: Depth=1
                                        ;     Child Loop BB65_20 Depth 2
                                        ;     Child Loop BB65_35 Depth 2
	;; [unrolled: 1-line block ×24, first 2 shown]
	ds_load_b64 v[1:2], v9 offset:4096
	s_waitcnt lgkmcnt(0)
	v_readfirstlane_b32 s80, v1
	s_delay_alu instid0(VALU_DEP_1)
	s_cmp_lg_u32 s80, 0
	s_cbranch_scc1 .LBB65_42
; %bb.16:                               ;   in Loop: Header=BB65_15 Depth=1
	s_and_b32 vcc_lo, exec_lo, s54
	s_cbranch_vccz .LBB65_28
; %bb.17:                               ;   in Loop: Header=BB65_15 Depth=1
	v_cmp_gt_u32_e32 vcc_lo, 0x601, v2
	s_mov_b32 s80, 0
	s_mov_b32 s10, 0
	s_cbranch_vccz .LBB65_29
; %bb.18:                               ;   in Loop: Header=BB65_15 Depth=1
	global_load_u16 v1, v9, s[38:39]
	global_load_u16 v3, v[5:6], off
	v_mov_b32_e32 v4, v0
	s_mov_b32 s12, 0
	s_waitcnt vmcnt(1)
	v_add_nc_u32_e32 v2, v0, v1
	s_delay_alu instid0(VALU_DEP_1)
	v_mul_lo_u32 v8, s30, v2
	v_mul_lo_u32 v2, s30, v1
	s_branch .LBB65_20
.LBB65_19:                              ;   in Loop: Header=BB65_20 Depth=2
	s_or_b32 exec_lo, exec_lo, s11
	v_dual_mov_b32 v3, v30 :: v_dual_add_nc_u32 v8, v8, v2
	s_and_not1_b32 exec_lo, exec_lo, s12
	s_cbranch_execz .LBB65_93
.LBB65_20:                              ;   Parent Loop BB65_15 Depth=1
                                        ; =>  This Inner Loop Header: Depth=2
	s_waitcnt lgkmcnt(0)
	v_dual_mov_b32 v31, 0 :: v_dual_add_nc_u32 v4, v4, v1
	v_mov_b32_e32 v30, 0
	s_mov_b32 s11, exec_lo
	s_delay_alu instid0(VALU_DEP_2)
	v_cmp_le_u32_e32 vcc_lo, s36, v4
	v_cmpx_gt_u32_e64 s36, v4
	s_cbranch_execz .LBB65_22
; %bb.21:                               ;   in Loop: Header=BB65_20 Depth=2
	v_lshlrev_b64 v[32:33], 1, v[8:9]
	s_delay_alu instid0(VALU_DEP_1) | instskip(NEXT) | instid1(VALU_DEP_1)
	v_add_co_u32 v32, s10, s31, v32
	v_add_co_ci_u32_e64 v33, s10, s33, v33, s10
	global_load_u16 v30, v[32:33], off
.LBB65_22:                              ;   in Loop: Header=BB65_20 Depth=2
	s_or_b32 exec_lo, exec_lo, s11
	s_waitcnt vmcnt(0)
	v_bfe_i32 v32, v3, 0, 16
	s_delay_alu instid0(VALU_DEP_1) | instskip(NEXT) | instid1(VALU_DEP_1)
	v_add_nc_u32_e32 v32, 0x8000, v32
	v_and_b32_e32 v32, v32, v26
	s_delay_alu instid0(VALU_DEP_1) | instskip(NEXT) | instid1(VALU_DEP_1)
	v_cmp_eq_u32_e64 s10, v32, v27
	s_cmp_lg_u32 s10, 0
	s_cselect_b32 s11, -1, 0
	s_delay_alu instid0(SALU_CYCLE_1) | instskip(NEXT) | instid1(SALU_CYCLE_1)
	s_and_b32 s11, s2, s11
	s_and_saveexec_b32 s13, s11
	s_cbranch_execz .LBB65_26
; %bb.23:                               ;   in Loop: Header=BB65_20 Depth=2
	s_mov_b32 s16, exec_lo
	s_bcnt1_i32_b32 s14, s10
	v_mbcnt_lo_u32_b32 v31, s16, 0
	s_mov_b32 s15, exec_lo
                                        ; implicit-def: $vgpr32
	s_delay_alu instid0(VALU_DEP_1)
	v_cmpx_eq_u32_e32 0, v31
	s_cbranch_execz .LBB65_25
; %bb.24:                               ;   in Loop: Header=BB65_20 Depth=2
	s_bcnt1_i32_b32 s11, s16
	s_delay_alu instid0(SALU_CYCLE_1) | instskip(NEXT) | instid1(SALU_CYCLE_1)
	s_mul_i32 s11, s14, s11
	v_mov_b32_e32 v32, s11
	ds_add_rtn_u32 v32, v9, v32 offset:4104
.LBB65_25:                              ;   in Loop: Header=BB65_20 Depth=2
	s_or_b32 exec_lo, exec_lo, s15
	s_waitcnt lgkmcnt(0)
	v_readfirstlane_b32 s11, v32
	s_delay_alu instid0(VALU_DEP_1)
	v_mad_u32_u24 v31, s14, v31, s11
.LBB65_26:                              ;   in Loop: Header=BB65_20 Depth=2
	s_or_b32 exec_lo, exec_lo, s13
	ds_bpermute_b32 v31, v9, v31
	s_and_b32 s11, exec_lo, vcc_lo
	s_delay_alu instid0(SALU_CYCLE_1)
	s_or_b32 s12, s11, s12
	s_and_saveexec_b32 s11, s10
	s_cbranch_execz .LBB65_19
; %bb.27:                               ;   in Loop: Header=BB65_20 Depth=2
	v_and_b32_e32 v32, s10, v14
	s_delay_alu instid0(VALU_DEP_1) | instskip(NEXT) | instid1(VALU_DEP_1)
	v_bcnt_u32_b32 v32, v32, 0
	v_lshlrev_b32_e32 v32, 1, v32
	s_waitcnt lgkmcnt(0)
	s_delay_alu instid0(VALU_DEP_1)
	v_lshl_add_u32 v31, v31, 1, v32
	ds_store_b16 v31, v3
	s_branch .LBB65_19
.LBB65_28:                              ;   in Loop: Header=BB65_15 Depth=1
	s_mov_b32 s80, -1
	s_mov_b32 s10, 0
.LBB65_29:                              ;   in Loop: Header=BB65_15 Depth=1
	s_and_b32 vcc_lo, exec_lo, s80
	s_cbranch_vccz .LBB65_40
.LBB65_30:                              ;   in Loop: Header=BB65_15 Depth=1
	v_mov_b32_e32 v1, 0
	s_and_saveexec_b32 s10, s4
	s_cbranch_execz .LBB65_32
; %bb.31:                               ;   in Loop: Header=BB65_15 Depth=1
	global_load_u16 v1, v[5:6], off
.LBB65_32:                              ;   in Loop: Header=BB65_15 Depth=1
	s_or_b32 exec_lo, exec_lo, s10
	s_and_saveexec_b32 s11, s4
	s_cbranch_execz .LBB65_37
; %bb.33:                               ;   in Loop: Header=BB65_15 Depth=1
	global_load_u16 v2, v9, s[38:39]
	s_mov_b32 s12, 0
	v_dual_mov_b32 v30, v17 :: v_dual_mov_b32 v31, v0
	s_waitcnt vmcnt(0)
	v_add_nc_u32_e32 v3, v0, v2
	v_lshlrev_b32_e32 v4, 1, v2
	s_delay_alu instid0(VALU_DEP_2)
	v_mul_lo_u32 v8, s30, v3
	v_mul_lo_u32 v3, s30, v2
	s_set_inst_prefetch_distance 0x1
	s_branch .LBB65_35
	.p2align	6
.LBB65_34:                              ;   in Loop: Header=BB65_35 Depth=2
	s_or_b32 exec_lo, exec_lo, s13
	ds_store_b16 v30, v1
	s_waitcnt vmcnt(0)
	v_dual_mov_b32 v1, v32 :: v_dual_add_nc_u32 v30, v30, v4
	v_add_nc_u32_e32 v8, v8, v3
	s_and_b32 s10, exec_lo, vcc_lo
	s_delay_alu instid0(SALU_CYCLE_1) | instskip(NEXT) | instid1(SALU_CYCLE_1)
	s_or_b32 s12, s10, s12
	s_and_not1_b32 exec_lo, exec_lo, s12
	s_cbranch_execz .LBB65_37
.LBB65_35:                              ;   Parent Loop BB65_15 Depth=1
                                        ; =>  This Inner Loop Header: Depth=2
	v_dual_mov_b32 v32, 0 :: v_dual_add_nc_u32 v31, v31, v2
	s_mov_b32 s13, exec_lo
	s_delay_alu instid0(VALU_DEP_1)
	v_cmp_le_u32_e32 vcc_lo, s36, v31
	v_cmpx_gt_u32_e64 s36, v31
	s_cbranch_execz .LBB65_34
; %bb.36:                               ;   in Loop: Header=BB65_35 Depth=2
	v_lshlrev_b64 v[32:33], 1, v[8:9]
	s_delay_alu instid0(VALU_DEP_1) | instskip(NEXT) | instid1(VALU_DEP_1)
	v_add_co_u32 v32, s10, s31, v32
	v_add_co_ci_u32_e64 v33, s10, s33, v33, s10
	global_load_u16 v32, v[32:33], off
	s_branch .LBB65_34
.LBB65_37:                              ;   in Loop: Header=BB65_15 Depth=1
	s_set_inst_prefetch_distance 0x2
	s_or_b32 exec_lo, exec_lo, s11
	s_waitcnt vmcnt(0) lgkmcnt(0)
	s_barrier
	buffer_gl0_inv
	s_and_saveexec_b32 s10, s5
	s_cbranch_execz .LBB65_39
; %bb.38:                               ;   in Loop: Header=BB65_15 Depth=1
	v_mov_b32_e32 v1, s36
	ds_store_b32 v9, v1 offset:4096
.LBB65_39:                              ;   in Loop: Header=BB65_15 Depth=1
	s_or_b32 exec_lo, exec_lo, s10
	s_mov_b32 s10, -1
	s_waitcnt lgkmcnt(0)
	s_barrier
                                        ; implicit-def: $sgpr80
.LBB65_40:                              ;   in Loop: Header=BB65_15 Depth=1
	s_and_b32 vcc_lo, exec_lo, s10
	s_cbranch_vccz .LBB65_42
; %bb.41:                               ;   in Loop: Header=BB65_15 Depth=1
	buffer_gl0_inv
	ds_load_b32 v1, v9 offset:4096
	s_waitcnt lgkmcnt(0)
	v_readfirstlane_b32 s80, v1
.LBB65_42:                              ;   in Loop: Header=BB65_15 Depth=1
	s_delay_alu instid0(VALU_DEP_1)
	s_cmp_lt_i32 s80, 1
	s_cbranch_scc0 .LBB65_46
; %bb.43:                               ;   in Loop: Header=BB65_15 Depth=1
	v_dual_mov_b32 v1, 0 :: v_dual_mov_b32 v2, 0
	v_dual_mov_b32 v3, 0 :: v_dual_mov_b32 v4, 0
	s_mov_b32 s22, 0
	s_and_saveexec_b32 s21, s7
	s_cbranch_execnz .LBB65_47
; %bb.44:                               ;   in Loop: Header=BB65_15 Depth=1
	s_or_b32 exec_lo, exec_lo, s21
	v_mov_b32_e32 v31, 0
	s_and_saveexec_b32 s10, s8
	s_cbranch_execnz .LBB65_50
.LBB65_45:                              ;   in Loop: Header=BB65_15 Depth=1
	s_or_b32 exec_lo, exec_lo, s10
	s_and_saveexec_b32 s14, s8
	s_cbranch_execnz .LBB65_51
	s_branch .LBB65_56
.LBB65_46:                              ;   in Loop: Header=BB65_15 Depth=1
                                        ; implicit-def: $vgpr4
	s_cbranch_execnz .LBB65_57
	s_branch .LBB65_66
.LBB65_47:                              ;   in Loop: Header=BB65_15 Depth=1
	v_mov_b32_e32 v30, v16
	s_and_b32 s23, s74, 0xfe
	s_mov_b32 s24, 0
	s_mov_b32 s25, 0
	;; [unrolled: 1-line block ×5, first 2 shown]
.LBB65_48:                              ;   Parent Loop BB65_15 Depth=1
                                        ; =>  This Inner Loop Header: Depth=2
	v_add_nc_u32_e32 v8, s24, v22
	v_add_nc_u32_e32 v30, s53, v30
	s_delay_alu instid0(VALU_DEP_2) | instskip(SKIP_1) | instid1(VALU_DEP_1)
	v_lshlrev_b64 v[1:2], 1, v[8:9]
	v_add_nc_u32_e32 v8, s24, v12
	v_lshlrev_b64 v[3:4], 1, v[8:9]
	v_add_nc_u32_e32 v8, s24, v13
	s_delay_alu instid0(VALU_DEP_4) | instskip(SKIP_1) | instid1(VALU_DEP_3)
	v_add_co_u32 v1, vcc_lo, s31, v1
	v_add_co_ci_u32_e32 v2, vcc_lo, s33, v2, vcc_lo
	v_lshlrev_b64 v[31:32], 1, v[8:9]
	v_add_nc_u32_e32 v8, s24, v21
	s_add_i32 s24, s24, s65
	global_load_i16 v33, v[1:2], off
	v_add_co_u32 v1, vcc_lo, s31, v3
	v_add_co_ci_u32_e32 v2, vcc_lo, s33, v4, vcc_lo
	v_add_co_u32 v31, vcc_lo, s31, v31
	v_add_co_ci_u32_e32 v32, vcc_lo, s33, v32, vcc_lo
	v_lshlrev_b64 v[3:4], 1, v[8:9]
	s_clause 0x1
	global_load_i16 v8, v[1:2], off
	global_load_i16 v31, v[31:32], off
	v_add_co_u32 v1, vcc_lo, s31, v3
	v_add_co_ci_u32_e32 v2, vcc_lo, s33, v4, vcc_lo
	v_cmp_le_u32_e32 vcc_lo, s62, v30
	global_load_i16 v1, v[1:2], off
	s_waitcnt vmcnt(3)
	v_add_nc_u32_e32 v2, 0x8000, v33
	s_delay_alu instid0(VALU_DEP_1) | instskip(SKIP_3) | instid1(VALU_DEP_3)
	v_and_b32_e32 v3, v2, v26
	v_bfe_u32 v2, v2, s23, 2
	s_waitcnt vmcnt(2)
	v_add_nc_u32_e32 v4, 0x8000, v8
	v_cmp_eq_u32_e64 s10, v3, v27
	s_delay_alu instid0(VALU_DEP_3)
	v_cmp_eq_u32_e64 s11, 0, v2
	s_waitcnt vmcnt(1)
	v_add_nc_u32_e32 v8, 0x8000, v31
	v_cmp_eq_u32_e64 s12, 1, v2
	v_and_b32_e32 v3, v4, v26
	v_bfe_u32 v4, v4, s23, 2
	v_cmp_eq_u32_e64 s13, 2, v2
	s_and_b32 s11, s10, s11
	v_cmp_eq_u32_e64 s14, 3, v2
	v_cmp_eq_u32_e64 s15, v3, v27
	v_and_b32_e32 v2, v8, v26
	v_bfe_u32 v3, v8, s23, 2
	v_cmp_eq_u32_e64 s16, 0, v4
	v_cndmask_b32_e64 v8, 0, 1, s11
	v_cmp_eq_u32_e64 s11, 1, v4
	s_and_b32 s12, s10, s12
	s_and_b32 s13, s10, s13
	v_cndmask_b32_e64 v31, 0, 1, s12
	v_cmp_eq_u32_e64 s12, 2, v4
	s_waitcnt vmcnt(0)
	v_add_nc_u32_e32 v1, 0x8000, v1
	v_cndmask_b32_e64 v32, 0, 1, s13
	s_and_b32 s10, s10, s14
	s_and_b32 s16, s15, s16
	;; [unrolled: 1-line block ×3, first 2 shown]
	v_cmp_eq_u32_e64 s13, 3, v4
	v_cndmask_b32_e64 v4, 0, 1, s10
	v_cmp_eq_u32_e64 s10, v2, v27
	v_cmp_eq_u32_e64 s14, 0, v3
	v_cmp_ne_u32_e64 s17, 0, v8
	v_cndmask_b32_e64 v8, 0, 1, s16
	v_cmp_eq_u32_e64 s16, 1, v3
	v_cmp_ne_u32_e64 s18, 0, v31
	v_cndmask_b32_e64 v31, 0, 1, s11
	v_cmp_eq_u32_e64 s11, 2, v3
	s_and_b32 s12, s15, s12
	v_and_b32_e32 v2, v1, v26
	v_bfe_u32 v1, v1, s23, 2
	v_cmp_ne_u32_e64 s19, 0, v32
	v_cndmask_b32_e64 v32, 0, 1, s12
	v_cmp_eq_u32_e64 s12, 3, v3
	s_and_b32 s13, s15, s13
	s_and_b32 s14, s10, s14
	;; [unrolled: 1-line block ×4, first 2 shown]
	v_cmp_ne_u32_e64 s20, 0, v4
	v_cndmask_b32_e64 v3, 0, 1, s13
	v_cmp_eq_u32_e64 s13, v2, v27
	v_cmp_eq_u32_e64 s15, 0, v1
	s_bcnt1_i32_b32 s29, s17
	v_cmp_ne_u32_e64 s17, 0, v8
	v_cndmask_b32_e64 v2, 0, 1, s14
	v_cmp_eq_u32_e64 s14, 1, v1
	v_cndmask_b32_e64 v4, 0, 1, s16
	v_cmp_eq_u32_e64 s16, 2, v1
	;; [unrolled: 2-line block ×3, first 2 shown]
	s_and_b32 s10, s10, s12
	s_bcnt1_i32_b32 s83, s20
	v_cndmask_b32_e64 v1, 0, 1, s10
	v_cmp_ne_u32_e64 s20, 0, v3
	s_and_b32 s12, s13, s15
	s_and_b32 s14, s13, s14
	;; [unrolled: 1-line block ×4, first 2 shown]
	v_cmp_ne_u32_e64 s10, 0, v2
	v_cndmask_b32_e64 v2, 0, 1, s12
	v_cmp_ne_u32_e64 s12, 0, v4
	v_cndmask_b32_e64 v3, 0, 1, s14
	v_cndmask_b32_e64 v4, 0, 1, s15
	v_cmp_ne_u32_e64 s15, 0, v1
	v_cndmask_b32_e64 v1, 0, 1, s11
	s_bcnt1_i32_b32 s81, s18
	v_cmp_ne_u32_e64 s18, 0, v31
	s_bcnt1_i32_b32 s82, s19
	v_cmp_ne_u32_e64 s19, 0, v32
	s_add_i32 s25, s83, s25
	v_cmp_ne_u32_e64 s14, 0, v8
	s_bcnt1_i32_b32 s16, s20
	s_bcnt1_i32_b32 s20, s10
	s_add_i32 s16, s25, s16
	v_cmp_ne_u32_e64 s10, 0, v2
	s_bcnt1_i32_b32 s25, s12
	v_cmp_ne_u32_e64 s11, 0, v3
	v_cmp_ne_u32_e64 s12, 0, v4
	;; [unrolled: 1-line block ×3, first 2 shown]
	s_add_i32 s28, s29, s28
	s_add_i32 s27, s81, s27
	;; [unrolled: 1-line block ×3, first 2 shown]
	s_bcnt1_i32_b32 s17, s17
	s_bcnt1_i32_b32 s18, s18
	;; [unrolled: 1-line block ×3, first 2 shown]
	s_add_i32 s17, s28, s17
	s_add_i32 s18, s27, s18
	;; [unrolled: 1-line block ×3, first 2 shown]
	s_bcnt1_i32_b32 s14, s14
	s_bcnt1_i32_b32 s15, s15
	s_add_i32 s17, s17, s20
	s_add_i32 s18, s18, s25
	;; [unrolled: 1-line block ×4, first 2 shown]
	s_bcnt1_i32_b32 s10, s10
	s_bcnt1_i32_b32 s11, s11
	;; [unrolled: 1-line block ×4, first 2 shown]
	s_add_i32 s28, s17, s10
	s_add_i32 s27, s18, s11
	s_add_i32 s26, s14, s12
	s_add_i32 s25, s15, s13
	s_delay_alu instid0(SALU_CYCLE_1) | instskip(SKIP_2) | instid1(SALU_CYCLE_1)
	v_dual_mov_b32 v1, s28 :: v_dual_mov_b32 v4, s25
	v_dual_mov_b32 v2, s27 :: v_dual_mov_b32 v3, s26
	s_or_b32 s22, vcc_lo, s22
	s_and_not1_b32 exec_lo, exec_lo, s22
	s_cbranch_execnz .LBB65_48
; %bb.49:                               ;   in Loop: Header=BB65_15 Depth=1
	s_or_b32 exec_lo, exec_lo, s22
	s_delay_alu instid0(SALU_CYCLE_1)
	s_or_b32 exec_lo, exec_lo, s21
	v_mov_b32_e32 v31, 0
	s_and_saveexec_b32 s10, s8
	s_cbranch_execz .LBB65_45
.LBB65_50:                              ;   in Loop: Header=BB65_15 Depth=1
	global_load_u16 v31, v[10:11], off
	s_or_b32 exec_lo, exec_lo, s10
	s_and_saveexec_b32 s14, s8
	s_cbranch_execz .LBB65_56
.LBB65_51:                              ;   in Loop: Header=BB65_15 Depth=1
	v_mov_b32_e32 v8, v23
	v_mov_b32_e32 v30, v20
	s_and_b32 s16, s74, 0xfe
	s_mov_b32 s15, 0
	s_branch .LBB65_53
.LBB65_52:                              ;   in Loop: Header=BB65_53 Depth=2
	s_or_b32 exec_lo, exec_lo, s11
	s_waitcnt vmcnt(0)
	v_bfe_i32 v31, v31, 0, 16
	s_and_b32 s11, exec_lo, vcc_lo
	v_add_nc_u32_e32 v8, s40, v8
	s_or_b32 s15, s11, s15
	s_delay_alu instid0(VALU_DEP_2) | instskip(NEXT) | instid1(VALU_DEP_1)
	v_add_nc_u32_e32 v31, 0x8000, v31
	v_and_b32_e32 v33, v31, v26
	v_bfe_u32 v31, v31, s16, 2
	s_delay_alu instid0(VALU_DEP_2) | instskip(NEXT) | instid1(VALU_DEP_2)
	v_cmp_eq_u32_e32 vcc_lo, v33, v27
	v_cmp_eq_u32_e64 s10, 0, v31
	v_cmp_eq_u32_e64 s11, 1, v31
	;; [unrolled: 1-line block ×4, first 2 shown]
	s_delay_alu instid0(VALU_DEP_4) | instskip(NEXT) | instid1(SALU_CYCLE_1)
	s_and_b32 s10, vcc_lo, s10
	v_cndmask_b32_e64 v31, 0, 1, s10
	s_and_b32 s10, vcc_lo, s11
	s_delay_alu instid0(SALU_CYCLE_1) | instskip(SKIP_1) | instid1(SALU_CYCLE_1)
	v_cndmask_b32_e64 v33, 0, 1, s10
	s_and_b32 s10, vcc_lo, s12
	v_cndmask_b32_e64 v34, 0, 1, s10
	s_and_b32 s10, vcc_lo, s13
	v_cmp_ne_u32_e32 vcc_lo, 0, v31
	v_mov_b32_e32 v31, v32
	v_cndmask_b32_e64 v35, 0, 1, s10
	v_cmp_ne_u32_e64 s10, 0, v33
	v_cmp_ne_u32_e64 s11, 0, v34
	s_bcnt1_i32_b32 s13, vcc_lo
	s_delay_alu instid0(VALU_DEP_3) | instskip(NEXT) | instid1(VALU_DEP_3)
	v_cmp_ne_u32_e64 s12, 0, v35
	s_bcnt1_i32_b32 s10, s10
	s_delay_alu instid0(VALU_DEP_2)
	s_bcnt1_i32_b32 s11, s11
	v_add_nc_u32_e32 v1, s13, v1
	v_add_nc_u32_e32 v2, s10, v2
	s_bcnt1_i32_b32 s12, s12
	v_add_nc_u32_e32 v3, s11, v3
	v_add_nc_u32_e32 v4, s12, v4
	s_and_not1_b32 exec_lo, exec_lo, s15
	s_cbranch_execz .LBB65_55
.LBB65_53:                              ;   Parent Loop BB65_15 Depth=1
                                        ; =>  This Inner Loop Header: Depth=2
	s_delay_alu instid0(VALU_DEP_1) | instskip(SKIP_2) | instid1(VALU_DEP_2)
	v_add_nc_u32_e32 v30, s34, v30
	v_mov_b32_e32 v32, 0
	s_mov_b32 s11, exec_lo
	v_cmp_le_u32_e32 vcc_lo, s36, v30
	v_cmpx_gt_u32_e64 s36, v30
	s_cbranch_execz .LBB65_52
; %bb.54:                               ;   in Loop: Header=BB65_53 Depth=2
	v_lshlrev_b64 v[32:33], 1, v[8:9]
	s_delay_alu instid0(VALU_DEP_1) | instskip(NEXT) | instid1(VALU_DEP_1)
	v_add_co_u32 v32, s10, s31, v32
	v_add_co_ci_u32_e64 v33, s10, s33, v33, s10
	global_load_u16 v32, v[32:33], off
	s_branch .LBB65_52
.LBB65_55:                              ;   in Loop: Header=BB65_15 Depth=1
	s_or_b32 exec_lo, exec_lo, s15
.LBB65_56:                              ;   in Loop: Header=BB65_15 Depth=1
	s_delay_alu instid0(SALU_CYCLE_1)
	s_or_b32 exec_lo, exec_lo, s14
	s_branch .LBB65_66
.LBB65_57:                              ;   in Loop: Header=BB65_15 Depth=1
	s_mul_hi_u32 s10, s80, s61
	v_dual_mov_b32 v1, 0 :: v_dual_mov_b32 v2, 0
	s_mul_i32 s10, s10, s53
	v_dual_mov_b32 v3, 0 :: v_dual_mov_b32 v4, 0
	s_sub_i32 s10, s80, s10
	s_mov_b32 s83, 0
	s_sub_i32 s11, s10, s53
	s_cmp_ge_u32 s10, s53
	s_mov_b32 s82, exec_lo
	s_cselect_b32 s10, s11, s10
	s_delay_alu instid0(SALU_CYCLE_1) | instskip(SKIP_2) | instid1(SALU_CYCLE_1)
	s_sub_i32 s11, s10, s53
	s_cmp_ge_u32 s10, s53
	s_cselect_b32 s10, s11, s10
	s_sub_i32 s81, s80, s10
	s_delay_alu instid0(SALU_CYCLE_1)
	v_cmpx_gt_u32_e64 s81, v16
	s_cbranch_execz .LBB65_61
; %bb.58:                               ;   in Loop: Header=BB65_15 Depth=1
	v_mov_b32_e32 v8, v24
	v_mov_b32_e32 v30, v16
	s_and_b32 s84, s74, 0xfe
	s_mov_b32 s85, 0
	s_mov_b32 s86, 0
	;; [unrolled: 1-line block ×4, first 2 shown]
.LBB65_59:                              ;   Parent Loop BB65_15 Depth=1
                                        ; =>  This Inner Loop Header: Depth=2
	ds_load_b64 v[1:2], v8
	s_waitcnt lgkmcnt(0)
	v_bfe_i32 v3, v1, 0, 16
	v_ashrrev_i32_e32 v1, 16, v1
	v_bfe_i32 v4, v2, 0, 16
	v_ashrrev_i32_e32 v2, 16, v2
	s_delay_alu instid0(VALU_DEP_4) | instskip(NEXT) | instid1(VALU_DEP_4)
	v_add_nc_u32_e32 v3, 0x8000, v3
	v_add_nc_u32_e32 v1, 0x8000, v1
	s_delay_alu instid0(VALU_DEP_4) | instskip(NEXT) | instid1(VALU_DEP_4)
	v_add_nc_u32_e32 v4, 0x8000, v4
	v_add_nc_u32_e32 v2, 0x8000, v2
	s_waitcnt vmcnt(0)
	v_and_b32_e32 v31, v3, v26
	v_bfe_u32 v3, v3, s84, 2
	v_and_b32_e32 v32, v1, v26
	v_bfe_u32 v1, v1, s84, 2
	v_and_b32_e32 v33, v4, v26
	v_bfe_u32 v4, v4, s84, 2
	v_cmp_eq_u32_e64 s10, v31, v27
	v_cmp_eq_u32_e64 s14, 0, v3
	v_and_b32_e32 v34, v2, v26
	v_bfe_u32 v2, v2, s84, 2
	v_cmp_eq_u32_e64 s11, v32, v27
	v_cmp_eq_u32_e64 s15, 0, v1
	;; [unrolled: 1-line block ×4, first 2 shown]
	s_and_b32 s14, s10, s14
	v_cmp_eq_u32_e64 s13, v34, v27
	v_cmp_eq_u32_e64 s17, 0, v2
	;; [unrolled: 1-line block ×5, first 2 shown]
	v_cndmask_b32_e64 v1, 0, 1, s14
	s_and_b32 s14, s11, s15
	v_cmp_eq_u32_e64 s18, 1, v3
	v_cmp_eq_u32_e64 s21, 1, v2
	;; [unrolled: 1-line block ×4, first 2 shown]
	v_cndmask_b32_e64 v2, 0, 1, s14
	s_and_b32 s14, s12, s16
	v_cmp_eq_u32_e64 s22, 2, v3
	v_cmp_eq_u32_e64 s26, 3, v3
	v_cndmask_b32_e64 v3, 0, 1, s14
	s_and_b32 s14, s13, s17
	v_cmp_eq_u32_e64 s20, 1, v4
	v_cmp_eq_u32_e64 s24, 2, v4
	;; [unrolled: 1-line block ×3, first 2 shown]
	v_cndmask_b32_e64 v4, 0, 1, s14
	s_and_b32 s14, s10, s18
	s_delay_alu instid0(SALU_CYCLE_1) | instskip(SKIP_1) | instid1(SALU_CYCLE_1)
	v_cndmask_b32_e64 v31, 0, 1, s14
	s_and_b32 s14, s11, s19
	v_cndmask_b32_e64 v32, 0, 1, s14
	s_and_b32 s14, s12, s20
	s_delay_alu instid0(SALU_CYCLE_1) | instskip(SKIP_1) | instid1(VALU_DEP_2)
	v_cndmask_b32_e64 v33, 0, 1, s14
	s_and_b32 s14, s13, s21
	v_cmp_ne_u32_e64 s15, 0, v32
	v_cndmask_b32_e64 v34, 0, 1, s14
	s_and_b32 s14, s10, s22
	s_and_b32 s10, s10, s26
	v_cndmask_b32_e64 v35, 0, 1, s14
	v_cndmask_b32_e64 v39, 0, 1, s10
	s_and_b32 s10, s11, s27
	s_and_b32 s14, s11, s23
	v_cndmask_b32_e64 v40, 0, 1, s10
	s_and_b32 s10, s12, s28
	v_cndmask_b32_e64 v36, 0, 1, s14
	v_cndmask_b32_e64 v41, 0, 1, s10
	s_and_b32 s10, s13, s29
	s_and_b32 s14, s12, s24
	v_cndmask_b32_e64 v42, 0, 1, s10
	v_cmp_ne_u32_e64 s10, 0, v1
	v_cmp_ne_u32_e64 s11, 0, v2
	v_cndmask_b32_e64 v37, 0, 1, s14
	s_and_b32 s14, s13, s25
	v_cmp_ne_u32_e64 s12, 0, v3
	v_cndmask_b32_e64 v38, 0, 1, s14
	v_cmp_ne_u32_e64 s14, 0, v31
	v_cmp_ne_u32_e64 s18, 0, v35
	;; [unrolled: 1-line block ×3, first 2 shown]
	s_bcnt1_i32_b32 s10, s10
	v_cmp_ne_u32_e64 s13, 0, v4
	v_cmp_ne_u32_e64 s19, 0, v36
	;; [unrolled: 1-line block ×3, first 2 shown]
	s_bcnt1_i32_b32 s11, s11
	s_add_i32 s10, s10, s88
	v_cmp_ne_u32_e64 s16, 0, v33
	v_cmp_ne_u32_e64 s20, 0, v37
	v_cmp_ne_u32_e64 s24, 0, v41
	s_bcnt1_i32_b32 s12, s12
	s_add_i32 s10, s10, s11
	s_bcnt1_i32_b32 s14, s14
	s_bcnt1_i32_b32 s18, s18
	;; [unrolled: 1-line block ×3, first 2 shown]
	v_cmp_ne_u32_e64 s17, 0, v34
	v_cmp_ne_u32_e64 s21, 0, v38
	;; [unrolled: 1-line block ×3, first 2 shown]
	s_bcnt1_i32_b32 s13, s13
	s_add_i32 s10, s10, s12
	s_bcnt1_i32_b32 s15, s15
	s_bcnt1_i32_b32 s19, s19
	;; [unrolled: 1-line block ×3, first 2 shown]
	s_add_i32 s14, s14, s87
	s_add_i32 s18, s18, s86
	;; [unrolled: 1-line block ×4, first 2 shown]
	s_delay_alu instid0(SALU_CYCLE_1)
	v_dual_mov_b32 v1, s88 :: v_dual_add_nc_u32 v30, s53, v30
	s_bcnt1_i32_b32 s16, s16
	s_bcnt1_i32_b32 s20, s20
	;; [unrolled: 1-line block ×3, first 2 shown]
	s_add_i32 s11, s14, s15
	s_add_i32 s14, s18, s19
	;; [unrolled: 1-line block ×3, first 2 shown]
	s_bcnt1_i32_b32 s17, s17
	s_bcnt1_i32_b32 s21, s21
	;; [unrolled: 1-line block ×3, first 2 shown]
	s_add_i32 s11, s11, s16
	s_add_i32 s12, s14, s20
	;; [unrolled: 1-line block ×3, first 2 shown]
	v_cmp_le_u32_e32 vcc_lo, s81, v30
	s_add_i32 s87, s11, s17
	s_add_i32 s86, s12, s21
	;; [unrolled: 1-line block ×3, first 2 shown]
	v_dual_mov_b32 v3, s86 :: v_dual_add_nc_u32 v8, s66, v8
	v_mov_b32_e32 v2, s87
	v_mov_b32_e32 v4, s85
	s_or_b32 s83, vcc_lo, s83
	s_delay_alu instid0(SALU_CYCLE_1)
	s_and_not1_b32 exec_lo, exec_lo, s83
	s_cbranch_execnz .LBB65_59
; %bb.60:                               ;   in Loop: Header=BB65_15 Depth=1
	s_or_b32 exec_lo, exec_lo, s83
.LBB65_61:                              ;   in Loop: Header=BB65_15 Depth=1
	s_delay_alu instid0(SALU_CYCLE_1) | instskip(SKIP_2) | instid1(VALU_DEP_1)
	s_or_b32 exec_lo, exec_lo, s82
	v_add_nc_u32_e32 v8, s81, v0
	s_mov_b32 s15, exec_lo
	v_cmpx_gt_u32_e64 s80, v8
	s_cbranch_execz .LBB65_65
; %bb.62:                               ;   in Loop: Header=BB65_15 Depth=1
	v_lshlrev_b32_e32 v30, 1, v8
	s_and_b32 s17, s74, 0xfe
	s_mov_b32 s16, 0
.LBB65_63:                              ;   Parent Loop BB65_15 Depth=1
                                        ; =>  This Inner Loop Header: Depth=2
	s_waitcnt vmcnt(0)
	ds_load_i16 v31, v30
	v_add_nc_u32_e32 v8, s34, v8
	v_add_nc_u32_e32 v30, s67, v30
	s_delay_alu instid0(VALU_DEP_2) | instskip(SKIP_2) | instid1(VALU_DEP_1)
	v_cmp_le_u32_e32 vcc_lo, s80, v8
	s_waitcnt lgkmcnt(0)
	v_add_nc_u32_e32 v31, 0x8000, v31
	v_and_b32_e32 v32, v31, v26
	v_bfe_u32 v31, v31, s17, 2
	s_delay_alu instid0(VALU_DEP_2) | instskip(NEXT) | instid1(VALU_DEP_2)
	v_cmp_eq_u32_e64 s10, v32, v27
	v_cmp_eq_u32_e64 s11, 0, v31
	;; [unrolled: 1-line block ×5, first 2 shown]
	s_delay_alu instid0(VALU_DEP_4) | instskip(NEXT) | instid1(SALU_CYCLE_1)
	s_and_b32 s11, s10, s11
	v_cndmask_b32_e64 v31, 0, 1, s11
	s_and_b32 s11, s10, s12
	s_delay_alu instid0(SALU_CYCLE_1)
	v_cndmask_b32_e64 v32, 0, 1, s11
	s_and_b32 s11, s10, s13
	s_and_b32 s10, s10, s14
	v_cndmask_b32_e64 v33, 0, 1, s11
	v_cndmask_b32_e64 v34, 0, 1, s10
	v_cmp_ne_u32_e64 s10, 0, v31
	v_cmp_ne_u32_e64 s11, 0, v32
	s_delay_alu instid0(VALU_DEP_4) | instskip(NEXT) | instid1(VALU_DEP_4)
	v_cmp_ne_u32_e64 s12, 0, v33
	v_cmp_ne_u32_e64 s13, 0, v34
	s_delay_alu instid0(VALU_DEP_4) | instskip(NEXT) | instid1(VALU_DEP_3)
	s_bcnt1_i32_b32 s10, s10
	s_bcnt1_i32_b32 s11, s11
	v_add_nc_u32_e32 v1, s10, v1
	s_bcnt1_i32_b32 s12, s12
	s_bcnt1_i32_b32 s13, s13
	v_add_nc_u32_e32 v2, s11, v2
	v_add_nc_u32_e32 v3, s12, v3
	;; [unrolled: 1-line block ×3, first 2 shown]
	s_or_b32 s16, vcc_lo, s16
	s_delay_alu instid0(SALU_CYCLE_1)
	s_and_not1_b32 exec_lo, exec_lo, s16
	s_cbranch_execnz .LBB65_63
; %bb.64:                               ;   in Loop: Header=BB65_15 Depth=1
	s_or_b32 exec_lo, exec_lo, s16
.LBB65_65:                              ;   in Loop: Header=BB65_15 Depth=1
	s_delay_alu instid0(SALU_CYCLE_1)
	s_or_b32 exec_lo, exec_lo, s15
.LBB65_66:                              ;   in Loop: Header=BB65_15 Depth=1
	s_lshl_b32 s10, s69, 7
	s_and_saveexec_b32 s11, s2
	s_cbranch_execz .LBB65_68
; %bb.67:                               ;   in Loop: Header=BB65_15 Depth=1
	v_or_b32_e32 v8, s10, v18
	s_delay_alu instid0(VALU_DEP_1)
	v_lshlrev_b32_e32 v8, 2, v8
	ds_store_b128 v8, v[1:4] offset:3072
.LBB65_68:                              ;   in Loop: Header=BB65_15 Depth=1
	s_or_b32 exec_lo, exec_lo, s11
	s_waitcnt vmcnt(0) lgkmcnt(0)
	s_barrier
	buffer_gl0_inv
	s_and_saveexec_b32 s11, s51
	s_cbranch_execz .LBB65_78
; %bb.69:                               ;   in Loop: Header=BB65_15 Depth=1
	v_mov_b32_e32 v1, 0
	s_and_not1_b32 vcc_lo, exec_lo, s55
	s_cbranch_vccnz .LBB65_77
; %bb.70:                               ;   in Loop: Header=BB65_15 Depth=1
	v_mov_b32_e32 v1, 0
	s_and_not1_b32 vcc_lo, exec_lo, s58
	s_mov_b32 s12, 0
	s_cbranch_vccnz .LBB65_74
; %bb.71:                               ;   in Loop: Header=BB65_15 Depth=1
	v_lshl_add_u32 v2, s69, 9, v25
	v_mov_b32_e32 v1, 0
	.p2align	6
.LBB65_72:                              ;   Parent Loop BB65_15 Depth=1
                                        ; =>  This Inner Loop Header: Depth=2
	ds_load_2addr_b32 v[3:4], v2 offset1:4
	ds_load_2addr_b32 v[30:31], v2 offset0:8 offset1:12
	ds_load_2addr_b32 v[32:33], v2 offset0:16 offset1:20
	;; [unrolled: 1-line block ×3, first 2 shown]
	v_add_nc_u32_e32 v2, 0x80, v2
	s_add_i32 s12, s12, 8
	s_delay_alu instid0(SALU_CYCLE_1) | instskip(SKIP_3) | instid1(VALU_DEP_1)
	s_cmp_eq_u32 s59, s12
	s_waitcnt lgkmcnt(3)
	v_add3_u32 v1, v3, v1, v4
	s_waitcnt lgkmcnt(2)
	v_add3_u32 v1, v30, v1, v31
	s_waitcnt lgkmcnt(1)
	s_delay_alu instid0(VALU_DEP_1) | instskip(SKIP_1) | instid1(VALU_DEP_1)
	v_add3_u32 v1, v32, v1, v33
	s_waitcnt lgkmcnt(0)
	v_add3_u32 v1, v34, v1, v35
	s_cbranch_scc0 .LBB65_72
; %bb.73:                               ;   in Loop: Header=BB65_15 Depth=1
	s_mov_b32 s12, s59
.LBB65_74:                              ;   in Loop: Header=BB65_15 Depth=1
	s_and_not1_b32 vcc_lo, exec_lo, s60
	s_cbranch_vccnz .LBB65_77
; %bb.75:                               ;   in Loop: Header=BB65_15 Depth=1
	s_lshl_b32 s13, s69, 9
	s_lshl_b32 s12, s12, 4
	s_delay_alu instid0(SALU_CYCLE_1)
	v_add3_u32 v2, s13, s12, v25
	s_mov_b32 s12, s57
.LBB65_76:                              ;   Parent Loop BB65_15 Depth=1
                                        ; =>  This Inner Loop Header: Depth=2
	ds_load_b32 v3, v2
	v_add_nc_u32_e32 v2, 16, v2
	s_add_i32 s12, s12, -1
	s_delay_alu instid0(SALU_CYCLE_1)
	s_cmp_lg_u32 s12, 0
	s_waitcnt lgkmcnt(0)
	v_add_nc_u32_e32 v1, v3, v1
	s_cbranch_scc1 .LBB65_76
.LBB65_77:                              ;   in Loop: Header=BB65_15 Depth=1
	v_add_lshl_u32 v2, s10, v15, 2
	ds_store_b32 v2, v1 offset:3072
.LBB65_78:                              ;   in Loop: Header=BB65_15 Depth=1
	s_or_b32 exec_lo, exec_lo, s11
	s_lshl_b32 s10, s10, 2
	s_waitcnt lgkmcnt(0)
	v_mov_b32_e32 v1, s10
	s_barrier
	buffer_gl0_inv
	s_and_b32 s17, s74, 0xfe
	v_cmp_eq_u32_e64 s10, 1, v29
	ds_load_b128 v[1:4], v1 offset:3072
	s_lshl_b32 s13, 3, s17
	s_and_not1_b32 vcc_lo, exec_lo, s52
	s_not_b32 s14, s13
	s_waitcnt lgkmcnt(0)
	v_readfirstlane_b32 s12, v1
	v_readfirstlane_b32 s16, v2
	;; [unrolled: 1-line block ×4, first 2 shown]
	s_cbranch_vccnz .LBB65_91
; %bb.79:                               ;   in Loop: Header=BB65_15 Depth=1
	s_cmp_eq_u32 s12, 1
	v_dual_mov_b32 v1, v27 :: v_dual_mov_b32 v2, v26
	v_mov_b32_e32 v30, v28
	s_cselect_b32 s11, -1, 0
	s_mov_b32 s26, -1
	s_and_b32 s25, s11, s10
                                        ; implicit-def: $sgpr15
                                        ; implicit-def: $sgpr22
                                        ; implicit-def: $sgpr21
	s_delay_alu instid0(SALU_CYCLE_1)
	s_and_saveexec_b32 s20, s25
	s_cbranch_execz .LBB65_110
; %bb.80:                               ;   in Loop: Header=BB65_15 Depth=1
	ds_load_b32 v1, v9 offset:4096
	s_waitcnt lgkmcnt(0)
	s_barrier
	buffer_gl0_inv
	v_readfirstlane_b32 s15, v1
	s_and_saveexec_b32 s11, s6
	s_cbranch_execz .LBB65_82
; %bb.81:                               ;   in Loop: Header=BB65_15 Depth=1
	ds_store_b16 v19, v9
.LBB65_82:                              ;   in Loop: Header=BB65_15 Depth=1
	s_or_b32 exec_lo, exec_lo, s11
	v_and_b32_e32 v1, s14, v27
	v_or_b32_e32 v2, s13, v26
	s_cmp_eq_u32 s15, 0
	s_waitcnt lgkmcnt(0)
	s_barrier
	buffer_gl0_inv
	s_cbranch_scc1 .LBB65_96
; %bb.83:                               ;   in Loop: Header=BB65_15 Depth=1
	s_add_i32 s11, s15, s56
                                        ; implicit-def: $vgpr30
	s_delay_alu instid0(SALU_CYCLE_1) | instskip(NEXT) | instid1(SALU_CYCLE_1)
	s_mul_hi_u32 s21, s11, s63
	s_mul_i32 s21, s21, s34
	s_delay_alu instid0(SALU_CYCLE_1) | instskip(NEXT) | instid1(SALU_CYCLE_1)
	s_sub_i32 s21, s11, s21
	s_sub_i32 s22, s21, s34
	s_cmp_ge_u32 s21, s34
	s_cselect_b32 s21, s22, s21
	s_delay_alu instid0(SALU_CYCLE_1) | instskip(SKIP_2) | instid1(SALU_CYCLE_1)
	s_sub_i32 s22, s21, s34
	s_cmp_ge_u32 s21, s34
	s_cselect_b32 s21, s22, s21
	s_sub_i32 s22, s11, s21
	s_mov_b32 s11, 0
	s_mov_b32 s21, exec_lo
	v_cmpx_gt_u32_e64 s22, v0
	s_cbranch_execz .LBB65_98
; %bb.84:                               ;   in Loop: Header=BB65_15 Depth=1
	v_dual_mov_b32 v3, v17 :: v_dual_mov_b32 v4, v0
	s_mov_b32 s23, 0
                                        ; implicit-def: $sgpr24
	s_set_inst_prefetch_distance 0x1
	s_branch .LBB65_86
	.p2align	6
.LBB65_85:                              ;   in Loop: Header=BB65_86 Depth=2
	s_or_b32 exec_lo, exec_lo, s11
	s_waitcnt lgkmcnt(0)
	s_barrier
	buffer_gl0_inv
	ds_load_b32 v8, v9 offset:3072
	v_add_nc_u32_e32 v4, s34, v4
	v_add_nc_u32_e32 v3, s67, v3
	s_waitcnt lgkmcnt(0)
	s_barrier
	buffer_gl0_inv
	v_cmp_le_u32_e32 vcc_lo, s22, v4
	v_cmp_ne_u16_e64 s11, 0, v8
	s_delay_alu instid0(VALU_DEP_1) | instskip(NEXT) | instid1(SALU_CYCLE_1)
	s_or_b32 s26, vcc_lo, s11
	s_and_b32 s26, exec_lo, s26
	s_delay_alu instid0(SALU_CYCLE_1) | instskip(SKIP_2) | instid1(SALU_CYCLE_1)
	s_or_b32 s23, s26, s23
	s_and_not1_b32 s24, s24, exec_lo
	s_and_b32 s11, s11, exec_lo
	s_or_b32 s24, s24, s11
	s_and_not1_b32 exec_lo, exec_lo, s23
	s_cbranch_execz .LBB65_97
.LBB65_86:                              ;   Parent Loop BB65_15 Depth=1
                                        ; =>  This Inner Loop Header: Depth=2
	s_delay_alu instid0(VALU_DEP_1)
	v_cmp_gt_u32_e32 vcc_lo, s15, v4
	v_mov_b32_e32 v8, 0
	s_and_saveexec_b32 s11, vcc_lo
	s_cbranch_execz .LBB65_88
; %bb.87:                               ;   in Loop: Header=BB65_86 Depth=2
	ds_load_u16 v8, v3
.LBB65_88:                              ;   in Loop: Header=BB65_86 Depth=2
	s_or_b32 exec_lo, exec_lo, s11
	s_and_saveexec_b32 s11, vcc_lo
	s_cbranch_execz .LBB65_85
; %bb.89:                               ;   in Loop: Header=BB65_86 Depth=2
	s_waitcnt lgkmcnt(0)
	v_bfe_i32 v30, v8, 0, 16
	s_delay_alu instid0(VALU_DEP_1) | instskip(NEXT) | instid1(VALU_DEP_1)
	v_add_nc_u32_e32 v30, 0x8000, v30
	v_and_b32_e32 v30, v30, v2
	s_delay_alu instid0(VALU_DEP_1)
	v_cmp_eq_u32_e32 vcc_lo, v30, v1
	s_and_b32 exec_lo, exec_lo, vcc_lo
	s_cbranch_execz .LBB65_85
; %bb.90:                               ;   in Loop: Header=BB65_86 Depth=2
	v_perm_b32 v8, v8, 1, 0x5040100
	ds_store_b32 v9, v8 offset:3072
	s_branch .LBB65_85
.LBB65_91:                              ;   in Loop: Header=BB65_15 Depth=1
	s_mov_b32 s20, 0
	s_mov_b32 s11, 0
                                        ; implicit-def: $sgpr21
                                        ; implicit-def: $sgpr22
                                        ; implicit-def: $sgpr15
                                        ; implicit-def: $vgpr4
                                        ; implicit-def: $vgpr3
                                        ; implicit-def: $vgpr1
                                        ; implicit-def: $vgpr2
                                        ; implicit-def: $vgpr30
	s_cbranch_execnz .LBB65_246
.LBB65_92:                              ;   in Loop: Header=BB65_15 Depth=1
	s_mov_b32 s23, s15
	s_mov_b32 s24, s15
	s_and_saveexec_b32 s10, s20
	s_cbranch_execnz .LBB65_408
	s_branch .LBB65_409
.LBB65_93:                              ;   in Loop: Header=BB65_15 Depth=1
	s_or_b32 exec_lo, exec_lo, s12
	s_waitcnt lgkmcnt(0)
	s_barrier
	buffer_gl0_inv
	s_and_saveexec_b32 s10, s5
	s_cbranch_execz .LBB65_95
; %bb.94:                               ;   in Loop: Header=BB65_15 Depth=1
	ds_load_b32 v1, v9 offset:4104
	s_waitcnt lgkmcnt(0)
	ds_store_b32 v9, v1 offset:4096
.LBB65_95:                              ;   in Loop: Header=BB65_15 Depth=1
	s_or_b32 exec_lo, exec_lo, s10
	s_waitcnt lgkmcnt(0)
	s_mov_b32 s10, -1
	s_barrier
	s_and_b32 vcc_lo, exec_lo, s80
	s_cbranch_vccnz .LBB65_30
	s_branch .LBB65_40
.LBB65_96:                              ;   in Loop: Header=BB65_15 Depth=1
	s_mov_b32 s15, -1
	s_mov_b32 s11, 0
                                        ; implicit-def: $sgpr21
                                        ; implicit-def: $vgpr30
	s_mov_b32 s22, s15
	s_cbranch_execnz .LBB65_99
	s_branch .LBB65_109
.LBB65_97:                              ;   in Loop: Header=BB65_15 Depth=1
	s_set_inst_prefetch_distance 0x2
	s_or_b32 exec_lo, exec_lo, s23
	v_lshrrev_b32_e32 v30, 16, v8
	s_and_b32 s11, s24, exec_lo
.LBB65_98:                              ;   in Loop: Header=BB65_15 Depth=1
	s_or_b32 exec_lo, exec_lo, s21
	s_mov_b32 s21, -1
	s_mov_b32 s15, 0
	s_delay_alu instid0(SALU_CYCLE_1)
	s_mov_b32 s22, s15
	s_branch .LBB65_109
.LBB65_99:                              ;   in Loop: Header=BB65_15 Depth=1
	s_mov_b32 s11, 0
                                        ; implicit-def: $vgpr30
	s_and_saveexec_b32 s15, s9
	s_cbranch_execz .LBB65_108
; %bb.100:                              ;   in Loop: Header=BB65_15 Depth=1
	v_dual_mov_b32 v8, v7 :: v_dual_mov_b32 v3, v0
	s_mov_b32 s21, 0
                                        ; implicit-def: $sgpr22
	s_set_inst_prefetch_distance 0x1
	s_branch .LBB65_102
	.p2align	6
.LBB65_101:                             ;   in Loop: Header=BB65_102 Depth=2
	s_or_b32 exec_lo, exec_lo, s11
	s_waitcnt vmcnt(0) lgkmcnt(0)
	s_barrier
	buffer_gl0_inv
	ds_load_b32 v4, v9 offset:3072
	v_add_nc_u32_e32 v3, s34, v3
	v_add_nc_u32_e32 v8, s40, v8
	s_waitcnt lgkmcnt(0)
	s_barrier
	buffer_gl0_inv
	v_cmp_le_u32_e32 vcc_lo, s64, v3
	v_cmp_ne_u16_e64 s11, 0, v4
	s_delay_alu instid0(VALU_DEP_1) | instskip(NEXT) | instid1(SALU_CYCLE_1)
	s_or_b32 s23, vcc_lo, s11
	s_and_b32 s23, exec_lo, s23
	s_delay_alu instid0(SALU_CYCLE_1) | instskip(SKIP_2) | instid1(SALU_CYCLE_1)
	s_or_b32 s21, s23, s21
	s_and_not1_b32 s22, s22, exec_lo
	s_and_b32 s11, s11, exec_lo
	s_or_b32 s22, s22, s11
	s_and_not1_b32 exec_lo, exec_lo, s21
	s_cbranch_execz .LBB65_107
.LBB65_102:                             ;   Parent Loop BB65_15 Depth=1
                                        ; =>  This Inner Loop Header: Depth=2
	s_delay_alu instid0(VALU_DEP_1)
	v_cmp_gt_u32_e32 vcc_lo, s36, v3
	v_mov_b32_e32 v4, 0
	s_and_saveexec_b32 s23, vcc_lo
	s_cbranch_execz .LBB65_104
; %bb.103:                              ;   in Loop: Header=BB65_102 Depth=2
	v_lshlrev_b64 v[30:31], 1, v[8:9]
	s_delay_alu instid0(VALU_DEP_1) | instskip(NEXT) | instid1(VALU_DEP_1)
	v_add_co_u32 v30, s11, s31, v30
	v_add_co_ci_u32_e64 v31, s11, s33, v31, s11
	global_load_u16 v4, v[30:31], off
.LBB65_104:                             ;   in Loop: Header=BB65_102 Depth=2
	s_or_b32 exec_lo, exec_lo, s23
	s_and_saveexec_b32 s11, vcc_lo
	s_cbranch_execz .LBB65_101
; %bb.105:                              ;   in Loop: Header=BB65_102 Depth=2
	s_waitcnt vmcnt(0)
	v_bfe_i32 v30, v4, 0, 16
	s_delay_alu instid0(VALU_DEP_1) | instskip(NEXT) | instid1(VALU_DEP_1)
	v_add_nc_u32_e32 v30, 0x8000, v30
	v_and_b32_e32 v30, v30, v2
	s_delay_alu instid0(VALU_DEP_1)
	v_cmp_eq_u32_e32 vcc_lo, v30, v1
	s_and_b32 exec_lo, exec_lo, vcc_lo
	s_cbranch_execz .LBB65_101
; %bb.106:                              ;   in Loop: Header=BB65_102 Depth=2
	v_perm_b32 v4, v4, 1, 0x5040100
	ds_store_b32 v9, v4 offset:3072
	s_branch .LBB65_101
.LBB65_107:                             ;   in Loop: Header=BB65_15 Depth=1
	s_set_inst_prefetch_distance 0x2
	s_or_b32 exec_lo, exec_lo, s21
	v_lshrrev_b32_e32 v30, 16, v4
	s_and_b32 s11, s22, exec_lo
.LBB65_108:                             ;   in Loop: Header=BB65_15 Depth=1
	s_or_b32 exec_lo, exec_lo, s15
	s_mov_b32 s22, -1
	s_mov_b32 s15, 0
	s_mov_b32 s21, 0
.LBB65_109:                             ;   in Loop: Header=BB65_15 Depth=1
	s_or_not1_b32 s26, s11, exec_lo
.LBB65_110:                             ;   in Loop: Header=BB65_15 Depth=1
	s_or_b32 exec_lo, exec_lo, s20
	s_mov_b32 s23, 0
	s_mov_b32 s20, 0
	;; [unrolled: 1-line block ×3, first 2 shown]
                                        ; implicit-def: $vgpr4
                                        ; implicit-def: $vgpr3
	s_and_saveexec_b32 s24, s26
	s_cbranch_execz .LBB65_245
; %bb.111:                              ;   in Loop: Header=BB65_15 Depth=1
	v_dual_mov_b32 v3, 1 :: v_dual_mov_b32 v4, 1
	s_xor_b32 s25, s25, -1
	s_delay_alu instid0(SALU_CYCLE_1)
	s_and_saveexec_b32 s11, s25
	s_cbranch_execz .LBB65_121
; %bb.112:                              ;   in Loop: Header=BB65_15 Depth=1
	s_mov_b32 s25, exec_lo
                                        ; implicit-def: $sgpr26
                                        ; implicit-def: $sgpr20
	v_cmpx_ge_u32_e64 s12, v29
	s_xor_b32 s25, exec_lo, s25
	s_cbranch_execz .LBB65_118
; %bb.113:                              ;   in Loop: Header=BB65_15 Depth=1
	ds_load_b32 v3, v9 offset:4096
	s_waitcnt lgkmcnt(0)
	v_cmp_ne_u32_e32 vcc_lo, 0, v3
	s_cbranch_vccnz .LBB65_117
; %bb.114:                              ;   in Loop: Header=BB65_15 Depth=1
	s_and_saveexec_b32 s20, s5
	s_cbranch_execz .LBB65_116
; %bb.115:                              ;   in Loop: Header=BB65_15 Depth=1
	v_mov_b32_e32 v3, s12
	ds_store_b32 v9, v3 offset:4100
.LBB65_116:                             ;   in Loop: Header=BB65_15 Depth=1
	s_or_b32 exec_lo, exec_lo, s20
	s_waitcnt lgkmcnt(0)
	s_barrier
	buffer_gl0_inv
.LBB65_117:                             ;   in Loop: Header=BB65_15 Depth=1
	v_and_b32_e32 v1, s14, v1
	v_or_b32_e32 v2, s13, v2
	s_mov_b32 s20, 0
	s_mov_b32 s26, 8
.LBB65_118:                             ;   in Loop: Header=BB65_15 Depth=1
	s_or_saveexec_b32 s25, s25
	v_dual_mov_b32 v4, s26 :: v_dual_mov_b32 v3, v29
	s_xor_b32 exec_lo, exec_lo, s25
; %bb.119:                              ;   in Loop: Header=BB65_15 Depth=1
	v_subrev_nc_u32_e32 v3, s12, v29
	v_mov_b32_e32 v4, 0
	s_or_b32 s20, s20, exec_lo
; %bb.120:                              ;   in Loop: Header=BB65_15 Depth=1
	s_or_b32 exec_lo, exec_lo, s25
	s_delay_alu instid0(SALU_CYCLE_1)
	s_and_b32 s20, s20, exec_lo
.LBB65_121:                             ;   in Loop: Header=BB65_15 Depth=1
	s_or_b32 exec_lo, exec_lo, s11
	s_mov_b32 s11, -1
                                        ; implicit-def: $sgpr25
                                        ; implicit-def: $sgpr27
                                        ; implicit-def: $sgpr28
	s_and_saveexec_b32 s26, s20
	s_delay_alu instid0(SALU_CYCLE_1)
	s_xor_b32 s20, exec_lo, s26
	s_cbranch_execz .LBB65_242
; %bb.122:                              ;   in Loop: Header=BB65_15 Depth=1
	v_cmp_eq_u32_e32 vcc_lo, 1, v3
	s_cmp_eq_u32 s16, 1
                                        ; implicit-def: $sgpr25
                                        ; implicit-def: $sgpr27
                                        ; implicit-def: $sgpr26
	s_cselect_b32 s11, -1, 0
	s_delay_alu instid0(SALU_CYCLE_1)
	s_and_b32 s29, s11, vcc_lo
	s_mov_b32 s11, -1
	s_and_saveexec_b32 s28, s29
	s_cbranch_execz .LBB65_148
; %bb.123:                              ;   in Loop: Header=BB65_15 Depth=1
	ds_load_b32 v4, v9 offset:4096
	s_waitcnt lgkmcnt(0)
	s_barrier
	buffer_gl0_inv
	v_readfirstlane_b32 s25, v4
	s_and_saveexec_b32 s11, s6
	s_cbranch_execz .LBB65_125
; %bb.124:                              ;   in Loop: Header=BB65_15 Depth=1
	ds_store_b16 v19, v9
.LBB65_125:                             ;   in Loop: Header=BB65_15 Depth=1
	s_or_b32 exec_lo, exec_lo, s11
	s_lshl_b32 s11, 1, s17
	v_or_b32_e32 v2, s13, v2
	v_and_or_b32 v1, v1, s14, s11
	s_cmp_eq_u32 s25, 0
	s_waitcnt lgkmcnt(0)
	s_barrier
	buffer_gl0_inv
	s_cbranch_scc1 .LBB65_134
; %bb.126:                              ;   in Loop: Header=BB65_15 Depth=1
	s_add_i32 s11, s25, s56
                                        ; implicit-def: $vgpr30
	s_delay_alu instid0(SALU_CYCLE_1) | instskip(NEXT) | instid1(SALU_CYCLE_1)
	s_mul_hi_u32 s26, s11, s63
	s_mul_i32 s26, s26, s34
	s_delay_alu instid0(SALU_CYCLE_1) | instskip(NEXT) | instid1(SALU_CYCLE_1)
	s_sub_i32 s26, s11, s26
	s_sub_i32 s27, s26, s34
	s_cmp_ge_u32 s26, s34
	s_cselect_b32 s26, s27, s26
	s_delay_alu instid0(SALU_CYCLE_1) | instskip(SKIP_2) | instid1(SALU_CYCLE_1)
	s_sub_i32 s27, s26, s34
	s_cmp_ge_u32 s26, s34
	s_cselect_b32 s26, s27, s26
	s_sub_i32 s27, s11, s26
	s_mov_b32 s11, 0
	s_mov_b32 s26, exec_lo
	v_cmpx_gt_u32_e64 s27, v0
	s_cbranch_execz .LBB65_136
; %bb.127:                              ;   in Loop: Header=BB65_15 Depth=1
	v_mov_b32_e32 v4, v17
	v_mov_b32_e32 v8, v0
	s_mov_b32 s80, 0
                                        ; implicit-def: $sgpr81
	s_set_inst_prefetch_distance 0x1
	s_branch .LBB65_129
	.p2align	6
.LBB65_128:                             ;   in Loop: Header=BB65_129 Depth=2
	s_or_b32 exec_lo, exec_lo, s11
	s_waitcnt lgkmcnt(0)
	s_barrier
	buffer_gl0_inv
	ds_load_b32 v30, v9 offset:3072
	v_add_nc_u32_e32 v8, s34, v8
	v_add_nc_u32_e32 v4, s67, v4
	s_waitcnt lgkmcnt(0)
	s_barrier
	buffer_gl0_inv
	v_cmp_le_u32_e32 vcc_lo, s27, v8
	v_cmp_ne_u16_e64 s11, 0, v30
	s_delay_alu instid0(VALU_DEP_1) | instskip(NEXT) | instid1(SALU_CYCLE_1)
	s_or_b32 s82, vcc_lo, s11
	s_and_b32 s82, exec_lo, s82
	s_delay_alu instid0(SALU_CYCLE_1) | instskip(SKIP_2) | instid1(SALU_CYCLE_1)
	s_or_b32 s80, s82, s80
	s_and_not1_b32 s81, s81, exec_lo
	s_and_b32 s11, s11, exec_lo
	s_or_b32 s81, s81, s11
	s_and_not1_b32 exec_lo, exec_lo, s80
	s_cbranch_execz .LBB65_135
.LBB65_129:                             ;   Parent Loop BB65_15 Depth=1
                                        ; =>  This Inner Loop Header: Depth=2
	s_delay_alu instid0(VALU_DEP_1)
	v_cmp_gt_u32_e32 vcc_lo, s25, v8
	v_mov_b32_e32 v30, 0
	s_and_saveexec_b32 s11, vcc_lo
	s_cbranch_execz .LBB65_131
; %bb.130:                              ;   in Loop: Header=BB65_129 Depth=2
	ds_load_u16 v30, v4
.LBB65_131:                             ;   in Loop: Header=BB65_129 Depth=2
	s_or_b32 exec_lo, exec_lo, s11
	s_and_saveexec_b32 s11, vcc_lo
	s_cbranch_execz .LBB65_128
; %bb.132:                              ;   in Loop: Header=BB65_129 Depth=2
	s_waitcnt lgkmcnt(0)
	v_bfe_i32 v31, v30, 0, 16
	s_delay_alu instid0(VALU_DEP_1) | instskip(NEXT) | instid1(VALU_DEP_1)
	v_add_nc_u32_e32 v31, 0x8000, v31
	v_and_b32_e32 v31, v31, v2
	s_delay_alu instid0(VALU_DEP_1)
	v_cmp_eq_u32_e32 vcc_lo, v31, v1
	s_and_b32 exec_lo, exec_lo, vcc_lo
	s_cbranch_execz .LBB65_128
; %bb.133:                              ;   in Loop: Header=BB65_129 Depth=2
	v_perm_b32 v30, v30, 1, 0x5040100
	ds_store_b32 v9, v30 offset:3072
	s_branch .LBB65_128
.LBB65_134:                             ;   in Loop: Header=BB65_15 Depth=1
	s_mov_b32 s25, -1
	s_mov_b32 s11, 0
                                        ; implicit-def: $sgpr26
                                        ; implicit-def: $vgpr30
	s_mov_b32 s27, s25
	s_cbranch_execnz .LBB65_137
	s_branch .LBB65_147
.LBB65_135:                             ;   in Loop: Header=BB65_15 Depth=1
	s_set_inst_prefetch_distance 0x2
	s_or_b32 exec_lo, exec_lo, s80
	v_lshrrev_b32_e32 v30, 16, v30
	s_and_b32 s11, s81, exec_lo
.LBB65_136:                             ;   in Loop: Header=BB65_15 Depth=1
	s_or_b32 exec_lo, exec_lo, s26
	s_mov_b32 s26, -1
	s_mov_b32 s25, 0
	s_delay_alu instid0(SALU_CYCLE_1)
	s_mov_b32 s27, s25
	s_branch .LBB65_147
.LBB65_137:                             ;   in Loop: Header=BB65_15 Depth=1
	s_mov_b32 s11, 0
                                        ; implicit-def: $vgpr30
	s_and_saveexec_b32 s25, s9
	s_cbranch_execz .LBB65_146
; %bb.138:                              ;   in Loop: Header=BB65_15 Depth=1
	v_mov_b32_e32 v8, v7
	v_mov_b32_e32 v4, v0
	s_mov_b32 s26, 0
                                        ; implicit-def: $sgpr27
	s_set_inst_prefetch_distance 0x1
	s_branch .LBB65_140
	.p2align	6
.LBB65_139:                             ;   in Loop: Header=BB65_140 Depth=2
	s_or_b32 exec_lo, exec_lo, s11
	s_waitcnt vmcnt(0) lgkmcnt(0)
	s_barrier
	buffer_gl0_inv
	ds_load_b32 v30, v9 offset:3072
	v_add_nc_u32_e32 v4, s34, v4
	v_add_nc_u32_e32 v8, s40, v8
	s_waitcnt lgkmcnt(0)
	s_barrier
	buffer_gl0_inv
	v_cmp_le_u32_e32 vcc_lo, s64, v4
	v_cmp_ne_u16_e64 s11, 0, v30
	s_delay_alu instid0(VALU_DEP_1) | instskip(NEXT) | instid1(SALU_CYCLE_1)
	s_or_b32 s80, vcc_lo, s11
	s_and_b32 s80, exec_lo, s80
	s_delay_alu instid0(SALU_CYCLE_1) | instskip(SKIP_2) | instid1(SALU_CYCLE_1)
	s_or_b32 s26, s80, s26
	s_and_not1_b32 s27, s27, exec_lo
	s_and_b32 s11, s11, exec_lo
	s_or_b32 s27, s27, s11
	s_and_not1_b32 exec_lo, exec_lo, s26
	s_cbranch_execz .LBB65_145
.LBB65_140:                             ;   Parent Loop BB65_15 Depth=1
                                        ; =>  This Inner Loop Header: Depth=2
	s_delay_alu instid0(VALU_DEP_1)
	v_cmp_gt_u32_e32 vcc_lo, s36, v4
	v_mov_b32_e32 v30, 0
	s_and_saveexec_b32 s80, vcc_lo
	s_cbranch_execz .LBB65_142
; %bb.141:                              ;   in Loop: Header=BB65_140 Depth=2
	v_lshlrev_b64 v[30:31], 1, v[8:9]
	s_delay_alu instid0(VALU_DEP_1) | instskip(NEXT) | instid1(VALU_DEP_1)
	v_add_co_u32 v30, s11, s31, v30
	v_add_co_ci_u32_e64 v31, s11, s33, v31, s11
	global_load_u16 v30, v[30:31], off
.LBB65_142:                             ;   in Loop: Header=BB65_140 Depth=2
	s_or_b32 exec_lo, exec_lo, s80
	s_and_saveexec_b32 s11, vcc_lo
	s_cbranch_execz .LBB65_139
; %bb.143:                              ;   in Loop: Header=BB65_140 Depth=2
	s_waitcnt vmcnt(0)
	v_bfe_i32 v31, v30, 0, 16
	s_delay_alu instid0(VALU_DEP_1) | instskip(NEXT) | instid1(VALU_DEP_1)
	v_add_nc_u32_e32 v31, 0x8000, v31
	v_and_b32_e32 v31, v31, v2
	s_delay_alu instid0(VALU_DEP_1)
	v_cmp_eq_u32_e32 vcc_lo, v31, v1
	s_and_b32 exec_lo, exec_lo, vcc_lo
	s_cbranch_execz .LBB65_139
; %bb.144:                              ;   in Loop: Header=BB65_140 Depth=2
	v_perm_b32 v30, v30, 1, 0x5040100
	ds_store_b32 v9, v30 offset:3072
	s_branch .LBB65_139
.LBB65_145:                             ;   in Loop: Header=BB65_15 Depth=1
	s_set_inst_prefetch_distance 0x2
	s_or_b32 exec_lo, exec_lo, s26
	v_lshrrev_b32_e32 v30, 16, v30
	s_and_b32 s11, s27, exec_lo
.LBB65_146:                             ;   in Loop: Header=BB65_15 Depth=1
	s_or_b32 exec_lo, exec_lo, s25
	s_mov_b32 s27, -1
	s_mov_b32 s25, 0
	s_mov_b32 s26, 0
.LBB65_147:                             ;   in Loop: Header=BB65_15 Depth=1
	s_or_not1_b32 s11, s11, exec_lo
.LBB65_148:                             ;   in Loop: Header=BB65_15 Depth=1
	s_or_b32 exec_lo, exec_lo, s28
	s_mov_b32 s80, 0
                                        ; implicit-def: $vgpr4
	s_and_saveexec_b32 s28, s11
	s_cbranch_execz .LBB65_241
; %bb.149:                              ;   in Loop: Header=BB65_15 Depth=1
	v_dual_mov_b32 v31, 1 :: v_dual_mov_b32 v4, 1
	s_xor_b32 s29, s29, -1
	s_mov_b32 s81, 0
	s_and_saveexec_b32 s11, s29
	s_cbranch_execz .LBB65_159
; %bb.150:                              ;   in Loop: Header=BB65_15 Depth=1
	s_mov_b32 s80, exec_lo
                                        ; implicit-def: $sgpr81
                                        ; implicit-def: $sgpr29
	v_cmpx_ge_u32_e64 s16, v3
	s_xor_b32 s80, exec_lo, s80
	s_cbranch_execz .LBB65_156
; %bb.151:                              ;   in Loop: Header=BB65_15 Depth=1
	ds_load_b32 v4, v9 offset:4096
	s_waitcnt lgkmcnt(0)
	v_cmp_ne_u32_e32 vcc_lo, 0, v4
	s_cbranch_vccnz .LBB65_155
; %bb.152:                              ;   in Loop: Header=BB65_15 Depth=1
	s_and_saveexec_b32 s29, s5
	s_cbranch_execz .LBB65_154
; %bb.153:                              ;   in Loop: Header=BB65_15 Depth=1
	v_mov_b32_e32 v4, s16
	ds_store_b32 v9, v4 offset:4100
.LBB65_154:                             ;   in Loop: Header=BB65_15 Depth=1
	s_or_b32 exec_lo, exec_lo, s29
	s_waitcnt lgkmcnt(0)
	s_barrier
	buffer_gl0_inv
.LBB65_155:                             ;   in Loop: Header=BB65_15 Depth=1
	s_lshl_b32 s29, 1, s17
	v_or_b32_e32 v2, s13, v2
	v_and_or_b32 v1, v1, s14, s29
	s_mov_b32 s29, 0
	s_mov_b32 s81, 8
.LBB65_156:                             ;   in Loop: Header=BB65_15 Depth=1
	s_or_saveexec_b32 s80, s80
	v_mov_b32_e32 v4, s81
	s_xor_b32 exec_lo, exec_lo, s80
; %bb.157:                              ;   in Loop: Header=BB65_15 Depth=1
	v_subrev_nc_u32_e32 v3, s16, v3
	v_mov_b32_e32 v4, 0
	s_or_b32 s29, s29, exec_lo
; %bb.158:                              ;   in Loop: Header=BB65_15 Depth=1
	s_or_b32 exec_lo, exec_lo, s80
	s_delay_alu instid0(VALU_DEP_2)
	v_mov_b32_e32 v31, v3
	s_and_b32 s81, s29, exec_lo
.LBB65_159:                             ;   in Loop: Header=BB65_15 Depth=1
	s_or_b32 exec_lo, exec_lo, s11
	s_mov_b32 s11, -1
                                        ; implicit-def: $sgpr80
                                        ; implicit-def: $sgpr82
                                        ; implicit-def: $sgpr83
	s_and_saveexec_b32 s29, s81
	s_cbranch_execz .LBB65_240
; %bb.160:                              ;   in Loop: Header=BB65_15 Depth=1
	v_cmp_eq_u32_e32 vcc_lo, 1, v31
	s_cmp_eq_u32 s18, 1
                                        ; implicit-def: $sgpr80
                                        ; implicit-def: $sgpr82
                                        ; implicit-def: $sgpr81
	s_cselect_b32 s11, -1, 0
	s_delay_alu instid0(SALU_CYCLE_1)
	s_and_b32 s84, s11, vcc_lo
	s_mov_b32 s11, -1
	s_and_saveexec_b32 s83, s84
	s_cbranch_execz .LBB65_186
; %bb.161:                              ;   in Loop: Header=BB65_15 Depth=1
	ds_load_b32 v3, v9 offset:4096
	s_waitcnt lgkmcnt(0)
	s_barrier
	buffer_gl0_inv
	v_readfirstlane_b32 s80, v3
	s_and_saveexec_b32 s11, s6
	s_cbranch_execz .LBB65_163
; %bb.162:                              ;   in Loop: Header=BB65_15 Depth=1
	ds_store_b16 v19, v9
.LBB65_163:                             ;   in Loop: Header=BB65_15 Depth=1
	s_or_b32 exec_lo, exec_lo, s11
	s_lshl_b32 s11, 2, s17
	v_or_b32_e32 v2, s13, v2
	v_and_or_b32 v1, v1, s14, s11
	s_cmp_eq_u32 s80, 0
	s_waitcnt lgkmcnt(0)
	s_barrier
	buffer_gl0_inv
	s_cbranch_scc1 .LBB65_172
; %bb.164:                              ;   in Loop: Header=BB65_15 Depth=1
	s_add_i32 s11, s80, s56
                                        ; implicit-def: $vgpr30
	s_delay_alu instid0(SALU_CYCLE_1) | instskip(NEXT) | instid1(SALU_CYCLE_1)
	s_mul_hi_u32 s81, s11, s63
	s_mul_i32 s81, s81, s34
	s_delay_alu instid0(SALU_CYCLE_1) | instskip(NEXT) | instid1(SALU_CYCLE_1)
	s_sub_i32 s81, s11, s81
	s_sub_i32 s82, s81, s34
	s_cmp_ge_u32 s81, s34
	s_cselect_b32 s81, s82, s81
	s_delay_alu instid0(SALU_CYCLE_1) | instskip(SKIP_2) | instid1(SALU_CYCLE_1)
	s_sub_i32 s82, s81, s34
	s_cmp_ge_u32 s81, s34
	s_cselect_b32 s81, s82, s81
	s_sub_i32 s82, s11, s81
	s_mov_b32 s11, 0
	s_mov_b32 s81, exec_lo
	v_cmpx_gt_u32_e64 s82, v0
	s_cbranch_execz .LBB65_174
; %bb.165:                              ;   in Loop: Header=BB65_15 Depth=1
	v_dual_mov_b32 v3, v17 :: v_dual_mov_b32 v4, v0
	s_mov_b32 s85, 0
                                        ; implicit-def: $sgpr86
	s_set_inst_prefetch_distance 0x1
	s_branch .LBB65_167
	.p2align	6
.LBB65_166:                             ;   in Loop: Header=BB65_167 Depth=2
	s_or_b32 exec_lo, exec_lo, s11
	s_waitcnt lgkmcnt(0)
	s_barrier
	buffer_gl0_inv
	ds_load_b32 v8, v9 offset:3072
	v_add_nc_u32_e32 v4, s34, v4
	v_add_nc_u32_e32 v3, s67, v3
	s_waitcnt lgkmcnt(0)
	s_barrier
	buffer_gl0_inv
	v_cmp_le_u32_e32 vcc_lo, s82, v4
	v_cmp_ne_u16_e64 s11, 0, v8
	s_delay_alu instid0(VALU_DEP_1) | instskip(NEXT) | instid1(SALU_CYCLE_1)
	s_or_b32 s87, vcc_lo, s11
	s_and_b32 s87, exec_lo, s87
	s_delay_alu instid0(SALU_CYCLE_1) | instskip(SKIP_2) | instid1(SALU_CYCLE_1)
	s_or_b32 s85, s87, s85
	s_and_not1_b32 s86, s86, exec_lo
	s_and_b32 s11, s11, exec_lo
	s_or_b32 s86, s86, s11
	s_and_not1_b32 exec_lo, exec_lo, s85
	s_cbranch_execz .LBB65_173
.LBB65_167:                             ;   Parent Loop BB65_15 Depth=1
                                        ; =>  This Inner Loop Header: Depth=2
	s_delay_alu instid0(VALU_DEP_1)
	v_cmp_gt_u32_e32 vcc_lo, s80, v4
	v_mov_b32_e32 v8, 0
	s_and_saveexec_b32 s11, vcc_lo
	s_cbranch_execz .LBB65_169
; %bb.168:                              ;   in Loop: Header=BB65_167 Depth=2
	ds_load_u16 v8, v3
.LBB65_169:                             ;   in Loop: Header=BB65_167 Depth=2
	s_or_b32 exec_lo, exec_lo, s11
	s_and_saveexec_b32 s11, vcc_lo
	s_cbranch_execz .LBB65_166
; %bb.170:                              ;   in Loop: Header=BB65_167 Depth=2
	s_waitcnt lgkmcnt(0)
	v_bfe_i32 v30, v8, 0, 16
	s_delay_alu instid0(VALU_DEP_1) | instskip(NEXT) | instid1(VALU_DEP_1)
	v_add_nc_u32_e32 v30, 0x8000, v30
	v_and_b32_e32 v30, v30, v2
	s_delay_alu instid0(VALU_DEP_1)
	v_cmp_eq_u32_e32 vcc_lo, v30, v1
	s_and_b32 exec_lo, exec_lo, vcc_lo
	s_cbranch_execz .LBB65_166
; %bb.171:                              ;   in Loop: Header=BB65_167 Depth=2
	v_perm_b32 v8, v8, 1, 0x5040100
	ds_store_b32 v9, v8 offset:3072
	s_branch .LBB65_166
.LBB65_172:                             ;   in Loop: Header=BB65_15 Depth=1
	s_mov_b32 s80, -1
	s_mov_b32 s11, 0
                                        ; implicit-def: $sgpr81
                                        ; implicit-def: $vgpr30
	s_mov_b32 s82, s80
	s_cbranch_execnz .LBB65_175
	s_branch .LBB65_185
.LBB65_173:                             ;   in Loop: Header=BB65_15 Depth=1
	s_set_inst_prefetch_distance 0x2
	s_or_b32 exec_lo, exec_lo, s85
	v_lshrrev_b32_e32 v30, 16, v8
	s_and_b32 s11, s86, exec_lo
.LBB65_174:                             ;   in Loop: Header=BB65_15 Depth=1
	s_or_b32 exec_lo, exec_lo, s81
	s_mov_b32 s81, -1
	s_mov_b32 s80, 0
	s_delay_alu instid0(SALU_CYCLE_1)
	s_mov_b32 s82, s80
	s_branch .LBB65_185
.LBB65_175:                             ;   in Loop: Header=BB65_15 Depth=1
	s_mov_b32 s11, 0
                                        ; implicit-def: $vgpr30
	s_and_saveexec_b32 s80, s9
	s_cbranch_execz .LBB65_184
; %bb.176:                              ;   in Loop: Header=BB65_15 Depth=1
	v_dual_mov_b32 v8, v7 :: v_dual_mov_b32 v3, v0
	s_mov_b32 s81, 0
                                        ; implicit-def: $sgpr82
	s_set_inst_prefetch_distance 0x1
	s_branch .LBB65_178
	.p2align	6
.LBB65_177:                             ;   in Loop: Header=BB65_178 Depth=2
	s_or_b32 exec_lo, exec_lo, s11
	s_waitcnt vmcnt(0) lgkmcnt(0)
	s_barrier
	buffer_gl0_inv
	ds_load_b32 v4, v9 offset:3072
	v_add_nc_u32_e32 v3, s34, v3
	v_add_nc_u32_e32 v8, s40, v8
	s_waitcnt lgkmcnt(0)
	s_barrier
	buffer_gl0_inv
	v_cmp_le_u32_e32 vcc_lo, s64, v3
	v_cmp_ne_u16_e64 s11, 0, v4
	s_delay_alu instid0(VALU_DEP_1) | instskip(NEXT) | instid1(SALU_CYCLE_1)
	s_or_b32 s85, vcc_lo, s11
	s_and_b32 s85, exec_lo, s85
	s_delay_alu instid0(SALU_CYCLE_1) | instskip(SKIP_2) | instid1(SALU_CYCLE_1)
	s_or_b32 s81, s85, s81
	s_and_not1_b32 s82, s82, exec_lo
	s_and_b32 s11, s11, exec_lo
	s_or_b32 s82, s82, s11
	s_and_not1_b32 exec_lo, exec_lo, s81
	s_cbranch_execz .LBB65_183
.LBB65_178:                             ;   Parent Loop BB65_15 Depth=1
                                        ; =>  This Inner Loop Header: Depth=2
	s_delay_alu instid0(VALU_DEP_1)
	v_cmp_gt_u32_e32 vcc_lo, s36, v3
	v_mov_b32_e32 v4, 0
	s_and_saveexec_b32 s85, vcc_lo
	s_cbranch_execz .LBB65_180
; %bb.179:                              ;   in Loop: Header=BB65_178 Depth=2
	v_lshlrev_b64 v[32:33], 1, v[8:9]
	s_delay_alu instid0(VALU_DEP_1) | instskip(NEXT) | instid1(VALU_DEP_1)
	v_add_co_u32 v32, s11, s31, v32
	v_add_co_ci_u32_e64 v33, s11, s33, v33, s11
	global_load_u16 v4, v[32:33], off
.LBB65_180:                             ;   in Loop: Header=BB65_178 Depth=2
	s_or_b32 exec_lo, exec_lo, s85
	s_and_saveexec_b32 s11, vcc_lo
	s_cbranch_execz .LBB65_177
; %bb.181:                              ;   in Loop: Header=BB65_178 Depth=2
	s_waitcnt vmcnt(0)
	v_bfe_i32 v30, v4, 0, 16
	s_delay_alu instid0(VALU_DEP_1) | instskip(NEXT) | instid1(VALU_DEP_1)
	v_add_nc_u32_e32 v30, 0x8000, v30
	v_and_b32_e32 v30, v30, v2
	s_delay_alu instid0(VALU_DEP_1)
	v_cmp_eq_u32_e32 vcc_lo, v30, v1
	s_and_b32 exec_lo, exec_lo, vcc_lo
	s_cbranch_execz .LBB65_177
; %bb.182:                              ;   in Loop: Header=BB65_178 Depth=2
	v_perm_b32 v4, v4, 1, 0x5040100
	ds_store_b32 v9, v4 offset:3072
	s_branch .LBB65_177
.LBB65_183:                             ;   in Loop: Header=BB65_15 Depth=1
	s_set_inst_prefetch_distance 0x2
	s_or_b32 exec_lo, exec_lo, s81
	v_lshrrev_b32_e32 v30, 16, v4
	s_and_b32 s11, s82, exec_lo
.LBB65_184:                             ;   in Loop: Header=BB65_15 Depth=1
	s_or_b32 exec_lo, exec_lo, s80
	s_mov_b32 s82, -1
	s_mov_b32 s80, 0
	s_mov_b32 s81, 0
.LBB65_185:                             ;   in Loop: Header=BB65_15 Depth=1
	s_or_not1_b32 s11, s11, exec_lo
.LBB65_186:                             ;   in Loop: Header=BB65_15 Depth=1
	s_or_b32 exec_lo, exec_lo, s83
	s_mov_b32 s85, 0
                                        ; implicit-def: $vgpr4
	s_and_saveexec_b32 s83, s11
	s_cbranch_execz .LBB65_239
; %bb.187:                              ;   in Loop: Header=BB65_15 Depth=1
	v_dual_mov_b32 v3, 1 :: v_dual_mov_b32 v4, 1
	s_xor_b32 s84, s84, -1
	s_mov_b32 s86, 0
	s_and_saveexec_b32 s11, s84
	s_cbranch_execz .LBB65_197
; %bb.188:                              ;   in Loop: Header=BB65_15 Depth=1
	s_mov_b32 s85, exec_lo
                                        ; implicit-def: $sgpr86
                                        ; implicit-def: $sgpr84
	v_cmpx_ge_u32_e64 s18, v31
	s_xor_b32 s85, exec_lo, s85
	s_cbranch_execz .LBB65_194
; %bb.189:                              ;   in Loop: Header=BB65_15 Depth=1
	ds_load_b32 v3, v9 offset:4096
	s_waitcnt lgkmcnt(0)
	v_cmp_ne_u32_e32 vcc_lo, 0, v3
	s_cbranch_vccnz .LBB65_193
; %bb.190:                              ;   in Loop: Header=BB65_15 Depth=1
	s_and_saveexec_b32 s84, s5
	s_cbranch_execz .LBB65_192
; %bb.191:                              ;   in Loop: Header=BB65_15 Depth=1
	v_mov_b32_e32 v3, s18
	ds_store_b32 v9, v3 offset:4100
.LBB65_192:                             ;   in Loop: Header=BB65_15 Depth=1
	s_or_b32 exec_lo, exec_lo, s84
	s_waitcnt lgkmcnt(0)
	s_barrier
	buffer_gl0_inv
.LBB65_193:                             ;   in Loop: Header=BB65_15 Depth=1
	s_lshl_b32 s84, 2, s17
	v_or_b32_e32 v2, s13, v2
	v_and_or_b32 v1, v1, s14, s84
	s_mov_b32 s84, 0
	s_mov_b32 s86, 8
.LBB65_194:                             ;   in Loop: Header=BB65_15 Depth=1
	s_or_saveexec_b32 s85, s85
	v_mov_b32_e32 v4, s86
	s_xor_b32 exec_lo, exec_lo, s85
; %bb.195:                              ;   in Loop: Header=BB65_15 Depth=1
	v_subrev_nc_u32_e32 v31, s18, v31
	v_mov_b32_e32 v4, 0
	s_or_b32 s84, s84, exec_lo
; %bb.196:                              ;   in Loop: Header=BB65_15 Depth=1
	s_or_b32 exec_lo, exec_lo, s85
	s_delay_alu instid0(VALU_DEP_2)
	v_mov_b32_e32 v3, v31
	s_and_b32 s86, s84, exec_lo
.LBB65_197:                             ;   in Loop: Header=BB65_15 Depth=1
	s_or_b32 exec_lo, exec_lo, s11
	s_mov_b32 s85, -1
                                        ; implicit-def: $sgpr11
                                        ; implicit-def: $sgpr88
                                        ; implicit-def: $sgpr87
	s_and_saveexec_b32 s84, s86
	s_cbranch_execz .LBB65_238
; %bb.198:                              ;   in Loop: Header=BB65_15 Depth=1
	v_cmp_eq_u32_e32 vcc_lo, 1, v3
	s_cmp_eq_u32 s19, 1
	s_mov_b32 s89, -1
	s_cselect_b32 s11, -1, 0
                                        ; implicit-def: $sgpr88
                                        ; implicit-def: $sgpr87
	s_delay_alu instid0(SALU_CYCLE_1) | instskip(NEXT) | instid1(SALU_CYCLE_1)
	s_and_b32 s85, s11, vcc_lo
                                        ; implicit-def: $sgpr11
	s_and_saveexec_b32 s86, s85
	s_cbranch_execz .LBB65_225
; %bb.199:                              ;   in Loop: Header=BB65_15 Depth=1
	ds_load_b32 v4, v9 offset:4096
	s_waitcnt lgkmcnt(0)
	s_barrier
	buffer_gl0_inv
	v_readfirstlane_b32 s87, v4
	s_and_saveexec_b32 s11, s6
	s_cbranch_execz .LBB65_201
; %bb.200:                              ;   in Loop: Header=BB65_15 Depth=1
	ds_store_b16 v19, v9
.LBB65_201:                             ;   in Loop: Header=BB65_15 Depth=1
	s_or_b32 exec_lo, exec_lo, s11
	v_or_b32_e32 v1, s13, v1
	v_or_b32_e32 v2, s13, v2
	s_cmp_eq_u32 s87, 0
	s_waitcnt lgkmcnt(0)
	s_barrier
	buffer_gl0_inv
	s_cbranch_scc1 .LBB65_210
; %bb.202:                              ;   in Loop: Header=BB65_15 Depth=1
	s_add_i32 s11, s87, s56
                                        ; implicit-def: $vgpr30
	s_delay_alu instid0(SALU_CYCLE_1) | instskip(NEXT) | instid1(SALU_CYCLE_1)
	s_mul_hi_u32 s88, s11, s63
	s_mul_i32 s88, s88, s34
	s_delay_alu instid0(SALU_CYCLE_1) | instskip(NEXT) | instid1(SALU_CYCLE_1)
	s_sub_i32 s88, s11, s88
	s_sub_i32 s89, s88, s34
	s_cmp_ge_u32 s88, s34
	s_cselect_b32 s88, s89, s88
	s_delay_alu instid0(SALU_CYCLE_1)
	s_sub_i32 s89, s88, s34
	s_cmp_ge_u32 s88, s34
	s_cselect_b32 s88, s89, s88
	s_mov_b32 s89, 0
	s_sub_i32 s90, s11, s88
	s_mov_b32 s88, exec_lo
	v_cmpx_gt_u32_e64 s90, v0
	s_cbranch_execz .LBB65_212
; %bb.203:                              ;   in Loop: Header=BB65_15 Depth=1
	v_mov_b32_e32 v4, v17
	v_mov_b32_e32 v8, v0
                                        ; implicit-def: $sgpr91
	s_set_inst_prefetch_distance 0x1
	s_branch .LBB65_205
	.p2align	6
.LBB65_204:                             ;   in Loop: Header=BB65_205 Depth=2
	s_or_b32 exec_lo, exec_lo, s11
	s_waitcnt lgkmcnt(0)
	s_barrier
	buffer_gl0_inv
	ds_load_b32 v30, v9 offset:3072
	v_add_nc_u32_e32 v8, s34, v8
	v_add_nc_u32_e32 v4, s67, v4
	s_waitcnt lgkmcnt(0)
	s_barrier
	buffer_gl0_inv
	v_cmp_le_u32_e32 vcc_lo, s90, v8
	v_cmp_ne_u16_e64 s11, 0, v30
	s_delay_alu instid0(VALU_DEP_1) | instskip(NEXT) | instid1(SALU_CYCLE_1)
	s_or_b32 s92, vcc_lo, s11
	s_and_b32 s92, exec_lo, s92
	s_delay_alu instid0(SALU_CYCLE_1) | instskip(SKIP_2) | instid1(SALU_CYCLE_1)
	s_or_b32 s89, s92, s89
	s_and_not1_b32 s91, s91, exec_lo
	s_and_b32 s11, s11, exec_lo
	s_or_b32 s91, s91, s11
	s_and_not1_b32 exec_lo, exec_lo, s89
	s_cbranch_execz .LBB65_211
.LBB65_205:                             ;   Parent Loop BB65_15 Depth=1
                                        ; =>  This Inner Loop Header: Depth=2
	s_delay_alu instid0(VALU_DEP_1)
	v_cmp_gt_u32_e32 vcc_lo, s87, v8
	v_mov_b32_e32 v30, 0
	s_and_saveexec_b32 s11, vcc_lo
	s_cbranch_execz .LBB65_207
; %bb.206:                              ;   in Loop: Header=BB65_205 Depth=2
	ds_load_u16 v30, v4
.LBB65_207:                             ;   in Loop: Header=BB65_205 Depth=2
	s_or_b32 exec_lo, exec_lo, s11
	s_and_saveexec_b32 s11, vcc_lo
	s_cbranch_execz .LBB65_204
; %bb.208:                              ;   in Loop: Header=BB65_205 Depth=2
	s_waitcnt lgkmcnt(0)
	v_bfe_i32 v31, v30, 0, 16
	s_delay_alu instid0(VALU_DEP_1) | instskip(NEXT) | instid1(VALU_DEP_1)
	v_add_nc_u32_e32 v31, 0x8000, v31
	v_and_b32_e32 v31, v31, v2
	s_delay_alu instid0(VALU_DEP_1)
	v_cmp_eq_u32_e32 vcc_lo, v31, v1
	s_and_b32 exec_lo, exec_lo, vcc_lo
	s_cbranch_execz .LBB65_204
; %bb.209:                              ;   in Loop: Header=BB65_205 Depth=2
	v_perm_b32 v30, v30, 1, 0x5040100
	ds_store_b32 v9, v30 offset:3072
	s_branch .LBB65_204
.LBB65_210:                             ;   in Loop: Header=BB65_15 Depth=1
	s_mov_b32 s11, -1
	s_mov_b32 s89, 0
                                        ; implicit-def: $sgpr87
                                        ; implicit-def: $vgpr30
	s_branch .LBB65_213
.LBB65_211:                             ;   in Loop: Header=BB65_15 Depth=1
	s_set_inst_prefetch_distance 0x2
	s_or_b32 exec_lo, exec_lo, s89
	v_lshrrev_b32_e32 v30, 16, v30
	s_and_b32 s89, s91, exec_lo
.LBB65_212:                             ;   in Loop: Header=BB65_15 Depth=1
	s_or_b32 exec_lo, exec_lo, s88
	s_mov_b32 s87, -1
	s_mov_b32 s11, 0
.LBB65_213:                             ;   in Loop: Header=BB65_15 Depth=1
	s_delay_alu instid0(SALU_CYCLE_1)
	s_and_b32 vcc_lo, exec_lo, s11
	s_mov_b32 s88, s11
	s_cbranch_vccz .LBB65_224
; %bb.214:                              ;   in Loop: Header=BB65_15 Depth=1
	s_mov_b32 s89, 0
                                        ; implicit-def: $vgpr30
	s_and_saveexec_b32 s87, s9
	s_cbranch_execz .LBB65_223
; %bb.215:                              ;   in Loop: Header=BB65_15 Depth=1
	v_mov_b32_e32 v8, v7
	v_mov_b32_e32 v4, v0
	s_mov_b32 s88, 0
                                        ; implicit-def: $sgpr89
	s_set_inst_prefetch_distance 0x1
	s_branch .LBB65_217
	.p2align	6
.LBB65_216:                             ;   in Loop: Header=BB65_217 Depth=2
	s_or_b32 exec_lo, exec_lo, s11
	s_waitcnt vmcnt(0) lgkmcnt(0)
	s_barrier
	buffer_gl0_inv
	ds_load_b32 v30, v9 offset:3072
	v_add_nc_u32_e32 v4, s34, v4
	v_add_nc_u32_e32 v8, s40, v8
	s_waitcnt lgkmcnt(0)
	s_barrier
	buffer_gl0_inv
	v_cmp_le_u32_e32 vcc_lo, s64, v4
	v_cmp_ne_u16_e64 s11, 0, v30
	s_delay_alu instid0(VALU_DEP_1) | instskip(NEXT) | instid1(SALU_CYCLE_1)
	s_or_b32 s90, vcc_lo, s11
	s_and_b32 s90, exec_lo, s90
	s_delay_alu instid0(SALU_CYCLE_1) | instskip(SKIP_2) | instid1(SALU_CYCLE_1)
	s_or_b32 s88, s90, s88
	s_and_not1_b32 s89, s89, exec_lo
	s_and_b32 s11, s11, exec_lo
	s_or_b32 s89, s89, s11
	s_and_not1_b32 exec_lo, exec_lo, s88
	s_cbranch_execz .LBB65_222
.LBB65_217:                             ;   Parent Loop BB65_15 Depth=1
                                        ; =>  This Inner Loop Header: Depth=2
	s_delay_alu instid0(VALU_DEP_1)
	v_cmp_gt_u32_e32 vcc_lo, s36, v4
	v_mov_b32_e32 v30, 0
	s_and_saveexec_b32 s90, vcc_lo
	s_cbranch_execz .LBB65_219
; %bb.218:                              ;   in Loop: Header=BB65_217 Depth=2
	v_lshlrev_b64 v[30:31], 1, v[8:9]
	s_delay_alu instid0(VALU_DEP_1) | instskip(NEXT) | instid1(VALU_DEP_1)
	v_add_co_u32 v30, s11, s31, v30
	v_add_co_ci_u32_e64 v31, s11, s33, v31, s11
	global_load_u16 v30, v[30:31], off
.LBB65_219:                             ;   in Loop: Header=BB65_217 Depth=2
	s_or_b32 exec_lo, exec_lo, s90
	s_and_saveexec_b32 s11, vcc_lo
	s_cbranch_execz .LBB65_216
; %bb.220:                              ;   in Loop: Header=BB65_217 Depth=2
	s_waitcnt vmcnt(0)
	v_bfe_i32 v31, v30, 0, 16
	s_delay_alu instid0(VALU_DEP_1) | instskip(NEXT) | instid1(VALU_DEP_1)
	v_add_nc_u32_e32 v31, 0x8000, v31
	v_and_b32_e32 v31, v31, v2
	s_delay_alu instid0(VALU_DEP_1)
	v_cmp_eq_u32_e32 vcc_lo, v31, v1
	s_and_b32 exec_lo, exec_lo, vcc_lo
	s_cbranch_execz .LBB65_216
; %bb.221:                              ;   in Loop: Header=BB65_217 Depth=2
	v_perm_b32 v30, v30, 1, 0x5040100
	ds_store_b32 v9, v30 offset:3072
	s_branch .LBB65_216
.LBB65_222:                             ;   in Loop: Header=BB65_15 Depth=1
	s_set_inst_prefetch_distance 0x2
	s_or_b32 exec_lo, exec_lo, s88
	v_lshrrev_b32_e32 v30, 16, v30
	s_and_b32 s89, s89, exec_lo
.LBB65_223:                             ;   in Loop: Header=BB65_15 Depth=1
	s_or_b32 exec_lo, exec_lo, s87
	s_mov_b32 s88, -1
	s_mov_b32 s11, 0
	s_mov_b32 s87, 0
.LBB65_224:                             ;   in Loop: Header=BB65_15 Depth=1
	s_or_not1_b32 s89, s89, exec_lo
.LBB65_225:                             ;   in Loop: Header=BB65_15 Depth=1
	s_or_b32 exec_lo, exec_lo, s86
	s_mov_b32 s90, 0
                                        ; implicit-def: $vgpr4
                                        ; implicit-def: $vgpr8
	s_and_saveexec_b32 s86, s89
	s_cbranch_execz .LBB65_237
; %bb.226:                              ;   in Loop: Header=BB65_15 Depth=1
	v_mov_b32_e32 v4, 1
	v_mov_b32_e32 v8, 1
	s_xor_b32 s89, s85, -1
	s_delay_alu instid0(SALU_CYCLE_1)
	s_and_saveexec_b32 s85, s89
	s_cbranch_execz .LBB65_236
; %bb.227:                              ;   in Loop: Header=BB65_15 Depth=1
	s_mov_b32 s89, exec_lo
                                        ; implicit-def: $sgpr90
	v_cmpx_ge_u32_e64 s19, v3
	s_xor_b32 s89, exec_lo, s89
	s_cbranch_execz .LBB65_233
; %bb.228:                              ;   in Loop: Header=BB65_15 Depth=1
	ds_load_b32 v4, v9 offset:4096
	s_waitcnt lgkmcnt(0)
	v_cmp_ne_u32_e32 vcc_lo, 0, v4
	s_cbranch_vccnz .LBB65_232
; %bb.229:                              ;   in Loop: Header=BB65_15 Depth=1
	s_and_saveexec_b32 s90, s5
	s_cbranch_execz .LBB65_231
; %bb.230:                              ;   in Loop: Header=BB65_15 Depth=1
	v_mov_b32_e32 v4, s19
	ds_store_b32 v9, v4 offset:4100
.LBB65_231:                             ;   in Loop: Header=BB65_15 Depth=1
	s_or_b32 exec_lo, exec_lo, s90
	s_waitcnt lgkmcnt(0)
	s_barrier
	buffer_gl0_inv
.LBB65_232:                             ;   in Loop: Header=BB65_15 Depth=1
	v_or_b32_e32 v1, s13, v1
	v_or_b32_e32 v2, s13, v2
	s_mov_b32 s90, 8
.LBB65_233:                             ;   in Loop: Header=BB65_15 Depth=1
	s_or_saveexec_b32 s89, s89
	v_mov_b32_e32 v4, s90
	s_xor_b32 exec_lo, exec_lo, s89
; %bb.234:                              ;   in Loop: Header=BB65_15 Depth=1
	v_subrev_nc_u32_e32 v3, s19, v3
	v_mov_b32_e32 v4, 8
; %bb.235:                              ;   in Loop: Header=BB65_15 Depth=1
	s_or_b32 exec_lo, exec_lo, s89
	s_delay_alu instid0(VALU_DEP_2)
	v_mov_b32_e32 v8, v3
.LBB65_236:                             ;   in Loop: Header=BB65_15 Depth=1
	s_or_b32 exec_lo, exec_lo, s85
	s_delay_alu instid0(SALU_CYCLE_1)
	s_mov_b32 s90, exec_lo
.LBB65_237:                             ;   in Loop: Header=BB65_15 Depth=1
	s_or_b32 exec_lo, exec_lo, s86
	s_delay_alu instid0(VALU_DEP_1)
	v_mov_b32_e32 v3, v8
	s_or_not1_b32 s85, s90, exec_lo
.LBB65_238:                             ;   in Loop: Header=BB65_15 Depth=1
	s_or_b32 exec_lo, exec_lo, s84
	s_delay_alu instid0(SALU_CYCLE_1)
	s_and_not1_b32 s80, s80, exec_lo
	s_and_b32 s11, s11, exec_lo
	v_mov_b32_e32 v31, v3
	s_or_b32 s80, s80, s11
	s_and_not1_b32 s11, s82, exec_lo
	s_and_b32 s82, s88, exec_lo
	s_and_not1_b32 s81, s81, exec_lo
	s_and_b32 s84, s87, exec_lo
	s_or_b32 s82, s11, s82
	s_or_b32 s81, s81, s84
	s_and_b32 s85, s85, exec_lo
.LBB65_239:                             ;   in Loop: Header=BB65_15 Depth=1
	s_or_b32 exec_lo, exec_lo, s83
	s_delay_alu instid0(SALU_CYCLE_1)
	s_and_b32 s83, s80, exec_lo
	s_and_b32 s82, s82, exec_lo
	;; [unrolled: 1-line block ×3, first 2 shown]
	s_or_not1_b32 s11, s85, exec_lo
.LBB65_240:                             ;   in Loop: Header=BB65_15 Depth=1
	s_or_b32 exec_lo, exec_lo, s29
	s_delay_alu instid0(SALU_CYCLE_1)
	s_and_not1_b32 s25, s25, exec_lo
	s_and_b32 s29, s83, exec_lo
	v_mov_b32_e32 v3, v31
	s_or_b32 s25, s25, s29
	s_and_not1_b32 s27, s27, exec_lo
	s_and_b32 s29, s82, exec_lo
	s_and_not1_b32 s26, s26, exec_lo
	s_and_b32 s80, s80, exec_lo
	s_or_b32 s27, s27, s29
	s_or_b32 s26, s26, s80
	s_and_b32 s80, s11, exec_lo
.LBB65_241:                             ;   in Loop: Header=BB65_15 Depth=1
	s_or_b32 exec_lo, exec_lo, s28
	s_delay_alu instid0(SALU_CYCLE_1)
	s_and_b32 s28, s25, exec_lo
	s_and_b32 s27, s27, exec_lo
	;; [unrolled: 1-line block ×3, first 2 shown]
	s_or_not1_b32 s11, s80, exec_lo
.LBB65_242:                             ;   in Loop: Header=BB65_15 Depth=1
	s_or_b32 exec_lo, exec_lo, s20
	s_mov_b32 s20, 0
	s_mov_b32 s26, 0
	s_and_saveexec_b32 s29, s11
	s_delay_alu instid0(SALU_CYCLE_1)
	s_xor_b32 s29, exec_lo, s29
; %bb.243:                              ;   in Loop: Header=BB65_15 Depth=1
	v_cmp_ne_u32_e32 vcc_lo, 8, v4
	v_cmp_eq_u32_e64 s11, 8, v4
	s_and_not1_b32 s28, s28, exec_lo
	s_and_not1_b32 s27, s27, exec_lo
	;; [unrolled: 1-line block ×3, first 2 shown]
	s_and_b32 s26, vcc_lo, exec_lo
	s_and_b32 s20, s11, exec_lo
; %bb.244:                              ;   in Loop: Header=BB65_15 Depth=1
	s_or_b32 exec_lo, exec_lo, s29
	s_delay_alu instid0(SALU_CYCLE_1)
	s_and_not1_b32 s11, s15, exec_lo
	s_and_b32 s15, s28, exec_lo
	s_and_not1_b32 s21, s21, exec_lo
	s_or_b32 s15, s11, s15
	s_and_not1_b32 s11, s22, exec_lo
	s_and_b32 s22, s27, exec_lo
	s_and_b32 s25, s25, exec_lo
	s_or_b32 s22, s11, s22
	s_or_b32 s21, s21, s25
	s_and_b32 s11, s26, exec_lo
	s_and_b32 s20, s20, exec_lo
.LBB65_245:                             ;   in Loop: Header=BB65_15 Depth=1
	s_or_b32 exec_lo, exec_lo, s24
	s_delay_alu instid0(SALU_CYCLE_1)
	s_and_b32 vcc_lo, exec_lo, s23
	s_cbranch_vccz .LBB65_92
.LBB65_246:                             ;   in Loop: Header=BB65_15 Depth=1
	s_cmp_eq_u32 s19, 1
                                        ; implicit-def: $sgpr23
                                        ; implicit-def: $sgpr24
	s_cselect_b32 s15, -1, 0
	s_delay_alu instid0(SALU_CYCLE_1)
	s_and_b32 s22, s15, s10
	s_mov_b32 s10, -1
                                        ; implicit-def: $sgpr15
	s_and_saveexec_b32 s21, s22
	s_cbranch_execz .LBB65_272
; %bb.247:                              ;   in Loop: Header=BB65_15 Depth=1
	ds_load_b32 v1, v9 offset:4096
	s_waitcnt lgkmcnt(0)
	s_barrier
	buffer_gl0_inv
	v_readfirstlane_b32 s15, v1
	s_and_saveexec_b32 s10, s6
	s_cbranch_execz .LBB65_249
; %bb.248:                              ;   in Loop: Header=BB65_15 Depth=1
	ds_store_b16 v19, v9
.LBB65_249:                             ;   in Loop: Header=BB65_15 Depth=1
	s_or_b32 exec_lo, exec_lo, s10
	v_or_b32_e32 v27, s13, v27
	v_or_b32_e32 v26, s13, v26
	s_cmp_eq_u32 s15, 0
	s_waitcnt lgkmcnt(0)
	s_barrier
	buffer_gl0_inv
	s_cbranch_scc1 .LBB65_258
; %bb.250:                              ;   in Loop: Header=BB65_15 Depth=1
	s_add_i32 s10, s15, s56
                                        ; implicit-def: $vgpr28
	s_delay_alu instid0(SALU_CYCLE_1) | instskip(NEXT) | instid1(SALU_CYCLE_1)
	s_mul_hi_u32 s23, s10, s63
	s_mul_i32 s23, s23, s34
	s_delay_alu instid0(SALU_CYCLE_1) | instskip(NEXT) | instid1(SALU_CYCLE_1)
	s_sub_i32 s23, s10, s23
	s_sub_i32 s24, s23, s34
	s_cmp_ge_u32 s23, s34
	s_cselect_b32 s23, s24, s23
	s_delay_alu instid0(SALU_CYCLE_1) | instskip(SKIP_2) | instid1(SALU_CYCLE_1)
	s_sub_i32 s24, s23, s34
	s_cmp_ge_u32 s23, s34
	s_cselect_b32 s23, s24, s23
	s_sub_i32 s24, s10, s23
	s_mov_b32 s10, 0
	s_mov_b32 s23, exec_lo
	v_cmpx_gt_u32_e64 s24, v0
	s_cbranch_execz .LBB65_260
; %bb.251:                              ;   in Loop: Header=BB65_15 Depth=1
	v_dual_mov_b32 v1, v17 :: v_dual_mov_b32 v2, v0
	s_mov_b32 s25, 0
                                        ; implicit-def: $sgpr26
	s_set_inst_prefetch_distance 0x1
	s_branch .LBB65_253
	.p2align	6
.LBB65_252:                             ;   in Loop: Header=BB65_253 Depth=2
	s_or_b32 exec_lo, exec_lo, s10
	s_waitcnt lgkmcnt(0)
	s_barrier
	buffer_gl0_inv
	ds_load_b32 v3, v9 offset:3072
	v_add_nc_u32_e32 v2, s34, v2
	v_add_nc_u32_e32 v1, s67, v1
	s_waitcnt lgkmcnt(0)
	s_barrier
	buffer_gl0_inv
	v_cmp_le_u32_e32 vcc_lo, s24, v2
	v_cmp_ne_u16_e64 s10, 0, v3
	s_delay_alu instid0(VALU_DEP_1) | instskip(NEXT) | instid1(SALU_CYCLE_1)
	s_or_b32 s27, vcc_lo, s10
	s_and_b32 s27, exec_lo, s27
	s_delay_alu instid0(SALU_CYCLE_1) | instskip(SKIP_2) | instid1(SALU_CYCLE_1)
	s_or_b32 s25, s27, s25
	s_and_not1_b32 s26, s26, exec_lo
	s_and_b32 s10, s10, exec_lo
	s_or_b32 s26, s26, s10
	s_and_not1_b32 exec_lo, exec_lo, s25
	s_cbranch_execz .LBB65_259
.LBB65_253:                             ;   Parent Loop BB65_15 Depth=1
                                        ; =>  This Inner Loop Header: Depth=2
	s_delay_alu instid0(VALU_DEP_1)
	v_cmp_gt_u32_e32 vcc_lo, s15, v2
	v_mov_b32_e32 v3, 0
	s_and_saveexec_b32 s10, vcc_lo
	s_cbranch_execz .LBB65_255
; %bb.254:                              ;   in Loop: Header=BB65_253 Depth=2
	ds_load_u16 v3, v1
.LBB65_255:                             ;   in Loop: Header=BB65_253 Depth=2
	s_or_b32 exec_lo, exec_lo, s10
	s_and_saveexec_b32 s10, vcc_lo
	s_cbranch_execz .LBB65_252
; %bb.256:                              ;   in Loop: Header=BB65_253 Depth=2
	s_waitcnt lgkmcnt(0)
	v_bfe_i32 v4, v3, 0, 16
	s_delay_alu instid0(VALU_DEP_1) | instskip(NEXT) | instid1(VALU_DEP_1)
	v_add_nc_u32_e32 v4, 0x8000, v4
	v_and_b32_e32 v4, v4, v26
	s_delay_alu instid0(VALU_DEP_1)
	v_cmp_eq_u32_e32 vcc_lo, v4, v27
	s_and_b32 exec_lo, exec_lo, vcc_lo
	s_cbranch_execz .LBB65_252
; %bb.257:                              ;   in Loop: Header=BB65_253 Depth=2
	v_perm_b32 v3, v3, 1, 0x5040100
	ds_store_b32 v9, v3 offset:3072
	s_branch .LBB65_252
.LBB65_258:                             ;   in Loop: Header=BB65_15 Depth=1
	s_mov_b32 s23, -1
	s_mov_b32 s10, 0
                                        ; implicit-def: $sgpr24
                                        ; implicit-def: $vgpr28
	s_mov_b32 s15, s23
	s_cbranch_execnz .LBB65_261
	s_branch .LBB65_271
.LBB65_259:                             ;   in Loop: Header=BB65_15 Depth=1
	s_set_inst_prefetch_distance 0x2
	s_or_b32 exec_lo, exec_lo, s25
	v_lshrrev_b32_e32 v28, 16, v3
	s_and_b32 s10, s26, exec_lo
.LBB65_260:                             ;   in Loop: Header=BB65_15 Depth=1
	s_or_b32 exec_lo, exec_lo, s23
	s_mov_b32 s23, 0
	s_mov_b32 s24, -1
	s_mov_b32 s15, s23
	s_branch .LBB65_271
.LBB65_261:                             ;   in Loop: Header=BB65_15 Depth=1
	s_mov_b32 s10, 0
                                        ; implicit-def: $vgpr28
	s_and_saveexec_b32 s15, s9
	s_cbranch_execz .LBB65_270
; %bb.262:                              ;   in Loop: Header=BB65_15 Depth=1
	v_dual_mov_b32 v8, v7 :: v_dual_mov_b32 v1, v0
	s_mov_b32 s23, 0
                                        ; implicit-def: $sgpr24
	s_set_inst_prefetch_distance 0x1
	s_branch .LBB65_264
	.p2align	6
.LBB65_263:                             ;   in Loop: Header=BB65_264 Depth=2
	s_or_b32 exec_lo, exec_lo, s10
	s_waitcnt vmcnt(0) lgkmcnt(0)
	s_barrier
	buffer_gl0_inv
	ds_load_b32 v2, v9 offset:3072
	v_add_nc_u32_e32 v1, s34, v1
	v_add_nc_u32_e32 v8, s40, v8
	s_waitcnt lgkmcnt(0)
	s_barrier
	buffer_gl0_inv
	v_cmp_le_u32_e32 vcc_lo, s64, v1
	v_cmp_ne_u16_e64 s10, 0, v2
	s_delay_alu instid0(VALU_DEP_1) | instskip(NEXT) | instid1(SALU_CYCLE_1)
	s_or_b32 s25, vcc_lo, s10
	s_and_b32 s25, exec_lo, s25
	s_delay_alu instid0(SALU_CYCLE_1) | instskip(SKIP_2) | instid1(SALU_CYCLE_1)
	s_or_b32 s23, s25, s23
	s_and_not1_b32 s24, s24, exec_lo
	s_and_b32 s10, s10, exec_lo
	s_or_b32 s24, s24, s10
	s_and_not1_b32 exec_lo, exec_lo, s23
	s_cbranch_execz .LBB65_269
.LBB65_264:                             ;   Parent Loop BB65_15 Depth=1
                                        ; =>  This Inner Loop Header: Depth=2
	s_delay_alu instid0(VALU_DEP_1)
	v_cmp_gt_u32_e32 vcc_lo, s36, v1
	v_mov_b32_e32 v2, 0
	s_and_saveexec_b32 s25, vcc_lo
	s_cbranch_execz .LBB65_266
; %bb.265:                              ;   in Loop: Header=BB65_264 Depth=2
	v_lshlrev_b64 v[2:3], 1, v[8:9]
	s_delay_alu instid0(VALU_DEP_1) | instskip(NEXT) | instid1(VALU_DEP_1)
	v_add_co_u32 v2, s10, s31, v2
	v_add_co_ci_u32_e64 v3, s10, s33, v3, s10
	global_load_u16 v2, v[2:3], off
.LBB65_266:                             ;   in Loop: Header=BB65_264 Depth=2
	s_or_b32 exec_lo, exec_lo, s25
	s_and_saveexec_b32 s10, vcc_lo
	s_cbranch_execz .LBB65_263
; %bb.267:                              ;   in Loop: Header=BB65_264 Depth=2
	s_waitcnt vmcnt(0)
	v_bfe_i32 v3, v2, 0, 16
	s_delay_alu instid0(VALU_DEP_1) | instskip(NEXT) | instid1(VALU_DEP_1)
	v_add_nc_u32_e32 v3, 0x8000, v3
	v_and_b32_e32 v3, v3, v26
	s_delay_alu instid0(VALU_DEP_1)
	v_cmp_eq_u32_e32 vcc_lo, v3, v27
	s_and_b32 exec_lo, exec_lo, vcc_lo
	s_cbranch_execz .LBB65_263
; %bb.268:                              ;   in Loop: Header=BB65_264 Depth=2
	v_perm_b32 v2, v2, 1, 0x5040100
	ds_store_b32 v9, v2 offset:3072
	s_branch .LBB65_263
.LBB65_269:                             ;   in Loop: Header=BB65_15 Depth=1
	s_set_inst_prefetch_distance 0x2
	s_or_b32 exec_lo, exec_lo, s23
	v_lshrrev_b32_e32 v28, 16, v2
	s_and_b32 s10, s24, exec_lo
.LBB65_270:                             ;   in Loop: Header=BB65_15 Depth=1
	s_or_b32 exec_lo, exec_lo, s15
	s_mov_b32 s24, 0
	s_mov_b32 s23, -1
	s_mov_b32 s15, 0
.LBB65_271:                             ;   in Loop: Header=BB65_15 Depth=1
	s_or_not1_b32 s10, s10, exec_lo
.LBB65_272:                             ;   in Loop: Header=BB65_15 Depth=1
	s_or_b32 exec_lo, exec_lo, s21
                                        ; implicit-def: $vgpr4
                                        ; implicit-def: $vgpr3
                                        ; implicit-def: $vgpr1
                                        ; implicit-def: $vgpr2
                                        ; implicit-def: $vgpr30
	s_and_saveexec_b32 s21, s10
	s_cbranch_execz .LBB65_407
; %bb.273:                              ;   in Loop: Header=BB65_15 Depth=1
	v_dual_mov_b32 v3, 1 :: v_dual_mov_b32 v4, 1
	s_xor_b32 s22, s22, -1
	s_mov_b32 s28, 0
	s_and_saveexec_b32 s10, s22
	s_cbranch_execz .LBB65_283
; %bb.274:                              ;   in Loop: Header=BB65_15 Depth=1
	s_mov_b32 s25, exec_lo
                                        ; implicit-def: $sgpr26
                                        ; implicit-def: $sgpr22
	v_cmpx_ge_u32_e64 s19, v29
	s_xor_b32 s25, exec_lo, s25
	s_cbranch_execz .LBB65_280
; %bb.275:                              ;   in Loop: Header=BB65_15 Depth=1
	ds_load_b32 v1, v9 offset:4096
	s_waitcnt lgkmcnt(0)
	v_cmp_ne_u32_e32 vcc_lo, 0, v1
	s_cbranch_vccnz .LBB65_279
; %bb.276:                              ;   in Loop: Header=BB65_15 Depth=1
	s_and_saveexec_b32 s22, s5
	s_cbranch_execz .LBB65_278
; %bb.277:                              ;   in Loop: Header=BB65_15 Depth=1
	v_mov_b32_e32 v1, s19
	ds_store_b32 v9, v1 offset:4100
.LBB65_278:                             ;   in Loop: Header=BB65_15 Depth=1
	s_or_b32 exec_lo, exec_lo, s22
	s_waitcnt lgkmcnt(0)
	s_barrier
	buffer_gl0_inv
.LBB65_279:                             ;   in Loop: Header=BB65_15 Depth=1
	v_or_b32_e32 v27, s13, v27
	v_or_b32_e32 v26, s13, v26
	s_mov_b32 s22, 0
	s_mov_b32 s26, 5
.LBB65_280:                             ;   in Loop: Header=BB65_15 Depth=1
	s_or_saveexec_b32 s25, s25
	v_mov_b32_e32 v4, s26
	s_xor_b32 exec_lo, exec_lo, s25
; %bb.281:                              ;   in Loop: Header=BB65_15 Depth=1
	v_subrev_nc_u32_e32 v29, s19, v29
	v_mov_b32_e32 v4, 0
	s_or_b32 s22, s22, exec_lo
; %bb.282:                              ;   in Loop: Header=BB65_15 Depth=1
	s_or_b32 exec_lo, exec_lo, s25
	s_delay_alu instid0(VALU_DEP_2)
	v_mov_b32_e32 v3, v29
	s_and_b32 s28, s22, exec_lo
.LBB65_283:                             ;   in Loop: Header=BB65_15 Depth=1
	s_or_b32 exec_lo, exec_lo, s10
	s_mov_b32 s26, -1
                                        ; implicit-def: $sgpr22
                                        ; implicit-def: $sgpr25
                                        ; implicit-def: $sgpr27
	s_and_saveexec_b32 s10, s28
	s_delay_alu instid0(SALU_CYCLE_1)
	s_xor_b32 s19, exec_lo, s10
	s_cbranch_execz .LBB65_404
; %bb.284:                              ;   in Loop: Header=BB65_15 Depth=1
	v_cmp_eq_u32_e32 vcc_lo, 1, v3
	s_cmp_eq_u32 s18, 1
                                        ; implicit-def: $sgpr22
                                        ; implicit-def: $sgpr25
                                        ; implicit-def: $sgpr26
	s_cselect_b32 s10, -1, 0
	s_delay_alu instid0(SALU_CYCLE_1)
	s_and_b32 s28, s10, vcc_lo
	s_mov_b32 s10, -1
	s_and_saveexec_b32 s27, s28
	s_cbranch_execz .LBB65_310
; %bb.285:                              ;   in Loop: Header=BB65_15 Depth=1
	ds_load_b32 v1, v9 offset:4096
	s_waitcnt lgkmcnt(0)
	s_barrier
	buffer_gl0_inv
	v_readfirstlane_b32 s22, v1
	s_and_saveexec_b32 s10, s6
	s_cbranch_execz .LBB65_287
; %bb.286:                              ;   in Loop: Header=BB65_15 Depth=1
	ds_store_b16 v19, v9
.LBB65_287:                             ;   in Loop: Header=BB65_15 Depth=1
	s_or_b32 exec_lo, exec_lo, s10
	s_lshl_b32 s10, 2, s17
	v_or_b32_e32 v26, s13, v26
	v_and_or_b32 v27, v27, s14, s10
	s_cmp_eq_u32 s22, 0
	s_waitcnt lgkmcnt(0)
	s_barrier
	buffer_gl0_inv
	s_cbranch_scc1 .LBB65_296
; %bb.288:                              ;   in Loop: Header=BB65_15 Depth=1
	s_add_i32 s10, s22, s56
                                        ; implicit-def: $vgpr28
	s_delay_alu instid0(SALU_CYCLE_1) | instskip(NEXT) | instid1(SALU_CYCLE_1)
	s_mul_hi_u32 s25, s10, s63
	s_mul_i32 s25, s25, s34
	s_delay_alu instid0(SALU_CYCLE_1) | instskip(NEXT) | instid1(SALU_CYCLE_1)
	s_sub_i32 s25, s10, s25
	s_sub_i32 s26, s25, s34
	s_cmp_ge_u32 s25, s34
	s_cselect_b32 s25, s26, s25
	s_delay_alu instid0(SALU_CYCLE_1) | instskip(SKIP_2) | instid1(SALU_CYCLE_1)
	s_sub_i32 s26, s25, s34
	s_cmp_ge_u32 s25, s34
	s_cselect_b32 s25, s26, s25
	s_sub_i32 s26, s10, s25
	s_mov_b32 s10, 0
	s_mov_b32 s25, exec_lo
	v_cmpx_gt_u32_e64 s26, v0
	s_cbranch_execz .LBB65_298
; %bb.289:                              ;   in Loop: Header=BB65_15 Depth=1
	v_dual_mov_b32 v1, v17 :: v_dual_mov_b32 v2, v0
	s_mov_b32 s29, 0
                                        ; implicit-def: $sgpr80
	s_set_inst_prefetch_distance 0x1
	s_branch .LBB65_291
	.p2align	6
.LBB65_290:                             ;   in Loop: Header=BB65_291 Depth=2
	s_or_b32 exec_lo, exec_lo, s10
	s_waitcnt lgkmcnt(0)
	s_barrier
	buffer_gl0_inv
	ds_load_b32 v4, v9 offset:3072
	v_add_nc_u32_e32 v2, s34, v2
	v_add_nc_u32_e32 v1, s67, v1
	s_waitcnt lgkmcnt(0)
	s_barrier
	buffer_gl0_inv
	v_cmp_le_u32_e32 vcc_lo, s26, v2
	v_cmp_ne_u16_e64 s10, 0, v4
	s_delay_alu instid0(VALU_DEP_1) | instskip(NEXT) | instid1(SALU_CYCLE_1)
	s_or_b32 s81, vcc_lo, s10
	s_and_b32 s81, exec_lo, s81
	s_delay_alu instid0(SALU_CYCLE_1) | instskip(SKIP_2) | instid1(SALU_CYCLE_1)
	s_or_b32 s29, s81, s29
	s_and_not1_b32 s80, s80, exec_lo
	s_and_b32 s10, s10, exec_lo
	s_or_b32 s80, s80, s10
	s_and_not1_b32 exec_lo, exec_lo, s29
	s_cbranch_execz .LBB65_297
.LBB65_291:                             ;   Parent Loop BB65_15 Depth=1
                                        ; =>  This Inner Loop Header: Depth=2
	s_delay_alu instid0(VALU_DEP_1)
	v_cmp_gt_u32_e32 vcc_lo, s22, v2
	v_mov_b32_e32 v4, 0
	s_and_saveexec_b32 s10, vcc_lo
	s_cbranch_execz .LBB65_293
; %bb.292:                              ;   in Loop: Header=BB65_291 Depth=2
	ds_load_u16 v4, v1
.LBB65_293:                             ;   in Loop: Header=BB65_291 Depth=2
	s_or_b32 exec_lo, exec_lo, s10
	s_and_saveexec_b32 s10, vcc_lo
	s_cbranch_execz .LBB65_290
; %bb.294:                              ;   in Loop: Header=BB65_291 Depth=2
	s_waitcnt lgkmcnt(0)
	v_bfe_i32 v8, v4, 0, 16
	s_delay_alu instid0(VALU_DEP_1) | instskip(NEXT) | instid1(VALU_DEP_1)
	v_add_nc_u32_e32 v8, 0x8000, v8
	v_and_b32_e32 v8, v8, v26
	s_delay_alu instid0(VALU_DEP_1)
	v_cmp_eq_u32_e32 vcc_lo, v8, v27
	s_and_b32 exec_lo, exec_lo, vcc_lo
	s_cbranch_execz .LBB65_290
; %bb.295:                              ;   in Loop: Header=BB65_291 Depth=2
	v_perm_b32 v4, v4, 1, 0x5040100
	ds_store_b32 v9, v4 offset:3072
	s_branch .LBB65_290
.LBB65_296:                             ;   in Loop: Header=BB65_15 Depth=1
	s_mov_b32 s22, -1
	s_mov_b32 s10, 0
                                        ; implicit-def: $sgpr25
                                        ; implicit-def: $vgpr28
	s_mov_b32 s26, s22
	s_cbranch_execnz .LBB65_299
	s_branch .LBB65_309
.LBB65_297:                             ;   in Loop: Header=BB65_15 Depth=1
	s_set_inst_prefetch_distance 0x2
	s_or_b32 exec_lo, exec_lo, s29
	v_lshrrev_b32_e32 v28, 16, v4
	s_and_b32 s10, s80, exec_lo
.LBB65_298:                             ;   in Loop: Header=BB65_15 Depth=1
	s_or_b32 exec_lo, exec_lo, s25
	s_mov_b32 s22, 0
	s_mov_b32 s25, -1
	s_mov_b32 s26, s22
	s_branch .LBB65_309
.LBB65_299:                             ;   in Loop: Header=BB65_15 Depth=1
	s_mov_b32 s10, 0
                                        ; implicit-def: $vgpr28
	s_and_saveexec_b32 s22, s9
	s_cbranch_execz .LBB65_308
; %bb.300:                              ;   in Loop: Header=BB65_15 Depth=1
	v_dual_mov_b32 v8, v7 :: v_dual_mov_b32 v1, v0
	s_mov_b32 s25, 0
                                        ; implicit-def: $sgpr26
	s_set_inst_prefetch_distance 0x1
	s_branch .LBB65_302
	.p2align	6
.LBB65_301:                             ;   in Loop: Header=BB65_302 Depth=2
	s_or_b32 exec_lo, exec_lo, s10
	s_waitcnt vmcnt(0) lgkmcnt(0)
	s_barrier
	buffer_gl0_inv
	ds_load_b32 v2, v9 offset:3072
	v_add_nc_u32_e32 v1, s34, v1
	v_add_nc_u32_e32 v8, s40, v8
	s_waitcnt lgkmcnt(0)
	s_barrier
	buffer_gl0_inv
	v_cmp_le_u32_e32 vcc_lo, s64, v1
	v_cmp_ne_u16_e64 s10, 0, v2
	s_delay_alu instid0(VALU_DEP_1) | instskip(NEXT) | instid1(SALU_CYCLE_1)
	s_or_b32 s29, vcc_lo, s10
	s_and_b32 s29, exec_lo, s29
	s_delay_alu instid0(SALU_CYCLE_1) | instskip(SKIP_2) | instid1(SALU_CYCLE_1)
	s_or_b32 s25, s29, s25
	s_and_not1_b32 s26, s26, exec_lo
	s_and_b32 s10, s10, exec_lo
	s_or_b32 s26, s26, s10
	s_and_not1_b32 exec_lo, exec_lo, s25
	s_cbranch_execz .LBB65_307
.LBB65_302:                             ;   Parent Loop BB65_15 Depth=1
                                        ; =>  This Inner Loop Header: Depth=2
	s_delay_alu instid0(VALU_DEP_1)
	v_cmp_gt_u32_e32 vcc_lo, s36, v1
	v_mov_b32_e32 v2, 0
	s_and_saveexec_b32 s29, vcc_lo
	s_cbranch_execz .LBB65_304
; %bb.303:                              ;   in Loop: Header=BB65_302 Depth=2
	v_lshlrev_b64 v[28:29], 1, v[8:9]
	s_delay_alu instid0(VALU_DEP_1) | instskip(NEXT) | instid1(VALU_DEP_1)
	v_add_co_u32 v28, s10, s31, v28
	v_add_co_ci_u32_e64 v29, s10, s33, v29, s10
	global_load_u16 v2, v[28:29], off
.LBB65_304:                             ;   in Loop: Header=BB65_302 Depth=2
	s_or_b32 exec_lo, exec_lo, s29
	s_and_saveexec_b32 s10, vcc_lo
	s_cbranch_execz .LBB65_301
; %bb.305:                              ;   in Loop: Header=BB65_302 Depth=2
	s_waitcnt vmcnt(0)
	v_bfe_i32 v4, v2, 0, 16
	s_delay_alu instid0(VALU_DEP_1) | instskip(NEXT) | instid1(VALU_DEP_1)
	v_add_nc_u32_e32 v4, 0x8000, v4
	v_and_b32_e32 v4, v4, v26
	s_delay_alu instid0(VALU_DEP_1)
	v_cmp_eq_u32_e32 vcc_lo, v4, v27
	s_and_b32 exec_lo, exec_lo, vcc_lo
	s_cbranch_execz .LBB65_301
; %bb.306:                              ;   in Loop: Header=BB65_302 Depth=2
	v_perm_b32 v2, v2, 1, 0x5040100
	ds_store_b32 v9, v2 offset:3072
	s_branch .LBB65_301
.LBB65_307:                             ;   in Loop: Header=BB65_15 Depth=1
	s_set_inst_prefetch_distance 0x2
	s_or_b32 exec_lo, exec_lo, s25
	v_lshrrev_b32_e32 v28, 16, v2
	s_and_b32 s10, s26, exec_lo
.LBB65_308:                             ;   in Loop: Header=BB65_15 Depth=1
	s_or_b32 exec_lo, exec_lo, s22
	s_mov_b32 s25, 0
	s_mov_b32 s22, -1
	s_mov_b32 s26, 0
.LBB65_309:                             ;   in Loop: Header=BB65_15 Depth=1
	s_or_not1_b32 s10, s10, exec_lo
.LBB65_310:                             ;   in Loop: Header=BB65_15 Depth=1
	s_or_b32 exec_lo, exec_lo, s27
	s_mov_b32 s29, 0
                                        ; implicit-def: $vgpr4
	s_and_saveexec_b32 s27, s10
	s_cbranch_execz .LBB65_403
; %bb.311:                              ;   in Loop: Header=BB65_15 Depth=1
	v_dual_mov_b32 v1, 1 :: v_dual_mov_b32 v4, 1
	s_xor_b32 s28, s28, -1
	s_mov_b32 s80, 0
	s_and_saveexec_b32 s10, s28
	s_cbranch_execz .LBB65_321
; %bb.312:                              ;   in Loop: Header=BB65_15 Depth=1
	s_mov_b32 s29, exec_lo
                                        ; implicit-def: $sgpr80
                                        ; implicit-def: $sgpr28
	v_cmpx_ge_u32_e64 s18, v3
	s_xor_b32 s29, exec_lo, s29
	s_cbranch_execz .LBB65_318
; %bb.313:                              ;   in Loop: Header=BB65_15 Depth=1
	ds_load_b32 v1, v9 offset:4096
	s_waitcnt lgkmcnt(0)
	v_cmp_ne_u32_e32 vcc_lo, 0, v1
	s_cbranch_vccnz .LBB65_317
; %bb.314:                              ;   in Loop: Header=BB65_15 Depth=1
	s_and_saveexec_b32 s28, s5
	s_cbranch_execz .LBB65_316
; %bb.315:                              ;   in Loop: Header=BB65_15 Depth=1
	v_mov_b32_e32 v1, s18
	ds_store_b32 v9, v1 offset:4100
.LBB65_316:                             ;   in Loop: Header=BB65_15 Depth=1
	s_or_b32 exec_lo, exec_lo, s28
	s_waitcnt lgkmcnt(0)
	s_barrier
	buffer_gl0_inv
.LBB65_317:                             ;   in Loop: Header=BB65_15 Depth=1
	s_lshl_b32 s28, 2, s17
	v_or_b32_e32 v26, s13, v26
	v_and_or_b32 v27, v27, s14, s28
	s_mov_b32 s28, 0
	s_mov_b32 s80, 5
.LBB65_318:                             ;   in Loop: Header=BB65_15 Depth=1
	s_or_saveexec_b32 s29, s29
	v_mov_b32_e32 v4, s80
	s_xor_b32 exec_lo, exec_lo, s29
; %bb.319:                              ;   in Loop: Header=BB65_15 Depth=1
	v_subrev_nc_u32_e32 v3, s18, v3
	v_mov_b32_e32 v4, 0
	s_or_b32 s28, s28, exec_lo
; %bb.320:                              ;   in Loop: Header=BB65_15 Depth=1
	s_or_b32 exec_lo, exec_lo, s29
	s_delay_alu instid0(VALU_DEP_2)
	v_mov_b32_e32 v1, v3
	s_and_b32 s80, s28, exec_lo
.LBB65_321:                             ;   in Loop: Header=BB65_15 Depth=1
	s_or_b32 exec_lo, exec_lo, s10
	s_mov_b32 s10, -1
                                        ; implicit-def: $sgpr28
                                        ; implicit-def: $sgpr29
                                        ; implicit-def: $sgpr81
	s_and_saveexec_b32 s18, s80
	s_cbranch_execz .LBB65_402
; %bb.322:                              ;   in Loop: Header=BB65_15 Depth=1
	v_cmp_eq_u32_e32 vcc_lo, 1, v1
	s_cmp_eq_u32 s16, 1
                                        ; implicit-def: $sgpr28
                                        ; implicit-def: $sgpr29
                                        ; implicit-def: $sgpr80
	s_cselect_b32 s10, -1, 0
	s_delay_alu instid0(SALU_CYCLE_1)
	s_and_b32 s82, s10, vcc_lo
	s_mov_b32 s10, -1
	s_and_saveexec_b32 s81, s82
	s_cbranch_execz .LBB65_348
; %bb.323:                              ;   in Loop: Header=BB65_15 Depth=1
	ds_load_b32 v2, v9 offset:4096
	s_waitcnt lgkmcnt(0)
	s_barrier
	buffer_gl0_inv
	v_readfirstlane_b32 s28, v2
	s_and_saveexec_b32 s10, s6
	s_cbranch_execz .LBB65_325
; %bb.324:                              ;   in Loop: Header=BB65_15 Depth=1
	ds_store_b16 v19, v9
.LBB65_325:                             ;   in Loop: Header=BB65_15 Depth=1
	s_or_b32 exec_lo, exec_lo, s10
	s_lshl_b32 s10, 1, s17
	v_or_b32_e32 v26, s13, v26
	v_and_or_b32 v27, v27, s14, s10
	s_cmp_eq_u32 s28, 0
	s_waitcnt lgkmcnt(0)
	s_barrier
	buffer_gl0_inv
	s_cbranch_scc1 .LBB65_334
; %bb.326:                              ;   in Loop: Header=BB65_15 Depth=1
	s_add_i32 s10, s28, s56
                                        ; implicit-def: $vgpr28
	s_delay_alu instid0(SALU_CYCLE_1) | instskip(NEXT) | instid1(SALU_CYCLE_1)
	s_mul_hi_u32 s29, s10, s63
	s_mul_i32 s29, s29, s34
	s_delay_alu instid0(SALU_CYCLE_1) | instskip(NEXT) | instid1(SALU_CYCLE_1)
	s_sub_i32 s29, s10, s29
	s_sub_i32 s80, s29, s34
	s_cmp_ge_u32 s29, s34
	s_cselect_b32 s29, s80, s29
	s_delay_alu instid0(SALU_CYCLE_1) | instskip(SKIP_2) | instid1(SALU_CYCLE_1)
	s_sub_i32 s80, s29, s34
	s_cmp_ge_u32 s29, s34
	s_cselect_b32 s29, s80, s29
	s_sub_i32 s80, s10, s29
	s_mov_b32 s10, 0
	s_mov_b32 s29, exec_lo
	v_cmpx_gt_u32_e64 s80, v0
	s_cbranch_execz .LBB65_336
; %bb.327:                              ;   in Loop: Header=BB65_15 Depth=1
	v_dual_mov_b32 v2, v17 :: v_dual_mov_b32 v3, v0
	s_mov_b32 s83, 0
                                        ; implicit-def: $sgpr84
	s_set_inst_prefetch_distance 0x1
	s_branch .LBB65_329
	.p2align	6
.LBB65_328:                             ;   in Loop: Header=BB65_329 Depth=2
	s_or_b32 exec_lo, exec_lo, s10
	s_waitcnt lgkmcnt(0)
	s_barrier
	buffer_gl0_inv
	ds_load_b32 v4, v9 offset:3072
	v_add_nc_u32_e32 v3, s34, v3
	v_add_nc_u32_e32 v2, s67, v2
	s_waitcnt lgkmcnt(0)
	s_barrier
	buffer_gl0_inv
	v_cmp_le_u32_e32 vcc_lo, s80, v3
	v_cmp_ne_u16_e64 s10, 0, v4
	s_delay_alu instid0(VALU_DEP_1) | instskip(NEXT) | instid1(SALU_CYCLE_1)
	s_or_b32 s85, vcc_lo, s10
	s_and_b32 s85, exec_lo, s85
	s_delay_alu instid0(SALU_CYCLE_1) | instskip(SKIP_2) | instid1(SALU_CYCLE_1)
	s_or_b32 s83, s85, s83
	s_and_not1_b32 s84, s84, exec_lo
	s_and_b32 s10, s10, exec_lo
	s_or_b32 s84, s84, s10
	s_and_not1_b32 exec_lo, exec_lo, s83
	s_cbranch_execz .LBB65_335
.LBB65_329:                             ;   Parent Loop BB65_15 Depth=1
                                        ; =>  This Inner Loop Header: Depth=2
	s_delay_alu instid0(VALU_DEP_1)
	v_cmp_gt_u32_e32 vcc_lo, s28, v3
	v_mov_b32_e32 v4, 0
	s_and_saveexec_b32 s10, vcc_lo
	s_cbranch_execz .LBB65_331
; %bb.330:                              ;   in Loop: Header=BB65_329 Depth=2
	ds_load_u16 v4, v2
.LBB65_331:                             ;   in Loop: Header=BB65_329 Depth=2
	s_or_b32 exec_lo, exec_lo, s10
	s_and_saveexec_b32 s10, vcc_lo
	s_cbranch_execz .LBB65_328
; %bb.332:                              ;   in Loop: Header=BB65_329 Depth=2
	s_waitcnt lgkmcnt(0)
	v_bfe_i32 v8, v4, 0, 16
	s_delay_alu instid0(VALU_DEP_1) | instskip(NEXT) | instid1(VALU_DEP_1)
	v_add_nc_u32_e32 v8, 0x8000, v8
	v_and_b32_e32 v8, v8, v26
	s_delay_alu instid0(VALU_DEP_1)
	v_cmp_eq_u32_e32 vcc_lo, v8, v27
	s_and_b32 exec_lo, exec_lo, vcc_lo
	s_cbranch_execz .LBB65_328
; %bb.333:                              ;   in Loop: Header=BB65_329 Depth=2
	v_perm_b32 v4, v4, 1, 0x5040100
	ds_store_b32 v9, v4 offset:3072
	s_branch .LBB65_328
.LBB65_334:                             ;   in Loop: Header=BB65_15 Depth=1
	s_mov_b32 s28, -1
	s_mov_b32 s10, 0
                                        ; implicit-def: $sgpr29
                                        ; implicit-def: $vgpr28
	s_mov_b32 s80, s28
	s_cbranch_execnz .LBB65_337
	s_branch .LBB65_347
.LBB65_335:                             ;   in Loop: Header=BB65_15 Depth=1
	s_set_inst_prefetch_distance 0x2
	s_or_b32 exec_lo, exec_lo, s83
	v_lshrrev_b32_e32 v28, 16, v4
	s_and_b32 s10, s84, exec_lo
.LBB65_336:                             ;   in Loop: Header=BB65_15 Depth=1
	s_or_b32 exec_lo, exec_lo, s29
	s_mov_b32 s28, 0
	s_mov_b32 s29, -1
	s_mov_b32 s80, s28
	s_branch .LBB65_347
.LBB65_337:                             ;   in Loop: Header=BB65_15 Depth=1
	s_mov_b32 s10, 0
                                        ; implicit-def: $vgpr28
	s_and_saveexec_b32 s28, s9
	s_cbranch_execz .LBB65_346
; %bb.338:                              ;   in Loop: Header=BB65_15 Depth=1
	v_mov_b32_e32 v8, v7
	v_mov_b32_e32 v2, v0
	s_mov_b32 s29, 0
                                        ; implicit-def: $sgpr80
	s_set_inst_prefetch_distance 0x1
	s_branch .LBB65_340
	.p2align	6
.LBB65_339:                             ;   in Loop: Header=BB65_340 Depth=2
	s_or_b32 exec_lo, exec_lo, s10
	s_waitcnt vmcnt(0) lgkmcnt(0)
	s_barrier
	buffer_gl0_inv
	ds_load_b32 v3, v9 offset:3072
	v_add_nc_u32_e32 v2, s34, v2
	v_add_nc_u32_e32 v8, s40, v8
	s_waitcnt lgkmcnt(0)
	s_barrier
	buffer_gl0_inv
	v_cmp_le_u32_e32 vcc_lo, s64, v2
	v_cmp_ne_u16_e64 s10, 0, v3
	s_delay_alu instid0(VALU_DEP_1) | instskip(NEXT) | instid1(SALU_CYCLE_1)
	s_or_b32 s83, vcc_lo, s10
	s_and_b32 s83, exec_lo, s83
	s_delay_alu instid0(SALU_CYCLE_1) | instskip(SKIP_2) | instid1(SALU_CYCLE_1)
	s_or_b32 s29, s83, s29
	s_and_not1_b32 s80, s80, exec_lo
	s_and_b32 s10, s10, exec_lo
	s_or_b32 s80, s80, s10
	s_and_not1_b32 exec_lo, exec_lo, s29
	s_cbranch_execz .LBB65_345
.LBB65_340:                             ;   Parent Loop BB65_15 Depth=1
                                        ; =>  This Inner Loop Header: Depth=2
	s_delay_alu instid0(VALU_DEP_1)
	v_cmp_gt_u32_e32 vcc_lo, s36, v2
	v_mov_b32_e32 v3, 0
	s_and_saveexec_b32 s83, vcc_lo
	s_cbranch_execz .LBB65_342
; %bb.341:                              ;   in Loop: Header=BB65_340 Depth=2
	v_lshlrev_b64 v[3:4], 1, v[8:9]
	s_delay_alu instid0(VALU_DEP_1) | instskip(NEXT) | instid1(VALU_DEP_1)
	v_add_co_u32 v3, s10, s31, v3
	v_add_co_ci_u32_e64 v4, s10, s33, v4, s10
	global_load_u16 v3, v[3:4], off
.LBB65_342:                             ;   in Loop: Header=BB65_340 Depth=2
	s_or_b32 exec_lo, exec_lo, s83
	s_and_saveexec_b32 s10, vcc_lo
	s_cbranch_execz .LBB65_339
; %bb.343:                              ;   in Loop: Header=BB65_340 Depth=2
	s_waitcnt vmcnt(0)
	v_bfe_i32 v4, v3, 0, 16
	s_delay_alu instid0(VALU_DEP_1) | instskip(NEXT) | instid1(VALU_DEP_1)
	v_add_nc_u32_e32 v4, 0x8000, v4
	v_and_b32_e32 v4, v4, v26
	s_delay_alu instid0(VALU_DEP_1)
	v_cmp_eq_u32_e32 vcc_lo, v4, v27
	s_and_b32 exec_lo, exec_lo, vcc_lo
	s_cbranch_execz .LBB65_339
; %bb.344:                              ;   in Loop: Header=BB65_340 Depth=2
	v_perm_b32 v3, v3, 1, 0x5040100
	ds_store_b32 v9, v3 offset:3072
	s_branch .LBB65_339
.LBB65_345:                             ;   in Loop: Header=BB65_15 Depth=1
	s_set_inst_prefetch_distance 0x2
	s_or_b32 exec_lo, exec_lo, s29
	v_lshrrev_b32_e32 v28, 16, v3
	s_and_b32 s10, s80, exec_lo
.LBB65_346:                             ;   in Loop: Header=BB65_15 Depth=1
	s_or_b32 exec_lo, exec_lo, s28
	s_mov_b32 s29, 0
	s_mov_b32 s28, -1
	s_mov_b32 s80, 0
.LBB65_347:                             ;   in Loop: Header=BB65_15 Depth=1
	s_or_not1_b32 s10, s10, exec_lo
.LBB65_348:                             ;   in Loop: Header=BB65_15 Depth=1
	s_or_b32 exec_lo, exec_lo, s81
	s_mov_b32 s83, 0
                                        ; implicit-def: $vgpr4
	s_and_saveexec_b32 s81, s10
	s_cbranch_execz .LBB65_401
; %bb.349:                              ;   in Loop: Header=BB65_15 Depth=1
	v_mov_b32_e32 v2, 1
	v_mov_b32_e32 v4, 1
	s_xor_b32 s83, s82, -1
	s_mov_b32 s82, 0
	s_and_saveexec_b32 s10, s83
	s_cbranch_execz .LBB65_359
; %bb.350:                              ;   in Loop: Header=BB65_15 Depth=1
	s_mov_b32 s83, exec_lo
                                        ; implicit-def: $sgpr84
                                        ; implicit-def: $sgpr82
	v_cmpx_ge_u32_e64 s16, v1
	s_xor_b32 s83, exec_lo, s83
	s_cbranch_execz .LBB65_356
; %bb.351:                              ;   in Loop: Header=BB65_15 Depth=1
	ds_load_b32 v2, v9 offset:4096
	s_waitcnt lgkmcnt(0)
	v_cmp_ne_u32_e32 vcc_lo, 0, v2
	s_cbranch_vccnz .LBB65_355
; %bb.352:                              ;   in Loop: Header=BB65_15 Depth=1
	s_and_saveexec_b32 s82, s5
	s_cbranch_execz .LBB65_354
; %bb.353:                              ;   in Loop: Header=BB65_15 Depth=1
	v_mov_b32_e32 v2, s16
	ds_store_b32 v9, v2 offset:4100
.LBB65_354:                             ;   in Loop: Header=BB65_15 Depth=1
	s_or_b32 exec_lo, exec_lo, s82
	s_waitcnt lgkmcnt(0)
	s_barrier
	buffer_gl0_inv
.LBB65_355:                             ;   in Loop: Header=BB65_15 Depth=1
	s_lshl_b32 s17, 1, s17
	v_or_b32_e32 v26, s13, v26
	v_and_or_b32 v27, v27, s14, s17
	s_mov_b32 s82, 0
	s_mov_b32 s84, 5
.LBB65_356:                             ;   in Loop: Header=BB65_15 Depth=1
	s_or_saveexec_b32 s17, s83
	v_mov_b32_e32 v4, s84
	s_xor_b32 exec_lo, exec_lo, s17
; %bb.357:                              ;   in Loop: Header=BB65_15 Depth=1
	v_subrev_nc_u32_e32 v1, s16, v1
	v_mov_b32_e32 v4, 0
	s_or_b32 s82, s82, exec_lo
; %bb.358:                              ;   in Loop: Header=BB65_15 Depth=1
	s_or_b32 exec_lo, exec_lo, s17
	s_delay_alu instid0(VALU_DEP_2)
	v_mov_b32_e32 v2, v1
	s_and_b32 s82, s82, exec_lo
.LBB65_359:                             ;   in Loop: Header=BB65_15 Depth=1
	s_or_b32 exec_lo, exec_lo, s10
	s_mov_b32 s17, -1
                                        ; implicit-def: $sgpr10
                                        ; implicit-def: $sgpr83
                                        ; implicit-def: $sgpr84
	s_and_saveexec_b32 s16, s82
	s_cbranch_execz .LBB65_400
; %bb.360:                              ;   in Loop: Header=BB65_15 Depth=1
	v_cmp_eq_u32_e32 vcc_lo, 1, v2
	s_cmp_eq_u32 s12, 1
	s_mov_b32 s85, -1
	s_cselect_b32 s10, -1, 0
                                        ; implicit-def: $sgpr83
                                        ; implicit-def: $sgpr84
	s_delay_alu instid0(SALU_CYCLE_1) | instskip(NEXT) | instid1(SALU_CYCLE_1)
	s_and_b32 s17, s10, vcc_lo
                                        ; implicit-def: $sgpr10
	s_and_saveexec_b32 s82, s17
	s_cbranch_execz .LBB65_387
; %bb.361:                              ;   in Loop: Header=BB65_15 Depth=1
	ds_load_b32 v1, v9 offset:4096
	s_waitcnt lgkmcnt(0)
	s_barrier
	buffer_gl0_inv
	v_readfirstlane_b32 s83, v1
	s_and_saveexec_b32 s10, s6
	s_cbranch_execz .LBB65_363
; %bb.362:                              ;   in Loop: Header=BB65_15 Depth=1
	ds_store_b16 v19, v9
.LBB65_363:                             ;   in Loop: Header=BB65_15 Depth=1
	s_or_b32 exec_lo, exec_lo, s10
	v_and_b32_e32 v27, s14, v27
	v_or_b32_e32 v26, s13, v26
	s_cmp_eq_u32 s83, 0
	s_waitcnt lgkmcnt(0)
	s_barrier
	buffer_gl0_inv
	s_cbranch_scc1 .LBB65_372
; %bb.364:                              ;   in Loop: Header=BB65_15 Depth=1
	s_add_i32 s10, s83, s56
                                        ; implicit-def: $vgpr28
	s_delay_alu instid0(SALU_CYCLE_1) | instskip(NEXT) | instid1(SALU_CYCLE_1)
	s_mul_hi_u32 s84, s10, s63
	s_mul_i32 s84, s84, s34
	s_delay_alu instid0(SALU_CYCLE_1) | instskip(NEXT) | instid1(SALU_CYCLE_1)
	s_sub_i32 s84, s10, s84
	s_sub_i32 s85, s84, s34
	s_cmp_ge_u32 s84, s34
	s_cselect_b32 s84, s85, s84
	s_delay_alu instid0(SALU_CYCLE_1)
	s_sub_i32 s85, s84, s34
	s_cmp_ge_u32 s84, s34
	s_cselect_b32 s84, s85, s84
	s_mov_b32 s85, 0
	s_sub_i32 s86, s10, s84
	s_mov_b32 s84, exec_lo
	v_cmpx_gt_u32_e64 s86, v0
	s_cbranch_execz .LBB65_374
; %bb.365:                              ;   in Loop: Header=BB65_15 Depth=1
	v_mov_b32_e32 v1, v17
	v_mov_b32_e32 v3, v0
                                        ; implicit-def: $sgpr87
	s_set_inst_prefetch_distance 0x1
	s_branch .LBB65_367
	.p2align	6
.LBB65_366:                             ;   in Loop: Header=BB65_367 Depth=2
	s_or_b32 exec_lo, exec_lo, s10
	s_waitcnt lgkmcnt(0)
	s_barrier
	buffer_gl0_inv
	ds_load_b32 v4, v9 offset:3072
	v_add_nc_u32_e32 v3, s34, v3
	v_add_nc_u32_e32 v1, s67, v1
	s_waitcnt lgkmcnt(0)
	s_barrier
	buffer_gl0_inv
	v_cmp_le_u32_e32 vcc_lo, s86, v3
	v_cmp_ne_u16_e64 s10, 0, v4
	s_delay_alu instid0(VALU_DEP_1) | instskip(NEXT) | instid1(SALU_CYCLE_1)
	s_or_b32 s88, vcc_lo, s10
	s_and_b32 s88, exec_lo, s88
	s_delay_alu instid0(SALU_CYCLE_1) | instskip(SKIP_2) | instid1(SALU_CYCLE_1)
	s_or_b32 s85, s88, s85
	s_and_not1_b32 s87, s87, exec_lo
	s_and_b32 s10, s10, exec_lo
	s_or_b32 s87, s87, s10
	s_and_not1_b32 exec_lo, exec_lo, s85
	s_cbranch_execz .LBB65_373
.LBB65_367:                             ;   Parent Loop BB65_15 Depth=1
                                        ; =>  This Inner Loop Header: Depth=2
	s_delay_alu instid0(VALU_DEP_1)
	v_cmp_gt_u32_e32 vcc_lo, s83, v3
	v_mov_b32_e32 v4, 0
	s_and_saveexec_b32 s10, vcc_lo
	s_cbranch_execz .LBB65_369
; %bb.368:                              ;   in Loop: Header=BB65_367 Depth=2
	ds_load_u16 v4, v1
.LBB65_369:                             ;   in Loop: Header=BB65_367 Depth=2
	s_or_b32 exec_lo, exec_lo, s10
	s_and_saveexec_b32 s10, vcc_lo
	s_cbranch_execz .LBB65_366
; %bb.370:                              ;   in Loop: Header=BB65_367 Depth=2
	s_waitcnt lgkmcnt(0)
	v_bfe_i32 v8, v4, 0, 16
	s_delay_alu instid0(VALU_DEP_1) | instskip(NEXT) | instid1(VALU_DEP_1)
	v_add_nc_u32_e32 v8, 0x8000, v8
	v_and_b32_e32 v8, v8, v26
	s_delay_alu instid0(VALU_DEP_1)
	v_cmp_eq_u32_e32 vcc_lo, v8, v27
	s_and_b32 exec_lo, exec_lo, vcc_lo
	s_cbranch_execz .LBB65_366
; %bb.371:                              ;   in Loop: Header=BB65_367 Depth=2
	v_perm_b32 v4, v4, 1, 0x5040100
	ds_store_b32 v9, v4 offset:3072
	s_branch .LBB65_366
.LBB65_372:                             ;   in Loop: Header=BB65_15 Depth=1
	s_mov_b32 s10, -1
	s_mov_b32 s85, 0
                                        ; implicit-def: $sgpr83
                                        ; implicit-def: $vgpr28
	s_branch .LBB65_375
.LBB65_373:                             ;   in Loop: Header=BB65_15 Depth=1
	s_set_inst_prefetch_distance 0x2
	s_or_b32 exec_lo, exec_lo, s85
	v_lshrrev_b32_e32 v28, 16, v4
	s_and_b32 s85, s87, exec_lo
.LBB65_374:                             ;   in Loop: Header=BB65_15 Depth=1
	s_or_b32 exec_lo, exec_lo, s84
	s_mov_b32 s10, 0
	s_mov_b32 s83, -1
.LBB65_375:                             ;   in Loop: Header=BB65_15 Depth=1
	s_and_b32 vcc_lo, exec_lo, s10
	s_mov_b32 s84, s10
	s_cbranch_vccz .LBB65_386
; %bb.376:                              ;   in Loop: Header=BB65_15 Depth=1
	s_mov_b32 s85, 0
                                        ; implicit-def: $vgpr28
	s_and_saveexec_b32 s83, s9
	s_cbranch_execz .LBB65_385
; %bb.377:                              ;   in Loop: Header=BB65_15 Depth=1
	v_dual_mov_b32 v8, v7 :: v_dual_mov_b32 v1, v0
	s_mov_b32 s84, 0
                                        ; implicit-def: $sgpr85
	s_set_inst_prefetch_distance 0x1
	s_branch .LBB65_379
	.p2align	6
.LBB65_378:                             ;   in Loop: Header=BB65_379 Depth=2
	s_or_b32 exec_lo, exec_lo, s10
	s_waitcnt vmcnt(0) lgkmcnt(0)
	s_barrier
	buffer_gl0_inv
	ds_load_b32 v3, v9 offset:3072
	v_add_nc_u32_e32 v1, s34, v1
	v_add_nc_u32_e32 v8, s40, v8
	s_waitcnt lgkmcnt(0)
	s_barrier
	buffer_gl0_inv
	v_cmp_le_u32_e32 vcc_lo, s64, v1
	v_cmp_ne_u16_e64 s10, 0, v3
	s_delay_alu instid0(VALU_DEP_1) | instskip(NEXT) | instid1(SALU_CYCLE_1)
	s_or_b32 s86, vcc_lo, s10
	s_and_b32 s86, exec_lo, s86
	s_delay_alu instid0(SALU_CYCLE_1) | instskip(SKIP_2) | instid1(SALU_CYCLE_1)
	s_or_b32 s84, s86, s84
	s_and_not1_b32 s85, s85, exec_lo
	s_and_b32 s10, s10, exec_lo
	s_or_b32 s85, s85, s10
	s_and_not1_b32 exec_lo, exec_lo, s84
	s_cbranch_execz .LBB65_384
.LBB65_379:                             ;   Parent Loop BB65_15 Depth=1
                                        ; =>  This Inner Loop Header: Depth=2
	s_delay_alu instid0(VALU_DEP_1)
	v_cmp_gt_u32_e32 vcc_lo, s36, v1
	v_mov_b32_e32 v3, 0
	s_and_saveexec_b32 s86, vcc_lo
	s_cbranch_execz .LBB65_381
; %bb.380:                              ;   in Loop: Header=BB65_379 Depth=2
	v_lshlrev_b64 v[3:4], 1, v[8:9]
	s_delay_alu instid0(VALU_DEP_1) | instskip(NEXT) | instid1(VALU_DEP_1)
	v_add_co_u32 v3, s10, s31, v3
	v_add_co_ci_u32_e64 v4, s10, s33, v4, s10
	global_load_u16 v3, v[3:4], off
.LBB65_381:                             ;   in Loop: Header=BB65_379 Depth=2
	s_or_b32 exec_lo, exec_lo, s86
	s_and_saveexec_b32 s10, vcc_lo
	s_cbranch_execz .LBB65_378
; %bb.382:                              ;   in Loop: Header=BB65_379 Depth=2
	s_waitcnt vmcnt(0)
	v_bfe_i32 v4, v3, 0, 16
	s_delay_alu instid0(VALU_DEP_1) | instskip(NEXT) | instid1(VALU_DEP_1)
	v_add_nc_u32_e32 v4, 0x8000, v4
	v_and_b32_e32 v4, v4, v26
	s_delay_alu instid0(VALU_DEP_1)
	v_cmp_eq_u32_e32 vcc_lo, v4, v27
	s_and_b32 exec_lo, exec_lo, vcc_lo
	s_cbranch_execz .LBB65_378
; %bb.383:                              ;   in Loop: Header=BB65_379 Depth=2
	v_perm_b32 v3, v3, 1, 0x5040100
	ds_store_b32 v9, v3 offset:3072
	s_branch .LBB65_378
.LBB65_384:                             ;   in Loop: Header=BB65_15 Depth=1
	s_set_inst_prefetch_distance 0x2
	s_or_b32 exec_lo, exec_lo, s84
	v_lshrrev_b32_e32 v28, 16, v3
	s_and_b32 s85, s85, exec_lo
.LBB65_385:                             ;   in Loop: Header=BB65_15 Depth=1
	s_or_b32 exec_lo, exec_lo, s83
	s_mov_b32 s83, 0
	s_mov_b32 s10, -1
	s_mov_b32 s84, 0
.LBB65_386:                             ;   in Loop: Header=BB65_15 Depth=1
	s_or_not1_b32 s85, s85, exec_lo
.LBB65_387:                             ;   in Loop: Header=BB65_15 Depth=1
	s_or_b32 exec_lo, exec_lo, s82
	s_mov_b32 s86, 0
                                        ; implicit-def: $vgpr4
                                        ; implicit-def: $vgpr1
	s_and_saveexec_b32 s82, s85
	s_cbranch_execz .LBB65_399
; %bb.388:                              ;   in Loop: Header=BB65_15 Depth=1
	v_dual_mov_b32 v4, 1 :: v_dual_mov_b32 v1, 1
	s_xor_b32 s85, s17, -1
	s_delay_alu instid0(SALU_CYCLE_1)
	s_and_saveexec_b32 s17, s85
	s_cbranch_execz .LBB65_398
; %bb.389:                              ;   in Loop: Header=BB65_15 Depth=1
	s_mov_b32 s85, exec_lo
                                        ; implicit-def: $sgpr86
	v_cmpx_ge_u32_e64 s12, v2
	s_xor_b32 s85, exec_lo, s85
	s_cbranch_execz .LBB65_395
; %bb.390:                              ;   in Loop: Header=BB65_15 Depth=1
	ds_load_b32 v1, v9 offset:4096
	s_waitcnt lgkmcnt(0)
	v_cmp_ne_u32_e32 vcc_lo, 0, v1
	s_cbranch_vccnz .LBB65_394
; %bb.391:                              ;   in Loop: Header=BB65_15 Depth=1
	s_and_saveexec_b32 s86, s5
	s_cbranch_execz .LBB65_393
; %bb.392:                              ;   in Loop: Header=BB65_15 Depth=1
	v_mov_b32_e32 v1, s12
	ds_store_b32 v9, v1 offset:4100
.LBB65_393:                             ;   in Loop: Header=BB65_15 Depth=1
	s_or_b32 exec_lo, exec_lo, s86
	s_waitcnt lgkmcnt(0)
	s_barrier
	buffer_gl0_inv
.LBB65_394:                             ;   in Loop: Header=BB65_15 Depth=1
	v_and_b32_e32 v27, s14, v27
	v_or_b32_e32 v26, s13, v26
	s_mov_b32 s86, 5
.LBB65_395:                             ;   in Loop: Header=BB65_15 Depth=1
	s_or_saveexec_b32 s13, s85
	v_mov_b32_e32 v4, s86
	s_xor_b32 exec_lo, exec_lo, s13
; %bb.396:                              ;   in Loop: Header=BB65_15 Depth=1
	v_subrev_nc_u32_e32 v2, s12, v2
	v_mov_b32_e32 v4, 5
; %bb.397:                              ;   in Loop: Header=BB65_15 Depth=1
	s_or_b32 exec_lo, exec_lo, s13
	s_delay_alu instid0(VALU_DEP_2)
	v_mov_b32_e32 v1, v2
.LBB65_398:                             ;   in Loop: Header=BB65_15 Depth=1
	s_or_b32 exec_lo, exec_lo, s17
	s_delay_alu instid0(SALU_CYCLE_1)
	s_mov_b32 s86, exec_lo
.LBB65_399:                             ;   in Loop: Header=BB65_15 Depth=1
	s_or_b32 exec_lo, exec_lo, s82
	s_delay_alu instid0(VALU_DEP_1)
	v_mov_b32_e32 v2, v1
	s_or_not1_b32 s17, s86, exec_lo
.LBB65_400:                             ;   in Loop: Header=BB65_15 Depth=1
	s_or_b32 exec_lo, exec_lo, s16
	s_delay_alu instid0(SALU_CYCLE_1)
	s_and_not1_b32 s12, s28, exec_lo
	s_and_b32 s10, s10, exec_lo
	s_and_not1_b32 s13, s80, exec_lo
	s_or_b32 s28, s12, s10
	s_and_not1_b32 s10, s29, exec_lo
	s_and_b32 s12, s83, exec_lo
	s_and_b32 s14, s84, exec_lo
	v_mov_b32_e32 v1, v2
	s_or_b32 s29, s10, s12
	s_or_b32 s80, s13, s14
	s_and_b32 s83, s17, exec_lo
.LBB65_401:                             ;   in Loop: Header=BB65_15 Depth=1
	s_or_b32 exec_lo, exec_lo, s81
	s_delay_alu instid0(SALU_CYCLE_1)
	s_and_b32 s81, s28, exec_lo
	s_and_b32 s29, s29, exec_lo
	;; [unrolled: 1-line block ×3, first 2 shown]
	s_or_not1_b32 s10, s83, exec_lo
.LBB65_402:                             ;   in Loop: Header=BB65_15 Depth=1
	s_or_b32 exec_lo, exec_lo, s18
	s_delay_alu instid0(SALU_CYCLE_1)
	s_and_not1_b32 s12, s22, exec_lo
	s_and_b32 s13, s81, exec_lo
	s_and_not1_b32 s14, s26, exec_lo
	s_or_b32 s22, s12, s13
	s_and_not1_b32 s12, s25, exec_lo
	s_and_b32 s13, s29, exec_lo
	s_and_b32 s16, s28, exec_lo
	v_mov_b32_e32 v3, v1
	s_or_b32 s25, s12, s13
	s_or_b32 s26, s14, s16
	s_and_b32 s29, s10, exec_lo
.LBB65_403:                             ;   in Loop: Header=BB65_15 Depth=1
	s_or_b32 exec_lo, exec_lo, s27
	s_delay_alu instid0(SALU_CYCLE_1)
	s_and_b32 s27, s22, exec_lo
	s_and_b32 s25, s25, exec_lo
	s_and_b32 s22, s26, exec_lo
	s_or_not1_b32 s26, s29, exec_lo
.LBB65_404:                             ;   in Loop: Header=BB65_15 Depth=1
	s_or_b32 exec_lo, exec_lo, s19
	s_mov_b32 s10, s20
	s_mov_b32 s12, s11
	s_and_saveexec_b32 s13, s26
; %bb.405:                              ;   in Loop: Header=BB65_15 Depth=1
	v_cmp_eq_u32_e32 vcc_lo, 5, v4
	v_cmp_ne_u32_e64 s10, 5, v4
	s_and_not1_b32 s12, s11, exec_lo
	s_and_not1_b32 s14, s20, exec_lo
	;; [unrolled: 1-line block ×3, first 2 shown]
	s_and_b32 s16, vcc_lo, exec_lo
	s_and_b32 s10, s10, exec_lo
	s_and_not1_b32 s25, s25, exec_lo
	s_and_not1_b32 s22, s22, exec_lo
	s_or_b32 s12, s12, s10
	s_or_b32 s10, s14, s16
; %bb.406:                              ;   in Loop: Header=BB65_15 Depth=1
	s_or_b32 exec_lo, exec_lo, s13
	s_delay_alu instid0(SALU_CYCLE_1)
	s_and_not1_b32 s13, s23, exec_lo
	s_and_b32 s14, s27, exec_lo
	v_dual_mov_b32 v1, v27 :: v_dual_mov_b32 v2, v26
	s_or_b32 s23, s13, s14
	s_and_not1_b32 s13, s24, exec_lo
	s_and_b32 s14, s25, exec_lo
	v_mov_b32_e32 v30, v28
	s_and_not1_b32 s15, s15, exec_lo
	s_and_b32 s16, s22, exec_lo
	s_or_b32 s24, s13, s14
	s_and_not1_b32 s11, s11, exec_lo
	s_and_b32 s12, s12, exec_lo
	s_and_not1_b32 s13, s20, exec_lo
	s_and_b32 s10, s10, exec_lo
	s_or_b32 s15, s15, s16
	s_or_b32 s11, s11, s12
	s_or_b32 s20, s13, s10
.LBB65_407:                             ;   in Loop: Header=BB65_15 Depth=1
	s_or_b32 exec_lo, exec_lo, s21
	s_mov_b32 s22, s15
	s_mov_b32 s21, s15
	s_and_saveexec_b32 s10, s20
.LBB65_408:                             ;   in Loop: Header=BB65_15 Depth=1
	v_mov_b32_e32 v4, 0
	s_and_not1_b32 s15, s15, exec_lo
	s_and_not1_b32 s23, s23, exec_lo
	;; [unrolled: 1-line block ×5, first 2 shown]
	s_or_b32 s11, s11, exec_lo
.LBB65_409:                             ;   in Loop: Header=BB65_15 Depth=1
	s_or_b32 exec_lo, exec_lo, s10
	s_delay_alu instid0(SALU_CYCLE_1)
	s_and_not1_b32 s10, s79, exec_lo
	s_and_b32 s13, s15, exec_lo
	s_and_not1_b32 s14, s76, exec_lo
	s_or_b32 s79, s10, s13
	s_and_not1_b32 s10, s78, exec_lo
	s_and_b32 s13, s23, exec_lo
	s_and_b32 s15, s24, exec_lo
	s_or_b32 s78, s10, s13
	s_or_b32 s76, s14, s15
	s_and_not1_b32 s10, s77, exec_lo
	s_and_b32 s13, s22, exec_lo
	s_and_not1_b32 s14, s75, exec_lo
	s_and_b32 s15, s21, exec_lo
	s_mov_b32 s12, -1
	s_or_b32 s77, s10, s13
	s_or_b32 s75, s14, s15
                                        ; implicit-def: $vgpr26
                                        ; implicit-def: $vgpr27
                                        ; implicit-def: $vgpr29
                                        ; implicit-def: $vgpr28
	s_and_saveexec_b32 s10, s11
	s_delay_alu instid0(SALU_CYCLE_1)
	s_xor_b32 s10, exec_lo, s10
	s_cbranch_execz .LBB65_14
; %bb.410:                              ;   in Loop: Header=BB65_15 Depth=1
	s_mov_b32 s11, -1
	s_mov_b32 s13, exec_lo
	v_cmpx_eq_u32_e32 0, v4
	s_cbranch_execz .LBB65_13
; %bb.411:                              ;   in Loop: Header=BB65_15 Depth=1
	s_xor_b32 s69, s69, 1
	s_add_i32 s14, s74, -2
	s_cmp_eq_u32 s74, 0
	s_mov_b32 s74, s14
	s_cselect_b32 s11, -1, 0
	s_xor_b32 s12, exec_lo, -1
	s_or_not1_b32 s11, s11, exec_lo
	s_branch .LBB65_13
.LBB65_412:
	s_or_b32 exec_lo, exec_lo, s47
	s_xor_b32 s9, s73, -1
	s_xor_b32 s12, s71, -1
	;; [unrolled: 1-line block ×5, first 2 shown]
	s_mov_b32 s7, 0
	s_and_saveexec_b32 s8, s6
	s_delay_alu instid0(SALU_CYCLE_1)
	s_xor_b32 s6, exec_lo, s8
	s_cbranch_execz .LBB65_469
; %bb.413:
	s_mov_b32 s8, 0
	s_and_saveexec_b32 s7, s11
	s_delay_alu instid0(SALU_CYCLE_1)
	s_xor_b32 s7, exec_lo, s7
	s_cbranch_execz .LBB65_467
; %bb.414:
	;; [unrolled: 6-line block ×3, first 2 shown]
	s_and_saveexec_b32 s12, s9
	s_delay_alu instid0(SALU_CYCLE_1)
	s_xor_b32 s9, exec_lo, s12
	s_cbranch_execz .LBB65_463
; %bb.416:
	s_and_saveexec_b32 s11, s10
	s_delay_alu instid0(SALU_CYCLE_1)
	s_xor_b32 s10, exec_lo, s11
; %bb.417:
	v_xor_b32_e32 v30, 0xffff8000, v1
; %bb.418:
	s_or_b32 exec_lo, exec_lo, s10
	s_and_saveexec_b32 s10, s5
	s_cbranch_execz .LBB65_420
; %bb.419:
	v_mov_b32_e32 v1, 0
	ds_store_b32 v1, v1 offset:4108
.LBB65_420:
	s_or_b32 exec_lo, exec_lo, s10
	v_mov_b32_e32 v1, 0
	s_waitcnt lgkmcnt(0)
	s_barrier
	buffer_gl0_inv
	s_and_saveexec_b32 s5, s4
	s_cbranch_execz .LBB65_422
; %bb.421:
	global_load_u16 v1, v[5:6], off
.LBB65_422:
	s_or_b32 exec_lo, exec_lo, s5
	s_clause 0x1
	s_load_b32 s5, s[0:1], 0x1c8
	s_load_b32 s10, s[0:1], 0x2a8
	v_add_nc_u32_e32 v3, s34, v0
	s_mul_i32 s12, s50, s49
	s_mov_b32 s1, 0
	s_add_i32 s0, s12, s35
	s_mul_i32 s12, s46, s48
	s_add_i32 s11, s36, 31
	s_add_i32 s14, s12, s41
	s_lshl_b64 s[12:13], s[0:1], 1
	v_mul_lo_u32 v2, s30, v3
	s_and_not1_b32 s11, s11, 31
	s_mov_b32 s15, s1
	s_add_u32 s12, s44, s12
	s_addc_u32 s13, s45, s13
	s_lshl_b64 s[14:15], s[14:15], 3
	s_mov_b32 s0, -1
	s_add_u32 s14, s42, s14
	s_addc_u32 s15, s43, s15
	s_mov_b32 s16, 0
	s_mov_b32 s17, exec_lo
	v_cmpx_gt_u32_e64 s11, v0
	s_cbranch_execz .LBB65_438
; %bb.423:
	v_bfe_i32 v7, v30, 0, 16
	v_mul_lo_u32 v3, s30, v3
	v_mov_b32_e32 v4, 0
                                        ; implicit-def: $sgpr18
                                        ; implicit-def: $vgpr11
	s_delay_alu instid0(VALU_DEP_3)
	v_add_nc_u32_e32 v9, 0x8000, v7
	v_mov_b32_e32 v7, v0
	s_branch .LBB65_425
.LBB65_424:                             ;   in Loop: Header=BB65_425 Depth=1
	s_or_b32 exec_lo, exec_lo, s19
	s_xor_b32 s19, s21, -1
	s_and_b32 s0, exec_lo, s0
	v_mov_b32_e32 v1, v12
	s_or_b32 s16, s0, s16
	v_mov_b32_e32 v7, v10
	s_and_not1_b32 s0, s18, exec_lo
	s_and_b32 s18, s19, exec_lo
	s_delay_alu instid0(SALU_CYCLE_1)
	s_or_b32 s18, s0, s18
	s_and_not1_b32 exec_lo, exec_lo, s16
	s_cbranch_execz .LBB65_437
.LBB65_425:                             ; =>This Inner Loop Header: Depth=1
	s_delay_alu instid0(VALU_DEP_1) | instskip(SKIP_2) | instid1(VALU_DEP_2)
	v_add_nc_u32_e32 v10, s34, v7
	v_mov_b32_e32 v12, 0
	s_mov_b32 s0, exec_lo
	v_cmpx_gt_u32_e64 s36, v10
	s_cbranch_execz .LBB65_427
; %bb.426:                              ;   in Loop: Header=BB65_425 Depth=1
	v_lshlrev_b64 v[12:13], 1, v[3:4]
	s_delay_alu instid0(VALU_DEP_1) | instskip(NEXT) | instid1(VALU_DEP_2)
	v_add_co_u32 v12, vcc_lo, s31, v12
	v_add_co_ci_u32_e32 v13, vcc_lo, s33, v13, vcc_lo
	global_load_u16 v12, v[12:13], off
.LBB65_427:                             ;   in Loop: Header=BB65_425 Depth=1
	s_or_b32 exec_lo, exec_lo, s0
	s_waitcnt vmcnt(0)
	v_bfe_i32 v8, v1, 0, 16
	s_delay_alu instid0(VALU_DEP_1) | instskip(NEXT) | instid1(VALU_DEP_1)
	v_add_nc_u32_e32 v8, 0x8000, v8
	v_cmp_gt_u32_e32 vcc_lo, v8, v9
	v_cndmask_b32_e64 v13, 0, 1, vcc_lo
	v_cmp_lt_u32_e32 vcc_lo, v8, v9
	v_cndmask_b32_e64 v8, 0, 1, vcc_lo
	v_cmp_gt_u32_e32 vcc_lo, s36, v7
	s_delay_alu instid0(VALU_DEP_2) | instskip(NEXT) | instid1(VALU_DEP_1)
	v_cndmask_b32_e64 v8, v8, v13, s3
	v_and_b32_e32 v8, 1, v8
	s_delay_alu instid0(VALU_DEP_1) | instskip(NEXT) | instid1(VALU_DEP_1)
	v_cmp_eq_u32_e64 s0, 1, v8
	s_and_b32 s20, vcc_lo, s0
	s_delay_alu instid0(SALU_CYCLE_1) | instskip(NEXT) | instid1(VALU_DEP_1)
	v_cndmask_b32_e64 v8, 0, 1, s20
	v_cmp_ne_u32_e32 vcc_lo, 0, v8
	s_cmp_lg_u32 vcc_lo, 0
	s_cselect_b32 s0, -1, 0
	s_delay_alu instid0(SALU_CYCLE_1) | instskip(NEXT) | instid1(SALU_CYCLE_1)
	s_and_b32 s0, s2, s0
	s_and_saveexec_b32 s19, s0
	s_cbranch_execz .LBB65_431
; %bb.428:                              ;   in Loop: Header=BB65_425 Depth=1
	s_mov_b32 s23, exec_lo
	s_bcnt1_i32_b32 s21, vcc_lo
	v_mbcnt_lo_u32_b32 v8, s23, 0
	s_mov_b32 s22, exec_lo
                                        ; implicit-def: $vgpr11
	s_delay_alu instid0(VALU_DEP_1)
	v_cmpx_eq_u32_e32 0, v8
	s_cbranch_execz .LBB65_430
; %bb.429:                              ;   in Loop: Header=BB65_425 Depth=1
	s_bcnt1_i32_b32 s0, s23
	s_delay_alu instid0(SALU_CYCLE_1)
	s_mul_i32 s0, s21, s0
	s_waitcnt lgkmcnt(0)
	v_mov_b32_e32 v11, s0
	ds_add_rtn_u32 v11, v4, v11 offset:4108
.LBB65_430:                             ;   in Loop: Header=BB65_425 Depth=1
	s_or_b32 exec_lo, exec_lo, s22
	s_waitcnt lgkmcnt(0)
	v_readfirstlane_b32 s0, v11
	s_delay_alu instid0(VALU_DEP_1)
	v_mad_u32_u24 v11, s21, v8, s0
.LBB65_431:                             ;   in Loop: Header=BB65_425 Depth=1
	s_or_b32 exec_lo, exec_lo, s19
	s_waitcnt lgkmcnt(0)
	ds_bpermute_b32 v11, v4, v11
	s_mov_b32 s0, -1
	s_mov_b32 s22, -1
                                        ; implicit-def: $sgpr21
	s_and_saveexec_b32 s19, s20
	s_cbranch_execz .LBB65_435
; %bb.432:                              ;   in Loop: Header=BB65_425 Depth=1
	v_and_b32_e32 v8, vcc_lo, v14
	s_mov_b32 s20, 0
	s_mov_b32 s21, exec_lo
	s_waitcnt lgkmcnt(0)
	s_delay_alu instid0(VALU_DEP_1) | instskip(NEXT) | instid1(VALU_DEP_1)
	v_bcnt_u32_b32 v8, v8, v11
	v_cmpx_gt_u32_e64 s37, v8
	s_cbranch_execz .LBB65_434
; %bb.433:                              ;   in Loop: Header=BB65_425 Depth=1
	v_mul_lo_u32 v15, v8, s5
	v_mov_b32_e32 v16, v4
	v_mul_lo_u32 v17, v8, s10
	v_mov_b32_e32 v18, v4
	v_mov_b32_e32 v8, v4
	s_mov_b32 s20, exec_lo
	v_lshlrev_b64 v[15:16], 1, v[15:16]
	s_delay_alu instid0(VALU_DEP_3) | instskip(NEXT) | instid1(VALU_DEP_2)
	v_lshlrev_b64 v[17:18], 3, v[17:18]
	v_add_co_u32 v15, vcc_lo, s12, v15
	s_delay_alu instid0(VALU_DEP_3) | instskip(NEXT) | instid1(VALU_DEP_3)
	v_add_co_ci_u32_e32 v16, vcc_lo, s13, v16, vcc_lo
	v_add_co_u32 v17, vcc_lo, s14, v17
	s_delay_alu instid0(VALU_DEP_4)
	v_add_co_ci_u32_e32 v18, vcc_lo, s15, v18, vcc_lo
	global_store_b16 v[15:16], v1, off
	global_store_b64 v[17:18], v[7:8], off
.LBB65_434:                             ;   in Loop: Header=BB65_425 Depth=1
	s_or_b32 exec_lo, exec_lo, s21
	s_mov_b32 s21, -1
	s_or_not1_b32 s22, s20, exec_lo
.LBB65_435:                             ;   in Loop: Header=BB65_425 Depth=1
	s_or_b32 exec_lo, exec_lo, s19
	s_and_saveexec_b32 s19, s22
	s_cbranch_execz .LBB65_424
; %bb.436:                              ;   in Loop: Header=BB65_425 Depth=1
	v_cmp_le_u32_e32 vcc_lo, s11, v10
	v_add_nc_u32_e32 v3, s40, v3
	s_and_not1_b32 s21, s21, exec_lo
	s_or_not1_b32 s0, vcc_lo, exec_lo
	s_branch .LBB65_424
.LBB65_437:
	s_or_b32 exec_lo, exec_lo, s16
	s_delay_alu instid0(SALU_CYCLE_1)
	s_mov_b32 s16, exec_lo
	s_or_not1_b32 s0, s18, exec_lo
.LBB65_438:
	s_or_b32 exec_lo, exec_lo, s17
	s_and_saveexec_b32 s3, s0
	s_cbranch_execz .LBB65_461
; %bb.439:
	v_mov_b32_e32 v3, 0
	s_waitcnt vmcnt(0)
	v_mov_b32_e32 v1, 0
	s_waitcnt lgkmcnt(0)
	s_waitcnt_vscnt null, 0x0
	s_barrier
	buffer_gl0_inv
	s_and_saveexec_b32 s0, s4
	s_cbranch_execz .LBB65_441
; %bb.440:
	global_load_u16 v1, v[5:6], off
.LBB65_441:
	s_or_b32 exec_lo, exec_lo, s0
	s_mov_b32 s4, 0
                                        ; implicit-def: $sgpr1
                                        ; implicit-def: $sgpr17
                                        ; implicit-def: $sgpr18
                                        ; implicit-def: $vgpr4
	s_branch .LBB65_444
.LBB65_442:                             ;   in Loop: Header=BB65_444 Depth=1
	s_or_b32 exec_lo, exec_lo, s21
	v_mov_b32_e32 v0, v5
	s_and_not1_b32 s0, s18, exec_lo
	s_and_b32 s18, s23, exec_lo
	s_and_not1_b32 s17, s17, exec_lo
	s_and_b32 s20, s20, exec_lo
	s_or_b32 s18, s0, s18
	s_or_b32 s17, s17, s20
.LBB65_443:                             ;   in Loop: Header=BB65_444 Depth=1
	s_or_b32 exec_lo, exec_lo, s19
	s_xor_b32 s0, s18, -1
	s_and_b32 s19, exec_lo, s17
	s_delay_alu instid0(SALU_CYCLE_1) | instskip(SKIP_2) | instid1(SALU_CYCLE_1)
	s_or_b32 s4, s19, s4
	s_and_not1_b32 s1, s1, exec_lo
	s_and_b32 s0, s0, exec_lo
	s_or_b32 s1, s1, s0
	s_and_not1_b32 exec_lo, exec_lo, s4
	s_cbranch_execz .LBB65_459
.LBB65_444:                             ; =>This Inner Loop Header: Depth=1
	s_or_b32 s18, s18, exec_lo
	s_or_b32 s17, s17, exec_lo
	s_mov_b32 s19, exec_lo
	v_cmpx_gt_u32_e64 s11, v0
	s_cbranch_execz .LBB65_443
; %bb.445:                              ;   in Loop: Header=BB65_444 Depth=1
	v_dual_mov_b32 v6, 0 :: v_dual_add_nc_u32 v5, s34, v0
	s_mov_b32 s0, exec_lo
	s_delay_alu instid0(VALU_DEP_1)
	v_cmpx_gt_u32_e64 s36, v5
	s_cbranch_execz .LBB65_447
; %bb.446:                              ;   in Loop: Header=BB65_444 Depth=1
	v_lshlrev_b64 v[6:7], 1, v[2:3]
	s_delay_alu instid0(VALU_DEP_1) | instskip(NEXT) | instid1(VALU_DEP_2)
	v_add_co_u32 v6, vcc_lo, s31, v6
	v_add_co_ci_u32_e32 v7, vcc_lo, s33, v7, vcc_lo
	global_load_u16 v6, v[6:7], off
.LBB65_447:                             ;   in Loop: Header=BB65_444 Depth=1
	s_or_b32 exec_lo, exec_lo, s0
	v_cmp_gt_u32_e32 vcc_lo, s36, v0
	s_waitcnt vmcnt(0)
	v_cmp_eq_u16_e64 s0, v1, v30
	s_delay_alu instid0(VALU_DEP_1) | instskip(NEXT) | instid1(SALU_CYCLE_1)
	s_and_b32 s21, vcc_lo, s0
	v_cndmask_b32_e64 v7, 0, 1, s21
	s_delay_alu instid0(VALU_DEP_1) | instskip(SKIP_2) | instid1(SALU_CYCLE_1)
	v_cmp_ne_u32_e32 vcc_lo, 0, v7
	s_cmp_lg_u32 vcc_lo, 0
	s_cselect_b32 s0, -1, 0
	s_and_b32 s0, s2, s0
	s_delay_alu instid0(SALU_CYCLE_1)
	s_and_saveexec_b32 s20, s0
	s_cbranch_execz .LBB65_451
; %bb.448:                              ;   in Loop: Header=BB65_444 Depth=1
	s_mov_b32 s24, exec_lo
	s_bcnt1_i32_b32 s22, vcc_lo
	v_mbcnt_lo_u32_b32 v4, s24, 0
	s_mov_b32 s23, exec_lo
                                        ; implicit-def: $vgpr7
	s_delay_alu instid0(VALU_DEP_1)
	v_cmpx_eq_u32_e32 0, v4
	s_cbranch_execz .LBB65_450
; %bb.449:                              ;   in Loop: Header=BB65_444 Depth=1
	s_bcnt1_i32_b32 s0, s24
	s_delay_alu instid0(SALU_CYCLE_1) | instskip(NEXT) | instid1(SALU_CYCLE_1)
	s_mul_i32 s0, s22, s0
	v_mov_b32_e32 v7, s0
	ds_add_rtn_u32 v7, v3, v7 offset:4108
.LBB65_450:                             ;   in Loop: Header=BB65_444 Depth=1
	s_or_b32 exec_lo, exec_lo, s23
	s_waitcnt lgkmcnt(0)
	v_readfirstlane_b32 s0, v7
	s_delay_alu instid0(VALU_DEP_1)
	v_mad_u32_u24 v4, s22, v4, s0
.LBB65_451:                             ;   in Loop: Header=BB65_444 Depth=1
	s_or_b32 exec_lo, exec_lo, s20
	ds_bpermute_b32 v4, v3, v4
	s_cmp_eq_u32 vcc_lo, 0
	s_mov_b32 s20, -1
	s_cselect_b32 s22, -1, 0
	s_mov_b32 s23, -1
	s_waitcnt lgkmcnt(0)
	v_cmp_gt_u32_e64 s0, s37, v4
	s_delay_alu instid0(VALU_DEP_1) | instskip(SKIP_3) | instid1(SALU_CYCLE_1)
	s_or_b32 s0, s22, s0
	s_mov_b32 s22, -1
	v_cndmask_b32_e64 v1, v1, v6, s0
	s_and_b32 s24, s21, s0
	s_and_saveexec_b32 s21, s24
	s_cbranch_execz .LBB65_457
; %bb.452:                              ;   in Loop: Header=BB65_444 Depth=1
	v_and_b32_e32 v1, vcc_lo, v14
	v_sub_nc_u32_e32 v7, s37, v4
	s_mov_b32 s24, -1
	s_mov_b32 s23, exec_lo
	s_delay_alu instid0(VALU_DEP_2) | instskip(NEXT) | instid1(VALU_DEP_1)
	v_bcnt_u32_b32 v1, v1, 0
	v_cmp_le_u32_e64 s22, v7, v1
	v_cmpx_gt_u32_e64 v7, v1
	s_cbranch_execz .LBB65_456
; %bb.453:                              ;   in Loop: Header=BB65_444 Depth=1
	v_add_nc_u32_e32 v1, v4, v1
	s_delay_alu instid0(VALU_DEP_3) | instskip(SKIP_1) | instid1(VALU_DEP_1)
	s_mov_b32 s25, s22
	s_mov_b32 s24, exec_lo
	v_cmpx_gt_u32_e64 s37, v1
	s_cbranch_execz .LBB65_455
; %bb.454:                              ;   in Loop: Header=BB65_444 Depth=1
	v_mul_lo_u32 v7, v1, s5
	v_mov_b32_e32 v8, v3
	v_mul_lo_u32 v9, v1, s10
	v_mov_b32_e32 v10, v3
	v_mov_b32_e32 v1, v3
	s_or_b32 s25, s22, exec_lo
	v_lshlrev_b64 v[7:8], 1, v[7:8]
	s_delay_alu instid0(VALU_DEP_3) | instskip(NEXT) | instid1(VALU_DEP_2)
	v_lshlrev_b64 v[9:10], 3, v[9:10]
	v_add_co_u32 v7, vcc_lo, s12, v7
	s_delay_alu instid0(VALU_DEP_3) | instskip(NEXT) | instid1(VALU_DEP_3)
	v_add_co_ci_u32_e32 v8, vcc_lo, s13, v8, vcc_lo
	v_add_co_u32 v9, vcc_lo, s14, v9
	s_delay_alu instid0(VALU_DEP_4)
	v_add_co_ci_u32_e32 v10, vcc_lo, s15, v10, vcc_lo
	global_store_b16 v[7:8], v30, off
	global_store_b64 v[9:10], v[0:1], off
.LBB65_455:                             ;   in Loop: Header=BB65_444 Depth=1
	s_or_b32 exec_lo, exec_lo, s24
	s_delay_alu instid0(SALU_CYCLE_1)
	s_and_not1_b32 s22, s22, exec_lo
	s_and_b32 s25, s25, exec_lo
	s_xor_b32 s24, exec_lo, -1
	s_or_b32 s22, s22, s25
.LBB65_456:                             ;   in Loop: Header=BB65_444 Depth=1
	s_or_b32 exec_lo, exec_lo, s23
	v_mov_b32_e32 v1, v6
	s_or_not1_b32 s23, s24, exec_lo
	s_or_b32 s0, s0, exec_lo
	s_or_not1_b32 s22, s22, exec_lo
.LBB65_457:                             ;   in Loop: Header=BB65_444 Depth=1
	s_or_b32 exec_lo, exec_lo, s21
	s_and_saveexec_b32 s21, s22
	s_cbranch_execz .LBB65_442
; %bb.458:                              ;   in Loop: Header=BB65_444 Depth=1
	v_add_nc_u32_e32 v2, s40, v2
	s_xor_b32 s0, s0, -1
	s_or_b32 s23, s23, exec_lo
	s_or_not1_b32 s20, s0, exec_lo
	s_branch .LBB65_442
.LBB65_459:
	s_or_b32 exec_lo, exec_lo, s4
	s_mov_b32 s0, 0
	s_and_saveexec_b32 s2, s1
	s_delay_alu instid0(SALU_CYCLE_1)
	s_xor_b32 s1, exec_lo, s2
	s_cbranch_execnz .LBB65_491
.LBB65_460:
	s_or_b32 exec_lo, exec_lo, s1
	s_delay_alu instid0(SALU_CYCLE_1)
	s_and_b32 s1, s0, exec_lo
	s_and_not1_b32 s16, s16, exec_lo
.LBB65_461:
	s_or_b32 exec_lo, exec_lo, s3
	s_and_saveexec_b32 s0, s16
	s_delay_alu instid0(SALU_CYCLE_1)
	s_xor_b32 s0, exec_lo, s0
	s_cbranch_execnz .LBB65_487
.LBB65_462:
	s_or_b32 exec_lo, exec_lo, s0
	s_delay_alu instid0(SALU_CYCLE_1)
	s_and_b32 s11, s1, exec_lo
.LBB65_463:
	s_and_not1_saveexec_b32 s0, s9
	s_cbranch_execnz .LBB65_483
.LBB65_464:
	s_or_b32 exec_lo, exec_lo, s0
	s_delay_alu instid0(SALU_CYCLE_1)
	s_and_b32 s11, s11, exec_lo
.LBB65_465:
	s_and_not1_saveexec_b32 s0, s8
	s_cbranch_execnz .LBB65_479
.LBB65_466:
	s_or_b32 exec_lo, exec_lo, s0
	s_delay_alu instid0(SALU_CYCLE_1)
	s_and_b32 s8, s11, exec_lo
.LBB65_467:
	s_and_not1_saveexec_b32 s0, s7
	s_cbranch_execnz .LBB65_475
.LBB65_468:
	s_or_b32 exec_lo, exec_lo, s0
	s_delay_alu instid0(SALU_CYCLE_1)
	s_and_b32 s7, s8, exec_lo
.LBB65_469:
	s_and_not1_saveexec_b32 s0, s6
	s_cbranch_execnz .LBB65_473
; %bb.470:
	s_or_b32 exec_lo, exec_lo, s0
	s_and_saveexec_b32 s0, s7
.LBB65_471:
	; divergent unreachable
.LBB65_472:
	s_nop 0
	s_sendmsg sendmsg(MSG_DEALLOC_VGPRS)
	s_endpgm
.LBB65_473:
	s_cbranch_execnz .LBB65_477
; %bb.474:
	s_or_b32 s7, s7, exec_lo
	s_or_b32 exec_lo, exec_lo, s0
	s_and_saveexec_b32 s0, s7
	s_cbranch_execnz .LBB65_471
	s_branch .LBB65_472
.LBB65_475:
	s_cbranch_execnz .LBB65_481
; %bb.476:
	s_or_b32 s8, s8, exec_lo
	s_branch .LBB65_468
.LBB65_477:
	s_trap 2
	s_sendmsg_rtn_b32 s0, sendmsg(MSG_RTN_GET_DOORBELL)
	s_mov_b32 ttmp2, m0
	s_waitcnt lgkmcnt(0)
	s_and_b32 s0, s0, 0x3ff
	s_delay_alu instid0(SALU_CYCLE_1) | instskip(NEXT) | instid1(SALU_CYCLE_1)
	s_bitset1_b32 s0, 10
	s_mov_b32 m0, s0
	s_sendmsg sendmsg(MSG_INTERRUPT)
	s_mov_b32 m0, ttmp2
.LBB65_478:                             ; =>This Inner Loop Header: Depth=1
	s_sethalt 5
	s_branch .LBB65_478
.LBB65_479:
	s_cbranch_execnz .LBB65_485
; %bb.480:
	s_or_b32 s11, s11, exec_lo
	s_branch .LBB65_466
.LBB65_481:
	s_trap 2
	s_sendmsg_rtn_b32 s0, sendmsg(MSG_RTN_GET_DOORBELL)
	s_mov_b32 ttmp2, m0
	s_waitcnt lgkmcnt(0)
	s_and_b32 s0, s0, 0x3ff
	s_delay_alu instid0(SALU_CYCLE_1) | instskip(NEXT) | instid1(SALU_CYCLE_1)
	s_bitset1_b32 s0, 10
	s_mov_b32 m0, s0
	s_sendmsg sendmsg(MSG_INTERRUPT)
	s_mov_b32 m0, ttmp2
.LBB65_482:                             ; =>This Inner Loop Header: Depth=1
	s_sethalt 5
	s_branch .LBB65_482
.LBB65_483:
	s_cbranch_execnz .LBB65_489
; %bb.484:
	s_or_b32 s11, s11, exec_lo
	s_branch .LBB65_464
.LBB65_485:
	s_trap 2
	s_sendmsg_rtn_b32 s0, sendmsg(MSG_RTN_GET_DOORBELL)
	s_mov_b32 ttmp2, m0
	s_waitcnt lgkmcnt(0)
	s_and_b32 s0, s0, 0x3ff
	s_delay_alu instid0(SALU_CYCLE_1) | instskip(NEXT) | instid1(SALU_CYCLE_1)
	s_bitset1_b32 s0, 10
	s_mov_b32 m0, s0
	s_sendmsg sendmsg(MSG_INTERRUPT)
	s_mov_b32 m0, ttmp2
.LBB65_486:                             ; =>This Inner Loop Header: Depth=1
	s_sethalt 5
	s_branch .LBB65_486
.LBB65_487:
	s_cbranch_execnz .LBB65_493
; %bb.488:
	s_or_b32 s1, s1, exec_lo
	s_branch .LBB65_462
.LBB65_489:
	s_trap 2
	s_sendmsg_rtn_b32 s0, sendmsg(MSG_RTN_GET_DOORBELL)
	s_mov_b32 ttmp2, m0
	s_waitcnt lgkmcnt(0)
	s_and_b32 s0, s0, 0x3ff
	s_delay_alu instid0(SALU_CYCLE_1) | instskip(NEXT) | instid1(SALU_CYCLE_1)
	s_bitset1_b32 s0, 10
	s_mov_b32 m0, s0
	s_sendmsg sendmsg(MSG_INTERRUPT)
	s_mov_b32 m0, ttmp2
.LBB65_490:                             ; =>This Inner Loop Header: Depth=1
	s_sethalt 5
	s_branch .LBB65_490
.LBB65_491:
	s_cbranch_execnz .LBB65_495
; %bb.492:
	s_mov_b32 s0, exec_lo
	s_branch .LBB65_460
.LBB65_493:
	s_trap 2
	s_sendmsg_rtn_b32 s0, sendmsg(MSG_RTN_GET_DOORBELL)
	s_mov_b32 ttmp2, m0
	s_waitcnt lgkmcnt(0)
	s_and_b32 s0, s0, 0x3ff
	s_delay_alu instid0(SALU_CYCLE_1) | instskip(NEXT) | instid1(SALU_CYCLE_1)
	s_bitset1_b32 s0, 10
	s_mov_b32 m0, s0
	s_sendmsg sendmsg(MSG_INTERRUPT)
	s_mov_b32 m0, ttmp2
.LBB65_494:                             ; =>This Inner Loop Header: Depth=1
	s_sethalt 5
	s_branch .LBB65_494
.LBB65_495:
	s_trap 2
	s_sendmsg_rtn_b32 s0, sendmsg(MSG_RTN_GET_DOORBELL)
	s_mov_b32 ttmp2, m0
	s_waitcnt lgkmcnt(0)
	s_and_b32 s0, s0, 0x3ff
	s_delay_alu instid0(SALU_CYCLE_1) | instskip(NEXT) | instid1(SALU_CYCLE_1)
	s_bitset1_b32 s0, 10
	s_mov_b32 m0, s0
	s_sendmsg sendmsg(MSG_INTERRUPT)
	s_mov_b32 m0, ttmp2
.LBB65_496:                             ; =>This Inner Loop Header: Depth=1
	s_sethalt 5
	s_branch .LBB65_496
	.section	.rodata,"a",@progbits
	.p2align	6, 0x0
	.amdhsa_kernel _ZN2at6native6sbtopk10gatherTopKIsjLin1ELb0EEEvNS_4cuda6detail10TensorInfoIKT_T0_EES8_S8_bS8_S8_NS5_IS6_S8_EES8_NS5_IlS8_EES8_PS6_
		.amdhsa_group_segment_fixed_size 4112
		.amdhsa_private_segment_fixed_size 0
		.amdhsa_kernarg_size 952
		.amdhsa_user_sgpr_count 13
		.amdhsa_user_sgpr_dispatch_ptr 0
		.amdhsa_user_sgpr_queue_ptr 0
		.amdhsa_user_sgpr_kernarg_segment_ptr 1
		.amdhsa_user_sgpr_dispatch_id 0
		.amdhsa_user_sgpr_private_segment_size 0
		.amdhsa_wavefront_size32 1
		.amdhsa_uses_dynamic_stack 0
		.amdhsa_enable_private_segment 0
		.amdhsa_system_sgpr_workgroup_id_x 1
		.amdhsa_system_sgpr_workgroup_id_y 1
		.amdhsa_system_sgpr_workgroup_id_z 1
		.amdhsa_system_sgpr_workgroup_info 0
		.amdhsa_system_vgpr_workitem_id 0
		.amdhsa_next_free_vgpr 43
		.amdhsa_next_free_sgpr 93
		.amdhsa_reserve_vcc 1
		.amdhsa_float_round_mode_32 0
		.amdhsa_float_round_mode_16_64 0
		.amdhsa_float_denorm_mode_32 3
		.amdhsa_float_denorm_mode_16_64 3
		.amdhsa_dx10_clamp 1
		.amdhsa_ieee_mode 1
		.amdhsa_fp16_overflow 0
		.amdhsa_workgroup_processor_mode 1
		.amdhsa_memory_ordered 1
		.amdhsa_forward_progress 0
		.amdhsa_shared_vgpr_count 0
		.amdhsa_exception_fp_ieee_invalid_op 0
		.amdhsa_exception_fp_denorm_src 0
		.amdhsa_exception_fp_ieee_div_zero 0
		.amdhsa_exception_fp_ieee_overflow 0
		.amdhsa_exception_fp_ieee_underflow 0
		.amdhsa_exception_fp_ieee_inexact 0
		.amdhsa_exception_int_div_zero 0
	.end_amdhsa_kernel
	.section	.text._ZN2at6native6sbtopk10gatherTopKIsjLin1ELb0EEEvNS_4cuda6detail10TensorInfoIKT_T0_EES8_S8_bS8_S8_NS5_IS6_S8_EES8_NS5_IlS8_EES8_PS6_,"axG",@progbits,_ZN2at6native6sbtopk10gatherTopKIsjLin1ELb0EEEvNS_4cuda6detail10TensorInfoIKT_T0_EES8_S8_bS8_S8_NS5_IS6_S8_EES8_NS5_IlS8_EES8_PS6_,comdat
.Lfunc_end65:
	.size	_ZN2at6native6sbtopk10gatherTopKIsjLin1ELb0EEEvNS_4cuda6detail10TensorInfoIKT_T0_EES8_S8_bS8_S8_NS5_IS6_S8_EES8_NS5_IlS8_EES8_PS6_, .Lfunc_end65-_ZN2at6native6sbtopk10gatherTopKIsjLin1ELb0EEEvNS_4cuda6detail10TensorInfoIKT_T0_EES8_S8_bS8_S8_NS5_IS6_S8_EES8_NS5_IlS8_EES8_PS6_
                                        ; -- End function
	.section	.AMDGPU.csdata,"",@progbits
; Kernel info:
; codeLenInByte = 16364
; NumSgprs: 95
; NumVgprs: 43
; ScratchSize: 0
; MemoryBound: 0
; FloatMode: 240
; IeeeMode: 1
; LDSByteSize: 4112 bytes/workgroup (compile time only)
; SGPRBlocks: 11
; VGPRBlocks: 5
; NumSGPRsForWavesPerEU: 95
; NumVGPRsForWavesPerEU: 43
; Occupancy: 16
; WaveLimiterHint : 1
; COMPUTE_PGM_RSRC2:SCRATCH_EN: 0
; COMPUTE_PGM_RSRC2:USER_SGPR: 13
; COMPUTE_PGM_RSRC2:TRAP_HANDLER: 0
; COMPUTE_PGM_RSRC2:TGID_X_EN: 1
; COMPUTE_PGM_RSRC2:TGID_Y_EN: 1
; COMPUTE_PGM_RSRC2:TGID_Z_EN: 1
; COMPUTE_PGM_RSRC2:TIDIG_COMP_CNT: 0
	.section	.text._ZN2at6native6mbtopk23computeBlockDigitCountsIdjmLi1EEEvNS_4cuda6detail10TensorInfoIKT_T0_EEjPjjS8_iijT1_PSB_Ps,"axG",@progbits,_ZN2at6native6mbtopk23computeBlockDigitCountsIdjmLi1EEEvNS_4cuda6detail10TensorInfoIKT_T0_EEjPjjS8_iijT1_PSB_Ps,comdat
	.protected	_ZN2at6native6mbtopk23computeBlockDigitCountsIdjmLi1EEEvNS_4cuda6detail10TensorInfoIKT_T0_EEjPjjS8_iijT1_PSB_Ps ; -- Begin function _ZN2at6native6mbtopk23computeBlockDigitCountsIdjmLi1EEEvNS_4cuda6detail10TensorInfoIKT_T0_EEjPjjS8_iijT1_PSB_Ps
	.globl	_ZN2at6native6mbtopk23computeBlockDigitCountsIdjmLi1EEEvNS_4cuda6detail10TensorInfoIKT_T0_EEjPjjS8_iijT1_PSB_Ps
	.p2align	8
	.type	_ZN2at6native6mbtopk23computeBlockDigitCountsIdjmLi1EEEvNS_4cuda6detail10TensorInfoIKT_T0_EEjPjjS8_iijT1_PSB_Ps,@function
_ZN2at6native6mbtopk23computeBlockDigitCountsIdjmLi1EEEvNS_4cuda6detail10TensorInfoIKT_T0_EEjPjjS8_iijT1_PSB_Ps: ; @_ZN2at6native6mbtopk23computeBlockDigitCountsIdjmLi1EEEvNS_4cuda6detail10TensorInfoIKT_T0_EEjPjjS8_iijT1_PSB_Ps
; %bb.0:
	s_clause 0x2
	s_load_b32 s16, s[0:1], 0xf8
	s_load_b128 s[4:7], s[0:1], 0xe8
	s_load_b64 s[2:3], s[0:1], 0x118
	s_waitcnt lgkmcnt(0)
	v_cvt_f32_u32_e32 v1, s16
	s_sub_i32 s9, 0, s16
	s_mul_i32 s3, s3, s15
	s_delay_alu instid0(SALU_CYCLE_1) | instskip(NEXT) | instid1(VALU_DEP_1)
	s_add_i32 s3, s3, s14
	v_rcp_iflag_f32_e32 v1, v1
	s_mul_i32 s14, s3, s2
	s_delay_alu instid0(SALU_CYCLE_1) | instskip(SKIP_3) | instid1(VALU_DEP_1)
	s_add_i32 s14, s14, s13
	s_mov_b32 s13, 0
	s_waitcnt_depctr 0xfff
	v_mul_f32_e32 v1, 0x4f7ffffe, v1
	v_cvt_u32_f32_e32 v1, v1
	s_delay_alu instid0(VALU_DEP_1) | instskip(NEXT) | instid1(VALU_DEP_1)
	v_readfirstlane_b32 s8, v1
	s_mul_i32 s9, s9, s8
	s_delay_alu instid0(SALU_CYCLE_1) | instskip(NEXT) | instid1(SALU_CYCLE_1)
	s_mul_hi_u32 s2, s8, s9
	s_add_i32 s8, s8, s2
	s_delay_alu instid0(SALU_CYCLE_1) | instskip(NEXT) | instid1(SALU_CYCLE_1)
	s_mul_hi_u32 s2, s14, s8
	s_mul_i32 s3, s2, s16
	s_add_i32 s8, s2, 1
	s_sub_i32 s3, s14, s3
	s_delay_alu instid0(SALU_CYCLE_1)
	s_sub_i32 s9, s3, s16
	s_cmp_ge_u32 s3, s16
	s_cselect_b32 s2, s8, s2
	s_cselect_b32 s3, s9, s3
	s_add_i32 s8, s2, 1
	s_cmp_ge_u32 s3, s16
	s_cselect_b32 s12, s8, s2
	s_delay_alu instid0(SALU_CYCLE_1)
	s_cmp_ge_u32 s12, s4
	s_cbranch_scc1 .LBB66_23
; %bb.1:
	s_clause 0x1
	s_load_b128 s[8:11], s[0:1], 0x100
	s_load_b64 s[2:3], s[0:1], 0x110
	s_lshl_b64 s[18:19], s[12:13], 3
	v_cmp_gt_u32_e32 vcc_lo, 0x100, v0
	v_lshlrev_b32_e32 v5, 2, v0
	s_waitcnt lgkmcnt(0)
	s_add_u32 s10, s10, s18
	s_addc_u32 s11, s11, s19
	s_and_saveexec_b32 s4, vcc_lo
	s_cbranch_execz .LBB66_3
; %bb.2:
	v_mov_b32_e32 v1, 0
	ds_store_b32 v5, v1
.LBB66_3:
	s_or_b32 exec_lo, exec_lo, s4
	s_load_b32 s4, s[0:1], 0xd8
	s_mul_i32 s13, s12, s16
	s_waitcnt lgkmcnt(0)
	s_sub_i32 s13, s14, s13
	s_barrier
	s_mul_i32 s15, s7, s13
	s_add_i32 s13, s13, 1
	s_lshl_b32 s15, s15, 8
	buffer_gl0_inv
	s_sub_i32 s17, s4, s15
	s_delay_alu instid0(SALU_CYCLE_1) | instskip(SKIP_4) | instid1(VALU_DEP_1)
	s_add_u32 s17, s17, 0xff
	s_addc_u32 s18, 0, 0
	s_cmp_lt_u32 s13, s16
	v_alignbit_b32 v1, s18, s17, 8
	s_mov_b32 s13, 0
	v_readfirstlane_b32 s17, v1
	s_delay_alu instid0(VALU_DEP_1) | instskip(NEXT) | instid1(SALU_CYCLE_1)
	s_cselect_b32 s7, s7, s17
	s_cmp_lt_i32 s7, 1
	s_cbranch_scc1 .LBB66_19
; %bb.4:
	s_clause 0x1
	s_load_b32 s16, s[0:1], 0x6c
	s_load_b64 s[0:1], s[0:1], 0x0
	s_load_b64 s[10:11], s[10:11], 0x0
	v_add_nc_u32_e32 v6, s15, v0
	s_waitcnt lgkmcnt(0)
	s_mul_i32 s12, s16, s12
	s_delay_alu instid0(SALU_CYCLE_1) | instskip(NEXT) | instid1(SALU_CYCLE_1)
	s_lshl_b64 s[16:17], s[12:13], 3
	s_add_u32 s12, s0, s16
	s_addc_u32 s15, s1, s17
	s_and_b32 s1, s6, 0xff
	s_cmp_eq_u32 s7, 1
	s_cbranch_scc1 .LBB66_14
; %bb.5:
	v_dual_mov_b32 v2, 0 :: v_dual_add_nc_u32 v1, 0x100, v6
	v_mul_lo_u32 v8, s5, v6
	v_dual_mov_b32 v9, 1 :: v_dual_mov_b32 v10, v6
	s_delay_alu instid0(VALU_DEP_3)
	v_mul_lo_u32 v7, s5, v1
	s_and_b32 s6, s7, 0x7ffffffe
	s_lshl_b32 s13, s5, 9
	s_mov_b32 s16, 0
	s_mov_b32 s17, 0
	s_branch .LBB66_7
.LBB66_6:                               ;   in Loop: Header=BB66_7 Depth=1
	s_or_b32 exec_lo, exec_lo, s18
	v_add_nc_u32_e32 v10, 0x200, v10
	s_add_i32 s17, s17, 2
	s_add_i32 s16, s16, s13
	s_cmp_eq_u32 s6, s17
	s_cbranch_scc1 .LBB66_13
.LBB66_7:                               ; =>This Inner Loop Header: Depth=1
	s_mov_b32 s18, exec_lo
	v_cmpx_gt_u32_e64 s4, v10
	s_cbranch_execz .LBB66_10
; %bb.8:                                ;   in Loop: Header=BB66_7 Depth=1
	v_add_nc_u32_e32 v1, s16, v8
	s_delay_alu instid0(VALU_DEP_1) | instskip(NEXT) | instid1(VALU_DEP_1)
	v_lshlrev_b64 v[3:4], 3, v[1:2]
	v_add_co_u32 v3, s0, s12, v3
	s_delay_alu instid0(VALU_DEP_1) | instskip(SKIP_4) | instid1(VALU_DEP_1)
	v_add_co_ci_u32_e64 v4, s0, s15, v4, s0
	global_load_b64 v[3:4], v[3:4], off
	s_waitcnt vmcnt(0)
	v_cmp_o_f64_e64 s0, v[3:4], v[3:4]
	v_ashrrev_i32_e32 v1, 31, v4
	v_or_b32_e32 v11, 0x80000000, v1
	v_xor_b32_e32 v1, v1, v3
	s_delay_alu instid0(VALU_DEP_2) | instskip(NEXT) | instid1(VALU_DEP_1)
	v_xor_b32_e32 v11, v11, v4
	v_cndmask_b32_e64 v4, -1, v11, s0
	s_delay_alu instid0(VALU_DEP_3) | instskip(NEXT) | instid1(VALU_DEP_2)
	v_cndmask_b32_e64 v3, -1, v1, s0
	v_xor_b32_e32 v1, s11, v4
	s_delay_alu instid0(VALU_DEP_2) | instskip(NEXT) | instid1(VALU_DEP_2)
	v_xor_b32_e32 v11, s10, v3
	v_and_b32_e32 v12, s9, v1
	s_delay_alu instid0(VALU_DEP_2) | instskip(NEXT) | instid1(VALU_DEP_1)
	v_and_b32_e32 v11, s8, v11
	v_cmp_eq_u64_e64 s0, 0, v[11:12]
	s_delay_alu instid0(VALU_DEP_1)
	s_and_b32 exec_lo, exec_lo, s0
	s_cbranch_execz .LBB66_10
; %bb.9:                                ;   in Loop: Header=BB66_7 Depth=1
	v_lshrrev_b64 v[3:4], s1, v[3:4]
	s_delay_alu instid0(VALU_DEP_1) | instskip(NEXT) | instid1(VALU_DEP_1)
	v_and_b32_e32 v1, 0xff, v3
	v_lshlrev_b32_e32 v1, 2, v1
	ds_add_u32 v1, v9
.LBB66_10:                              ;   in Loop: Header=BB66_7 Depth=1
	s_or_b32 exec_lo, exec_lo, s18
	v_add_nc_u32_e32 v1, 0x100, v10
	s_mov_b32 s18, exec_lo
	s_delay_alu instid0(VALU_DEP_1)
	v_cmpx_gt_u32_e64 s4, v1
	s_cbranch_execz .LBB66_6
; %bb.11:                               ;   in Loop: Header=BB66_7 Depth=1
	v_add_nc_u32_e32 v1, s16, v7
	s_delay_alu instid0(VALU_DEP_1) | instskip(NEXT) | instid1(VALU_DEP_1)
	v_lshlrev_b64 v[3:4], 3, v[1:2]
	v_add_co_u32 v3, s0, s12, v3
	s_delay_alu instid0(VALU_DEP_1) | instskip(SKIP_4) | instid1(VALU_DEP_1)
	v_add_co_ci_u32_e64 v4, s0, s15, v4, s0
	global_load_b64 v[3:4], v[3:4], off
	s_waitcnt vmcnt(0)
	v_cmp_o_f64_e64 s0, v[3:4], v[3:4]
	v_ashrrev_i32_e32 v1, 31, v4
	v_or_b32_e32 v11, 0x80000000, v1
	v_xor_b32_e32 v1, v1, v3
	s_delay_alu instid0(VALU_DEP_2) | instskip(NEXT) | instid1(VALU_DEP_1)
	v_xor_b32_e32 v11, v11, v4
	v_cndmask_b32_e64 v4, -1, v11, s0
	s_delay_alu instid0(VALU_DEP_3) | instskip(NEXT) | instid1(VALU_DEP_2)
	v_cndmask_b32_e64 v3, -1, v1, s0
	v_xor_b32_e32 v1, s11, v4
	s_delay_alu instid0(VALU_DEP_2) | instskip(NEXT) | instid1(VALU_DEP_2)
	v_xor_b32_e32 v11, s10, v3
	v_and_b32_e32 v12, s9, v1
	s_delay_alu instid0(VALU_DEP_2) | instskip(NEXT) | instid1(VALU_DEP_1)
	v_and_b32_e32 v11, s8, v11
	v_cmp_eq_u64_e64 s0, 0, v[11:12]
	s_delay_alu instid0(VALU_DEP_1)
	s_and_b32 exec_lo, exec_lo, s0
	s_cbranch_execz .LBB66_6
; %bb.12:                               ;   in Loop: Header=BB66_7 Depth=1
	v_lshrrev_b64 v[3:4], s1, v[3:4]
	s_delay_alu instid0(VALU_DEP_1) | instskip(NEXT) | instid1(VALU_DEP_1)
	v_and_b32_e32 v1, 0xff, v3
	v_lshlrev_b32_e32 v1, 2, v1
	ds_add_u32 v1, v9
	s_branch .LBB66_6
.LBB66_13:
	s_lshl_b32 s13, s6, 8
.LBB66_14:
	s_bitcmp0_b32 s7, 0
	s_cbranch_scc1 .LBB66_19
; %bb.15:
	v_add_nc_u32_e32 v1, s13, v6
	s_delay_alu instid0(VALU_DEP_1) | instskip(NEXT) | instid1(VALU_DEP_1)
	v_cmp_gt_u32_e64 s0, s4, v1
	s_and_saveexec_b32 s4, s0
	s_cbranch_execz .LBB66_18
; %bb.16:
	v_mul_lo_u32 v1, v1, s5
	v_mov_b32_e32 v2, 0
	s_delay_alu instid0(VALU_DEP_1) | instskip(NEXT) | instid1(VALU_DEP_1)
	v_lshlrev_b64 v[1:2], 3, v[1:2]
	v_add_co_u32 v1, s0, s12, v1
	s_delay_alu instid0(VALU_DEP_1) | instskip(SKIP_4) | instid1(VALU_DEP_1)
	v_add_co_ci_u32_e64 v2, s0, s15, v2, s0
	global_load_b64 v[1:2], v[1:2], off
	s_waitcnt vmcnt(0)
	v_cmp_o_f64_e64 s0, v[1:2], v[1:2]
	v_ashrrev_i32_e32 v3, 31, v2
	v_or_b32_e32 v4, 0x80000000, v3
	v_xor_b32_e32 v1, v3, v1
	s_delay_alu instid0(VALU_DEP_2) | instskip(NEXT) | instid1(VALU_DEP_1)
	v_xor_b32_e32 v4, v4, v2
	v_cndmask_b32_e64 v2, -1, v4, s0
	s_delay_alu instid0(VALU_DEP_3) | instskip(NEXT) | instid1(VALU_DEP_2)
	v_cndmask_b32_e64 v1, -1, v1, s0
	v_xor_b32_e32 v3, s11, v2
	s_delay_alu instid0(VALU_DEP_2) | instskip(NEXT) | instid1(VALU_DEP_2)
	v_xor_b32_e32 v6, s10, v1
	v_and_b32_e32 v4, s9, v3
	s_delay_alu instid0(VALU_DEP_2) | instskip(NEXT) | instid1(VALU_DEP_1)
	v_and_b32_e32 v3, s8, v6
	v_cmp_eq_u64_e64 s0, 0, v[3:4]
	s_delay_alu instid0(VALU_DEP_1)
	s_and_b32 exec_lo, exec_lo, s0
	s_cbranch_execz .LBB66_18
; %bb.17:
	v_lshrrev_b64 v[1:2], s1, v[1:2]
	s_delay_alu instid0(VALU_DEP_1) | instskip(NEXT) | instid1(VALU_DEP_1)
	v_dual_mov_b32 v2, 1 :: v_dual_and_b32 v1, 0xff, v1
	v_lshlrev_b32_e32 v1, 2, v1
	ds_add_u32 v1, v2
.LBB66_18:
	s_or_b32 exec_lo, exec_lo, s4
.LBB66_19:
	v_mov_b32_e32 v1, 0
	s_waitcnt lgkmcnt(0)
	s_barrier
	buffer_gl0_inv
	s_and_saveexec_b32 s0, vcc_lo
	s_cbranch_execz .LBB66_21
; %bb.20:
	ds_load_b32 v1, v5
.LBB66_21:
	s_or_b32 exec_lo, exec_lo, s0
	s_and_saveexec_b32 s0, vcc_lo
	s_cbranch_execz .LBB66_23
; %bb.22:
	v_lshl_or_b32 v2, s14, 8, v0
	v_mov_b32_e32 v3, 0
	s_delay_alu instid0(VALU_DEP_1) | instskip(NEXT) | instid1(VALU_DEP_1)
	v_lshlrev_b64 v[2:3], 1, v[2:3]
	v_add_co_u32 v2, vcc_lo, s2, v2
	s_delay_alu instid0(VALU_DEP_2)
	v_add_co_ci_u32_e32 v3, vcc_lo, s3, v3, vcc_lo
	s_waitcnt lgkmcnt(0)
	global_store_b16 v[2:3], v1, off
.LBB66_23:
	s_nop 0
	s_sendmsg sendmsg(MSG_DEALLOC_VGPRS)
	s_endpgm
	.section	.rodata,"a",@progbits
	.p2align	6, 0x0
	.amdhsa_kernel _ZN2at6native6mbtopk23computeBlockDigitCountsIdjmLi1EEEvNS_4cuda6detail10TensorInfoIKT_T0_EEjPjjS8_iijT1_PSB_Ps
		.amdhsa_group_segment_fixed_size 1024
		.amdhsa_private_segment_fixed_size 0
		.amdhsa_kernarg_size 536
		.amdhsa_user_sgpr_count 13
		.amdhsa_user_sgpr_dispatch_ptr 0
		.amdhsa_user_sgpr_queue_ptr 0
		.amdhsa_user_sgpr_kernarg_segment_ptr 1
		.amdhsa_user_sgpr_dispatch_id 0
		.amdhsa_user_sgpr_private_segment_size 0
		.amdhsa_wavefront_size32 1
		.amdhsa_uses_dynamic_stack 0
		.amdhsa_enable_private_segment 0
		.amdhsa_system_sgpr_workgroup_id_x 1
		.amdhsa_system_sgpr_workgroup_id_y 1
		.amdhsa_system_sgpr_workgroup_id_z 1
		.amdhsa_system_sgpr_workgroup_info 0
		.amdhsa_system_vgpr_workitem_id 0
		.amdhsa_next_free_vgpr 13
		.amdhsa_next_free_sgpr 20
		.amdhsa_reserve_vcc 1
		.amdhsa_float_round_mode_32 0
		.amdhsa_float_round_mode_16_64 0
		.amdhsa_float_denorm_mode_32 3
		.amdhsa_float_denorm_mode_16_64 3
		.amdhsa_dx10_clamp 1
		.amdhsa_ieee_mode 1
		.amdhsa_fp16_overflow 0
		.amdhsa_workgroup_processor_mode 1
		.amdhsa_memory_ordered 1
		.amdhsa_forward_progress 0
		.amdhsa_shared_vgpr_count 0
		.amdhsa_exception_fp_ieee_invalid_op 0
		.amdhsa_exception_fp_denorm_src 0
		.amdhsa_exception_fp_ieee_div_zero 0
		.amdhsa_exception_fp_ieee_overflow 0
		.amdhsa_exception_fp_ieee_underflow 0
		.amdhsa_exception_fp_ieee_inexact 0
		.amdhsa_exception_int_div_zero 0
	.end_amdhsa_kernel
	.section	.text._ZN2at6native6mbtopk23computeBlockDigitCountsIdjmLi1EEEvNS_4cuda6detail10TensorInfoIKT_T0_EEjPjjS8_iijT1_PSB_Ps,"axG",@progbits,_ZN2at6native6mbtopk23computeBlockDigitCountsIdjmLi1EEEvNS_4cuda6detail10TensorInfoIKT_T0_EEjPjjS8_iijT1_PSB_Ps,comdat
.Lfunc_end66:
	.size	_ZN2at6native6mbtopk23computeBlockDigitCountsIdjmLi1EEEvNS_4cuda6detail10TensorInfoIKT_T0_EEjPjjS8_iijT1_PSB_Ps, .Lfunc_end66-_ZN2at6native6mbtopk23computeBlockDigitCountsIdjmLi1EEEvNS_4cuda6detail10TensorInfoIKT_T0_EEjPjjS8_iijT1_PSB_Ps
                                        ; -- End function
	.section	.AMDGPU.csdata,"",@progbits
; Kernel info:
; codeLenInByte = 1256
; NumSgprs: 22
; NumVgprs: 13
; ScratchSize: 0
; MemoryBound: 0
; FloatMode: 240
; IeeeMode: 1
; LDSByteSize: 1024 bytes/workgroup (compile time only)
; SGPRBlocks: 2
; VGPRBlocks: 1
; NumSGPRsForWavesPerEU: 22
; NumVGPRsForWavesPerEU: 13
; Occupancy: 16
; WaveLimiterHint : 1
; COMPUTE_PGM_RSRC2:SCRATCH_EN: 0
; COMPUTE_PGM_RSRC2:USER_SGPR: 13
; COMPUTE_PGM_RSRC2:TRAP_HANDLER: 0
; COMPUTE_PGM_RSRC2:TGID_X_EN: 1
; COMPUTE_PGM_RSRC2:TGID_Y_EN: 1
; COMPUTE_PGM_RSRC2:TGID_Z_EN: 1
; COMPUTE_PGM_RSRC2:TIDIG_COMP_CNT: 0
	.section	.text._ZN2at6native6mbtopk29computeBlockwiseWithinKCountsImdEEvPT_PsPjjibS6_PT0_S6_S4_S6_j,"axG",@progbits,_ZN2at6native6mbtopk29computeBlockwiseWithinKCountsImdEEvPT_PsPjjibS6_PT0_S6_S4_S6_j,comdat
	.protected	_ZN2at6native6mbtopk29computeBlockwiseWithinKCountsImdEEvPT_PsPjjibS6_PT0_S6_S4_S6_j ; -- Begin function _ZN2at6native6mbtopk29computeBlockwiseWithinKCountsImdEEvPT_PsPjjibS6_PT0_S6_S4_S6_j
	.globl	_ZN2at6native6mbtopk29computeBlockwiseWithinKCountsImdEEvPT_PsPjjibS6_PT0_S6_S4_S6_j
	.p2align	8
	.type	_ZN2at6native6mbtopk29computeBlockwiseWithinKCountsImdEEvPT_PsPjjibS6_PT0_S6_S4_S6_j,@function
_ZN2at6native6mbtopk29computeBlockwiseWithinKCountsImdEEvPT_PsPjjibS6_PT0_S6_S4_S6_j: ; @_ZN2at6native6mbtopk29computeBlockwiseWithinKCountsImdEEvPT_PsPjjibS6_PT0_S6_S4_S6_j
; %bb.0:
	s_clause 0x2
	s_load_b128 s[16:19], s[0:1], 0x18
	s_load_b64 s[2:3], s[0:1], 0x58
	s_load_b32 s4, s[0:1], 0x50
	s_waitcnt lgkmcnt(0)
	v_cvt_f32_u32_e32 v1, s16
	s_mul_i32 s3, s3, s15
	s_delay_alu instid0(SALU_CYCLE_1) | instskip(NEXT) | instid1(VALU_DEP_1)
	s_add_i32 s3, s3, s14
	v_rcp_iflag_f32_e32 v1, v1
	s_mul_i32 s2, s3, s2
	s_delay_alu instid0(SALU_CYCLE_1) | instskip(NEXT) | instid1(SALU_CYCLE_1)
	s_add_i32 s20, s2, s13
	s_cmp_ge_u32 s20, s4
	s_waitcnt_depctr 0xfff
	v_mul_f32_e32 v1, 0x4f7ffffe, v1
	s_delay_alu instid0(VALU_DEP_1) | instskip(NEXT) | instid1(VALU_DEP_1)
	v_cvt_u32_f32_e32 v1, v1
	v_readfirstlane_b32 s2, v1
	s_cbranch_scc1 .LBB67_40
; %bb.1:
	s_sub_i32 s3, 0, s16
	s_mov_b32 s21, 0
	s_delay_alu instid0(VALU_DEP_1)
	s_mul_i32 s3, s3, s2
	s_mov_b32 s27, s21
	s_mul_hi_u32 s3, s2, s3
	v_cmp_gt_u32_e32 vcc_lo, 0x100, v0
	s_add_i32 s4, s2, s3
	s_clause 0x1
	s_load_b64 s[2:3], s[0:1], 0x10
	s_load_b128 s[12:15], s[0:1], 0x0
	s_mul_hi_u32 s4, s20, s4
	s_delay_alu instid0(SALU_CYCLE_1) | instskip(SKIP_2) | instid1(SALU_CYCLE_1)
	s_mul_i32 s5, s4, s16
	s_add_i32 s6, s4, 1
	s_sub_i32 s5, s20, s5
	s_sub_i32 s7, s5, s16
	s_cmp_ge_u32 s5, s16
	s_cselect_b32 s4, s6, s4
	s_cselect_b32 s5, s7, s5
	s_add_i32 s6, s4, 1
	s_cmp_ge_u32 s5, s16
	s_cselect_b32 s26, s6, s4
	s_delay_alu instid0(SALU_CYCLE_1)
	s_lshl_b64 s[24:25], s[26:27], 2
	s_waitcnt lgkmcnt(0)
	s_add_u32 s4, s2, s24
	s_addc_u32 s5, s3, s25
	s_and_saveexec_b32 s3, vcc_lo
	s_cbranch_execz .LBB67_8
; %bb.2:
	s_mul_i32 s2, s26, s16
	s_mov_b32 s7, s21
	s_lshl_b32 s6, s2, 8
	v_lshlrev_b32_e32 v1, 1, v0
	s_lshl_b64 s[6:7], s[6:7], 1
	v_mov_b32_e32 v3, 0
	s_add_u32 s2, s14, s6
	s_addc_u32 s6, s15, s7
	v_add_co_u32 v1, s2, s2, v1
	s_delay_alu instid0(VALU_DEP_1)
	v_add_co_ci_u32_e64 v2, null, s6, 0, s2
	s_cmp_lt_u32 s16, 4
	s_cbranch_scc1 .LBB67_41
; %bb.3:
	v_mov_b32_e32 v3, 0
	s_mov_b32 s6, 0
	.p2align	6
.LBB67_4:                               ; =>This Inner Loop Header: Depth=1
	s_clause 0x3
	global_load_i16 v4, v[1:2], off
	global_load_i16 v5, v[1:2], off offset:512
	global_load_i16 v6, v[1:2], off offset:1024
	;; [unrolled: 1-line block ×3, first 2 shown]
	v_add_co_u32 v1, s2, 0x800, v1
	s_delay_alu instid0(VALU_DEP_1)
	v_add_co_ci_u32_e64 v2, s2, 0, v2, s2
	s_add_i32 s2, s6, 7
	s_add_i32 s6, s6, 4
	s_cmp_ge_u32 s2, s16
	s_waitcnt vmcnt(2)
	v_add3_u32 v3, v3, v4, v5
	s_waitcnt vmcnt(0)
	s_delay_alu instid0(VALU_DEP_1)
	v_add3_u32 v3, v3, v6, v7
	s_cbranch_scc0 .LBB67_4
; %bb.5:
	s_cmp_ge_u32 s6, s16
	s_cbranch_scc1 .LBB67_7
.LBB67_6:                               ; =>This Inner Loop Header: Depth=1
	global_load_i16 v4, v[1:2], off
	v_add_co_u32 v1, s2, 0x200, v1
	s_delay_alu instid0(VALU_DEP_1) | instskip(SKIP_1) | instid1(SALU_CYCLE_1)
	v_add_co_ci_u32_e64 v2, s2, 0, v2, s2
	s_add_i32 s6, s6, 1
	s_cmp_lt_u32 s6, s16
	s_waitcnt vmcnt(0)
	v_add_nc_u32_e32 v3, v3, v4
	s_cbranch_scc1 .LBB67_6
.LBB67_7:
	v_lshlrev_b32_e32 v1, 2, v0
	ds_store_b32 v1, v3 offset:1056
.LBB67_8:
	s_or_b32 exec_lo, exec_lo, s3
	s_load_b32 s19, s[4:5], 0x0
	v_mov_b32_e32 v2, 0
	s_waitcnt lgkmcnt(0)
	s_barrier
	buffer_gl0_inv
	s_and_saveexec_b32 s2, vcc_lo
	s_cbranch_execz .LBB67_10
; %bb.9:
	v_lshlrev_b32_e32 v1, 2, v0
	ds_load_b32 v2, v1 offset:1056
.LBB67_10:
	s_or_b32 exec_lo, exec_lo, s2
	v_lshrrev_b32_e32 v5, 5, v0
	v_cmp_gt_u32_e64 s2, 32, v0
	v_mbcnt_lo_u32_b32 v4, -1, 0
	s_delay_alu instid0(VALU_DEP_3)
	v_add_lshl_u32 v1, v5, v0, 2
	s_waitcnt lgkmcnt(0)
	ds_store_b32 v1, v2
	s_waitcnt lgkmcnt(0)
	s_barrier
	buffer_gl0_inv
	s_and_saveexec_b32 s4, s2
	s_cbranch_execz .LBB67_12
; %bb.11:
	v_and_b32_e32 v3, 0xfc, v0
	s_delay_alu instid0(VALU_DEP_1)
	v_lshl_or_b32 v14, v0, 5, v3
	ds_load_2addr_b32 v[6:7], v14 offset1:1
	ds_load_2addr_b32 v[8:9], v14 offset0:2 offset1:3
	ds_load_2addr_b32 v[10:11], v14 offset0:4 offset1:5
	;; [unrolled: 1-line block ×3, first 2 shown]
	; wave barrier
	s_waitcnt lgkmcnt(3)
	v_add_nc_u32_e32 v3, v7, v6
	v_and_b32_e32 v7, 15, v4
	s_waitcnt lgkmcnt(2)
	s_delay_alu instid0(VALU_DEP_2) | instskip(NEXT) | instid1(VALU_DEP_2)
	v_add3_u32 v3, v3, v8, v9
	v_cmp_ne_u32_e64 s3, 0, v7
	v_bfe_i32 v9, v4, 4, 1
	s_waitcnt lgkmcnt(1)
	s_delay_alu instid0(VALU_DEP_3) | instskip(SKIP_1) | instid1(VALU_DEP_1)
	v_add3_u32 v3, v3, v10, v11
	s_waitcnt lgkmcnt(0)
	v_add3_u32 v3, v3, v12, v13
	s_delay_alu instid0(VALU_DEP_1) | instskip(NEXT) | instid1(VALU_DEP_1)
	v_mov_b32_dpp v8, v3 row_shr:1 row_mask:0xf bank_mask:0xf
	v_cndmask_b32_e64 v8, 0, v8, s3
	v_cmp_lt_u32_e64 s3, 1, v7
	s_delay_alu instid0(VALU_DEP_2) | instskip(NEXT) | instid1(VALU_DEP_1)
	v_add_nc_u32_e32 v3, v8, v3
	v_mov_b32_dpp v8, v3 row_shr:2 row_mask:0xf bank_mask:0xf
	s_delay_alu instid0(VALU_DEP_1) | instskip(SKIP_1) | instid1(VALU_DEP_2)
	v_cndmask_b32_e64 v8, 0, v8, s3
	v_cmp_lt_u32_e64 s3, 3, v7
	v_add_nc_u32_e32 v3, v3, v8
	s_delay_alu instid0(VALU_DEP_1) | instskip(NEXT) | instid1(VALU_DEP_1)
	v_mov_b32_dpp v8, v3 row_shr:4 row_mask:0xf bank_mask:0xf
	v_cndmask_b32_e64 v8, 0, v8, s3
	v_cmp_lt_u32_e64 s3, 7, v7
	s_delay_alu instid0(VALU_DEP_2) | instskip(NEXT) | instid1(VALU_DEP_1)
	v_add_nc_u32_e32 v3, v3, v8
	v_mov_b32_dpp v8, v3 row_shr:8 row_mask:0xf bank_mask:0xf
	s_delay_alu instid0(VALU_DEP_1) | instskip(SKIP_1) | instid1(VALU_DEP_2)
	v_cndmask_b32_e64 v7, 0, v8, s3
	v_add_nc_u32_e32 v8, -1, v4
	v_add_nc_u32_e32 v3, v3, v7
	s_delay_alu instid0(VALU_DEP_2) | instskip(SKIP_3) | instid1(VALU_DEP_2)
	v_cmp_gt_i32_e64 s3, 0, v8
	ds_swizzle_b32 v7, v3 offset:swizzle(BROADCAST,32,15)
	v_cndmask_b32_e64 v8, v8, v4, s3
	v_cmp_eq_u32_e64 s3, 0, v0
	v_lshlrev_b32_e32 v8, 2, v8
	s_waitcnt lgkmcnt(0)
	v_and_b32_e32 v7, v9, v7
	s_delay_alu instid0(VALU_DEP_1) | instskip(SKIP_3) | instid1(VALU_DEP_1)
	v_add_nc_u32_e32 v3, v3, v7
	ds_bpermute_b32 v3, v8, v3
	s_waitcnt lgkmcnt(0)
	v_add_nc_u32_e32 v3, v3, v6
	v_cndmask_b32_e64 v10, v3, v2, s3
	ds_store_b32 v14, v10
	; wave barrier
	ds_load_2addr_b32 v[2:3], v14 offset0:1 offset1:2
	ds_load_2addr_b32 v[6:7], v14 offset0:3 offset1:4
	;; [unrolled: 1-line block ×3, first 2 shown]
	ds_load_b32 v11, v14 offset:28
	s_waitcnt lgkmcnt(3)
	v_add_nc_u32_e32 v2, v2, v10
	s_delay_alu instid0(VALU_DEP_1) | instskip(SKIP_1) | instid1(VALU_DEP_1)
	v_add_nc_u32_e32 v3, v3, v2
	s_waitcnt lgkmcnt(2)
	v_add_nc_u32_e32 v6, v6, v3
	s_delay_alu instid0(VALU_DEP_1) | instskip(SKIP_1) | instid1(VALU_DEP_1)
	v_add_nc_u32_e32 v7, v7, v6
	;; [unrolled: 4-line block ×3, first 2 shown]
	s_waitcnt lgkmcnt(0)
	v_add_nc_u32_e32 v10, v11, v9
	ds_store_2addr_b32 v14, v2, v3 offset0:1 offset1:2
	ds_store_2addr_b32 v14, v6, v7 offset0:3 offset1:4
	;; [unrolled: 1-line block ×3, first 2 shown]
	ds_store_b32 v14, v10 offset:28
.LBB67_12:
	s_or_b32 exec_lo, exec_lo, s4
	s_waitcnt lgkmcnt(0)
	s_barrier
	buffer_gl0_inv
	ds_load_b32 v1, v1
	s_waitcnt lgkmcnt(0)
	s_barrier
	buffer_gl0_inv
	s_and_saveexec_b32 s3, vcc_lo
	s_cbranch_execz .LBB67_14
; %bb.13:
	v_lshlrev_b32_e32 v2, 2, v0
	ds_store_b32 v2, v1 offset:1056
.LBB67_14:
	s_or_b32 exec_lo, exec_lo, s3
	s_clause 0x1
	s_load_b256 s[4:11], s[0:1], 0x28
	s_load_b64 s[22:23], s[0:1], 0x48
	s_waitcnt lgkmcnt(0)
	s_barrier
	buffer_gl0_inv
	s_and_saveexec_b32 s3, vcc_lo
	s_cbranch_execz .LBB67_23
; %bb.15:
	v_mov_b32_e32 v6, 0
	s_mov_b32 s0, exec_lo
	v_cmpx_ne_u32_e32 0, v0
	s_cbranch_execz .LBB67_17
; %bb.16:
	v_lshlrev_b32_e32 v2, 2, v0
	ds_load_b32 v6, v2 offset:1052
.LBB67_17:
	s_or_b32 exec_lo, exec_lo, s0
	s_waitcnt lgkmcnt(0)
	v_cmp_gt_u32_e32 vcc_lo, s19, v6
	v_cmp_le_u32_e64 s0, s19, v1
	s_delay_alu instid0(VALU_DEP_1) | instskip(NEXT) | instid1(SALU_CYCLE_1)
	s_and_b32 s0, vcc_lo, s0
	s_and_b32 exec_lo, exec_lo, s0
	s_cbranch_execz .LBB67_23
; %bb.18:
	s_lshl_b64 s[0:1], s[26:27], 3
	v_mov_b32_e32 v1, 0
	s_add_u32 s12, s12, s0
	s_addc_u32 s13, s13, s1
	global_load_b64 v[2:3], v1, s[12:13]
	s_lshl_b64 s[12:13], 0xff, s17
	s_delay_alu instid0(SALU_CYCLE_1) | instskip(SKIP_2) | instid1(SALU_CYCLE_1)
	v_not_b32_e32 v10, s12
	v_not_b32_e32 v9, s13
	s_mul_i32 s12, s26, s16
	s_cmp_lg_u32 s20, s12
	s_waitcnt vmcnt(0)
	v_and_b32_e32 v2, v2, v10
	v_lshlrev_b64 v[7:8], s17, v[0:1]
	v_and_b32_e32 v3, v3, v9
	s_delay_alu instid0(VALU_DEP_1) | instskip(NEXT) | instid1(VALU_DEP_3)
	v_or_b32_e32 v3, v3, v8
	v_or_b32_e32 v2, v2, v7
	ds_store_b64 v1, v[2:3] offset:2112
	s_cbranch_scc1 .LBB67_23
; %bb.19:
	s_add_u32 s12, s10, s0
	s_addc_u32 s13, s11, s1
	s_cmp_lt_i32 s17, 1
	s_mov_b32 s10, -1
	global_store_b64 v1, v[2:3], s[12:13]
	s_cbranch_scc0 .LBB67_21
; %bb.20:
	v_lshrrev_b32_e32 v1, 31, v3
	v_mov_b32_e32 v8, 0
	s_add_u32 s0, s6, s0
	s_addc_u32 s1, s7, s1
	s_delay_alu instid0(VALU_DEP_2) | instskip(NEXT) | instid1(VALU_DEP_1)
	v_add_co_u32 v1, s10, v1, -1
	v_add_co_ci_u32_e64 v7, null, 0, -1, s10
	s_mov_b32 s10, 0
	s_delay_alu instid0(VALU_DEP_2) | instskip(NEXT) | instid1(VALU_DEP_2)
	v_xor_b32_e32 v2, v1, v2
	v_or_b32_e32 v7, 0x80000000, v7
	s_delay_alu instid0(VALU_DEP_1)
	v_xor_b32_e32 v3, v7, v3
	global_store_b64 v8, v[2:3], s[0:1]
.LBB67_21:
	s_and_not1_b32 vcc_lo, exec_lo, s10
	s_cbranch_vccnz .LBB67_23
; %bb.22:
	v_sub_nc_u32_e32 v1, s19, v6
	v_mov_b32_e32 v2, 0
	s_add_u32 s0, s8, s24
	s_addc_u32 s1, s9, s25
	global_store_b32 v2, v1, s[0:1]
.LBB67_23:
	s_or_b32 exec_lo, exec_lo, s3
	v_mov_b32_e32 v3, 0
	s_waitcnt lgkmcnt(0)
	s_waitcnt_vscnt null, 0x0
	s_barrier
	buffer_gl0_inv
	s_bitcmp0_b32 s18, 0
	ds_load_b64 v[1:2], v3 offset:2112
	s_mov_b32 s6, 0
	s_waitcnt lgkmcnt(0)
	v_lshrrev_b64 v[1:2], s17, v[1:2]
	s_delay_alu instid0(VALU_DEP_1)
	v_dual_mov_b32 v1, v3 :: v_dual_and_b32 v2, 0xff, v1
	s_cbranch_scc0 .LBB67_25
; %bb.24:
	v_dual_mov_b32 v7, v3 :: v_dual_and_b32 v6, 0xe0, v0
	s_delay_alu instid0(VALU_DEP_2) | instskip(NEXT) | instid1(VALU_DEP_2)
	v_cmp_gt_u64_e64 s0, v[2:3], v[0:1]
	v_cmp_gt_u64_e32 vcc_lo, v[2:3], v[6:7]
	s_delay_alu instid0(VALU_DEP_2)
	s_and_b32 s1, s0, exec_lo
	s_and_b32 s3, vcc_lo, exec_lo
	s_and_not1_b32 vcc_lo, exec_lo, s6
	s_cbranch_vccz .LBB67_26
	s_branch .LBB67_27
.LBB67_25:
                                        ; implicit-def: $sgpr1
                                        ; implicit-def: $sgpr3
.LBB67_26:
	v_or_b32_e32 v6, 31, v0
	v_mov_b32_e32 v7, 0
	s_delay_alu instid0(VALU_DEP_3) | instskip(SKIP_2) | instid1(VALU_DEP_2)
	v_cmp_lt_u64_e32 vcc_lo, v[2:3], v[0:1]
	s_and_not1_b32 s1, s1, exec_lo
	s_and_not1_b32 s3, s3, exec_lo
	v_cmp_lt_u64_e64 s0, v[2:3], v[6:7]
	s_and_b32 s6, vcc_lo, exec_lo
	s_delay_alu instid0(SALU_CYCLE_1) | instskip(NEXT) | instid1(VALU_DEP_1)
	s_or_b32 s1, s1, s6
	s_and_b32 s0, s0, exec_lo
	s_delay_alu instid0(SALU_CYCLE_1)
	s_or_b32 s3, s3, s0
.LBB67_27:
	v_mov_b32_e32 v1, 0
	s_and_saveexec_b32 s0, s3
	s_cbranch_execz .LBB67_31
; %bb.28:
	v_mov_b32_e32 v1, 0
	s_and_saveexec_b32 s3, s1
	s_cbranch_execz .LBB67_30
; %bb.29:
	s_lshl_b32 s6, s20, 8
	s_mov_b32 s7, 0
	v_lshlrev_b32_e32 v1, 1, v0
	s_lshl_b64 s[6:7], s[6:7], 1
	s_delay_alu instid0(SALU_CYCLE_1)
	s_add_u32 s6, s14, s6
	s_addc_u32 s7, s15, s7
	global_load_i16 v1, v1, s[6:7]
.LBB67_30:
	s_or_b32 exec_lo, exec_lo, s3
	v_cmp_gt_u32_e32 vcc_lo, 16, v4
	v_cndmask_b32_e64 v2, 0, 1, vcc_lo
	v_cmp_gt_u32_e32 vcc_lo, 24, v4
	s_delay_alu instid0(VALU_DEP_2) | instskip(SKIP_2) | instid1(VALU_DEP_3)
	v_lshlrev_b32_e32 v2, 4, v2
	v_cndmask_b32_e64 v3, 0, 1, vcc_lo
	v_cmp_gt_u32_e32 vcc_lo, 28, v4
	v_add_lshl_u32 v2, v2, v4, 2
	s_delay_alu instid0(VALU_DEP_3)
	v_lshlrev_b32_e32 v3, 3, v3
	s_waitcnt vmcnt(0)
	ds_bpermute_b32 v2, v2, v1
	v_add_lshl_u32 v3, v3, v4, 2
	s_waitcnt lgkmcnt(0)
	v_add_nc_u32_e32 v1, v2, v1
	ds_bpermute_b32 v2, v3, v1
	v_cndmask_b32_e64 v3, 0, 1, vcc_lo
	v_cmp_gt_u32_e32 vcc_lo, 30, v4
	s_delay_alu instid0(VALU_DEP_2) | instskip(NEXT) | instid1(VALU_DEP_1)
	v_lshlrev_b32_e32 v3, 2, v3
	v_add_lshl_u32 v3, v3, v4, 2
	s_waitcnt lgkmcnt(0)
	v_add_nc_u32_e32 v1, v2, v1
	ds_bpermute_b32 v2, v3, v1
	v_cndmask_b32_e64 v3, 0, 1, vcc_lo
	v_cmp_ne_u32_e32 vcc_lo, 31, v4
	s_delay_alu instid0(VALU_DEP_2) | instskip(NEXT) | instid1(VALU_DEP_1)
	v_lshlrev_b32_e32 v3, 1, v3
	v_add_lshl_u32 v3, v3, v4, 2
	s_waitcnt lgkmcnt(0)
	v_add_nc_u32_e32 v1, v2, v1
	ds_bpermute_b32 v2, v3, v1
	v_add_co_ci_u32_e32 v3, vcc_lo, 0, v4, vcc_lo
	s_waitcnt lgkmcnt(0)
	v_add_nc_u32_e32 v1, v2, v1
	s_delay_alu instid0(VALU_DEP_2)
	v_lshlrev_b32_e32 v2, 2, v3
	ds_bpermute_b32 v2, v2, v1
	s_waitcnt lgkmcnt(0)
	v_add_nc_u32_e32 v1, v2, v1
.LBB67_31:
	s_or_b32 exec_lo, exec_lo, s0
	v_and_b32_e32 v2, 31, v0
	s_mov_b32 s0, exec_lo
	s_delay_alu instid0(VALU_DEP_1)
	v_cmpx_eq_u32_e32 0, v2
	s_cbranch_execz .LBB67_33
; %bb.32:
	v_lshlrev_b32_e32 v2, 2, v5
	ds_store_b32 v2, v1 offset:2080
.LBB67_33:
	s_or_b32 exec_lo, exec_lo, s0
	s_waitcnt lgkmcnt(0)
	s_barrier
	buffer_gl0_inv
	s_and_saveexec_b32 s0, s2
	s_cbranch_execz .LBB67_40
; %bb.34:
	v_mov_b32_e32 v1, 0
	s_mov_b32 s0, exec_lo
	v_cmpx_gt_u32_e32 8, v0
	s_cbranch_execz .LBB67_36
; %bb.35:
	v_lshlrev_b32_e32 v1, 2, v0
	ds_load_b32 v1, v1 offset:2080
.LBB67_36:
	s_or_b32 exec_lo, exec_lo, s0
	v_cmp_gt_u32_e32 vcc_lo, 28, v4
	s_mov_b32 s0, exec_lo
	v_cndmask_b32_e64 v2, 0, 1, vcc_lo
	v_cmp_gt_u32_e32 vcc_lo, 30, v4
	s_delay_alu instid0(VALU_DEP_2) | instskip(SKIP_2) | instid1(VALU_DEP_3)
	v_lshlrev_b32_e32 v2, 2, v2
	v_cndmask_b32_e64 v3, 0, 1, vcc_lo
	v_cmp_ne_u32_e32 vcc_lo, 31, v4
	v_add_lshl_u32 v2, v2, v4, 2
	s_delay_alu instid0(VALU_DEP_3)
	v_lshlrev_b32_e32 v3, 1, v3
	s_waitcnt lgkmcnt(0)
	ds_bpermute_b32 v2, v2, v1
	v_add_lshl_u32 v3, v3, v4, 2
	s_waitcnt lgkmcnt(0)
	v_add_nc_u32_e32 v1, v2, v1
	ds_bpermute_b32 v2, v3, v1
	v_add_co_ci_u32_e32 v3, vcc_lo, 0, v4, vcc_lo
	s_waitcnt lgkmcnt(0)
	v_add_nc_u32_e32 v1, v2, v1
	s_delay_alu instid0(VALU_DEP_2)
	v_lshlrev_b32_e32 v2, 2, v3
	ds_bpermute_b32 v2, v2, v1
	v_cmpx_eq_u32_e32 0, v0
	s_cbranch_execz .LBB67_38
; %bb.37:
	s_lshl_b64 s[2:3], s[20:21], 2
	v_mov_b32_e32 v3, 0
	s_add_u32 s2, s4, s2
	s_addc_u32 s3, s5, s3
	global_load_b32 v4, v3, s[2:3]
	s_waitcnt vmcnt(0) lgkmcnt(0)
	v_add3_u32 v1, v2, v1, v4
	global_store_b32 v3, v1, s[2:3]
.LBB67_38:
	s_or_b32 exec_lo, exec_lo, s0
	v_or_b32_e32 v0, s17, v0
	s_delay_alu instid0(VALU_DEP_1)
	v_cmp_eq_u32_e32 vcc_lo, 0, v0
	s_and_b32 exec_lo, exec_lo, vcc_lo
	s_cbranch_execz .LBB67_40
; %bb.39:
	v_mov_b32_e32 v0, 0
	s_lshl_b32 s0, s20, 8
	s_mov_b32 s1, 0
	s_delay_alu instid0(SALU_CYCLE_1)
	s_lshl_b64 s[0:1], s[0:1], 1
	ds_load_b32 v1, v0 offset:2112
	s_add_u32 s0, s14, s0
	s_addc_u32 s1, s15, s1
	s_waitcnt lgkmcnt(0)
	v_and_b32_e32 v1, 0xff, v1
	s_delay_alu instid0(VALU_DEP_1) | instskip(SKIP_2) | instid1(SALU_CYCLE_1)
	v_lshlrev_b32_e32 v1, 1, v1
	global_load_i16 v1, v1, s[0:1]
	s_lshl_b64 s[0:1], s[20:21], 2
	s_add_u32 s0, s22, s0
	s_addc_u32 s1, s23, s1
	s_waitcnt vmcnt(0)
	global_store_b32 v0, v1, s[0:1]
.LBB67_40:
	s_nop 0
	s_sendmsg sendmsg(MSG_DEALLOC_VGPRS)
	s_endpgm
.LBB67_41:
	s_mov_b32 s6, s21
	s_delay_alu instid0(SALU_CYCLE_1)
	s_cmp_ge_u32 s6, s16
	s_cbranch_scc0 .LBB67_6
	s_branch .LBB67_7
	.section	.rodata,"a",@progbits
	.p2align	6, 0x0
	.amdhsa_kernel _ZN2at6native6mbtopk29computeBlockwiseWithinKCountsImdEEvPT_PsPjjibS6_PT0_S6_S4_S6_j
		.amdhsa_group_segment_fixed_size 2120
		.amdhsa_private_segment_fixed_size 0
		.amdhsa_kernarg_size 344
		.amdhsa_user_sgpr_count 13
		.amdhsa_user_sgpr_dispatch_ptr 0
		.amdhsa_user_sgpr_queue_ptr 0
		.amdhsa_user_sgpr_kernarg_segment_ptr 1
		.amdhsa_user_sgpr_dispatch_id 0
		.amdhsa_user_sgpr_private_segment_size 0
		.amdhsa_wavefront_size32 1
		.amdhsa_uses_dynamic_stack 0
		.amdhsa_enable_private_segment 0
		.amdhsa_system_sgpr_workgroup_id_x 1
		.amdhsa_system_sgpr_workgroup_id_y 1
		.amdhsa_system_sgpr_workgroup_id_z 1
		.amdhsa_system_sgpr_workgroup_info 0
		.amdhsa_system_vgpr_workitem_id 0
		.amdhsa_next_free_vgpr 15
		.amdhsa_next_free_sgpr 28
		.amdhsa_reserve_vcc 1
		.amdhsa_float_round_mode_32 0
		.amdhsa_float_round_mode_16_64 0
		.amdhsa_float_denorm_mode_32 3
		.amdhsa_float_denorm_mode_16_64 3
		.amdhsa_dx10_clamp 1
		.amdhsa_ieee_mode 1
		.amdhsa_fp16_overflow 0
		.amdhsa_workgroup_processor_mode 1
		.amdhsa_memory_ordered 1
		.amdhsa_forward_progress 0
		.amdhsa_shared_vgpr_count 0
		.amdhsa_exception_fp_ieee_invalid_op 0
		.amdhsa_exception_fp_denorm_src 0
		.amdhsa_exception_fp_ieee_div_zero 0
		.amdhsa_exception_fp_ieee_overflow 0
		.amdhsa_exception_fp_ieee_underflow 0
		.amdhsa_exception_fp_ieee_inexact 0
		.amdhsa_exception_int_div_zero 0
	.end_amdhsa_kernel
	.section	.text._ZN2at6native6mbtopk29computeBlockwiseWithinKCountsImdEEvPT_PsPjjibS6_PT0_S6_S4_S6_j,"axG",@progbits,_ZN2at6native6mbtopk29computeBlockwiseWithinKCountsImdEEvPT_PsPjjibS6_PT0_S6_S4_S6_j,comdat
.Lfunc_end67:
	.size	_ZN2at6native6mbtopk29computeBlockwiseWithinKCountsImdEEvPT_PsPjjibS6_PT0_S6_S4_S6_j, .Lfunc_end67-_ZN2at6native6mbtopk29computeBlockwiseWithinKCountsImdEEvPT_PsPjjibS6_PT0_S6_S4_S6_j
                                        ; -- End function
	.section	.AMDGPU.csdata,"",@progbits
; Kernel info:
; codeLenInByte = 2336
; NumSgprs: 30
; NumVgprs: 15
; ScratchSize: 0
; MemoryBound: 0
; FloatMode: 240
; IeeeMode: 1
; LDSByteSize: 2120 bytes/workgroup (compile time only)
; SGPRBlocks: 3
; VGPRBlocks: 1
; NumSGPRsForWavesPerEU: 30
; NumVGPRsForWavesPerEU: 15
; Occupancy: 16
; WaveLimiterHint : 1
; COMPUTE_PGM_RSRC2:SCRATCH_EN: 0
; COMPUTE_PGM_RSRC2:USER_SGPR: 13
; COMPUTE_PGM_RSRC2:TRAP_HANDLER: 0
; COMPUTE_PGM_RSRC2:TGID_X_EN: 1
; COMPUTE_PGM_RSRC2:TGID_Y_EN: 1
; COMPUTE_PGM_RSRC2:TGID_Z_EN: 1
; COMPUTE_PGM_RSRC2:TIDIG_COMP_CNT: 0
	.section	.text._ZN2at6native6mbtopk10gatherTopKIdjLi1EEEvNS_4cuda6detail10TensorInfoIKT_T0_EES8_S8_bjS8_NS5_IS6_S8_EES8_NS5_IlS8_EES8_jjPS6_PjSD_j,"axG",@progbits,_ZN2at6native6mbtopk10gatherTopKIdjLi1EEEvNS_4cuda6detail10TensorInfoIKT_T0_EES8_S8_bjS8_NS5_IS6_S8_EES8_NS5_IlS8_EES8_jjPS6_PjSD_j,comdat
	.protected	_ZN2at6native6mbtopk10gatherTopKIdjLi1EEEvNS_4cuda6detail10TensorInfoIKT_T0_EES8_S8_bjS8_NS5_IS6_S8_EES8_NS5_IlS8_EES8_jjPS6_PjSD_j ; -- Begin function _ZN2at6native6mbtopk10gatherTopKIdjLi1EEEvNS_4cuda6detail10TensorInfoIKT_T0_EES8_S8_bjS8_NS5_IS6_S8_EES8_NS5_IlS8_EES8_jjPS6_PjSD_j
	.globl	_ZN2at6native6mbtopk10gatherTopKIdjLi1EEEvNS_4cuda6detail10TensorInfoIKT_T0_EES8_S8_bjS8_NS5_IS6_S8_EES8_NS5_IlS8_EES8_jjPS6_PjSD_j
	.p2align	8
	.type	_ZN2at6native6mbtopk10gatherTopKIdjLi1EEEvNS_4cuda6detail10TensorInfoIKT_T0_EES8_S8_bjS8_NS5_IS6_S8_EES8_NS5_IlS8_EES8_jjPS6_PjSD_j,@function
_ZN2at6native6mbtopk10gatherTopKIdjLi1EEEvNS_4cuda6detail10TensorInfoIKT_T0_EES8_S8_bjS8_NS5_IS6_S8_EES8_NS5_IlS8_EES8_jjPS6_PjSD_j: ; @_ZN2at6native6mbtopk10gatherTopKIdjLi1EEEvNS_4cuda6detail10TensorInfoIKT_T0_EES8_S8_bjS8_NS5_IS6_S8_EES8_NS5_IlS8_EES8_jjPS6_PjSD_j
; %bb.0:
	s_clause 0x1
	s_load_b64 s[2:3], s[0:1], 0x2d8
	s_load_b32 s4, s[0:1], 0x2d0
	s_waitcnt lgkmcnt(0)
	s_mul_i32 s3, s3, s15
	s_delay_alu instid0(SALU_CYCLE_1) | instskip(NEXT) | instid1(SALU_CYCLE_1)
	s_add_i32 s3, s3, s14
	s_mul_i32 s2, s3, s2
	s_delay_alu instid0(SALU_CYCLE_1) | instskip(NEXT) | instid1(SALU_CYCLE_1)
	s_add_i32 s2, s2, s13
	s_cmp_ge_u32 s2, s4
	s_cbranch_scc1 .LBB68_40
; %bb.1:
	s_load_b256 s[4:11], s[0:1], 0x2a8
	s_mov_b32 s25, 0
	s_waitcnt lgkmcnt(0)
	v_cvt_f32_u32_e32 v1, s6
	s_sub_i32 s7, 0, s6
	s_delay_alu instid0(VALU_DEP_1) | instskip(SKIP_2) | instid1(VALU_DEP_1)
	v_rcp_iflag_f32_e32 v1, v1
	s_waitcnt_depctr 0xfff
	v_mul_f32_e32 v1, 0x4f7ffffe, v1
	v_cvt_u32_f32_e32 v1, v1
	s_delay_alu instid0(VALU_DEP_1) | instskip(NEXT) | instid1(VALU_DEP_1)
	v_readfirstlane_b32 s3, v1
	s_mul_i32 s7, s7, s3
	s_delay_alu instid0(SALU_CYCLE_1) | instskip(NEXT) | instid1(SALU_CYCLE_1)
	s_mul_hi_u32 s7, s3, s7
	s_add_i32 s3, s3, s7
	s_delay_alu instid0(SALU_CYCLE_1) | instskip(NEXT) | instid1(SALU_CYCLE_1)
	s_mul_hi_u32 s3, s2, s3
	s_mul_i32 s7, s3, s6
	s_add_i32 s12, s3, 1
	s_sub_i32 s7, s2, s7
	s_delay_alu instid0(SALU_CYCLE_1)
	s_sub_i32 s13, s7, s6
	s_cmp_ge_u32 s7, s6
	s_cselect_b32 s3, s12, s3
	s_cselect_b32 s7, s13, s7
	s_add_i32 s12, s3, 1
	s_cmp_ge_u32 s7, s6
	s_cselect_b32 s24, s12, s3
	s_delay_alu instid0(SALU_CYCLE_1)
	s_mul_i32 s12, s24, s6
	s_lshl_b64 s[14:15], s[24:25], 3
	s_sub_i32 s7, s2, s12
	s_add_u32 s2, s8, s14
	s_addc_u32 s3, s9, s15
	s_clause 0x2
	s_load_b64 s[16:17], s[0:1], 0x1d0
	s_load_b64 s[20:21], s[0:1], 0xf0
	;; [unrolled: 1-line block ×4, first 2 shown]
	v_cmp_ne_u32_e64 s2, 0, v0
	v_cmp_eq_u32_e64 s3, 0, v0
	s_delay_alu instid0(VALU_DEP_1)
	s_and_saveexec_b32 s30, s3
	s_cbranch_execz .LBB68_17
; %bb.2:
	s_load_b64 s[8:9], s[0:1], 0x2c8
	s_mov_b32 s13, s25
	s_delay_alu instid0(SALU_CYCLE_1) | instskip(NEXT) | instid1(SALU_CYCLE_1)
	s_lshl_b64 s[26:27], s[12:13], 2
	s_add_u32 s12, s10, s26
	s_addc_u32 s13, s11, s27
	s_waitcnt lgkmcnt(0)
	s_add_u32 s14, s8, s26
	s_addc_u32 s15, s9, s27
	s_cmp_lt_u32 s6, 4
	s_cbranch_scc1 .LBB68_14
; %bb.3:
	s_mov_b32 s31, s25
	s_mov_b32 s33, s25
	;; [unrolled: 1-line block ×3, first 2 shown]
.LBB68_4:                               ; =>This Inner Loop Header: Depth=1
	s_add_u32 s12, s10, s26
	s_addc_u32 s13, s11, s27
	s_add_u32 s28, s8, s26
	s_load_b128 s[12:15], s[12:13], 0x0
	s_addc_u32 s29, s9, s27
	s_cmp_ge_u32 s34, s7
	s_cbranch_scc0 .LBB68_11
; %bb.5:                                ;   in Loop: Header=BB68_4 Depth=1
	s_add_i32 s35, s34, 1
	s_delay_alu instid0(SALU_CYCLE_1)
	s_cmp_ge_u32 s35, s7
	s_cbranch_scc0 .LBB68_12
.LBB68_6:                               ;   in Loop: Header=BB68_4 Depth=1
	s_add_i32 s35, s35, 1
	s_delay_alu instid0(SALU_CYCLE_1)
	s_cmp_ge_u32 s35, s7
	s_cbranch_scc0 .LBB68_13
.LBB68_7:                               ;   in Loop: Header=BB68_4 Depth=1
	s_add_i32 s35, s35, 1
	s_delay_alu instid0(SALU_CYCLE_1)
	s_cmp_ge_u32 s35, s7
	s_cbranch_scc1 .LBB68_9
.LBB68_8:                               ;   in Loop: Header=BB68_4 Depth=1
	s_load_b32 s28, s[28:29], 0xc
	s_waitcnt lgkmcnt(0)
	s_add_i32 s25, s25, s15
	s_add_i32 s31, s28, s31
.LBB68_9:                               ;   in Loop: Header=BB68_4 Depth=1
	s_waitcnt lgkmcnt(0)
	s_add_i32 s12, s12, s33
	s_delay_alu instid0(SALU_CYCLE_1) | instskip(NEXT) | instid1(SALU_CYCLE_1)
	s_add_i32 s12, s12, s13
	s_add_i32 s12, s12, s14
	s_delay_alu instid0(SALU_CYCLE_1)
	s_add_i32 s33, s12, s15
	s_add_u32 s10, s10, 16
	s_addc_u32 s11, s11, 0
	s_add_u32 s8, s8, 16
	s_addc_u32 s9, s9, 0
	s_add_i32 s29, s35, 4
	s_add_u32 s14, s8, s26
	s_addc_u32 s15, s9, s27
	s_add_u32 s12, s10, s26
	s_addc_u32 s13, s11, s27
	s_add_i32 s28, s35, 1
	s_cmp_ge_u32 s29, s6
	s_cbranch_scc1 .LBB68_15
; %bb.10:                               ;   in Loop: Header=BB68_4 Depth=1
	s_mov_b32 s34, s28
	s_branch .LBB68_4
.LBB68_11:                              ;   in Loop: Header=BB68_4 Depth=1
	s_load_b32 s35, s[28:29], 0x0
	s_waitcnt lgkmcnt(0)
	s_add_i32 s25, s12, s25
	s_add_i32 s31, s35, s31
	;; [unrolled: 1-line block ×3, first 2 shown]
	s_delay_alu instid0(SALU_CYCLE_1)
	s_cmp_ge_u32 s35, s7
	s_cbranch_scc1 .LBB68_6
.LBB68_12:                              ;   in Loop: Header=BB68_4 Depth=1
	s_load_b32 s36, s[28:29], 0x4
	s_waitcnt lgkmcnt(0)
	s_add_i32 s25, s25, s13
	s_add_i32 s31, s36, s31
	s_add_i32 s35, s35, 1
	s_delay_alu instid0(SALU_CYCLE_1)
	s_cmp_ge_u32 s35, s7
	s_cbranch_scc1 .LBB68_7
.LBB68_13:                              ;   in Loop: Header=BB68_4 Depth=1
	s_load_b32 s36, s[28:29], 0x8
	s_waitcnt lgkmcnt(0)
	s_add_i32 s25, s25, s14
	s_add_i32 s31, s36, s31
	;; [unrolled: 1-line block ×3, first 2 shown]
	s_delay_alu instid0(SALU_CYCLE_1)
	s_cmp_ge_u32 s35, s7
	s_cbranch_scc0 .LBB68_8
	s_branch .LBB68_9
.LBB68_14:
	s_mov_b32 s31, 0
	s_mov_b32 s33, 0
	;; [unrolled: 1-line block ×3, first 2 shown]
	s_delay_alu instid0(SALU_CYCLE_1)
	s_cmp_ge_u32 s8, s6
	s_cbranch_scc0 .LBB68_38
	s_branch .LBB68_16
.LBB68_15:
	s_add_i32 s8, s34, 4
	s_delay_alu instid0(SALU_CYCLE_1)
	s_cmp_ge_u32 s8, s6
	s_cbranch_scc0 .LBB68_38
.LBB68_16:
	v_dual_mov_b32 v1, s31 :: v_dual_mov_b32 v2, s33
	v_dual_mov_b32 v3, s25 :: v_dual_mov_b32 v4, 0
	ds_store_b96 v4, v[1:3] offset:1056
.LBB68_17:
	s_or_b32 exec_lo, exec_lo, s30
	s_clause 0x3
	s_load_b32 s13, s[0:1], 0x23c
	s_load_b32 s14, s[0:1], 0x15c
	s_load_b32 s15, s[0:1], 0x6c
	s_load_b128 s[8:11], s[0:1], 0xd8
	s_waitcnt lgkmcnt(0)
	s_mul_i32 s11, s5, s7
	s_add_i32 s7, s7, 1
	s_lshl_b32 s12, s11, 8
	s_barrier
	buffer_gl0_inv
	s_sub_i32 s11, s8, s12
	s_delay_alu instid0(SALU_CYCLE_1) | instskip(SKIP_4) | instid1(VALU_DEP_1)
	s_add_u32 s11, s11, 0xff
	s_addc_u32 s25, 0, 0
	s_cmp_lt_u32 s7, s6
	v_alignbit_b32 v1, s25, s11, 8
	s_mov_b32 s7, 0
	v_readfirstlane_b32 s11, v1
	s_delay_alu instid0(VALU_DEP_1) | instskip(NEXT) | instid1(SALU_CYCLE_1)
	s_cselect_b32 s5, s5, s11
	s_cmp_eq_u32 s5, 0
	s_cbranch_scc1 .LBB68_40
; %bb.18:
	v_cmp_o_f64_e64 s26, s[18:19], s[18:19]
	v_dual_mov_b32 v5, 0 :: v_dual_add_nc_u32 v12, -1, v0
	s_clause 0x1
	s_load_b32 s27, s[0:1], 0xe8
	s_load_b32 s11, s[0:1], 0x1c8
	s_mul_i32 s6, s24, s15
	s_mov_b32 s15, s7
	ds_load_b96 v[1:3], v5 offset:1056
	s_mov_b32 s25, s7
	s_lshl_b64 s[6:7], s[6:7], 3
	s_mul_i32 s14, s24, s14
	v_add_nc_u32_e32 v6, s12, v0
	s_add_u32 s12, s22, s6
	s_mul_i32 s24, s24, s13
	s_addc_u32 s13, s23, s7
	s_lshl_b64 s[6:7], s[14:15], 3
	v_lshrrev_b32_e32 v4, 5, v0
	s_add_u32 s14, s20, s6
	s_addc_u32 s15, s21, s7
	s_lshl_b64 s[6:7], s[24:25], 3
	v_cmp_gt_u32_e64 s0, 32, v0
	s_add_u32 s16, s16, s6
	v_lshlrev_b32_e32 v7, 3, v0
	v_lshrrev_b32_e32 v10, 2, v0
	v_mbcnt_lo_u32_b32 v8, -1, 0
	v_add_lshl_u32 v9, v4, v0, 2
	v_lshrrev_b32_e32 v0, 5, v12
	s_addc_u32 s17, s17, s7
	s_ashr_i32 s6, s19, 31
	s_waitcnt lgkmcnt(0)
	v_mul_lo_u32 v4, s27, v6
	s_or_b32 s7, s6, 0x80000000
	v_add_lshl_u32 v10, v10, v7, 2
	s_xor_b64 s[6:7], s[6:7], s[18:19]
	v_and_b32_e32 v11, 15, v8
	v_add_lshl_u32 v12, v0, v12, 2
	v_add_nc_u32_e32 v2, v1, v2
	v_bfe_i32 v13, v8, 4, 1
	v_add_nc_u32_e32 v14, -1, v8
                                        ; implicit-def: $vgpr0_vgpr1
	s_and_b32 s1, s26, exec_lo
	s_cselect_b32 s7, s7, -1
	s_cselect_b32 s6, s6, -1
	s_bitcmp1_b32 s10, 0
	s_cselect_b32 s1, -1, 0
	s_lshl_b32 s10, s27, 8
	s_branch .LBB68_21
.LBB68_19:                              ;   in Loop: Header=BB68_21 Depth=1
	s_or_b32 exec_lo, exec_lo, s18
	v_add_nc_u32_e32 v2, v17, v2
.LBB68_20:                              ;   in Loop: Header=BB68_21 Depth=1
	v_add_nc_u32_e32 v3, v16, v3
	v_add_nc_u32_e32 v4, s10, v4
	;; [unrolled: 1-line block ×3, first 2 shown]
	s_add_i32 s5, s5, -1
	s_delay_alu instid0(SALU_CYCLE_1)
	s_cmp_lg_u32 s5, 0
	s_cbranch_scc0 .LBB68_40
.LBB68_21:                              ; =>This Inner Loop Header: Depth=1
	v_mov_b32_e32 v7, 0
	v_mov_b32_e32 v15, 0
	s_mov_b32 s18, exec_lo
	v_cmpx_gt_u32_e64 s8, v6
	s_cbranch_execz .LBB68_23
; %bb.22:                               ;   in Loop: Header=BB68_21 Depth=1
	v_lshlrev_b64 v[0:1], 3, v[4:5]
	s_delay_alu instid0(VALU_DEP_1) | instskip(NEXT) | instid1(VALU_DEP_2)
	v_add_co_u32 v0, vcc_lo, s12, v0
	v_add_co_ci_u32_e32 v1, vcc_lo, s13, v1, vcc_lo
	global_load_b64 v[0:1], v[0:1], off
	s_waitcnt vmcnt(0)
	v_cmp_o_f64_e32 vcc_lo, v[0:1], v[0:1]
	v_ashrrev_i32_e32 v7, 31, v1
	s_delay_alu instid0(VALU_DEP_1) | instskip(SKIP_1) | instid1(VALU_DEP_2)
	v_or_b32_e32 v15, 0x80000000, v7
	v_xor_b32_e32 v7, v7, v0
	v_xor_b32_e32 v15, v15, v1
	s_delay_alu instid0(VALU_DEP_1) | instskip(NEXT) | instid1(VALU_DEP_3)
	v_cndmask_b32_e32 v16, -1, v15, vcc_lo
	v_cndmask_b32_e32 v15, -1, v7, vcc_lo
	s_delay_alu instid0(VALU_DEP_1) | instskip(SKIP_4) | instid1(VALU_DEP_2)
	v_cmp_lt_u64_e32 vcc_lo, s[6:7], v[15:16]
	v_cndmask_b32_e64 v7, 0, 1, vcc_lo
	v_cmp_gt_u64_e32 vcc_lo, s[6:7], v[15:16]
	v_cndmask_b32_e64 v17, 0, 1, vcc_lo
	v_cmp_eq_u64_e32 vcc_lo, s[6:7], v[15:16]
	v_cndmask_b32_e64 v7, v17, v7, s1
	v_cndmask_b32_e64 v15, 0, 1, vcc_lo
	s_delay_alu instid0(VALU_DEP_2)
	v_and_b32_e32 v7, 1, v7
.LBB68_23:                              ;   in Loop: Header=BB68_21 Depth=1
	s_or_b32 exec_lo, exec_lo, s18
	ds_store_b32 v9, v7
	s_waitcnt lgkmcnt(0)
	s_waitcnt_vscnt null, 0x0
	s_barrier
	buffer_gl0_inv
	s_and_saveexec_b32 s18, s0
	s_cbranch_execz .LBB68_25
; %bb.24:                               ;   in Loop: Header=BB68_21 Depth=1
	ds_load_2addr_b32 v[16:17], v10 offset1:1
	ds_load_2addr_b32 v[18:19], v10 offset0:2 offset1:3
	ds_load_2addr_b32 v[20:21], v10 offset0:4 offset1:5
	;; [unrolled: 1-line block ×3, first 2 shown]
	v_cmp_ne_u32_e32 vcc_lo, 0, v11
	; wave barrier
	s_waitcnt lgkmcnt(3)
	v_add_nc_u32_e32 v17, v17, v16
	s_waitcnt lgkmcnt(2)
	s_delay_alu instid0(VALU_DEP_1) | instskip(SKIP_1) | instid1(VALU_DEP_1)
	v_add3_u32 v17, v17, v18, v19
	s_waitcnt lgkmcnt(1)
	v_add3_u32 v17, v17, v20, v21
	s_waitcnt lgkmcnt(0)
	s_delay_alu instid0(VALU_DEP_1) | instskip(NEXT) | instid1(VALU_DEP_1)
	v_add3_u32 v17, v17, v22, v23
	v_mov_b32_dpp v18, v17 row_shr:1 row_mask:0xf bank_mask:0xf
	s_delay_alu instid0(VALU_DEP_1) | instskip(SKIP_1) | instid1(VALU_DEP_2)
	v_cndmask_b32_e32 v18, 0, v18, vcc_lo
	v_cmp_lt_u32_e32 vcc_lo, 1, v11
	v_add_nc_u32_e32 v17, v18, v17
	s_delay_alu instid0(VALU_DEP_1) | instskip(NEXT) | instid1(VALU_DEP_1)
	v_mov_b32_dpp v18, v17 row_shr:2 row_mask:0xf bank_mask:0xf
	v_cndmask_b32_e32 v18, 0, v18, vcc_lo
	v_cmp_lt_u32_e32 vcc_lo, 3, v11
	s_delay_alu instid0(VALU_DEP_2) | instskip(NEXT) | instid1(VALU_DEP_1)
	v_add_nc_u32_e32 v17, v17, v18
	v_mov_b32_dpp v18, v17 row_shr:4 row_mask:0xf bank_mask:0xf
	s_delay_alu instid0(VALU_DEP_1) | instskip(SKIP_1) | instid1(VALU_DEP_2)
	v_cndmask_b32_e32 v18, 0, v18, vcc_lo
	v_cmp_lt_u32_e32 vcc_lo, 7, v11
	v_add_nc_u32_e32 v17, v17, v18
	s_delay_alu instid0(VALU_DEP_1) | instskip(NEXT) | instid1(VALU_DEP_1)
	v_mov_b32_dpp v18, v17 row_shr:8 row_mask:0xf bank_mask:0xf
	v_cndmask_b32_e32 v18, 0, v18, vcc_lo
	v_cmp_gt_i32_e32 vcc_lo, 0, v14
	v_cndmask_b32_e32 v19, v14, v8, vcc_lo
	s_delay_alu instid0(VALU_DEP_1) | instskip(NEXT) | instid1(VALU_DEP_4)
	v_lshlrev_b32_e32 v19, 2, v19
	v_add_nc_u32_e32 v17, v17, v18
	ds_swizzle_b32 v18, v17 offset:swizzle(BROADCAST,32,15)
	s_waitcnt lgkmcnt(0)
	v_and_b32_e32 v18, v13, v18
	s_delay_alu instid0(VALU_DEP_1) | instskip(SKIP_3) | instid1(VALU_DEP_1)
	v_add_nc_u32_e32 v17, v17, v18
	ds_bpermute_b32 v17, v19, v17
	s_waitcnt lgkmcnt(0)
	v_add_nc_u32_e32 v16, v17, v16
	v_cndmask_b32_e64 v22, v16, v7, s3
	ds_store_b32 v10, v22
	; wave barrier
	ds_load_2addr_b32 v[16:17], v10 offset0:1 offset1:2
	ds_load_2addr_b32 v[18:19], v10 offset0:3 offset1:4
	;; [unrolled: 1-line block ×3, first 2 shown]
	ds_load_b32 v23, v10 offset:28
	s_waitcnt lgkmcnt(3)
	v_add_nc_u32_e32 v16, v16, v22
	s_delay_alu instid0(VALU_DEP_1) | instskip(SKIP_1) | instid1(VALU_DEP_1)
	v_add_nc_u32_e32 v17, v17, v16
	s_waitcnt lgkmcnt(2)
	v_add_nc_u32_e32 v18, v18, v17
	s_delay_alu instid0(VALU_DEP_1) | instskip(SKIP_1) | instid1(VALU_DEP_1)
	v_add_nc_u32_e32 v19, v19, v18
	s_waitcnt lgkmcnt(1)
	v_add_nc_u32_e32 v20, v20, v19
	s_delay_alu instid0(VALU_DEP_1) | instskip(SKIP_1) | instid1(VALU_DEP_1)
	v_add_nc_u32_e32 v21, v21, v20
	s_waitcnt lgkmcnt(0)
	v_add_nc_u32_e32 v22, v23, v21
	ds_store_2addr_b32 v10, v16, v17 offset0:1 offset1:2
	ds_store_2addr_b32 v10, v18, v19 offset0:3 offset1:4
	;; [unrolled: 1-line block ×3, first 2 shown]
	ds_store_b32 v10, v22 offset:28
.LBB68_25:                              ;   in Loop: Header=BB68_21 Depth=1
	s_or_b32 exec_lo, exec_lo, s18
	v_mov_b32_e32 v17, 0
	s_waitcnt lgkmcnt(0)
	s_barrier
	buffer_gl0_inv
	s_and_saveexec_b32 s18, s2
	s_cbranch_execz .LBB68_27
; %bb.26:                               ;   in Loop: Header=BB68_21 Depth=1
	ds_load_b32 v17, v12
.LBB68_27:                              ;   in Loop: Header=BB68_21 Depth=1
	s_or_b32 exec_lo, exec_lo, s18
	ds_load_b32 v16, v5 offset:1048
	s_mov_b32 s18, exec_lo
	s_waitcnt lgkmcnt(0)
	s_barrier
	buffer_gl0_inv
	v_cmpx_ne_u32_e32 0, v7
	s_cbranch_execz .LBB68_29
; %bb.28:                               ;   in Loop: Header=BB68_21 Depth=1
	v_add_nc_u32_e32 v7, v17, v3
	v_mov_b32_e32 v18, v5
	v_mov_b32_e32 v20, v5
	s_delay_alu instid0(VALU_DEP_3) | instskip(SKIP_2) | instid1(VALU_DEP_3)
	v_mul_lo_u32 v17, v7, s11
	v_mul_lo_u32 v19, v7, s4
	v_mov_b32_e32 v7, v5
	v_lshlrev_b64 v[17:18], 3, v[17:18]
	s_delay_alu instid0(VALU_DEP_3) | instskip(NEXT) | instid1(VALU_DEP_2)
	v_lshlrev_b64 v[19:20], 3, v[19:20]
	v_add_co_u32 v17, vcc_lo, s14, v17
	s_delay_alu instid0(VALU_DEP_3) | instskip(NEXT) | instid1(VALU_DEP_3)
	v_add_co_ci_u32_e32 v18, vcc_lo, s15, v18, vcc_lo
	v_add_co_u32 v19, vcc_lo, s16, v19
	s_delay_alu instid0(VALU_DEP_4)
	v_add_co_ci_u32_e32 v20, vcc_lo, s17, v20, vcc_lo
	global_store_b64 v[17:18], v[0:1], off
	global_store_b64 v[19:20], v[6:7], off
.LBB68_29:                              ;   in Loop: Header=BB68_21 Depth=1
	s_or_b32 exec_lo, exec_lo, s18
	v_cmp_le_u32_e32 vcc_lo, s9, v2
	s_cbranch_vccnz .LBB68_20
; %bb.30:                               ;   in Loop: Header=BB68_21 Depth=1
	ds_store_b32 v9, v15
	s_waitcnt lgkmcnt(0)
	s_waitcnt_vscnt null, 0x0
	s_barrier
	buffer_gl0_inv
	s_and_saveexec_b32 s18, s0
	s_cbranch_execz .LBB68_32
; %bb.31:                               ;   in Loop: Header=BB68_21 Depth=1
	ds_load_2addr_b32 v[17:18], v10 offset1:1
	ds_load_2addr_b32 v[19:20], v10 offset0:2 offset1:3
	ds_load_2addr_b32 v[21:22], v10 offset0:4 offset1:5
	;; [unrolled: 1-line block ×3, first 2 shown]
	v_cmp_ne_u32_e32 vcc_lo, 0, v11
	; wave barrier
	s_waitcnt lgkmcnt(3)
	v_add_nc_u32_e32 v7, v18, v17
	s_waitcnt lgkmcnt(2)
	s_delay_alu instid0(VALU_DEP_1) | instskip(SKIP_1) | instid1(VALU_DEP_1)
	v_add3_u32 v7, v7, v19, v20
	s_waitcnt lgkmcnt(1)
	v_add3_u32 v7, v7, v21, v22
	s_waitcnt lgkmcnt(0)
	s_delay_alu instid0(VALU_DEP_1) | instskip(NEXT) | instid1(VALU_DEP_1)
	v_add3_u32 v7, v7, v23, v24
	v_mov_b32_dpp v18, v7 row_shr:1 row_mask:0xf bank_mask:0xf
	s_delay_alu instid0(VALU_DEP_1) | instskip(SKIP_1) | instid1(VALU_DEP_2)
	v_cndmask_b32_e32 v18, 0, v18, vcc_lo
	v_cmp_lt_u32_e32 vcc_lo, 1, v11
	v_add_nc_u32_e32 v7, v18, v7
	s_delay_alu instid0(VALU_DEP_1) | instskip(NEXT) | instid1(VALU_DEP_1)
	v_mov_b32_dpp v18, v7 row_shr:2 row_mask:0xf bank_mask:0xf
	v_cndmask_b32_e32 v18, 0, v18, vcc_lo
	v_cmp_lt_u32_e32 vcc_lo, 3, v11
	s_delay_alu instid0(VALU_DEP_2) | instskip(NEXT) | instid1(VALU_DEP_1)
	v_add_nc_u32_e32 v7, v7, v18
	v_mov_b32_dpp v18, v7 row_shr:4 row_mask:0xf bank_mask:0xf
	s_delay_alu instid0(VALU_DEP_1) | instskip(SKIP_1) | instid1(VALU_DEP_2)
	v_cndmask_b32_e32 v18, 0, v18, vcc_lo
	v_cmp_lt_u32_e32 vcc_lo, 7, v11
	v_add_nc_u32_e32 v7, v7, v18
	s_delay_alu instid0(VALU_DEP_1) | instskip(NEXT) | instid1(VALU_DEP_1)
	v_mov_b32_dpp v18, v7 row_shr:8 row_mask:0xf bank_mask:0xf
	v_cndmask_b32_e32 v18, 0, v18, vcc_lo
	v_cmp_gt_i32_e32 vcc_lo, 0, v14
	v_cndmask_b32_e32 v19, v14, v8, vcc_lo
	s_delay_alu instid0(VALU_DEP_1) | instskip(NEXT) | instid1(VALU_DEP_4)
	v_lshlrev_b32_e32 v19, 2, v19
	v_add_nc_u32_e32 v7, v7, v18
	ds_swizzle_b32 v18, v7 offset:swizzle(BROADCAST,32,15)
	s_waitcnt lgkmcnt(0)
	v_and_b32_e32 v18, v13, v18
	s_delay_alu instid0(VALU_DEP_1) | instskip(SKIP_3) | instid1(VALU_DEP_1)
	v_add_nc_u32_e32 v7, v7, v18
	ds_bpermute_b32 v7, v19, v7
	s_waitcnt lgkmcnt(0)
	v_add_nc_u32_e32 v7, v7, v17
	v_cndmask_b32_e64 v7, v7, v15, s3
	ds_store_b32 v10, v7
	; wave barrier
	ds_load_2addr_b32 v[17:18], v10 offset0:1 offset1:2
	ds_load_2addr_b32 v[19:20], v10 offset0:3 offset1:4
	ds_load_2addr_b32 v[21:22], v10 offset0:5 offset1:6
	ds_load_b32 v23, v10 offset:28
	s_waitcnt lgkmcnt(3)
	v_add_nc_u32_e32 v7, v17, v7
	s_delay_alu instid0(VALU_DEP_1) | instskip(SKIP_1) | instid1(VALU_DEP_1)
	v_add_nc_u32_e32 v17, v18, v7
	s_waitcnt lgkmcnt(2)
	v_add_nc_u32_e32 v18, v19, v17
	s_delay_alu instid0(VALU_DEP_1) | instskip(SKIP_1) | instid1(VALU_DEP_1)
	v_add_nc_u32_e32 v19, v20, v18
	;; [unrolled: 4-line block ×3, first 2 shown]
	s_waitcnt lgkmcnt(0)
	v_add_nc_u32_e32 v22, v23, v21
	ds_store_2addr_b32 v10, v7, v17 offset0:1 offset1:2
	ds_store_2addr_b32 v10, v18, v19 offset0:3 offset1:4
	;; [unrolled: 1-line block ×3, first 2 shown]
	ds_store_b32 v10, v22 offset:28
.LBB68_32:                              ;   in Loop: Header=BB68_21 Depth=1
	s_or_b32 exec_lo, exec_lo, s18
	v_mov_b32_e32 v7, 0
	s_waitcnt lgkmcnt(0)
	s_barrier
	buffer_gl0_inv
	s_and_saveexec_b32 s18, s2
	s_cbranch_execz .LBB68_34
; %bb.33:                               ;   in Loop: Header=BB68_21 Depth=1
	ds_load_b32 v7, v12
.LBB68_34:                              ;   in Loop: Header=BB68_21 Depth=1
	s_or_b32 exec_lo, exec_lo, s18
	ds_load_b32 v17, v5 offset:1048
	s_mov_b32 s18, exec_lo
	s_waitcnt lgkmcnt(0)
	s_barrier
	buffer_gl0_inv
	v_cmpx_ne_u32_e32 0, v15
	s_cbranch_execz .LBB68_19
; %bb.35:                               ;   in Loop: Header=BB68_21 Depth=1
	v_add_nc_u32_e32 v7, v7, v2
	s_delay_alu instid0(VALU_DEP_1)
	v_cmp_gt_u32_e32 vcc_lo, s9, v7
	s_and_b32 exec_lo, exec_lo, vcc_lo
	s_cbranch_execz .LBB68_19
; %bb.36:                               ;   in Loop: Header=BB68_21 Depth=1
	v_mul_lo_u32 v18, v7, s11
	v_mov_b32_e32 v19, v5
	v_mul_lo_u32 v20, v7, s4
	v_mov_b32_e32 v21, v5
	v_mov_b32_e32 v7, v5
	s_delay_alu instid0(VALU_DEP_4) | instskip(NEXT) | instid1(VALU_DEP_3)
	v_lshlrev_b64 v[18:19], 3, v[18:19]
	v_lshlrev_b64 v[20:21], 3, v[20:21]
	s_delay_alu instid0(VALU_DEP_2) | instskip(NEXT) | instid1(VALU_DEP_3)
	v_add_co_u32 v18, vcc_lo, s14, v18
	v_add_co_ci_u32_e32 v19, vcc_lo, s15, v19, vcc_lo
	s_delay_alu instid0(VALU_DEP_3) | instskip(NEXT) | instid1(VALU_DEP_4)
	v_add_co_u32 v20, vcc_lo, s16, v20
	v_add_co_ci_u32_e32 v21, vcc_lo, s17, v21, vcc_lo
	global_store_b64 v[18:19], v[0:1], off
	global_store_b64 v[20:21], v[6:7], off
	s_branch .LBB68_19
	.p2align	6
.LBB68_37:                              ;   in Loop: Header=BB68_38 Depth=1
	s_add_u32 s12, s12, 4
	s_addc_u32 s13, s13, 0
	s_waitcnt lgkmcnt(0)
	s_add_i32 s33, s9, s33
	s_add_u32 s14, s14, 4
	s_addc_u32 s15, s15, 0
	s_add_i32 s8, s8, 1
	s_delay_alu instid0(SALU_CYCLE_1)
	s_cmp_lt_u32 s8, s6
	s_cbranch_scc0 .LBB68_16
.LBB68_38:                              ; =>This Inner Loop Header: Depth=1
	s_load_b32 s9, s[12:13], 0x0
	s_cmp_ge_u32 s8, s7
	s_cbranch_scc1 .LBB68_37
; %bb.39:                               ;   in Loop: Header=BB68_38 Depth=1
	s_load_b32 s10, s[14:15], 0x0
	s_waitcnt lgkmcnt(0)
	s_add_i32 s25, s9, s25
	s_add_i32 s31, s10, s31
	s_branch .LBB68_37
.LBB68_40:
	s_nop 0
	s_sendmsg sendmsg(MSG_DEALLOC_VGPRS)
	s_endpgm
	.section	.rodata,"a",@progbits
	.p2align	6, 0x0
	.amdhsa_kernel _ZN2at6native6mbtopk10gatherTopKIdjLi1EEEvNS_4cuda6detail10TensorInfoIKT_T0_EES8_S8_bjS8_NS5_IS6_S8_EES8_NS5_IlS8_EES8_jjPS6_PjSD_j
		.amdhsa_group_segment_fixed_size 1068
		.amdhsa_private_segment_fixed_size 0
		.amdhsa_kernarg_size 984
		.amdhsa_user_sgpr_count 13
		.amdhsa_user_sgpr_dispatch_ptr 0
		.amdhsa_user_sgpr_queue_ptr 0
		.amdhsa_user_sgpr_kernarg_segment_ptr 1
		.amdhsa_user_sgpr_dispatch_id 0
		.amdhsa_user_sgpr_private_segment_size 0
		.amdhsa_wavefront_size32 1
		.amdhsa_uses_dynamic_stack 0
		.amdhsa_enable_private_segment 0
		.amdhsa_system_sgpr_workgroup_id_x 1
		.amdhsa_system_sgpr_workgroup_id_y 1
		.amdhsa_system_sgpr_workgroup_id_z 1
		.amdhsa_system_sgpr_workgroup_info 0
		.amdhsa_system_vgpr_workitem_id 0
		.amdhsa_next_free_vgpr 25
		.amdhsa_next_free_sgpr 37
		.amdhsa_reserve_vcc 1
		.amdhsa_float_round_mode_32 0
		.amdhsa_float_round_mode_16_64 0
		.amdhsa_float_denorm_mode_32 3
		.amdhsa_float_denorm_mode_16_64 3
		.amdhsa_dx10_clamp 1
		.amdhsa_ieee_mode 1
		.amdhsa_fp16_overflow 0
		.amdhsa_workgroup_processor_mode 1
		.amdhsa_memory_ordered 1
		.amdhsa_forward_progress 0
		.amdhsa_shared_vgpr_count 0
		.amdhsa_exception_fp_ieee_invalid_op 0
		.amdhsa_exception_fp_denorm_src 0
		.amdhsa_exception_fp_ieee_div_zero 0
		.amdhsa_exception_fp_ieee_overflow 0
		.amdhsa_exception_fp_ieee_underflow 0
		.amdhsa_exception_fp_ieee_inexact 0
		.amdhsa_exception_int_div_zero 0
	.end_amdhsa_kernel
	.section	.text._ZN2at6native6mbtopk10gatherTopKIdjLi1EEEvNS_4cuda6detail10TensorInfoIKT_T0_EES8_S8_bjS8_NS5_IS6_S8_EES8_NS5_IlS8_EES8_jjPS6_PjSD_j,"axG",@progbits,_ZN2at6native6mbtopk10gatherTopKIdjLi1EEEvNS_4cuda6detail10TensorInfoIKT_T0_EES8_S8_bjS8_NS5_IS6_S8_EES8_NS5_IlS8_EES8_jjPS6_PjSD_j,comdat
.Lfunc_end68:
	.size	_ZN2at6native6mbtopk10gatherTopKIdjLi1EEEvNS_4cuda6detail10TensorInfoIKT_T0_EES8_S8_bjS8_NS5_IS6_S8_EES8_NS5_IlS8_EES8_jjPS6_PjSD_j, .Lfunc_end68-_ZN2at6native6mbtopk10gatherTopKIdjLi1EEEvNS_4cuda6detail10TensorInfoIKT_T0_EES8_S8_bjS8_NS5_IS6_S8_EES8_NS5_IlS8_EES8_jjPS6_PjSD_j
                                        ; -- End function
	.section	.AMDGPU.csdata,"",@progbits
; Kernel info:
; codeLenInByte = 2564
; NumSgprs: 39
; NumVgprs: 25
; ScratchSize: 0
; MemoryBound: 0
; FloatMode: 240
; IeeeMode: 1
; LDSByteSize: 1068 bytes/workgroup (compile time only)
; SGPRBlocks: 4
; VGPRBlocks: 3
; NumSGPRsForWavesPerEU: 39
; NumVGPRsForWavesPerEU: 25
; Occupancy: 16
; WaveLimiterHint : 1
; COMPUTE_PGM_RSRC2:SCRATCH_EN: 0
; COMPUTE_PGM_RSRC2:USER_SGPR: 13
; COMPUTE_PGM_RSRC2:TRAP_HANDLER: 0
; COMPUTE_PGM_RSRC2:TGID_X_EN: 1
; COMPUTE_PGM_RSRC2:TGID_Y_EN: 1
; COMPUTE_PGM_RSRC2:TGID_Z_EN: 1
; COMPUTE_PGM_RSRC2:TIDIG_COMP_CNT: 0
	.section	.text._ZN2at6native6sbtopk10gatherTopKIdjLi1ELb0EEEvNS_4cuda6detail10TensorInfoIKT_T0_EES8_S8_bS8_S8_NS5_IS6_S8_EES8_NS5_IlS8_EES8_PS6_,"axG",@progbits,_ZN2at6native6sbtopk10gatherTopKIdjLi1ELb0EEEvNS_4cuda6detail10TensorInfoIKT_T0_EES8_S8_bS8_S8_NS5_IS6_S8_EES8_NS5_IlS8_EES8_PS6_,comdat
	.protected	_ZN2at6native6sbtopk10gatherTopKIdjLi1ELb0EEEvNS_4cuda6detail10TensorInfoIKT_T0_EES8_S8_bS8_S8_NS5_IS6_S8_EES8_NS5_IlS8_EES8_PS6_ ; -- Begin function _ZN2at6native6sbtopk10gatherTopKIdjLi1ELb0EEEvNS_4cuda6detail10TensorInfoIKT_T0_EES8_S8_bS8_S8_NS5_IS6_S8_EES8_NS5_IlS8_EES8_PS6_
	.globl	_ZN2at6native6sbtopk10gatherTopKIdjLi1ELb0EEEvNS_4cuda6detail10TensorInfoIKT_T0_EES8_S8_bS8_S8_NS5_IS6_S8_EES8_NS5_IlS8_EES8_PS6_
	.p2align	8
	.type	_ZN2at6native6sbtopk10gatherTopKIdjLi1ELb0EEEvNS_4cuda6detail10TensorInfoIKT_T0_EES8_S8_bS8_S8_NS5_IS6_S8_EES8_NS5_IlS8_EES8_PS6_,@function
_ZN2at6native6sbtopk10gatherTopKIdjLi1ELb0EEEvNS_4cuda6detail10TensorInfoIKT_T0_EES8_S8_bS8_S8_NS5_IS6_S8_EES8_NS5_IlS8_EES8_PS6_: ; @_ZN2at6native6sbtopk10gatherTopKIdjLi1ELb0EEEvNS_4cuda6detail10TensorInfoIKT_T0_EES8_S8_bS8_S8_NS5_IS6_S8_EES8_NS5_IlS8_EES8_PS6_
; %bb.0:
	s_clause 0x1
	s_load_b64 s[4:5], s[0:1], 0x2b8
	s_load_b128 s[36:39], s[0:1], 0xd8
	s_add_u32 s6, s0, 0x2b8
	s_addc_u32 s7, s1, 0
	s_waitcnt lgkmcnt(0)
	s_mul_i32 s2, s5, s15
	s_delay_alu instid0(SALU_CYCLE_1) | instskip(NEXT) | instid1(SALU_CYCLE_1)
	s_add_i32 s2, s2, s14
	s_mul_i32 s45, s2, s4
	s_delay_alu instid0(SALU_CYCLE_1) | instskip(NEXT) | instid1(SALU_CYCLE_1)
	s_add_i32 s45, s45, s13
	s_cmp_ge_u32 s45, s39
	s_cbranch_scc1 .LBB69_470
; %bb.1:
	s_clause 0x4
	s_load_b64 s[34:35], s[0:1], 0x1d0
	s_load_b64 s[40:41], s[0:1], 0xf0
	s_load_b32 s30, s[0:1], 0xe8
	s_load_b32 s8, s[0:1], 0x6c
	s_load_b64 s[2:3], s[0:1], 0x0
	v_cmp_eq_u32_e64 s5, 0, v0
	s_mov_b32 s43, 0
	s_delay_alu instid0(VALU_DEP_1)
	s_and_saveexec_b32 s9, s5
	s_cbranch_execz .LBB69_3
; %bb.2:
	v_dual_mov_b32 v1, 0 :: v_dual_mov_b32 v2, s36
	s_delay_alu instid0(VALU_DEP_1)
	v_mov_b32_e32 v3, v1
	ds_store_b96 v1, v[1:3] offset:4096
.LBB69_3:
	s_or_b32 exec_lo, exec_lo, s9
	s_waitcnt lgkmcnt(0)
	s_barrier
	buffer_gl0_inv
	s_load_b32 s10, s[6:7], 0xc
	s_mul_i32 s42, s8, s45
	v_mbcnt_lo_u32_b32 v28, -1, 0
	s_lshl_b64 s[8:9], s[42:43], 3
	v_cmp_gt_u32_e32 vcc_lo, 32, v0
	s_add_u32 s31, s2, s8
	s_addc_u32 s33, s3, s9
	s_bitcmp1_b32 s38, 0
	v_cmp_gt_i32_e64 s2, 4, v28
	s_cselect_b32 s3, -1, 0
	v_mul_lo_u32 v13, v0, s30
	s_xor_b32 s48, s3, -1
	v_mov_b32_e32 v21, 0
	s_and_b32 s49, vcc_lo, s2
	s_clause 0x1
	s_load_b32 s46, s[0:1], 0x23c
	s_load_b32 s47, s[0:1], 0x15c
	v_dual_mov_b32 v5, 0 :: v_dual_lshlrev_b32 v38, 5, v0
	v_lshl_or_b32 v39, v28, 2, 0xc00
	v_lshlrev_b32_e32 v36, 2, v13
	v_mov_b32_e32 v40, s37
	s_waitcnt lgkmcnt(0)
	s_and_b32 s42, s10, 0xffff
	s_bfe_u32 s2, s10, 0xb0005
	s_lshl_b32 s50, s42, 2
	s_cmpk_gt_u32 s36, 0x180
	v_cvt_f32_u32_e32 v1, s50
	s_cselect_b32 s51, -1, 0
	s_cmp_gt_u32 s42, 31
	v_cvt_f32_u32_e32 v2, s42
	s_cselect_b32 s52, -1, 0
	v_rcp_iflag_f32_e32 v1, v1
	s_add_i32 s53, s42, -1
	s_mul_i32 s44, s30, s42
	s_add_i32 s9, s53, s36
	s_cmp_lt_u32 s13, s4
	v_rcp_iflag_f32_e32 v2, v2
	s_cselect_b32 s8, 12, 18
	v_lshlrev_b32_e32 v30, 3, v0
	s_add_u32 s38, s6, s8
	s_addc_u32 s39, s7, 0
	s_waitcnt_depctr 0xfff
	v_mul_f32_e32 v1, 0x4f7ffffe, v1
	s_add_i32 s6, s2, -1
	s_bfe_u32 s54, s42, 0x30005
	s_cmp_gt_u32 s6, 6
	v_dual_mul_f32 v2, 0x4f7ffffe, v2 :: v_dual_lshlrev_b32 v29, 2, v0
	v_cvt_u32_f32_e32 v1, v1
	s_cselect_b32 s55, -1, 0
	s_and_b32 s56, s2, 0x7f8
	s_cmp_lg_u32 s54, 0
	v_dual_mov_b32 v15, 0 :: v_dual_add_nc_u32 v32, 0xc00, v30
	v_readfirstlane_b32 s2, v1
	s_cselect_b32 s57, -1, 0
	s_sub_i32 s6, 0, s50
	v_cvt_u32_f32_e32 v2, v2
	v_lshrrev_b32_e32 v1, 3, v0
	s_mul_i32 s6, s6, s2
	v_mov_b32_e32 v14, v15
	s_mul_hi_u32 s7, s2, s6
	v_mad_u64_u32 v[18:19], null, s30, v29, s[30:31]
	v_and_b32_e32 v31, 0x7c, v1
	s_add_i32 s58, s2, s7
	v_cmp_gt_u32_e64 s4, s36, v0
	s_mul_hi_u32 s2, s36, s58
	v_cmp_gt_u32_e64 s6, 2, v0
	s_mul_i32 s7, s2, s50
	v_cmp_eq_u32_e64 s2, 0, v28
	s_sub_i32 s7, s36, s7
	s_mov_b32 s71, 62
	s_sub_i32 s8, s7, s50
	s_cmp_ge_u32 s7, s50
	s_mov_b32 s66, 0
	s_cselect_b32 s7, s8, s7
	v_readfirstlane_b32 s8, v2
	s_sub_i32 s10, s7, s50
	s_cmp_ge_u32 s7, s50
	v_lshlrev_b64 v[1:2], v28, -1
	s_cselect_b32 s10, s10, s7
	v_lshlrev_b64 v[2:3], 3, v[13:14]
	s_sub_i32 s59, s36, s10
	s_delay_alu instid0(SALU_CYCLE_1)
	v_dual_mov_b32 v22, 0 :: v_dual_add_nc_u32 v33, s59, v0
	s_sub_i32 s7, 0, s42
	v_not_b32_e32 v27, v1
	s_mul_i32 s7, s7, s8
	v_add_co_u32 v11, vcc_lo, s31, v2
	v_mul_lo_u32 v14, v33, s30
	s_mul_hi_u32 s7, s8, s7
	v_add_co_ci_u32_e32 v12, vcc_lo, s33, v3, vcc_lo
	s_add_i32 s60, s8, s7
	v_or_b32_e32 v3, 3, v29
	s_mul_hi_u32 s7, s9, s60
	v_dual_mov_b32 v6, 0 :: v_dual_mov_b32 v19, v21
	s_delay_alu instid0(VALU_DEP_4)
	v_lshlrev_b64 v[1:2], 3, v[14:15]
	s_mul_i32 s7, s7, s42
	v_mul_lo_u32 v35, s30, v3
	s_sub_i32 s7, s9, s7
	v_mov_b32_e32 v20, v22
	s_sub_i32 s8, s7, s42
	v_add_co_u32 v16, vcc_lo, s31, v1
	v_add3_u32 v1, s42, s36, v0
	s_cmp_ge_u32 s7, s42
	v_add_co_ci_u32_e32 v17, vcc_lo, s33, v2, vcc_lo
	s_cselect_b32 s8, s8, s7
	v_or_b32_e32 v2, 2, v29
	v_subrev_nc_u32_e32 v1, s10, v1
	s_sub_i32 s11, s8, s42
	s_cmp_ge_u32 s8, s42
	v_cmp_gt_u32_e64 s7, s59, v29
	s_cselect_b32 s11, s11, s8
	v_mul_lo_u32 v34, s30, v2
	v_mul_lo_u32 v37, s30, v1
	s_sub_i32 s61, s9, s11
	v_cmp_gt_u32_e64 s8, s36, v33
	v_cmp_gt_u32_e64 s9, s61, v0
	v_mov_b32_e32 v2, 0x3ff00000
	s_lshl_b32 s62, s44, 2
	s_lshl_b32 s63, s42, 5
	;; [unrolled: 1-line block ×3, first 2 shown]
                                        ; implicit-def: $sgpr65
                                        ; implicit-def: $sgpr69
                                        ; implicit-def: $sgpr68
                                        ; implicit-def: $sgpr70
                                        ; implicit-def: $sgpr67
                                        ; implicit-def: $sgpr72
                                        ; implicit-def: $sgpr74
                                        ; implicit-def: $sgpr73
                                        ; implicit-def: $sgpr75
                                        ; implicit-def: $sgpr76
	s_branch .LBB69_6
.LBB69_4:                               ;   in Loop: Header=BB69_6 Depth=1
	s_or_b32 exec_lo, exec_lo, s13
	v_dual_mov_b32 v19, v25 :: v_dual_mov_b32 v20, v26
	v_dual_mov_b32 v21, v23 :: v_dual_mov_b32 v22, v24
	v_mov_b32_e32 v40, v41
	v_dual_mov_b32 v5, v9 :: v_dual_mov_b32 v6, v10
	s_and_not1_b32 s13, s76, exec_lo
	s_and_b32 s12, s12, exec_lo
	s_and_not1_b32 s75, s75, exec_lo
	s_or_b32 s76, s13, s12
	s_and_not1_b32 s73, s73, exec_lo
	s_and_not1_b32 s74, s74, exec_lo
	;; [unrolled: 1-line block ×3, first 2 shown]
	s_or_not1_b32 s12, s11, exec_lo
.LBB69_5:                               ;   in Loop: Header=BB69_6 Depth=1
	s_or_b32 exec_lo, exec_lo, s10
	s_delay_alu instid0(SALU_CYCLE_1) | instskip(NEXT) | instid1(SALU_CYCLE_1)
	s_and_b32 s10, exec_lo, s12
	s_or_b32 s43, s10, s43
	s_and_not1_b32 s10, s67, exec_lo
	s_and_b32 s11, s76, exec_lo
	s_and_not1_b32 s12, s70, exec_lo
	s_or_b32 s67, s10, s11
	s_and_b32 s10, s75, exec_lo
	s_and_not1_b32 s11, s68, exec_lo
	s_and_b32 s13, s73, exec_lo
	s_or_b32 s70, s12, s10
	s_or_b32 s68, s11, s13
	s_and_not1_b32 s10, s69, exec_lo
	s_and_b32 s11, s74, exec_lo
	s_and_not1_b32 s12, s65, exec_lo
	s_and_b32 s13, s72, exec_lo
	s_or_b32 s69, s10, s11
	s_or_b32 s65, s12, s13
	s_and_not1_b32 exec_lo, exec_lo, s43
	s_cbranch_execz .LBB69_406
.LBB69_6:                               ; =>This Loop Header: Depth=1
                                        ;     Child Loop BB69_14 Depth 2
                                        ;     Child Loop BB69_29 Depth 2
	;; [unrolled: 1-line block ×24, first 2 shown]
	ds_load_b64 v[3:4], v15 offset:4096
	s_waitcnt lgkmcnt(0)
	v_readfirstlane_b32 s77, v3
	s_delay_alu instid0(VALU_DEP_1)
	s_cmp_lg_u32 s77, 0
	s_cbranch_scc1 .LBB69_36
; %bb.7:                                ;   in Loop: Header=BB69_6 Depth=1
	s_and_b32 vcc_lo, exec_lo, s51
	s_cbranch_vccz .LBB69_22
; %bb.8:                                ;   in Loop: Header=BB69_6 Depth=1
	v_cmp_gt_u32_e32 vcc_lo, 0x181, v4
	s_mov_b32 s77, 0
	s_mov_b32 s10, 0
	s_cbranch_vccz .LBB69_23
; %bb.9:                                ;   in Loop: Header=BB69_6 Depth=1
	v_mov_b32_e32 v3, 0
	v_mov_b32_e32 v4, 0
	s_and_saveexec_b32 s10, s4
	s_cbranch_execz .LBB69_11
; %bb.10:                               ;   in Loop: Header=BB69_6 Depth=1
	global_load_b64 v[3:4], v[11:12], off
.LBB69_11:                              ;   in Loop: Header=BB69_6 Depth=1
	s_or_b32 exec_lo, exec_lo, s10
	s_and_saveexec_b32 s12, s4
	s_cbranch_execz .LBB69_87
; %bb.12:                               ;   in Loop: Header=BB69_6 Depth=1
	global_load_u16 v1, v15, s[38:39]
	v_mov_b32_e32 v10, v0
	s_mov_b32 s13, 0
	s_waitcnt vmcnt(0)
	v_add_nc_u32_e32 v7, v0, v1
	v_mul_lo_u32 v9, s30, v1
	s_delay_alu instid0(VALU_DEP_2)
	v_mul_lo_u32 v14, s30, v7
	s_branch .LBB69_14
.LBB69_13:                              ;   in Loop: Header=BB69_14 Depth=2
	s_or_b32 exec_lo, exec_lo, s11
	s_waitcnt vmcnt(0)
	v_dual_mov_b32 v3, v7 :: v_dual_add_nc_u32 v14, v14, v9
	v_mov_b32_e32 v4, v8
	s_and_not1_b32 exec_lo, exec_lo, s13
	s_cbranch_execz .LBB69_87
.LBB69_14:                              ;   Parent Loop BB69_6 Depth=1
                                        ; =>  This Inner Loop Header: Depth=2
	v_dual_mov_b32 v7, 0 :: v_dual_add_nc_u32 v10, v10, v1
	v_mov_b32_e32 v8, 0
	s_mov_b32 s11, exec_lo
	s_delay_alu instid0(VALU_DEP_2)
	v_cmp_le_u32_e32 vcc_lo, s36, v10
	v_cmpx_gt_u32_e64 s36, v10
	s_cbranch_execz .LBB69_16
; %bb.15:                               ;   in Loop: Header=BB69_14 Depth=2
	v_lshlrev_b64 v[7:8], 3, v[14:15]
	s_delay_alu instid0(VALU_DEP_1) | instskip(NEXT) | instid1(VALU_DEP_1)
	v_add_co_u32 v7, s10, s31, v7
	v_add_co_ci_u32_e64 v8, s10, s33, v8, s10
	global_load_b64 v[7:8], v[7:8], off
.LBB69_16:                              ;   in Loop: Header=BB69_14 Depth=2
	s_or_b32 exec_lo, exec_lo, s11
	v_cmp_o_f64_e64 s10, v[3:4], v[3:4]
	s_waitcnt lgkmcnt(0)
	v_ashrrev_i32_e32 v23, 31, v4
	s_delay_alu instid0(VALU_DEP_1) | instskip(SKIP_1) | instid1(VALU_DEP_2)
	v_or_b32_e32 v24, 0x80000000, v23
	v_xor_b32_e32 v23, v23, v3
	v_xor_b32_e32 v24, v24, v4
	s_delay_alu instid0(VALU_DEP_1) | instskip(NEXT) | instid1(VALU_DEP_3)
	v_cndmask_b32_e64 v24, -1, v24, s10
	v_cndmask_b32_e64 v23, -1, v23, s10
	s_delay_alu instid0(VALU_DEP_2) | instskip(NEXT) | instid1(VALU_DEP_2)
	v_and_b32_e32 v24, v24, v20
	v_and_b32_e32 v23, v23, v19
	s_delay_alu instid0(VALU_DEP_1) | instskip(SKIP_1) | instid1(VALU_DEP_2)
	v_cmp_eq_u64_e64 s10, v[23:24], v[21:22]
	v_mov_b32_e32 v23, 0
	s_cmp_lg_u32 s10, 0
	s_cselect_b32 s11, -1, 0
	s_delay_alu instid0(SALU_CYCLE_1) | instskip(NEXT) | instid1(SALU_CYCLE_1)
	s_and_b32 s11, s2, s11
	s_and_saveexec_b32 s14, s11
	s_cbranch_execz .LBB69_20
; %bb.17:                               ;   in Loop: Header=BB69_14 Depth=2
	s_mov_b32 s17, exec_lo
	s_bcnt1_i32_b32 s15, s10
	v_mbcnt_lo_u32_b32 v23, s17, 0
	s_mov_b32 s16, exec_lo
                                        ; implicit-def: $vgpr24
	s_delay_alu instid0(VALU_DEP_1)
	v_cmpx_eq_u32_e32 0, v23
	s_cbranch_execz .LBB69_19
; %bb.18:                               ;   in Loop: Header=BB69_14 Depth=2
	s_bcnt1_i32_b32 s11, s17
	s_delay_alu instid0(SALU_CYCLE_1) | instskip(NEXT) | instid1(SALU_CYCLE_1)
	s_mul_i32 s11, s15, s11
	v_mov_b32_e32 v24, s11
	ds_add_rtn_u32 v24, v15, v24 offset:4104
.LBB69_19:                              ;   in Loop: Header=BB69_14 Depth=2
	s_or_b32 exec_lo, exec_lo, s16
	s_waitcnt lgkmcnt(0)
	v_readfirstlane_b32 s11, v24
	s_delay_alu instid0(VALU_DEP_1)
	v_mad_u32_u24 v23, s15, v23, s11
.LBB69_20:                              ;   in Loop: Header=BB69_14 Depth=2
	s_or_b32 exec_lo, exec_lo, s14
	ds_bpermute_b32 v23, v15, v23
	s_and_b32 s11, exec_lo, vcc_lo
	s_delay_alu instid0(SALU_CYCLE_1)
	s_or_b32 s13, s11, s13
	s_and_saveexec_b32 s11, s10
	s_cbranch_execz .LBB69_13
; %bb.21:                               ;   in Loop: Header=BB69_14 Depth=2
	v_and_b32_e32 v24, s10, v27
	s_delay_alu instid0(VALU_DEP_1) | instskip(NEXT) | instid1(VALU_DEP_1)
	v_bcnt_u32_b32 v24, v24, 0
	v_lshlrev_b32_e32 v24, 3, v24
	s_waitcnt lgkmcnt(0)
	s_delay_alu instid0(VALU_DEP_1)
	v_lshl_add_u32 v23, v23, 3, v24
	ds_store_b64 v23, v[3:4]
	s_branch .LBB69_13
.LBB69_22:                              ;   in Loop: Header=BB69_6 Depth=1
	s_mov_b32 s77, -1
	s_mov_b32 s10, 0
.LBB69_23:                              ;   in Loop: Header=BB69_6 Depth=1
	s_and_b32 vcc_lo, exec_lo, s77
	s_cbranch_vccz .LBB69_34
.LBB69_24:                              ;   in Loop: Header=BB69_6 Depth=1
	v_mov_b32_e32 v3, 0
	v_mov_b32_e32 v4, 0
	s_and_saveexec_b32 s10, s4
	s_cbranch_execz .LBB69_26
; %bb.25:                               ;   in Loop: Header=BB69_6 Depth=1
	global_load_b64 v[3:4], v[11:12], off
.LBB69_26:                              ;   in Loop: Header=BB69_6 Depth=1
	s_or_b32 exec_lo, exec_lo, s10
	s_and_saveexec_b32 s11, s4
	s_cbranch_execz .LBB69_31
; %bb.27:                               ;   in Loop: Header=BB69_6 Depth=1
	global_load_u16 v1, v15, s[38:39]
	v_mov_b32_e32 v24, v0
	s_mov_b32 s12, 0
	v_mov_b32_e32 v23, v30
	s_waitcnt vmcnt(0)
	v_add_nc_u32_e32 v7, v0, v1
	v_mul_lo_u32 v9, s30, v1
	v_lshlrev_b32_e32 v10, 3, v1
	s_delay_alu instid0(VALU_DEP_3)
	v_mul_lo_u32 v14, s30, v7
	s_set_inst_prefetch_distance 0x1
	s_branch .LBB69_29
	.p2align	6
.LBB69_28:                              ;   in Loop: Header=BB69_29 Depth=2
	s_or_b32 exec_lo, exec_lo, s13
	ds_store_b64 v23, v[3:4]
	s_waitcnt vmcnt(0)
	v_dual_mov_b32 v3, v7 :: v_dual_add_nc_u32 v14, v14, v9
	v_dual_mov_b32 v4, v8 :: v_dual_add_nc_u32 v23, v23, v10
	s_and_b32 s10, exec_lo, vcc_lo
	s_delay_alu instid0(SALU_CYCLE_1) | instskip(NEXT) | instid1(SALU_CYCLE_1)
	s_or_b32 s12, s10, s12
	s_and_not1_b32 exec_lo, exec_lo, s12
	s_cbranch_execz .LBB69_31
.LBB69_29:                              ;   Parent Loop BB69_6 Depth=1
                                        ; =>  This Inner Loop Header: Depth=2
	v_dual_mov_b32 v7, 0 :: v_dual_add_nc_u32 v24, v24, v1
	v_mov_b32_e32 v8, 0
	s_mov_b32 s13, exec_lo
	s_delay_alu instid0(VALU_DEP_2)
	v_cmp_le_u32_e32 vcc_lo, s36, v24
	v_cmpx_gt_u32_e64 s36, v24
	s_cbranch_execz .LBB69_28
; %bb.30:                               ;   in Loop: Header=BB69_29 Depth=2
	v_lshlrev_b64 v[7:8], 3, v[14:15]
	s_delay_alu instid0(VALU_DEP_1) | instskip(NEXT) | instid1(VALU_DEP_1)
	v_add_co_u32 v7, s10, s31, v7
	v_add_co_ci_u32_e64 v8, s10, s33, v8, s10
	global_load_b64 v[7:8], v[7:8], off
	s_branch .LBB69_28
.LBB69_31:                              ;   in Loop: Header=BB69_6 Depth=1
	s_set_inst_prefetch_distance 0x2
	s_or_b32 exec_lo, exec_lo, s11
	s_waitcnt vmcnt(0) lgkmcnt(0)
	s_barrier
	buffer_gl0_inv
	s_and_saveexec_b32 s10, s5
	s_cbranch_execz .LBB69_33
; %bb.32:                               ;   in Loop: Header=BB69_6 Depth=1
	v_mov_b32_e32 v1, s36
	ds_store_b32 v15, v1 offset:4096
.LBB69_33:                              ;   in Loop: Header=BB69_6 Depth=1
	s_or_b32 exec_lo, exec_lo, s10
	s_mov_b32 s10, -1
	s_waitcnt lgkmcnt(0)
	s_barrier
                                        ; implicit-def: $sgpr77
.LBB69_34:                              ;   in Loop: Header=BB69_6 Depth=1
	s_and_b32 vcc_lo, exec_lo, s10
	s_cbranch_vccz .LBB69_36
; %bb.35:                               ;   in Loop: Header=BB69_6 Depth=1
	buffer_gl0_inv
	ds_load_b32 v1, v15 offset:4096
	s_waitcnt lgkmcnt(0)
	v_readfirstlane_b32 s77, v1
.LBB69_36:                              ;   in Loop: Header=BB69_6 Depth=1
	s_delay_alu instid0(VALU_DEP_1)
	s_cmp_lt_i32 s77, 1
	s_cbranch_scc0 .LBB69_48
; %bb.37:                               ;   in Loop: Header=BB69_6 Depth=1
	v_dual_mov_b32 v7, 0 :: v_dual_mov_b32 v8, 0
	v_dual_mov_b32 v9, 0 :: v_dual_mov_b32 v10, 0
	s_mov_b32 s25, 0
	s_and_saveexec_b32 s24, s7
	s_cbranch_execz .LBB69_41
; %bb.38:                               ;   in Loop: Header=BB69_6 Depth=1
	v_mov_b32_e32 v1, v29
	s_and_b32 s26, s71, 0xfe
	s_mov_b32 s27, 0
	s_mov_b32 s28, 0
	;; [unrolled: 1-line block ×5, first 2 shown]
.LBB69_39:                              ;   Parent Loop BB69_6 Depth=1
                                        ; =>  This Inner Loop Header: Depth=2
	v_dual_mov_b32 v25, v15 :: v_dual_add_nc_u32 v14, s27, v36
	v_dual_mov_b32 v42, v15 :: v_dual_add_nc_u32 v1, s50, v1
	s_delay_alu instid0(VALU_DEP_2) | instskip(SKIP_1) | instid1(VALU_DEP_1)
	v_lshlrev_b64 v[3:4], 3, v[14:15]
	v_add_nc_u32_e32 v14, s27, v18
	v_lshlrev_b64 v[7:8], 3, v[14:15]
	v_add_nc_u32_e32 v14, s27, v34
	s_delay_alu instid0(VALU_DEP_4) | instskip(SKIP_1) | instid1(VALU_DEP_3)
	v_add_co_u32 v3, vcc_lo, s31, v3
	v_add_co_ci_u32_e32 v4, vcc_lo, s33, v4, vcc_lo
	v_lshlrev_b64 v[9:10], 3, v[14:15]
	v_add_nc_u32_e32 v14, s27, v35
	v_add_co_u32 v7, vcc_lo, s31, v7
	global_load_b64 v[3:4], v[3:4], off
	v_add_co_ci_u32_e32 v8, vcc_lo, s33, v8, vcc_lo
	v_lshlrev_b64 v[23:24], 3, v[14:15]
	v_add_co_u32 v9, vcc_lo, s31, v9
	v_add_co_ci_u32_e32 v10, vcc_lo, s33, v10, vcc_lo
	s_clause 0x1
	global_load_b64 v[7:8], v[7:8], off
	global_load_b64 v[9:10], v[9:10], off
	v_add_co_u32 v23, vcc_lo, s31, v23
	v_add_co_ci_u32_e32 v24, vcc_lo, s33, v24, vcc_lo
	v_cmp_le_u32_e32 vcc_lo, s59, v1
	s_add_i32 s27, s27, s62
	global_load_b64 v[23:24], v[23:24], off
	s_waitcnt vmcnt(3)
	v_cmp_o_f64_e64 s10, v[3:4], v[3:4]
	v_ashrrev_i32_e32 v14, 31, v4
	s_delay_alu instid0(VALU_DEP_1)
	v_or_b32_e32 v41, 0x80000000, v14
	v_xor_b32_e32 v14, v14, v3
	s_waitcnt vmcnt(2)
	v_cmp_o_f64_e64 s11, v[7:8], v[7:8]
	s_waitcnt vmcnt(1)
	v_cmp_o_f64_e64 s12, v[9:10], v[9:10]
	v_xor_b32_e32 v41, v41, v4
	v_ashrrev_i32_e32 v44, 31, v10
	v_ashrrev_i32_e32 v43, 31, v8
	s_delay_alu instid0(VALU_DEP_2) | instskip(SKIP_2) | instid1(VALU_DEP_3)
	v_or_b32_e32 v3, 0x80000000, v44
	s_waitcnt vmcnt(0)
	v_cmp_o_f64_e64 s13, v[23:24], v[23:24]
	v_or_b32_e32 v45, 0x80000000, v43
	v_xor_b32_e32 v43, v43, v7
	v_xor_b32_e32 v47, v44, v9
	;; [unrolled: 1-line block ×3, first 2 shown]
	s_delay_alu instid0(VALU_DEP_4) | instskip(SKIP_2) | instid1(VALU_DEP_2)
	v_xor_b32_e32 v45, v45, v8
	v_cndmask_b32_e64 v4, -1, v41, s10
	v_ashrrev_i32_e32 v41, 31, v24
	v_and_b32_e32 v10, v4, v20
	s_delay_alu instid0(VALU_DEP_2) | instskip(SKIP_3) | instid1(VALU_DEP_4)
	v_or_b32_e32 v7, 0x80000000, v41
	v_xor_b32_e32 v41, v41, v23
	v_cndmask_b32_e64 v8, -1, v45, s11
	v_cndmask_b32_e64 v23, -1, v47, s12
	v_xor_b32_e32 v7, v7, v24
	v_cndmask_b32_e64 v24, -1, v3, s12
	v_cndmask_b32_e64 v3, -1, v14, s10
	v_and_b32_e32 v44, v8, v20
	v_and_b32_e32 v47, v23, v19
	s_delay_alu instid0(VALU_DEP_4) | instskip(NEXT) | instid1(VALU_DEP_4)
	v_and_b32_e32 v48, v24, v20
	v_and_b32_e32 v9, v3, v19
	v_lshrrev_b64 v[3:4], s26, v[3:4]
	v_cndmask_b32_e64 v46, -1, v7, s13
	v_cndmask_b32_e64 v7, -1, v43, s11
	;; [unrolled: 1-line block ×3, first 2 shown]
	v_cmp_eq_u64_e64 s10, v[9:10], v[21:22]
	v_cmp_eq_u64_e64 s16, v[47:48], v[21:22]
	v_and_b32_e32 v14, 3, v3
	v_and_b32_e32 v43, v7, v19
	v_lshrrev_b64 v[7:8], s26, v[7:8]
	v_lshrrev_b64 v[3:4], s26, v[23:24]
	v_dual_mov_b32 v26, v15 :: v_dual_and_b32 v49, v46, v20
	v_cmp_eq_u64_e64 s12, 0, v[14:15]
	v_cmp_eq_u64_e64 s13, 1, v[14:15]
	v_and_b32_e32 v24, 3, v7
	v_cmp_eq_u64_e64 s14, 2, v[14:15]
	v_cmp_eq_u64_e64 s15, 3, v[14:15]
	v_cmp_eq_u64_e64 s11, v[43:44], v[21:22]
	s_and_b32 s12, s10, s12
	v_and_b32_e32 v41, 3, v3
	v_cmp_eq_u64_e64 s17, 0, v[24:25]
	v_cmp_eq_u64_e64 s18, 1, v[24:25]
	;; [unrolled: 1-line block ×3, first 2 shown]
	v_lshrrev_b64 v[7:8], s26, v[45:46]
	v_cndmask_b32_e64 v3, 0, 1, s12
	s_and_b32 s12, s10, s13
	v_cmp_eq_u64_e64 s20, 3, v[24:25]
	v_cndmask_b32_e64 v4, 0, 1, s12
	s_and_b32 s12, s10, s14
	s_and_b32 s10, s10, s15
	v_cndmask_b32_e64 v8, 0, 1, s12
	v_cmp_eq_u64_e64 s12, 0, v[41:42]
	v_cmp_eq_u64_e64 s13, 1, v[41:42]
	v_cndmask_b32_e64 v9, 0, 1, s10
	s_and_b32 s17, s11, s17
	s_and_b32 s18, s11, s18
	;; [unrolled: 1-line block ×3, first 2 shown]
	v_and_b32_e32 v48, v45, v19
	v_and_b32_e32 v25, 3, v7
	v_cmp_eq_u64_e64 s14, 2, v[41:42]
	v_cmp_eq_u64_e64 s15, 3, v[41:42]
	v_cmp_ne_u32_e64 s21, 0, v3
	v_cndmask_b32_e64 v3, 0, 1, s17
	v_cmp_ne_u32_e64 s17, 0, v4
	v_cndmask_b32_e64 v4, 0, 1, s18
	v_cndmask_b32_e64 v7, 0, 1, s19
	s_and_b32 s11, s11, s20
	v_cmp_ne_u32_e64 s18, 0, v8
	v_cndmask_b32_e64 v8, 0, 1, s11
	v_cmp_ne_u32_e64 s19, 0, v9
	s_and_b32 s12, s16, s12
	s_and_b32 s13, s16, s13
	v_cmp_eq_u64_e64 s10, v[48:49], v[21:22]
	v_cmp_eq_u64_e64 s11, 0, v[25:26]
	;; [unrolled: 1-line block ×5, first 2 shown]
	s_bcnt1_i32_b32 s80, s21
	v_cmp_ne_u32_e64 s21, 0, v3
	v_cndmask_b32_e64 v3, 0, 1, s12
	v_cmp_ne_u32_e64 s12, 0, v4
	v_cndmask_b32_e64 v4, 0, 1, s13
	v_cmp_ne_u32_e64 s13, 0, v7
	s_and_b32 s14, s16, s14
	s_and_b32 s15, s16, s15
	v_cndmask_b32_e64 v7, 0, 1, s14
	v_cmp_ne_u32_e64 s14, 0, v8
	v_cndmask_b32_e64 v8, 0, 1, s15
	s_bcnt1_i32_b32 s19, s19
	s_and_b32 s11, s10, s11
	s_add_i32 s19, s19, s28
	s_bcnt1_i32_b32 s28, s12
	s_and_b32 s12, s10, s20
	s_bcnt1_i32_b32 s20, s13
	s_and_b32 s13, s10, s22
	s_and_b32 s10, s10, s23
	v_cmp_ne_u32_e64 s15, 0, v3
	v_cndmask_b32_e64 v3, 0, 1, s11
	v_cmp_ne_u32_e64 s11, 0, v4
	v_cndmask_b32_e64 v4, 0, 1, s12
	;; [unrolled: 2-line block ×4, first 2 shown]
	s_bcnt1_i32_b32 s18, s18
	s_add_i32 s16, s80, s79
	s_add_i32 s18, s18, s29
	s_bcnt1_i32_b32 s21, s21
	s_bcnt1_i32_b32 s14, s14
	s_bcnt1_i32_b32 s17, s17
	s_add_i32 s16, s16, s21
	s_add_i32 s18, s18, s20
	;; [unrolled: 1-line block ×3, first 2 shown]
	v_cmp_ne_u32_e64 s10, 0, v3
	s_bcnt1_i32_b32 s19, s11
	v_cmp_ne_u32_e64 s11, 0, v4
	s_bcnt1_i32_b32 s20, s12
	;; [unrolled: 2-line block ×3, first 2 shown]
	v_cmp_ne_u32_e64 s13, 0, v8
	s_add_i32 s17, s17, s78
	s_bcnt1_i32_b32 s15, s15
	s_add_i32 s17, s17, s28
	s_add_i32 s15, s16, s15
	;; [unrolled: 1-line block ×5, first 2 shown]
	s_bcnt1_i32_b32 s10, s10
	s_bcnt1_i32_b32 s11, s11
	;; [unrolled: 1-line block ×4, first 2 shown]
	s_add_i32 s79, s15, s10
	s_add_i32 s78, s16, s11
	;; [unrolled: 1-line block ×4, first 2 shown]
	v_dual_mov_b32 v7, s79 :: v_dual_mov_b32 v8, s78
	v_dual_mov_b32 v9, s29 :: v_dual_mov_b32 v10, s28
	s_or_b32 s25, vcc_lo, s25
	s_delay_alu instid0(SALU_CYCLE_1)
	s_and_not1_b32 exec_lo, exec_lo, s25
	s_cbranch_execnz .LBB69_39
; %bb.40:                               ;   in Loop: Header=BB69_6 Depth=1
	s_or_b32 exec_lo, exec_lo, s25
.LBB69_41:                              ;   in Loop: Header=BB69_6 Depth=1
	s_delay_alu instid0(SALU_CYCLE_1)
	s_or_b32 exec_lo, exec_lo, s24
	v_mov_b32_e32 v25, 0
	v_mov_b32_e32 v26, 0
	s_and_saveexec_b32 s10, s8
	s_cbranch_execz .LBB69_43
; %bb.42:                               ;   in Loop: Header=BB69_6 Depth=1
	global_load_b64 v[25:26], v[16:17], off
.LBB69_43:                              ;   in Loop: Header=BB69_6 Depth=1
	s_or_b32 exec_lo, exec_lo, s10
	s_and_saveexec_b32 s14, s8
	s_cbranch_execz .LBB69_50
; %bb.44:                               ;   in Loop: Header=BB69_6 Depth=1
	v_mov_b32_e32 v3, v37
	v_mov_b32_e32 v1, v33
	s_and_b32 s16, s71, 0xfe
	s_mov_b32 s15, 0
	s_branch .LBB69_46
.LBB69_45:                              ;   in Loop: Header=BB69_46 Depth=2
	s_or_b32 exec_lo, exec_lo, s11
	s_waitcnt vmcnt(0)
	v_cmp_o_f64_e64 s10, v[25:26], v[25:26]
	v_ashrrev_i32_e32 v4, 31, v26
	s_and_b32 s12, exec_lo, vcc_lo
	v_add_nc_u32_e32 v3, s44, v3
	s_or_b32 s15, s12, s15
	s_delay_alu instid0(VALU_DEP_2) | instskip(SKIP_1) | instid1(VALU_DEP_2)
	v_or_b32_e32 v14, 0x80000000, v4
	v_xor_b32_e32 v4, v4, v25
	v_xor_b32_e32 v14, v14, v26
	s_delay_alu instid0(VALU_DEP_1) | instskip(NEXT) | instid1(VALU_DEP_3)
	v_cndmask_b32_e64 v26, -1, v14, s10
	v_cndmask_b32_e64 v25, -1, v4, s10
	s_delay_alu instid0(VALU_DEP_1) | instskip(SKIP_2) | instid1(VALU_DEP_3)
	v_lshrrev_b64 v[41:42], s16, v[25:26]
	v_and_b32_e32 v26, v26, v20
	v_and_b32_e32 v25, v25, v19
	;; [unrolled: 1-line block ×3, first 2 shown]
	s_delay_alu instid0(VALU_DEP_2) | instskip(NEXT) | instid1(VALU_DEP_2)
	v_cmp_eq_u64_e64 s10, v[25:26], v[21:22]
	v_cmp_eq_u64_e64 s11, 0, v[14:15]
	v_cmp_eq_u64_e32 vcc_lo, 1, v[14:15]
	v_cmp_eq_u64_e64 s12, 2, v[14:15]
	v_cmp_eq_u64_e64 s13, 3, v[14:15]
	s_delay_alu instid0(VALU_DEP_4) | instskip(NEXT) | instid1(SALU_CYCLE_1)
	s_and_b32 s11, s10, s11
	v_cndmask_b32_e64 v4, 0, 1, s11
	s_and_b32 s11, s10, vcc_lo
	s_delay_alu instid0(SALU_CYCLE_1)
	v_cndmask_b32_e64 v14, 0, 1, s11
	s_and_b32 s11, s10, s12
	s_and_b32 s10, s10, s13
	v_cndmask_b32_e64 v25, 0, 1, s11
	v_cndmask_b32_e64 v26, 0, 1, s10
	v_cmp_ne_u32_e32 vcc_lo, 0, v4
	v_cmp_ne_u32_e64 s10, 0, v14
	s_delay_alu instid0(VALU_DEP_4) | instskip(NEXT) | instid1(VALU_DEP_4)
	v_cmp_ne_u32_e64 s11, 0, v25
	v_cmp_ne_u32_e64 s12, 0, v26
	s_bcnt1_i32_b32 s13, vcc_lo
	s_delay_alu instid0(VALU_DEP_3)
	s_bcnt1_i32_b32 s10, s10
	v_dual_mov_b32 v26, v24 :: v_dual_mov_b32 v25, v23
	s_bcnt1_i32_b32 s11, s11
	s_bcnt1_i32_b32 s12, s12
	v_add_nc_u32_e32 v7, s13, v7
	v_add_nc_u32_e32 v8, s10, v8
	;; [unrolled: 1-line block ×4, first 2 shown]
	s_and_not1_b32 exec_lo, exec_lo, s15
	s_cbranch_execz .LBB69_49
.LBB69_46:                              ;   Parent Loop BB69_6 Depth=1
                                        ; =>  This Inner Loop Header: Depth=2
	s_delay_alu instid0(VALU_DEP_1) | instskip(SKIP_3) | instid1(VALU_DEP_3)
	v_add_nc_u32_e32 v1, s42, v1
	v_mov_b32_e32 v23, 0
	v_mov_b32_e32 v24, 0
	s_mov_b32 s11, exec_lo
	v_cmp_le_u32_e32 vcc_lo, s36, v1
	v_cmpx_gt_u32_e64 s36, v1
	s_cbranch_execz .LBB69_45
; %bb.47:                               ;   in Loop: Header=BB69_46 Depth=2
	v_mov_b32_e32 v4, v15
	s_delay_alu instid0(VALU_DEP_1) | instskip(NEXT) | instid1(VALU_DEP_1)
	v_lshlrev_b64 v[23:24], 3, v[3:4]
	v_add_co_u32 v23, s10, s31, v23
	s_delay_alu instid0(VALU_DEP_1)
	v_add_co_ci_u32_e64 v24, s10, s33, v24, s10
	global_load_b64 v[23:24], v[23:24], off
	s_branch .LBB69_45
.LBB69_48:                              ;   in Loop: Header=BB69_6 Depth=1
                                        ; implicit-def: $vgpr10
	s_cbranch_execnz .LBB69_51
	s_branch .LBB69_60
.LBB69_49:                              ;   in Loop: Header=BB69_6 Depth=1
	s_or_b32 exec_lo, exec_lo, s15
.LBB69_50:                              ;   in Loop: Header=BB69_6 Depth=1
	s_delay_alu instid0(SALU_CYCLE_1)
	s_or_b32 exec_lo, exec_lo, s14
	s_branch .LBB69_60
.LBB69_51:                              ;   in Loop: Header=BB69_6 Depth=1
	s_mul_hi_u32 s10, s77, s58
	v_dual_mov_b32 v7, 0 :: v_dual_mov_b32 v8, 0
	s_mul_i32 s10, s10, s50
	v_dual_mov_b32 v9, 0 :: v_dual_mov_b32 v10, 0
	s_sub_i32 s10, s77, s10
	s_mov_b32 s80, 0
	s_sub_i32 s11, s10, s50
	s_cmp_ge_u32 s10, s50
	s_mov_b32 s79, exec_lo
	s_cselect_b32 s10, s11, s10
	s_delay_alu instid0(SALU_CYCLE_1) | instskip(SKIP_2) | instid1(SALU_CYCLE_1)
	s_sub_i32 s11, s10, s50
	s_cmp_ge_u32 s10, s50
	s_cselect_b32 s10, s11, s10
	s_sub_i32 s78, s77, s10
	s_delay_alu instid0(SALU_CYCLE_1)
	v_cmpx_gt_u32_e64 s78, v29
	s_cbranch_execz .LBB69_55
; %bb.52:                               ;   in Loop: Header=BB69_6 Depth=1
	v_mov_b32_e32 v1, v38
	v_mov_b32_e32 v3, v29
	s_and_b32 s81, s71, 0xfe
	s_mov_b32 s82, 0
	s_mov_b32 s83, 0
	;; [unrolled: 1-line block ×4, first 2 shown]
.LBB69_53:                              ;   Parent Loop BB69_6 Depth=1
                                        ; =>  This Inner Loop Header: Depth=2
	ds_load_b128 v[7:10], v1
	s_waitcnt vmcnt(0)
	ds_load_b128 v[23:26], v1 offset:16
	v_dual_mov_b32 v42, v15 :: v_dual_add_nc_u32 v3, s50, v3
	v_dual_mov_b32 v44, v15 :: v_dual_add_nc_u32 v1, s63, v1
	s_delay_alu instid0(VALU_DEP_2)
	v_cmp_le_u32_e32 vcc_lo, s78, v3
	s_waitcnt lgkmcnt(1)
	v_cmp_o_f64_e64 s11, v[7:8], v[7:8]
	s_waitcnt lgkmcnt(0)
	v_cmp_o_f64_e64 s13, v[25:26], v[25:26]
	v_cmp_o_f64_e64 s10, v[9:10], v[9:10]
	;; [unrolled: 1-line block ×3, first 2 shown]
	v_ashrrev_i32_e32 v4, 31, v8
	v_ashrrev_i32_e32 v43, 31, v26
	;; [unrolled: 1-line block ×4, first 2 shown]
	s_delay_alu instid0(VALU_DEP_4) | instskip(NEXT) | instid1(VALU_DEP_4)
	v_or_b32_e32 v45, 0x80000000, v4
	v_or_b32_e32 v49, 0x80000000, v43
	s_delay_alu instid0(VALU_DEP_4) | instskip(NEXT) | instid1(VALU_DEP_4)
	v_or_b32_e32 v47, 0x80000000, v14
	v_or_b32_e32 v48, 0x80000000, v41
	v_xor_b32_e32 v4, v4, v7
	v_xor_b32_e32 v45, v45, v8
	;; [unrolled: 1-line block ×8, first 2 shown]
	v_cndmask_b32_e64 v8, -1, v45, s11
	v_cndmask_b32_e64 v26, -1, v7, s13
	;; [unrolled: 1-line block ×7, first 2 shown]
	v_and_b32_e32 v48, v8, v20
	v_and_b32_e32 v47, v7, v19
	v_lshrrev_b64 v[7:8], s81, v[7:8]
	v_cndmask_b32_e64 v25, -1, v43, s13
	v_dual_mov_b32 v46, v15 :: v_dual_and_b32 v49, v9, v19
	v_lshrrev_b64 v[8:9], s81, v[9:10]
	v_and_b32_e32 v50, v10, v20
	v_lshrrev_b64 v[9:10], s81, v[23:24]
	v_and_b32_e32 v52, v24, v20
	v_and_b32_e32 v51, v23, v19
	v_lshrrev_b64 v[23:24], s81, v[25:26]
	v_and_b32_e32 v14, 3, v7
	v_and_b32_e32 v41, 3, v8
	;; [unrolled: 1-line block ×3, first 2 shown]
	v_cmp_eq_u64_e64 s10, v[47:48], v[21:22]
	v_and_b32_e32 v54, v26, v20
	v_cmp_eq_u64_e64 s14, 0, v[14:15]
	v_and_b32_e32 v53, v25, v19
	v_and_b32_e32 v45, 3, v23
	v_cmp_eq_u64_e64 s11, v[49:50], v[21:22]
	v_cmp_eq_u64_e64 s15, 0, v[41:42]
	;; [unrolled: 1-line block ×6, first 2 shown]
	s_and_b32 s14, s10, s14
	v_cmp_eq_u64_e64 s18, 1, v[14:15]
	v_cndmask_b32_e64 v4, 0, 1, s14
	s_and_b32 s14, s11, s15
	v_cmp_eq_u64_e64 s19, 1, v[41:42]
	v_cndmask_b32_e64 v7, 0, 1, s14
	;; [unrolled: 3-line block ×4, first 2 shown]
	s_and_b32 s14, s10, s18
	v_cmp_eq_u64_e64 s22, 2, v[14:15]
	v_cmp_eq_u64_e64 s26, 3, v[14:15]
	v_cndmask_b32_e64 v10, 0, 1, s14
	s_and_b32 s14, s11, s19
	v_cmp_eq_u64_e64 s23, 2, v[41:42]
	v_cmp_eq_u64_e64 s27, 3, v[41:42]
	v_cndmask_b32_e64 v14, 0, 1, s14
	;; [unrolled: 4-line block ×4, first 2 shown]
	s_and_b32 s14, s10, s22
	s_and_b32 s10, s10, s26
	v_cndmask_b32_e64 v25, 0, 1, s14
	s_and_b32 s14, s11, s23
	v_cndmask_b32_e64 v43, 0, 1, s10
	;; [unrolled: 2-line block ×7, first 2 shown]
	v_cndmask_b32_e64 v46, 0, 1, s10
	v_cmp_ne_u32_e64 s10, 0, v4
	v_cmp_ne_u32_e64 s14, 0, v10
	v_cmp_ne_u32_e64 s18, 0, v25
	v_cmp_ne_u32_e64 s22, 0, v43
	v_cmp_ne_u32_e64 s11, 0, v7
	v_cmp_ne_u32_e64 s15, 0, v14
	v_cmp_ne_u32_e64 s19, 0, v26
	v_cmp_ne_u32_e64 s23, 0, v44
	v_cmp_ne_u32_e64 s12, 0, v8
	v_cmp_ne_u32_e64 s16, 0, v23
	v_cmp_ne_u32_e64 s20, 0, v41
	v_cmp_ne_u32_e64 s24, 0, v45
	s_bcnt1_i32_b32 s10, s10
	s_bcnt1_i32_b32 s14, s14
	;; [unrolled: 1-line block ×4, first 2 shown]
	v_cmp_ne_u32_e64 s13, 0, v9
	v_cmp_ne_u32_e64 s17, 0, v24
	;; [unrolled: 1-line block ×4, first 2 shown]
	s_bcnt1_i32_b32 s11, s11
	s_bcnt1_i32_b32 s15, s15
	s_bcnt1_i32_b32 s19, s19
	s_bcnt1_i32_b32 s23, s23
	s_add_i32 s10, s10, s85
	s_add_i32 s14, s14, s84
	s_add_i32 s18, s18, s83
	s_add_i32 s22, s22, s82
	s_bcnt1_i32_b32 s12, s12
	s_bcnt1_i32_b32 s16, s16
	s_bcnt1_i32_b32 s20, s20
	s_bcnt1_i32_b32 s24, s24
	s_add_i32 s10, s10, s11
	s_add_i32 s11, s14, s15
	s_add_i32 s14, s18, s19
	s_add_i32 s15, s22, s23
	;; [unrolled: 8-line block ×3, first 2 shown]
	s_add_i32 s85, s10, s13
	s_add_i32 s84, s11, s17
	;; [unrolled: 1-line block ×4, first 2 shown]
	s_delay_alu instid0(SALU_CYCLE_1) | instskip(SKIP_2) | instid1(SALU_CYCLE_1)
	v_dual_mov_b32 v7, s85 :: v_dual_mov_b32 v10, s82
	v_dual_mov_b32 v8, s84 :: v_dual_mov_b32 v9, s83
	s_or_b32 s80, vcc_lo, s80
	s_and_not1_b32 exec_lo, exec_lo, s80
	s_cbranch_execnz .LBB69_53
; %bb.54:                               ;   in Loop: Header=BB69_6 Depth=1
	s_or_b32 exec_lo, exec_lo, s80
.LBB69_55:                              ;   in Loop: Header=BB69_6 Depth=1
	s_delay_alu instid0(SALU_CYCLE_1) | instskip(SKIP_2) | instid1(VALU_DEP_1)
	s_or_b32 exec_lo, exec_lo, s79
	v_add_nc_u32_e32 v1, s78, v0
	s_mov_b32 s15, exec_lo
	v_cmpx_gt_u32_e64 s77, v1
	s_cbranch_execz .LBB69_59
; %bb.56:                               ;   in Loop: Header=BB69_6 Depth=1
	v_lshlrev_b32_e32 v3, 3, v1
	s_and_b32 s17, s71, 0xfe
	s_mov_b32 s16, 0
.LBB69_57:                              ;   Parent Loop BB69_6 Depth=1
                                        ; =>  This Inner Loop Header: Depth=2
	ds_load_b64 v[23:24], v3
	v_add_nc_u32_e32 v3, s64, v3
	s_waitcnt lgkmcnt(0)
	v_cmp_o_f64_e32 vcc_lo, v[23:24], v[23:24]
	v_ashrrev_i32_e32 v4, 31, v24
	s_delay_alu instid0(VALU_DEP_1) | instskip(SKIP_1) | instid1(VALU_DEP_2)
	v_or_b32_e32 v14, 0x80000000, v4
	v_xor_b32_e32 v4, v4, v23
	v_xor_b32_e32 v14, v14, v24
	s_delay_alu instid0(VALU_DEP_1) | instskip(NEXT) | instid1(VALU_DEP_3)
	v_dual_cndmask_b32 v24, -1, v14 :: v_dual_add_nc_u32 v1, s42, v1
	v_cndmask_b32_e32 v23, -1, v4, vcc_lo
	s_delay_alu instid0(VALU_DEP_2) | instskip(SKIP_1) | instid1(VALU_DEP_3)
	v_cmp_le_u32_e64 s10, s77, v1
	s_waitcnt vmcnt(0)
	v_and_b32_e32 v26, v24, v20
	s_delay_alu instid0(VALU_DEP_3) | instskip(SKIP_1) | instid1(VALU_DEP_2)
	v_and_b32_e32 v25, v23, v19
	v_lshrrev_b64 v[23:24], s17, v[23:24]
	v_cmp_eq_u64_e32 vcc_lo, v[25:26], v[21:22]
	s_delay_alu instid0(VALU_DEP_2) | instskip(NEXT) | instid1(VALU_DEP_1)
	v_and_b32_e32 v14, 3, v23
	v_cmp_eq_u64_e64 s11, 0, v[14:15]
	v_cmp_eq_u64_e64 s12, 1, v[14:15]
	;; [unrolled: 1-line block ×4, first 2 shown]
	s_delay_alu instid0(VALU_DEP_4) | instskip(NEXT) | instid1(SALU_CYCLE_1)
	s_and_b32 s11, vcc_lo, s11
	v_cndmask_b32_e64 v4, 0, 1, s11
	s_delay_alu instid0(VALU_DEP_4) | instskip(NEXT) | instid1(SALU_CYCLE_1)
	s_and_b32 s11, vcc_lo, s12
	v_cndmask_b32_e64 v14, 0, 1, s11
	s_and_b32 s11, vcc_lo, s13
	s_delay_alu instid0(SALU_CYCLE_1)
	v_cndmask_b32_e64 v23, 0, 1, s11
	s_and_b32 s11, vcc_lo, s14
	v_cmp_ne_u32_e32 vcc_lo, 0, v4
	v_cndmask_b32_e64 v24, 0, 1, s11
	v_cmp_ne_u32_e64 s11, 0, v14
	v_cmp_ne_u32_e64 s12, 0, v23
	s_bcnt1_i32_b32 s14, vcc_lo
	s_delay_alu instid0(VALU_DEP_3) | instskip(NEXT) | instid1(VALU_DEP_3)
	v_cmp_ne_u32_e64 s13, 0, v24
	s_bcnt1_i32_b32 s11, s11
	s_delay_alu instid0(VALU_DEP_2)
	s_bcnt1_i32_b32 s12, s12
	v_add_nc_u32_e32 v7, s14, v7
	v_add_nc_u32_e32 v8, s11, v8
	s_bcnt1_i32_b32 s13, s13
	v_add_nc_u32_e32 v9, s12, v9
	v_add_nc_u32_e32 v10, s13, v10
	s_or_b32 s16, s10, s16
	s_delay_alu instid0(SALU_CYCLE_1)
	s_and_not1_b32 exec_lo, exec_lo, s16
	s_cbranch_execnz .LBB69_57
; %bb.58:                               ;   in Loop: Header=BB69_6 Depth=1
	s_or_b32 exec_lo, exec_lo, s16
.LBB69_59:                              ;   in Loop: Header=BB69_6 Depth=1
	s_delay_alu instid0(SALU_CYCLE_1)
	s_or_b32 exec_lo, exec_lo, s15
.LBB69_60:                              ;   in Loop: Header=BB69_6 Depth=1
	s_lshl_b32 s10, s66, 7
	s_and_saveexec_b32 s11, s2
	s_cbranch_execz .LBB69_62
; %bb.61:                               ;   in Loop: Header=BB69_6 Depth=1
	v_or_b32_e32 v1, s10, v31
	s_delay_alu instid0(VALU_DEP_1)
	v_lshlrev_b32_e32 v1, 2, v1
	ds_store_b128 v1, v[7:10] offset:3072
.LBB69_62:                              ;   in Loop: Header=BB69_6 Depth=1
	s_or_b32 exec_lo, exec_lo, s11
	s_waitcnt vmcnt(0) lgkmcnt(0)
	s_barrier
	buffer_gl0_inv
	s_and_saveexec_b32 s11, s49
	s_cbranch_execz .LBB69_72
; %bb.63:                               ;   in Loop: Header=BB69_6 Depth=1
	v_mov_b32_e32 v1, 0
	s_and_not1_b32 vcc_lo, exec_lo, s52
	s_cbranch_vccnz .LBB69_71
; %bb.64:                               ;   in Loop: Header=BB69_6 Depth=1
	v_mov_b32_e32 v1, 0
	s_and_not1_b32 vcc_lo, exec_lo, s55
	s_mov_b32 s12, 0
	s_cbranch_vccnz .LBB69_68
; %bb.65:                               ;   in Loop: Header=BB69_6 Depth=1
	v_lshl_add_u32 v3, s66, 9, v39
	v_mov_b32_e32 v1, 0
	.p2align	6
.LBB69_66:                              ;   Parent Loop BB69_6 Depth=1
                                        ; =>  This Inner Loop Header: Depth=2
	ds_load_2addr_b32 v[7:8], v3 offset1:4
	ds_load_2addr_b32 v[9:10], v3 offset0:8 offset1:12
	ds_load_2addr_b32 v[23:24], v3 offset0:16 offset1:20
	;; [unrolled: 1-line block ×3, first 2 shown]
	v_add_nc_u32_e32 v3, 0x80, v3
	s_add_i32 s12, s12, 8
	s_delay_alu instid0(SALU_CYCLE_1) | instskip(SKIP_3) | instid1(VALU_DEP_1)
	s_cmp_eq_u32 s56, s12
	s_waitcnt lgkmcnt(3)
	v_add3_u32 v1, v7, v1, v8
	s_waitcnt lgkmcnt(2)
	v_add3_u32 v1, v9, v1, v10
	s_waitcnt lgkmcnt(1)
	s_delay_alu instid0(VALU_DEP_1) | instskip(SKIP_1) | instid1(VALU_DEP_1)
	v_add3_u32 v1, v23, v1, v24
	s_waitcnt lgkmcnt(0)
	v_add3_u32 v1, v25, v1, v26
	s_cbranch_scc0 .LBB69_66
; %bb.67:                               ;   in Loop: Header=BB69_6 Depth=1
	s_mov_b32 s12, s56
.LBB69_68:                              ;   in Loop: Header=BB69_6 Depth=1
	s_and_not1_b32 vcc_lo, exec_lo, s57
	s_cbranch_vccnz .LBB69_71
; %bb.69:                               ;   in Loop: Header=BB69_6 Depth=1
	s_lshl_b32 s13, s66, 9
	s_lshl_b32 s12, s12, 4
	s_delay_alu instid0(SALU_CYCLE_1)
	v_add3_u32 v3, s13, s12, v39
	s_mov_b32 s12, s54
.LBB69_70:                              ;   Parent Loop BB69_6 Depth=1
                                        ; =>  This Inner Loop Header: Depth=2
	ds_load_b32 v4, v3
	v_add_nc_u32_e32 v3, 16, v3
	s_add_i32 s12, s12, -1
	s_delay_alu instid0(SALU_CYCLE_1)
	s_cmp_lg_u32 s12, 0
	s_waitcnt lgkmcnt(0)
	v_add_nc_u32_e32 v1, v4, v1
	s_cbranch_scc1 .LBB69_70
.LBB69_71:                              ;   in Loop: Header=BB69_6 Depth=1
	v_add_lshl_u32 v3, s10, v28, 2
	ds_store_b32 v3, v1 offset:3072
.LBB69_72:                              ;   in Loop: Header=BB69_6 Depth=1
	s_or_b32 exec_lo, exec_lo, s11
	s_lshl_b32 s10, s10, 2
	s_waitcnt lgkmcnt(0)
	v_mov_b32_e32 v1, s10
	s_barrier
	buffer_gl0_inv
	s_and_b32 s19, s71, 0xfe
	v_cmp_eq_u32_e64 s10, 1, v40
	ds_load_b128 v[7:10], v1 offset:3072
	s_lshl_b64 s[12:13], 3, s19
	s_mov_b32 s22, 0
	s_and_not1_b32 vcc_lo, exec_lo, s48
	s_not_b64 s[14:15], s[12:13]
	s_waitcnt lgkmcnt(0)
	v_readfirstlane_b32 s16, v7
	v_readfirstlane_b32 s18, v8
	;; [unrolled: 1-line block ×4, first 2 shown]
	s_cbranch_vccnz .LBB69_85
; %bb.73:                               ;   in Loop: Header=BB69_6 Depth=1
	s_cmp_eq_u32 s16, 1
	v_dual_mov_b32 v24, v22 :: v_dual_mov_b32 v23, v21
	v_dual_mov_b32 v26, v20 :: v_dual_mov_b32 v25, v19
	;; [unrolled: 1-line block ×3, first 2 shown]
	s_cselect_b32 s11, -1, 0
	s_mov_b32 s28, -1
	s_and_b32 s27, s11, s10
                                        ; implicit-def: $sgpr17
                                        ; implicit-def: $sgpr24
                                        ; implicit-def: $sgpr23
	s_delay_alu instid0(SALU_CYCLE_1)
	s_and_saveexec_b32 s22, s27
	s_cbranch_execz .LBB69_104
; %bb.74:                               ;   in Loop: Header=BB69_6 Depth=1
	ds_load_b32 v1, v15 offset:4096
	s_waitcnt lgkmcnt(0)
	s_barrier
	buffer_gl0_inv
	v_readfirstlane_b32 s17, v1
	s_and_saveexec_b32 s11, s6
	s_cbranch_execz .LBB69_76
; %bb.75:                               ;   in Loop: Header=BB69_6 Depth=1
	v_mov_b32_e32 v14, v15
	ds_store_b64 v32, v[14:15]
.LBB69_76:                              ;   in Loop: Header=BB69_6 Depth=1
	s_or_b32 exec_lo, exec_lo, s11
	v_and_b32_e32 v24, s15, v22
	v_and_b32_e32 v23, s14, v21
	v_or_b32_e32 v26, s13, v20
	v_or_b32_e32 v25, s12, v19
	s_cmp_eq_u32 s17, 0
	s_waitcnt lgkmcnt(0)
	s_barrier
	buffer_gl0_inv
	s_cbranch_scc1 .LBB69_90
; %bb.77:                               ;   in Loop: Header=BB69_6 Depth=1
	s_add_i32 s11, s17, s53
                                        ; implicit-def: $vgpr9_vgpr10
	s_delay_alu instid0(SALU_CYCLE_1) | instskip(NEXT) | instid1(SALU_CYCLE_1)
	s_mul_hi_u32 s23, s11, s60
	s_mul_i32 s23, s23, s42
	s_delay_alu instid0(SALU_CYCLE_1) | instskip(NEXT) | instid1(SALU_CYCLE_1)
	s_sub_i32 s23, s11, s23
	s_sub_i32 s24, s23, s42
	s_cmp_ge_u32 s23, s42
	s_cselect_b32 s23, s24, s23
	s_delay_alu instid0(SALU_CYCLE_1) | instskip(SKIP_2) | instid1(SALU_CYCLE_1)
	s_sub_i32 s24, s23, s42
	s_cmp_ge_u32 s23, s42
	s_cselect_b32 s23, s24, s23
	s_sub_i32 s24, s11, s23
	s_mov_b32 s11, 0
	s_mov_b32 s23, exec_lo
	v_cmpx_gt_u32_e64 s24, v0
	s_cbranch_execz .LBB69_92
; %bb.78:                               ;   in Loop: Header=BB69_6 Depth=1
	v_dual_mov_b32 v14, v30 :: v_dual_mov_b32 v41, v0
	s_mov_b32 s26, 0
                                        ; implicit-def: $sgpr25
	s_set_inst_prefetch_distance 0x1
	s_branch .LBB69_80
	.p2align	6
.LBB69_79:                              ;   in Loop: Header=BB69_80 Depth=2
	s_or_b32 exec_lo, exec_lo, s11
	s_waitcnt lgkmcnt(0)
	s_barrier
	buffer_gl0_inv
	ds_load_b128 v[7:10], v15 offset:3072
	v_add_nc_u32_e32 v41, s42, v41
	v_add_nc_u32_e32 v14, s64, v14
	s_waitcnt lgkmcnt(0)
	s_barrier
	buffer_gl0_inv
	v_cmp_le_u32_e64 s11, s24, v41
	v_cmp_neq_f64_e32 vcc_lo, 0, v[7:8]
	s_delay_alu instid0(VALU_DEP_2) | instskip(NEXT) | instid1(SALU_CYCLE_1)
	s_or_b32 s11, s11, vcc_lo
	s_and_b32 s11, exec_lo, s11
	s_delay_alu instid0(SALU_CYCLE_1) | instskip(SKIP_2) | instid1(SALU_CYCLE_1)
	s_or_b32 s26, s11, s26
	s_and_not1_b32 s11, s25, exec_lo
	s_and_b32 s25, vcc_lo, exec_lo
	s_or_b32 s25, s11, s25
	s_and_not1_b32 exec_lo, exec_lo, s26
	s_cbranch_execz .LBB69_91
.LBB69_80:                              ;   Parent Loop BB69_6 Depth=1
                                        ; =>  This Inner Loop Header: Depth=2
	v_mov_b32_e32 v3, 0
	v_mov_b32_e32 v4, 0
	v_cmp_gt_u32_e32 vcc_lo, s17, v41
	s_and_saveexec_b32 s11, vcc_lo
	s_cbranch_execz .LBB69_82
; %bb.81:                               ;   in Loop: Header=BB69_80 Depth=2
	ds_load_b64 v[3:4], v14
.LBB69_82:                              ;   in Loop: Header=BB69_80 Depth=2
	s_or_b32 exec_lo, exec_lo, s11
	s_and_saveexec_b32 s11, vcc_lo
	s_cbranch_execz .LBB69_79
; %bb.83:                               ;   in Loop: Header=BB69_80 Depth=2
	s_waitcnt lgkmcnt(0)
	v_cmp_o_f64_e32 vcc_lo, v[3:4], v[3:4]
	v_ashrrev_i32_e32 v1, 31, v4
	s_delay_alu instid0(VALU_DEP_1) | instskip(SKIP_1) | instid1(VALU_DEP_2)
	v_or_b32_e32 v7, 0x80000000, v1
	v_xor_b32_e32 v1, v1, v3
	v_xor_b32_e32 v7, v7, v4
	s_delay_alu instid0(VALU_DEP_1) | instskip(NEXT) | instid1(VALU_DEP_1)
	v_cndmask_b32_e32 v7, -1, v7, vcc_lo
	v_dual_cndmask_b32 v1, -1, v1 :: v_dual_and_b32 v8, v7, v26
	s_delay_alu instid0(VALU_DEP_1) | instskip(NEXT) | instid1(VALU_DEP_1)
	v_and_b32_e32 v7, v1, v25
	v_cmp_eq_u64_e32 vcc_lo, v[7:8], v[23:24]
	s_and_b32 exec_lo, exec_lo, vcc_lo
	s_cbranch_execz .LBB69_79
; %bb.84:                               ;   in Loop: Header=BB69_80 Depth=2
	v_mov_b32_e32 v1, v15
	ds_store_b128 v15, v[1:4] offset:3072
	s_branch .LBB69_79
.LBB69_85:                              ;   in Loop: Header=BB69_6 Depth=1
	s_mov_b32 s11, 0
                                        ; implicit-def: $sgpr23
                                        ; implicit-def: $sgpr24
                                        ; implicit-def: $sgpr17
                                        ; implicit-def: $vgpr1
                                        ; implicit-def: $vgpr41
                                        ; implicit-def: $vgpr23_vgpr24
                                        ; implicit-def: $vgpr25_vgpr26
                                        ; implicit-def: $vgpr9_vgpr10
	s_cbranch_execnz .LBB69_240
.LBB69_86:                              ;   in Loop: Header=BB69_6 Depth=1
	s_mov_b32 s25, s17
	s_mov_b32 s26, s17
	s_and_saveexec_b32 s10, s22
	s_cbranch_execnz .LBB69_402
	s_branch .LBB69_403
.LBB69_87:                              ;   in Loop: Header=BB69_6 Depth=1
	s_or_b32 exec_lo, exec_lo, s12
	s_waitcnt vmcnt(0) lgkmcnt(0)
	s_barrier
	buffer_gl0_inv
	s_and_saveexec_b32 s10, s5
	s_cbranch_execz .LBB69_89
; %bb.88:                               ;   in Loop: Header=BB69_6 Depth=1
	ds_load_b32 v1, v15 offset:4104
	s_waitcnt lgkmcnt(0)
	ds_store_b32 v15, v1 offset:4096
.LBB69_89:                              ;   in Loop: Header=BB69_6 Depth=1
	s_or_b32 exec_lo, exec_lo, s10
	s_waitcnt lgkmcnt(0)
	s_mov_b32 s10, -1
	s_barrier
	s_and_b32 vcc_lo, exec_lo, s77
	s_cbranch_vccnz .LBB69_24
	s_branch .LBB69_34
.LBB69_90:                              ;   in Loop: Header=BB69_6 Depth=1
	s_mov_b32 s17, -1
	s_mov_b32 s11, 0
                                        ; implicit-def: $sgpr23
                                        ; implicit-def: $vgpr9_vgpr10
	s_mov_b32 s24, s17
	s_cbranch_execnz .LBB69_93
	s_branch .LBB69_103
.LBB69_91:                              ;   in Loop: Header=BB69_6 Depth=1
	s_set_inst_prefetch_distance 0x2
	s_or_b32 exec_lo, exec_lo, s26
	s_delay_alu instid0(SALU_CYCLE_1)
	s_and_b32 s11, s25, exec_lo
.LBB69_92:                              ;   in Loop: Header=BB69_6 Depth=1
	s_or_b32 exec_lo, exec_lo, s23
	s_mov_b32 s23, -1
	s_mov_b32 s17, 0
	s_delay_alu instid0(SALU_CYCLE_1)
	s_mov_b32 s24, s17
	s_branch .LBB69_103
.LBB69_93:                              ;   in Loop: Header=BB69_6 Depth=1
	s_mov_b32 s11, 0
                                        ; implicit-def: $vgpr9_vgpr10
	s_and_saveexec_b32 s17, s9
	s_cbranch_execz .LBB69_102
; %bb.94:                               ;   in Loop: Header=BB69_6 Depth=1
	v_dual_mov_b32 v14, v13 :: v_dual_mov_b32 v41, v0
	s_mov_b32 s24, 0
                                        ; implicit-def: $sgpr23
	s_branch .LBB69_96
.LBB69_95:                              ;   in Loop: Header=BB69_96 Depth=2
	s_or_b32 exec_lo, exec_lo, s11
	s_waitcnt vmcnt(0) lgkmcnt(0)
	s_barrier
	buffer_gl0_inv
	ds_load_b128 v[7:10], v15 offset:3072
	v_add_nc_u32_e32 v41, s42, v41
	v_add_nc_u32_e32 v14, s44, v14
	s_waitcnt lgkmcnt(0)
	s_barrier
	buffer_gl0_inv
	v_cmp_le_u32_e64 s11, s61, v41
	v_cmp_neq_f64_e32 vcc_lo, 0, v[7:8]
	s_delay_alu instid0(VALU_DEP_2) | instskip(NEXT) | instid1(SALU_CYCLE_1)
	s_or_b32 s11, s11, vcc_lo
	s_and_b32 s11, exec_lo, s11
	s_delay_alu instid0(SALU_CYCLE_1) | instskip(SKIP_2) | instid1(SALU_CYCLE_1)
	s_or_b32 s24, s11, s24
	s_and_not1_b32 s11, s23, exec_lo
	s_and_b32 s23, vcc_lo, exec_lo
	s_or_b32 s23, s11, s23
	s_and_not1_b32 exec_lo, exec_lo, s24
	s_cbranch_execz .LBB69_101
.LBB69_96:                              ;   Parent Loop BB69_6 Depth=1
                                        ; =>  This Inner Loop Header: Depth=2
	v_mov_b32_e32 v3, 0
	v_mov_b32_e32 v4, 0
	v_cmp_gt_u32_e32 vcc_lo, s36, v41
	s_and_saveexec_b32 s25, vcc_lo
	s_cbranch_execz .LBB69_98
; %bb.97:                               ;   in Loop: Header=BB69_96 Depth=2
	v_lshlrev_b64 v[3:4], 3, v[14:15]
	s_delay_alu instid0(VALU_DEP_1) | instskip(NEXT) | instid1(VALU_DEP_1)
	v_add_co_u32 v3, s11, s31, v3
	v_add_co_ci_u32_e64 v4, s11, s33, v4, s11
	global_load_b64 v[3:4], v[3:4], off
.LBB69_98:                              ;   in Loop: Header=BB69_96 Depth=2
	s_or_b32 exec_lo, exec_lo, s25
	s_and_saveexec_b32 s11, vcc_lo
	s_cbranch_execz .LBB69_95
; %bb.99:                               ;   in Loop: Header=BB69_96 Depth=2
	s_waitcnt vmcnt(0)
	v_cmp_o_f64_e32 vcc_lo, v[3:4], v[3:4]
	v_ashrrev_i32_e32 v1, 31, v4
	s_delay_alu instid0(VALU_DEP_1) | instskip(SKIP_1) | instid1(VALU_DEP_2)
	v_or_b32_e32 v7, 0x80000000, v1
	v_xor_b32_e32 v1, v1, v3
	v_xor_b32_e32 v7, v7, v4
	s_delay_alu instid0(VALU_DEP_1) | instskip(NEXT) | instid1(VALU_DEP_1)
	v_cndmask_b32_e32 v7, -1, v7, vcc_lo
	v_dual_cndmask_b32 v1, -1, v1 :: v_dual_and_b32 v8, v7, v26
	s_delay_alu instid0(VALU_DEP_1) | instskip(NEXT) | instid1(VALU_DEP_1)
	v_and_b32_e32 v7, v1, v25
	v_cmp_eq_u64_e32 vcc_lo, v[7:8], v[23:24]
	s_and_b32 exec_lo, exec_lo, vcc_lo
	s_cbranch_execz .LBB69_95
; %bb.100:                              ;   in Loop: Header=BB69_96 Depth=2
	v_mov_b32_e32 v1, v15
	ds_store_b128 v15, v[1:4] offset:3072
	s_branch .LBB69_95
.LBB69_101:                             ;   in Loop: Header=BB69_6 Depth=1
	s_or_b32 exec_lo, exec_lo, s24
	s_delay_alu instid0(SALU_CYCLE_1)
	s_and_b32 s11, s23, exec_lo
.LBB69_102:                             ;   in Loop: Header=BB69_6 Depth=1
	s_or_b32 exec_lo, exec_lo, s17
	s_mov_b32 s24, -1
	s_mov_b32 s17, 0
	s_mov_b32 s23, 0
.LBB69_103:                             ;   in Loop: Header=BB69_6 Depth=1
	s_or_not1_b32 s28, s11, exec_lo
.LBB69_104:                             ;   in Loop: Header=BB69_6 Depth=1
	s_or_b32 exec_lo, exec_lo, s22
	s_mov_b32 s25, 0
	s_mov_b32 s22, 0
	;; [unrolled: 1-line block ×3, first 2 shown]
                                        ; implicit-def: $vgpr1
                                        ; implicit-def: $vgpr41
	s_and_saveexec_b32 s26, s28
	s_cbranch_execz .LBB69_239
; %bb.105:                              ;   in Loop: Header=BB69_6 Depth=1
	v_mov_b32_e32 v41, 1
	v_mov_b32_e32 v1, 1
	s_xor_b32 s27, s27, -1
	s_delay_alu instid0(SALU_CYCLE_1)
	s_and_saveexec_b32 s11, s27
	s_cbranch_execz .LBB69_115
; %bb.106:                              ;   in Loop: Header=BB69_6 Depth=1
	s_mov_b32 s27, exec_lo
                                        ; implicit-def: $sgpr28
                                        ; implicit-def: $sgpr22
	v_cmpx_ge_u32_e64 s16, v40
	s_xor_b32 s27, exec_lo, s27
	s_cbranch_execz .LBB69_112
; %bb.107:                              ;   in Loop: Header=BB69_6 Depth=1
	ds_load_b32 v1, v15 offset:4096
	s_waitcnt lgkmcnt(0)
	v_cmp_ne_u32_e32 vcc_lo, 0, v1
	s_cbranch_vccnz .LBB69_111
; %bb.108:                              ;   in Loop: Header=BB69_6 Depth=1
	s_and_saveexec_b32 s22, s5
	s_cbranch_execz .LBB69_110
; %bb.109:                              ;   in Loop: Header=BB69_6 Depth=1
	v_mov_b32_e32 v1, s16
	ds_store_b32 v15, v1 offset:4100
.LBB69_110:                             ;   in Loop: Header=BB69_6 Depth=1
	s_or_b32 exec_lo, exec_lo, s22
	s_waitcnt lgkmcnt(0)
	s_barrier
	buffer_gl0_inv
.LBB69_111:                             ;   in Loop: Header=BB69_6 Depth=1
	v_and_b32_e32 v24, s15, v24
	v_and_b32_e32 v23, s14, v23
	v_or_b32_e32 v26, s13, v26
	v_or_b32_e32 v25, s12, v25
	s_mov_b32 s22, 0
	s_mov_b32 s28, 8
.LBB69_112:                             ;   in Loop: Header=BB69_6 Depth=1
	s_or_saveexec_b32 s27, s27
	v_mov_b32_e32 v1, s28
	v_mov_b32_e32 v41, v40
	s_xor_b32 exec_lo, exec_lo, s27
; %bb.113:                              ;   in Loop: Header=BB69_6 Depth=1
	v_subrev_nc_u32_e32 v41, s16, v40
	v_mov_b32_e32 v1, 0
	s_or_b32 s22, s22, exec_lo
; %bb.114:                              ;   in Loop: Header=BB69_6 Depth=1
	s_or_b32 exec_lo, exec_lo, s27
	s_delay_alu instid0(SALU_CYCLE_1)
	s_and_b32 s22, s22, exec_lo
.LBB69_115:                             ;   in Loop: Header=BB69_6 Depth=1
	s_or_b32 exec_lo, exec_lo, s11
	s_mov_b32 s11, -1
                                        ; implicit-def: $sgpr27
                                        ; implicit-def: $sgpr29
                                        ; implicit-def: $sgpr77
	s_and_saveexec_b32 s28, s22
	s_delay_alu instid0(SALU_CYCLE_1)
	s_xor_b32 s22, exec_lo, s28
	s_cbranch_execz .LBB69_236
; %bb.116:                              ;   in Loop: Header=BB69_6 Depth=1
	v_cmp_eq_u32_e32 vcc_lo, 1, v41
	s_cmp_eq_u32 s18, 1
                                        ; implicit-def: $sgpr27
                                        ; implicit-def: $sgpr29
                                        ; implicit-def: $sgpr28
	s_cselect_b32 s11, -1, 0
	s_delay_alu instid0(SALU_CYCLE_1)
	s_and_b32 s78, s11, vcc_lo
	s_mov_b32 s11, -1
	s_and_saveexec_b32 s77, s78
	s_cbranch_execz .LBB69_142
; %bb.117:                              ;   in Loop: Header=BB69_6 Depth=1
	ds_load_b32 v1, v15 offset:4096
	s_waitcnt lgkmcnt(0)
	s_barrier
	buffer_gl0_inv
	v_readfirstlane_b32 s27, v1
	s_and_saveexec_b32 s11, s6
	s_cbranch_execz .LBB69_119
; %bb.118:                              ;   in Loop: Header=BB69_6 Depth=1
	v_mov_b32_e32 v14, v15
	ds_store_b64 v32, v[14:15]
.LBB69_119:                             ;   in Loop: Header=BB69_6 Depth=1
	s_or_b32 exec_lo, exec_lo, s11
	v_and_b32_e32 v1, s15, v24
	v_and_b32_e32 v3, s14, v23
	s_lshl_b64 s[28:29], 1, s19
	v_or_b32_e32 v26, s13, v26
	v_or_b32_e32 v25, s12, v25
	;; [unrolled: 1-line block ×4, first 2 shown]
	s_cmp_eq_u32 s27, 0
	s_waitcnt lgkmcnt(0)
	s_barrier
	buffer_gl0_inv
	s_cbranch_scc1 .LBB69_128
; %bb.120:                              ;   in Loop: Header=BB69_6 Depth=1
	s_add_i32 s11, s27, s53
                                        ; implicit-def: $vgpr9_vgpr10
	s_delay_alu instid0(SALU_CYCLE_1) | instskip(NEXT) | instid1(SALU_CYCLE_1)
	s_mul_hi_u32 s28, s11, s60
	s_mul_i32 s28, s28, s42
	s_delay_alu instid0(SALU_CYCLE_1) | instskip(NEXT) | instid1(SALU_CYCLE_1)
	s_sub_i32 s28, s11, s28
	s_sub_i32 s29, s28, s42
	s_cmp_ge_u32 s28, s42
	s_cselect_b32 s28, s29, s28
	s_delay_alu instid0(SALU_CYCLE_1) | instskip(SKIP_2) | instid1(SALU_CYCLE_1)
	s_sub_i32 s29, s28, s42
	s_cmp_ge_u32 s28, s42
	s_cselect_b32 s28, s29, s28
	s_sub_i32 s29, s11, s28
	s_mov_b32 s11, 0
	s_mov_b32 s28, exec_lo
	v_cmpx_gt_u32_e64 s29, v0
	s_cbranch_execz .LBB69_130
; %bb.121:                              ;   in Loop: Header=BB69_6 Depth=1
	v_mov_b32_e32 v14, v30
	v_mov_b32_e32 v42, v0
	s_mov_b32 s80, 0
                                        ; implicit-def: $sgpr79
	s_set_inst_prefetch_distance 0x1
	s_branch .LBB69_123
	.p2align	6
.LBB69_122:                             ;   in Loop: Header=BB69_123 Depth=2
	s_or_b32 exec_lo, exec_lo, s11
	s_waitcnt lgkmcnt(0)
	s_barrier
	buffer_gl0_inv
	ds_load_b128 v[7:10], v15 offset:3072
	v_add_nc_u32_e32 v42, s42, v42
	v_add_nc_u32_e32 v14, s64, v14
	s_waitcnt lgkmcnt(0)
	s_barrier
	buffer_gl0_inv
	v_cmp_le_u32_e64 s11, s29, v42
	v_cmp_neq_f64_e32 vcc_lo, 0, v[7:8]
	s_delay_alu instid0(VALU_DEP_2) | instskip(NEXT) | instid1(SALU_CYCLE_1)
	s_or_b32 s11, s11, vcc_lo
	s_and_b32 s11, exec_lo, s11
	s_delay_alu instid0(SALU_CYCLE_1) | instskip(SKIP_2) | instid1(SALU_CYCLE_1)
	s_or_b32 s80, s11, s80
	s_and_not1_b32 s11, s79, exec_lo
	s_and_b32 s79, vcc_lo, exec_lo
	s_or_b32 s79, s11, s79
	s_and_not1_b32 exec_lo, exec_lo, s80
	s_cbranch_execz .LBB69_129
.LBB69_123:                             ;   Parent Loop BB69_6 Depth=1
                                        ; =>  This Inner Loop Header: Depth=2
	v_mov_b32_e32 v3, 0
	v_mov_b32_e32 v4, 0
	v_cmp_gt_u32_e32 vcc_lo, s27, v42
	s_and_saveexec_b32 s11, vcc_lo
	s_cbranch_execz .LBB69_125
; %bb.124:                              ;   in Loop: Header=BB69_123 Depth=2
	ds_load_b64 v[3:4], v14
.LBB69_125:                             ;   in Loop: Header=BB69_123 Depth=2
	s_or_b32 exec_lo, exec_lo, s11
	s_and_saveexec_b32 s11, vcc_lo
	s_cbranch_execz .LBB69_122
; %bb.126:                              ;   in Loop: Header=BB69_123 Depth=2
	s_waitcnt lgkmcnt(0)
	v_cmp_o_f64_e32 vcc_lo, v[3:4], v[3:4]
	v_ashrrev_i32_e32 v1, 31, v4
	s_delay_alu instid0(VALU_DEP_1) | instskip(SKIP_1) | instid1(VALU_DEP_2)
	v_or_b32_e32 v7, 0x80000000, v1
	v_xor_b32_e32 v1, v1, v3
	v_xor_b32_e32 v7, v7, v4
	s_delay_alu instid0(VALU_DEP_1) | instskip(NEXT) | instid1(VALU_DEP_1)
	v_cndmask_b32_e32 v7, -1, v7, vcc_lo
	v_dual_cndmask_b32 v1, -1, v1 :: v_dual_and_b32 v8, v7, v26
	s_delay_alu instid0(VALU_DEP_1) | instskip(NEXT) | instid1(VALU_DEP_1)
	v_and_b32_e32 v7, v1, v25
	v_cmp_eq_u64_e32 vcc_lo, v[7:8], v[23:24]
	s_and_b32 exec_lo, exec_lo, vcc_lo
	s_cbranch_execz .LBB69_122
; %bb.127:                              ;   in Loop: Header=BB69_123 Depth=2
	v_mov_b32_e32 v1, v15
	ds_store_b128 v15, v[1:4] offset:3072
	s_branch .LBB69_122
.LBB69_128:                             ;   in Loop: Header=BB69_6 Depth=1
	s_mov_b32 s27, -1
	s_mov_b32 s11, 0
                                        ; implicit-def: $sgpr28
                                        ; implicit-def: $vgpr9_vgpr10
	s_mov_b32 s29, s27
	s_cbranch_execnz .LBB69_131
	s_branch .LBB69_141
.LBB69_129:                             ;   in Loop: Header=BB69_6 Depth=1
	s_set_inst_prefetch_distance 0x2
	s_or_b32 exec_lo, exec_lo, s80
	s_delay_alu instid0(SALU_CYCLE_1)
	s_and_b32 s11, s79, exec_lo
.LBB69_130:                             ;   in Loop: Header=BB69_6 Depth=1
	s_or_b32 exec_lo, exec_lo, s28
	s_mov_b32 s28, -1
	s_mov_b32 s27, 0
	s_delay_alu instid0(SALU_CYCLE_1)
	s_mov_b32 s29, s27
	s_branch .LBB69_141
.LBB69_131:                             ;   in Loop: Header=BB69_6 Depth=1
	s_mov_b32 s11, 0
                                        ; implicit-def: $vgpr9_vgpr10
	s_and_saveexec_b32 s27, s9
	s_cbranch_execz .LBB69_140
; %bb.132:                              ;   in Loop: Header=BB69_6 Depth=1
	v_mov_b32_e32 v14, v13
	v_mov_b32_e32 v42, v0
	s_mov_b32 s29, 0
                                        ; implicit-def: $sgpr28
	s_branch .LBB69_134
.LBB69_133:                             ;   in Loop: Header=BB69_134 Depth=2
	s_or_b32 exec_lo, exec_lo, s11
	s_waitcnt vmcnt(0) lgkmcnt(0)
	s_barrier
	buffer_gl0_inv
	ds_load_b128 v[7:10], v15 offset:3072
	v_add_nc_u32_e32 v42, s42, v42
	v_add_nc_u32_e32 v14, s44, v14
	s_waitcnt lgkmcnt(0)
	s_barrier
	buffer_gl0_inv
	v_cmp_le_u32_e64 s11, s61, v42
	v_cmp_neq_f64_e32 vcc_lo, 0, v[7:8]
	s_delay_alu instid0(VALU_DEP_2) | instskip(NEXT) | instid1(SALU_CYCLE_1)
	s_or_b32 s11, s11, vcc_lo
	s_and_b32 s11, exec_lo, s11
	s_delay_alu instid0(SALU_CYCLE_1) | instskip(SKIP_2) | instid1(SALU_CYCLE_1)
	s_or_b32 s29, s11, s29
	s_and_not1_b32 s11, s28, exec_lo
	s_and_b32 s28, vcc_lo, exec_lo
	s_or_b32 s28, s11, s28
	s_and_not1_b32 exec_lo, exec_lo, s29
	s_cbranch_execz .LBB69_139
.LBB69_134:                             ;   Parent Loop BB69_6 Depth=1
                                        ; =>  This Inner Loop Header: Depth=2
	v_mov_b32_e32 v3, 0
	v_mov_b32_e32 v4, 0
	v_cmp_gt_u32_e32 vcc_lo, s36, v42
	s_and_saveexec_b32 s79, vcc_lo
	s_cbranch_execz .LBB69_136
; %bb.135:                              ;   in Loop: Header=BB69_134 Depth=2
	v_lshlrev_b64 v[3:4], 3, v[14:15]
	s_delay_alu instid0(VALU_DEP_1) | instskip(NEXT) | instid1(VALU_DEP_1)
	v_add_co_u32 v3, s11, s31, v3
	v_add_co_ci_u32_e64 v4, s11, s33, v4, s11
	global_load_b64 v[3:4], v[3:4], off
.LBB69_136:                             ;   in Loop: Header=BB69_134 Depth=2
	s_or_b32 exec_lo, exec_lo, s79
	s_and_saveexec_b32 s11, vcc_lo
	s_cbranch_execz .LBB69_133
; %bb.137:                              ;   in Loop: Header=BB69_134 Depth=2
	s_waitcnt vmcnt(0)
	v_cmp_o_f64_e32 vcc_lo, v[3:4], v[3:4]
	v_ashrrev_i32_e32 v1, 31, v4
	s_delay_alu instid0(VALU_DEP_1) | instskip(SKIP_1) | instid1(VALU_DEP_2)
	v_or_b32_e32 v7, 0x80000000, v1
	v_xor_b32_e32 v1, v1, v3
	v_xor_b32_e32 v7, v7, v4
	s_delay_alu instid0(VALU_DEP_1) | instskip(NEXT) | instid1(VALU_DEP_1)
	v_cndmask_b32_e32 v7, -1, v7, vcc_lo
	v_dual_cndmask_b32 v1, -1, v1 :: v_dual_and_b32 v8, v7, v26
	s_delay_alu instid0(VALU_DEP_1) | instskip(NEXT) | instid1(VALU_DEP_1)
	v_and_b32_e32 v7, v1, v25
	v_cmp_eq_u64_e32 vcc_lo, v[7:8], v[23:24]
	s_and_b32 exec_lo, exec_lo, vcc_lo
	s_cbranch_execz .LBB69_133
; %bb.138:                              ;   in Loop: Header=BB69_134 Depth=2
	v_mov_b32_e32 v1, v15
	ds_store_b128 v15, v[1:4] offset:3072
	s_branch .LBB69_133
.LBB69_139:                             ;   in Loop: Header=BB69_6 Depth=1
	s_or_b32 exec_lo, exec_lo, s29
	s_delay_alu instid0(SALU_CYCLE_1)
	s_and_b32 s11, s28, exec_lo
.LBB69_140:                             ;   in Loop: Header=BB69_6 Depth=1
	s_or_b32 exec_lo, exec_lo, s27
	s_mov_b32 s29, -1
	s_mov_b32 s27, 0
	s_mov_b32 s28, 0
.LBB69_141:                             ;   in Loop: Header=BB69_6 Depth=1
	s_or_not1_b32 s11, s11, exec_lo
.LBB69_142:                             ;   in Loop: Header=BB69_6 Depth=1
	s_or_b32 exec_lo, exec_lo, s77
	s_mov_b32 s79, 0
                                        ; implicit-def: $vgpr1
	s_and_saveexec_b32 s77, s11
	s_cbranch_execz .LBB69_235
; %bb.143:                              ;   in Loop: Header=BB69_6 Depth=1
	v_dual_mov_b32 v42, 1 :: v_dual_mov_b32 v1, 1
	s_xor_b32 s78, s78, -1
	s_mov_b32 s80, 0
	s_and_saveexec_b32 s11, s78
	s_cbranch_execz .LBB69_153
; %bb.144:                              ;   in Loop: Header=BB69_6 Depth=1
	s_mov_b32 s79, exec_lo
                                        ; implicit-def: $sgpr80
                                        ; implicit-def: $sgpr78
	v_cmpx_ge_u32_e64 s18, v41
	s_xor_b32 s79, exec_lo, s79
	s_cbranch_execz .LBB69_150
; %bb.145:                              ;   in Loop: Header=BB69_6 Depth=1
	ds_load_b32 v1, v15 offset:4096
	s_waitcnt lgkmcnt(0)
	v_cmp_ne_u32_e32 vcc_lo, 0, v1
	s_cbranch_vccnz .LBB69_149
; %bb.146:                              ;   in Loop: Header=BB69_6 Depth=1
	s_and_saveexec_b32 s78, s5
	s_cbranch_execz .LBB69_148
; %bb.147:                              ;   in Loop: Header=BB69_6 Depth=1
	v_mov_b32_e32 v1, s18
	ds_store_b32 v15, v1 offset:4100
.LBB69_148:                             ;   in Loop: Header=BB69_6 Depth=1
	s_or_b32 exec_lo, exec_lo, s78
	s_waitcnt lgkmcnt(0)
	s_barrier
	buffer_gl0_inv
.LBB69_149:                             ;   in Loop: Header=BB69_6 Depth=1
	v_and_b32_e32 v1, s15, v24
	v_and_b32_e32 v3, s14, v23
	s_lshl_b64 s[80:81], 1, s19
	v_or_b32_e32 v26, s13, v26
	v_or_b32_e32 v25, s12, v25
	v_or_b32_e32 v24, s81, v1
	v_or_b32_e32 v23, s80, v3
	s_mov_b32 s78, 0
	s_mov_b32 s80, 8
.LBB69_150:                             ;   in Loop: Header=BB69_6 Depth=1
	s_or_saveexec_b32 s79, s79
	v_mov_b32_e32 v1, s80
	s_xor_b32 exec_lo, exec_lo, s79
; %bb.151:                              ;   in Loop: Header=BB69_6 Depth=1
	v_subrev_nc_u32_e32 v41, s18, v41
	v_mov_b32_e32 v1, 0
	s_or_b32 s78, s78, exec_lo
; %bb.152:                              ;   in Loop: Header=BB69_6 Depth=1
	s_or_b32 exec_lo, exec_lo, s79
	s_delay_alu instid0(VALU_DEP_2)
	v_mov_b32_e32 v42, v41
	s_and_b32 s80, s78, exec_lo
.LBB69_153:                             ;   in Loop: Header=BB69_6 Depth=1
	s_or_b32 exec_lo, exec_lo, s11
	s_mov_b32 s11, -1
                                        ; implicit-def: $sgpr79
                                        ; implicit-def: $sgpr81
                                        ; implicit-def: $sgpr82
	s_and_saveexec_b32 s78, s80
	s_cbranch_execz .LBB69_234
; %bb.154:                              ;   in Loop: Header=BB69_6 Depth=1
	v_cmp_eq_u32_e32 vcc_lo, 1, v42
	s_cmp_eq_u32 s20, 1
                                        ; implicit-def: $sgpr79
                                        ; implicit-def: $sgpr81
                                        ; implicit-def: $sgpr80
	s_cselect_b32 s11, -1, 0
	s_delay_alu instid0(SALU_CYCLE_1)
	s_and_b32 s83, s11, vcc_lo
	s_mov_b32 s11, -1
	s_and_saveexec_b32 s82, s83
	s_cbranch_execz .LBB69_180
; %bb.155:                              ;   in Loop: Header=BB69_6 Depth=1
	ds_load_b32 v1, v15 offset:4096
	s_waitcnt lgkmcnt(0)
	s_barrier
	buffer_gl0_inv
	v_readfirstlane_b32 s79, v1
	s_and_saveexec_b32 s11, s6
	s_cbranch_execz .LBB69_157
; %bb.156:                              ;   in Loop: Header=BB69_6 Depth=1
	v_mov_b32_e32 v14, v15
	ds_store_b64 v32, v[14:15]
.LBB69_157:                             ;   in Loop: Header=BB69_6 Depth=1
	s_or_b32 exec_lo, exec_lo, s11
	v_and_b32_e32 v1, s15, v24
	v_and_b32_e32 v3, s14, v23
	s_lshl_b64 s[80:81], 2, s19
	v_or_b32_e32 v26, s13, v26
	v_or_b32_e32 v25, s12, v25
	;; [unrolled: 1-line block ×4, first 2 shown]
	s_cmp_eq_u32 s79, 0
	s_waitcnt lgkmcnt(0)
	s_barrier
	buffer_gl0_inv
	s_cbranch_scc1 .LBB69_166
; %bb.158:                              ;   in Loop: Header=BB69_6 Depth=1
	s_add_i32 s11, s79, s53
                                        ; implicit-def: $vgpr9_vgpr10
	s_delay_alu instid0(SALU_CYCLE_1) | instskip(NEXT) | instid1(SALU_CYCLE_1)
	s_mul_hi_u32 s80, s11, s60
	s_mul_i32 s80, s80, s42
	s_delay_alu instid0(SALU_CYCLE_1) | instskip(NEXT) | instid1(SALU_CYCLE_1)
	s_sub_i32 s80, s11, s80
	s_sub_i32 s81, s80, s42
	s_cmp_ge_u32 s80, s42
	s_cselect_b32 s80, s81, s80
	s_delay_alu instid0(SALU_CYCLE_1) | instskip(SKIP_2) | instid1(SALU_CYCLE_1)
	s_sub_i32 s81, s80, s42
	s_cmp_ge_u32 s80, s42
	s_cselect_b32 s80, s81, s80
	s_sub_i32 s81, s11, s80
	s_mov_b32 s11, 0
	s_mov_b32 s80, exec_lo
	v_cmpx_gt_u32_e64 s81, v0
	s_cbranch_execz .LBB69_168
; %bb.159:                              ;   in Loop: Header=BB69_6 Depth=1
	v_dual_mov_b32 v14, v30 :: v_dual_mov_b32 v41, v0
	s_mov_b32 s85, 0
                                        ; implicit-def: $sgpr84
	s_set_inst_prefetch_distance 0x1
	s_branch .LBB69_161
	.p2align	6
.LBB69_160:                             ;   in Loop: Header=BB69_161 Depth=2
	s_or_b32 exec_lo, exec_lo, s11
	s_waitcnt lgkmcnt(0)
	s_barrier
	buffer_gl0_inv
	ds_load_b128 v[7:10], v15 offset:3072
	v_add_nc_u32_e32 v41, s42, v41
	v_add_nc_u32_e32 v14, s64, v14
	s_waitcnt lgkmcnt(0)
	s_barrier
	buffer_gl0_inv
	v_cmp_le_u32_e64 s11, s81, v41
	v_cmp_neq_f64_e32 vcc_lo, 0, v[7:8]
	s_delay_alu instid0(VALU_DEP_2) | instskip(NEXT) | instid1(SALU_CYCLE_1)
	s_or_b32 s11, s11, vcc_lo
	s_and_b32 s11, exec_lo, s11
	s_delay_alu instid0(SALU_CYCLE_1) | instskip(SKIP_2) | instid1(SALU_CYCLE_1)
	s_or_b32 s85, s11, s85
	s_and_not1_b32 s11, s84, exec_lo
	s_and_b32 s84, vcc_lo, exec_lo
	s_or_b32 s84, s11, s84
	s_and_not1_b32 exec_lo, exec_lo, s85
	s_cbranch_execz .LBB69_167
.LBB69_161:                             ;   Parent Loop BB69_6 Depth=1
                                        ; =>  This Inner Loop Header: Depth=2
	v_mov_b32_e32 v3, 0
	v_mov_b32_e32 v4, 0
	v_cmp_gt_u32_e32 vcc_lo, s79, v41
	s_and_saveexec_b32 s11, vcc_lo
	s_cbranch_execz .LBB69_163
; %bb.162:                              ;   in Loop: Header=BB69_161 Depth=2
	ds_load_b64 v[3:4], v14
.LBB69_163:                             ;   in Loop: Header=BB69_161 Depth=2
	s_or_b32 exec_lo, exec_lo, s11
	s_and_saveexec_b32 s11, vcc_lo
	s_cbranch_execz .LBB69_160
; %bb.164:                              ;   in Loop: Header=BB69_161 Depth=2
	s_waitcnt lgkmcnt(0)
	v_cmp_o_f64_e32 vcc_lo, v[3:4], v[3:4]
	v_ashrrev_i32_e32 v1, 31, v4
	s_delay_alu instid0(VALU_DEP_1) | instskip(SKIP_1) | instid1(VALU_DEP_2)
	v_or_b32_e32 v7, 0x80000000, v1
	v_xor_b32_e32 v1, v1, v3
	v_xor_b32_e32 v7, v7, v4
	s_delay_alu instid0(VALU_DEP_1) | instskip(NEXT) | instid1(VALU_DEP_1)
	v_cndmask_b32_e32 v7, -1, v7, vcc_lo
	v_dual_cndmask_b32 v1, -1, v1 :: v_dual_and_b32 v8, v7, v26
	s_delay_alu instid0(VALU_DEP_1) | instskip(NEXT) | instid1(VALU_DEP_1)
	v_and_b32_e32 v7, v1, v25
	v_cmp_eq_u64_e32 vcc_lo, v[7:8], v[23:24]
	s_and_b32 exec_lo, exec_lo, vcc_lo
	s_cbranch_execz .LBB69_160
; %bb.165:                              ;   in Loop: Header=BB69_161 Depth=2
	v_mov_b32_e32 v1, v15
	ds_store_b128 v15, v[1:4] offset:3072
	s_branch .LBB69_160
.LBB69_166:                             ;   in Loop: Header=BB69_6 Depth=1
	s_mov_b32 s79, -1
	s_mov_b32 s11, 0
                                        ; implicit-def: $sgpr80
                                        ; implicit-def: $vgpr9_vgpr10
	s_mov_b32 s81, s79
	s_cbranch_execnz .LBB69_169
	s_branch .LBB69_179
.LBB69_167:                             ;   in Loop: Header=BB69_6 Depth=1
	s_set_inst_prefetch_distance 0x2
	s_or_b32 exec_lo, exec_lo, s85
	s_delay_alu instid0(SALU_CYCLE_1)
	s_and_b32 s11, s84, exec_lo
.LBB69_168:                             ;   in Loop: Header=BB69_6 Depth=1
	s_or_b32 exec_lo, exec_lo, s80
	s_mov_b32 s80, -1
	s_mov_b32 s79, 0
	s_delay_alu instid0(SALU_CYCLE_1)
	s_mov_b32 s81, s79
	s_branch .LBB69_179
.LBB69_169:                             ;   in Loop: Header=BB69_6 Depth=1
	s_mov_b32 s11, 0
                                        ; implicit-def: $vgpr9_vgpr10
	s_and_saveexec_b32 s79, s9
	s_cbranch_execz .LBB69_178
; %bb.170:                              ;   in Loop: Header=BB69_6 Depth=1
	v_dual_mov_b32 v14, v13 :: v_dual_mov_b32 v41, v0
	s_mov_b32 s81, 0
                                        ; implicit-def: $sgpr80
	s_branch .LBB69_172
.LBB69_171:                             ;   in Loop: Header=BB69_172 Depth=2
	s_or_b32 exec_lo, exec_lo, s11
	s_waitcnt vmcnt(0) lgkmcnt(0)
	s_barrier
	buffer_gl0_inv
	ds_load_b128 v[7:10], v15 offset:3072
	v_add_nc_u32_e32 v41, s42, v41
	v_add_nc_u32_e32 v14, s44, v14
	s_waitcnt lgkmcnt(0)
	s_barrier
	buffer_gl0_inv
	v_cmp_le_u32_e64 s11, s61, v41
	v_cmp_neq_f64_e32 vcc_lo, 0, v[7:8]
	s_delay_alu instid0(VALU_DEP_2) | instskip(NEXT) | instid1(SALU_CYCLE_1)
	s_or_b32 s11, s11, vcc_lo
	s_and_b32 s11, exec_lo, s11
	s_delay_alu instid0(SALU_CYCLE_1) | instskip(SKIP_2) | instid1(SALU_CYCLE_1)
	s_or_b32 s81, s11, s81
	s_and_not1_b32 s11, s80, exec_lo
	s_and_b32 s80, vcc_lo, exec_lo
	s_or_b32 s80, s11, s80
	s_and_not1_b32 exec_lo, exec_lo, s81
	s_cbranch_execz .LBB69_177
.LBB69_172:                             ;   Parent Loop BB69_6 Depth=1
                                        ; =>  This Inner Loop Header: Depth=2
	v_mov_b32_e32 v3, 0
	v_mov_b32_e32 v4, 0
	v_cmp_gt_u32_e32 vcc_lo, s36, v41
	s_and_saveexec_b32 s84, vcc_lo
	s_cbranch_execz .LBB69_174
; %bb.173:                              ;   in Loop: Header=BB69_172 Depth=2
	v_lshlrev_b64 v[3:4], 3, v[14:15]
	s_delay_alu instid0(VALU_DEP_1) | instskip(NEXT) | instid1(VALU_DEP_1)
	v_add_co_u32 v3, s11, s31, v3
	v_add_co_ci_u32_e64 v4, s11, s33, v4, s11
	global_load_b64 v[3:4], v[3:4], off
.LBB69_174:                             ;   in Loop: Header=BB69_172 Depth=2
	s_or_b32 exec_lo, exec_lo, s84
	s_and_saveexec_b32 s11, vcc_lo
	s_cbranch_execz .LBB69_171
; %bb.175:                              ;   in Loop: Header=BB69_172 Depth=2
	s_waitcnt vmcnt(0)
	v_cmp_o_f64_e32 vcc_lo, v[3:4], v[3:4]
	v_ashrrev_i32_e32 v1, 31, v4
	s_delay_alu instid0(VALU_DEP_1) | instskip(SKIP_1) | instid1(VALU_DEP_2)
	v_or_b32_e32 v7, 0x80000000, v1
	v_xor_b32_e32 v1, v1, v3
	v_xor_b32_e32 v7, v7, v4
	s_delay_alu instid0(VALU_DEP_1) | instskip(NEXT) | instid1(VALU_DEP_1)
	v_cndmask_b32_e32 v7, -1, v7, vcc_lo
	v_dual_cndmask_b32 v1, -1, v1 :: v_dual_and_b32 v8, v7, v26
	s_delay_alu instid0(VALU_DEP_1) | instskip(NEXT) | instid1(VALU_DEP_1)
	v_and_b32_e32 v7, v1, v25
	v_cmp_eq_u64_e32 vcc_lo, v[7:8], v[23:24]
	s_and_b32 exec_lo, exec_lo, vcc_lo
	s_cbranch_execz .LBB69_171
; %bb.176:                              ;   in Loop: Header=BB69_172 Depth=2
	v_mov_b32_e32 v1, v15
	ds_store_b128 v15, v[1:4] offset:3072
	s_branch .LBB69_171
.LBB69_177:                             ;   in Loop: Header=BB69_6 Depth=1
	s_or_b32 exec_lo, exec_lo, s81
	s_delay_alu instid0(SALU_CYCLE_1)
	s_and_b32 s11, s80, exec_lo
.LBB69_178:                             ;   in Loop: Header=BB69_6 Depth=1
	s_or_b32 exec_lo, exec_lo, s79
	s_mov_b32 s81, -1
	s_mov_b32 s79, 0
	s_mov_b32 s80, 0
.LBB69_179:                             ;   in Loop: Header=BB69_6 Depth=1
	s_or_not1_b32 s11, s11, exec_lo
.LBB69_180:                             ;   in Loop: Header=BB69_6 Depth=1
	s_or_b32 exec_lo, exec_lo, s82
	s_mov_b32 s84, 0
                                        ; implicit-def: $vgpr1
	s_and_saveexec_b32 s82, s11
	s_cbranch_execz .LBB69_233
; %bb.181:                              ;   in Loop: Header=BB69_6 Depth=1
	v_mov_b32_e32 v41, 1
	v_mov_b32_e32 v1, 1
	s_xor_b32 s83, s83, -1
	s_mov_b32 s85, 0
	s_and_saveexec_b32 s11, s83
	s_cbranch_execz .LBB69_191
; %bb.182:                              ;   in Loop: Header=BB69_6 Depth=1
	s_mov_b32 s84, exec_lo
                                        ; implicit-def: $sgpr85
                                        ; implicit-def: $sgpr83
	v_cmpx_ge_u32_e64 s20, v42
	s_xor_b32 s84, exec_lo, s84
	s_cbranch_execz .LBB69_188
; %bb.183:                              ;   in Loop: Header=BB69_6 Depth=1
	ds_load_b32 v1, v15 offset:4096
	s_waitcnt lgkmcnt(0)
	v_cmp_ne_u32_e32 vcc_lo, 0, v1
	s_cbranch_vccnz .LBB69_187
; %bb.184:                              ;   in Loop: Header=BB69_6 Depth=1
	s_and_saveexec_b32 s83, s5
	s_cbranch_execz .LBB69_186
; %bb.185:                              ;   in Loop: Header=BB69_6 Depth=1
	v_mov_b32_e32 v1, s20
	ds_store_b32 v15, v1 offset:4100
.LBB69_186:                             ;   in Loop: Header=BB69_6 Depth=1
	s_or_b32 exec_lo, exec_lo, s83
	s_waitcnt lgkmcnt(0)
	s_barrier
	buffer_gl0_inv
.LBB69_187:                             ;   in Loop: Header=BB69_6 Depth=1
	v_and_b32_e32 v1, s15, v24
	v_and_b32_e32 v3, s14, v23
	s_lshl_b64 s[86:87], 2, s19
	v_or_b32_e32 v26, s13, v26
	v_or_b32_e32 v25, s12, v25
	;; [unrolled: 1-line block ×4, first 2 shown]
	s_mov_b32 s83, 0
	s_mov_b32 s85, 8
.LBB69_188:                             ;   in Loop: Header=BB69_6 Depth=1
	s_or_saveexec_b32 s84, s84
	v_mov_b32_e32 v1, s85
	s_xor_b32 exec_lo, exec_lo, s84
; %bb.189:                              ;   in Loop: Header=BB69_6 Depth=1
	v_subrev_nc_u32_e32 v42, s20, v42
	v_mov_b32_e32 v1, 0
	s_or_b32 s83, s83, exec_lo
; %bb.190:                              ;   in Loop: Header=BB69_6 Depth=1
	s_or_b32 exec_lo, exec_lo, s84
	s_delay_alu instid0(VALU_DEP_2)
	v_mov_b32_e32 v41, v42
	s_and_b32 s85, s83, exec_lo
.LBB69_191:                             ;   in Loop: Header=BB69_6 Depth=1
	s_or_b32 exec_lo, exec_lo, s11
	s_mov_b32 s84, -1
                                        ; implicit-def: $sgpr11
                                        ; implicit-def: $sgpr87
                                        ; implicit-def: $sgpr86
	s_and_saveexec_b32 s83, s85
	s_cbranch_execz .LBB69_232
; %bb.192:                              ;   in Loop: Header=BB69_6 Depth=1
	v_cmp_eq_u32_e32 vcc_lo, 1, v41
	s_cmp_eq_u32 s21, 1
	s_mov_b32 s88, -1
	s_cselect_b32 s11, -1, 0
                                        ; implicit-def: $sgpr87
                                        ; implicit-def: $sgpr86
	s_delay_alu instid0(SALU_CYCLE_1) | instskip(NEXT) | instid1(SALU_CYCLE_1)
	s_and_b32 s84, s11, vcc_lo
                                        ; implicit-def: $sgpr11
	s_and_saveexec_b32 s85, s84
	s_cbranch_execz .LBB69_219
; %bb.193:                              ;   in Loop: Header=BB69_6 Depth=1
	ds_load_b32 v1, v15 offset:4096
	s_waitcnt lgkmcnt(0)
	s_barrier
	buffer_gl0_inv
	v_readfirstlane_b32 s86, v1
	s_and_saveexec_b32 s11, s6
	s_cbranch_execz .LBB69_195
; %bb.194:                              ;   in Loop: Header=BB69_6 Depth=1
	v_mov_b32_e32 v14, v15
	ds_store_b64 v32, v[14:15]
.LBB69_195:                             ;   in Loop: Header=BB69_6 Depth=1
	s_or_b32 exec_lo, exec_lo, s11
	v_or_b32_e32 v24, s13, v24
	v_or_b32_e32 v23, s12, v23
	v_or_b32_e32 v26, s13, v26
	v_or_b32_e32 v25, s12, v25
	s_cmp_eq_u32 s86, 0
	s_waitcnt lgkmcnt(0)
	s_barrier
	buffer_gl0_inv
	s_cbranch_scc1 .LBB69_204
; %bb.196:                              ;   in Loop: Header=BB69_6 Depth=1
	s_add_i32 s11, s86, s53
	s_mov_b32 s89, 0
	s_mul_hi_u32 s87, s11, s60
                                        ; implicit-def: $vgpr9_vgpr10
	s_delay_alu instid0(SALU_CYCLE_1) | instskip(NEXT) | instid1(SALU_CYCLE_1)
	s_mul_i32 s87, s87, s42
	s_sub_i32 s87, s11, s87
	s_delay_alu instid0(SALU_CYCLE_1) | instskip(SKIP_2) | instid1(SALU_CYCLE_1)
	s_sub_i32 s88, s87, s42
	s_cmp_ge_u32 s87, s42
	s_cselect_b32 s87, s88, s87
	s_sub_i32 s88, s87, s42
	s_cmp_ge_u32 s87, s42
	s_cselect_b32 s87, s88, s87
	s_delay_alu instid0(SALU_CYCLE_1)
	s_sub_i32 s88, s11, s87
	s_mov_b32 s87, exec_lo
	v_cmpx_gt_u32_e64 s88, v0
	s_cbranch_execz .LBB69_206
; %bb.197:                              ;   in Loop: Header=BB69_6 Depth=1
	v_mov_b32_e32 v14, v30
	v_mov_b32_e32 v42, v0
	s_mov_b32 s90, 0
                                        ; implicit-def: $sgpr89
	s_set_inst_prefetch_distance 0x1
	s_branch .LBB69_199
	.p2align	6
.LBB69_198:                             ;   in Loop: Header=BB69_199 Depth=2
	s_or_b32 exec_lo, exec_lo, s11
	s_waitcnt lgkmcnt(0)
	s_barrier
	buffer_gl0_inv
	ds_load_b128 v[7:10], v15 offset:3072
	v_add_nc_u32_e32 v42, s42, v42
	v_add_nc_u32_e32 v14, s64, v14
	s_waitcnt lgkmcnt(0)
	s_barrier
	buffer_gl0_inv
	v_cmp_le_u32_e64 s11, s88, v42
	v_cmp_neq_f64_e32 vcc_lo, 0, v[7:8]
	s_delay_alu instid0(VALU_DEP_2) | instskip(NEXT) | instid1(SALU_CYCLE_1)
	s_or_b32 s11, s11, vcc_lo
	s_and_b32 s11, exec_lo, s11
	s_delay_alu instid0(SALU_CYCLE_1) | instskip(SKIP_2) | instid1(SALU_CYCLE_1)
	s_or_b32 s90, s11, s90
	s_and_not1_b32 s11, s89, exec_lo
	s_and_b32 s89, vcc_lo, exec_lo
	s_or_b32 s89, s11, s89
	s_and_not1_b32 exec_lo, exec_lo, s90
	s_cbranch_execz .LBB69_205
.LBB69_199:                             ;   Parent Loop BB69_6 Depth=1
                                        ; =>  This Inner Loop Header: Depth=2
	v_mov_b32_e32 v3, 0
	v_mov_b32_e32 v4, 0
	v_cmp_gt_u32_e32 vcc_lo, s86, v42
	s_and_saveexec_b32 s11, vcc_lo
	s_cbranch_execz .LBB69_201
; %bb.200:                              ;   in Loop: Header=BB69_199 Depth=2
	ds_load_b64 v[3:4], v14
.LBB69_201:                             ;   in Loop: Header=BB69_199 Depth=2
	s_or_b32 exec_lo, exec_lo, s11
	s_and_saveexec_b32 s11, vcc_lo
	s_cbranch_execz .LBB69_198
; %bb.202:                              ;   in Loop: Header=BB69_199 Depth=2
	s_waitcnt lgkmcnt(0)
	v_cmp_o_f64_e32 vcc_lo, v[3:4], v[3:4]
	v_ashrrev_i32_e32 v1, 31, v4
	s_delay_alu instid0(VALU_DEP_1) | instskip(SKIP_1) | instid1(VALU_DEP_2)
	v_or_b32_e32 v7, 0x80000000, v1
	v_xor_b32_e32 v1, v1, v3
	v_xor_b32_e32 v7, v7, v4
	s_delay_alu instid0(VALU_DEP_1) | instskip(NEXT) | instid1(VALU_DEP_1)
	v_cndmask_b32_e32 v7, -1, v7, vcc_lo
	v_dual_cndmask_b32 v1, -1, v1 :: v_dual_and_b32 v8, v7, v26
	s_delay_alu instid0(VALU_DEP_1) | instskip(NEXT) | instid1(VALU_DEP_1)
	v_and_b32_e32 v7, v1, v25
	v_cmp_eq_u64_e32 vcc_lo, v[7:8], v[23:24]
	s_and_b32 exec_lo, exec_lo, vcc_lo
	s_cbranch_execz .LBB69_198
; %bb.203:                              ;   in Loop: Header=BB69_199 Depth=2
	v_mov_b32_e32 v1, v15
	ds_store_b128 v15, v[1:4] offset:3072
	s_branch .LBB69_198
.LBB69_204:                             ;   in Loop: Header=BB69_6 Depth=1
	s_mov_b32 s11, -1
	s_mov_b32 s89, 0
                                        ; implicit-def: $sgpr86
                                        ; implicit-def: $vgpr9_vgpr10
	s_branch .LBB69_207
.LBB69_205:                             ;   in Loop: Header=BB69_6 Depth=1
	s_set_inst_prefetch_distance 0x2
	s_or_b32 exec_lo, exec_lo, s90
	s_delay_alu instid0(SALU_CYCLE_1)
	s_and_b32 s89, s89, exec_lo
.LBB69_206:                             ;   in Loop: Header=BB69_6 Depth=1
	s_or_b32 exec_lo, exec_lo, s87
	s_mov_b32 s86, -1
	s_mov_b32 s11, 0
.LBB69_207:                             ;   in Loop: Header=BB69_6 Depth=1
	s_delay_alu instid0(SALU_CYCLE_1)
	s_and_b32 vcc_lo, exec_lo, s11
	s_mov_b32 s87, s11
	s_cbranch_vccz .LBB69_218
; %bb.208:                              ;   in Loop: Header=BB69_6 Depth=1
	s_mov_b32 s89, 0
                                        ; implicit-def: $vgpr9_vgpr10
	s_and_saveexec_b32 s86, s9
	s_cbranch_execz .LBB69_217
; %bb.209:                              ;   in Loop: Header=BB69_6 Depth=1
	v_mov_b32_e32 v14, v13
	v_mov_b32_e32 v42, v0
	s_mov_b32 s88, 0
                                        ; implicit-def: $sgpr87
	s_branch .LBB69_211
.LBB69_210:                             ;   in Loop: Header=BB69_211 Depth=2
	s_or_b32 exec_lo, exec_lo, s11
	s_waitcnt vmcnt(0) lgkmcnt(0)
	s_barrier
	buffer_gl0_inv
	ds_load_b128 v[7:10], v15 offset:3072
	v_add_nc_u32_e32 v42, s42, v42
	v_add_nc_u32_e32 v14, s44, v14
	s_waitcnt lgkmcnt(0)
	s_barrier
	buffer_gl0_inv
	v_cmp_le_u32_e64 s11, s61, v42
	v_cmp_neq_f64_e32 vcc_lo, 0, v[7:8]
	s_delay_alu instid0(VALU_DEP_2) | instskip(NEXT) | instid1(SALU_CYCLE_1)
	s_or_b32 s11, s11, vcc_lo
	s_and_b32 s11, exec_lo, s11
	s_delay_alu instid0(SALU_CYCLE_1) | instskip(SKIP_2) | instid1(SALU_CYCLE_1)
	s_or_b32 s88, s11, s88
	s_and_not1_b32 s11, s87, exec_lo
	s_and_b32 s87, vcc_lo, exec_lo
	s_or_b32 s87, s11, s87
	s_and_not1_b32 exec_lo, exec_lo, s88
	s_cbranch_execz .LBB69_216
.LBB69_211:                             ;   Parent Loop BB69_6 Depth=1
                                        ; =>  This Inner Loop Header: Depth=2
	v_mov_b32_e32 v3, 0
	v_mov_b32_e32 v4, 0
	v_cmp_gt_u32_e32 vcc_lo, s36, v42
	s_and_saveexec_b32 s89, vcc_lo
	s_cbranch_execz .LBB69_213
; %bb.212:                              ;   in Loop: Header=BB69_211 Depth=2
	v_lshlrev_b64 v[3:4], 3, v[14:15]
	s_delay_alu instid0(VALU_DEP_1) | instskip(NEXT) | instid1(VALU_DEP_1)
	v_add_co_u32 v3, s11, s31, v3
	v_add_co_ci_u32_e64 v4, s11, s33, v4, s11
	global_load_b64 v[3:4], v[3:4], off
.LBB69_213:                             ;   in Loop: Header=BB69_211 Depth=2
	s_or_b32 exec_lo, exec_lo, s89
	s_and_saveexec_b32 s11, vcc_lo
	s_cbranch_execz .LBB69_210
; %bb.214:                              ;   in Loop: Header=BB69_211 Depth=2
	s_waitcnt vmcnt(0)
	v_cmp_o_f64_e32 vcc_lo, v[3:4], v[3:4]
	v_ashrrev_i32_e32 v1, 31, v4
	s_delay_alu instid0(VALU_DEP_1) | instskip(SKIP_1) | instid1(VALU_DEP_2)
	v_or_b32_e32 v7, 0x80000000, v1
	v_xor_b32_e32 v1, v1, v3
	v_xor_b32_e32 v7, v7, v4
	s_delay_alu instid0(VALU_DEP_1) | instskip(NEXT) | instid1(VALU_DEP_1)
	v_cndmask_b32_e32 v7, -1, v7, vcc_lo
	v_dual_cndmask_b32 v1, -1, v1 :: v_dual_and_b32 v8, v7, v26
	s_delay_alu instid0(VALU_DEP_1) | instskip(NEXT) | instid1(VALU_DEP_1)
	v_and_b32_e32 v7, v1, v25
	v_cmp_eq_u64_e32 vcc_lo, v[7:8], v[23:24]
	s_and_b32 exec_lo, exec_lo, vcc_lo
	s_cbranch_execz .LBB69_210
; %bb.215:                              ;   in Loop: Header=BB69_211 Depth=2
	v_mov_b32_e32 v1, v15
	ds_store_b128 v15, v[1:4] offset:3072
	s_branch .LBB69_210
.LBB69_216:                             ;   in Loop: Header=BB69_6 Depth=1
	s_or_b32 exec_lo, exec_lo, s88
	s_delay_alu instid0(SALU_CYCLE_1)
	s_and_b32 s89, s87, exec_lo
.LBB69_217:                             ;   in Loop: Header=BB69_6 Depth=1
	s_or_b32 exec_lo, exec_lo, s86
	s_mov_b32 s87, -1
	s_mov_b32 s11, 0
	s_mov_b32 s86, 0
.LBB69_218:                             ;   in Loop: Header=BB69_6 Depth=1
	s_or_not1_b32 s88, s89, exec_lo
.LBB69_219:                             ;   in Loop: Header=BB69_6 Depth=1
	s_or_b32 exec_lo, exec_lo, s85
	s_mov_b32 s89, 0
                                        ; implicit-def: $vgpr1
                                        ; implicit-def: $vgpr3
	s_and_saveexec_b32 s85, s88
	s_cbranch_execz .LBB69_231
; %bb.220:                              ;   in Loop: Header=BB69_6 Depth=1
	v_mov_b32_e32 v1, 1
	v_mov_b32_e32 v3, 1
	s_xor_b32 s88, s84, -1
	s_delay_alu instid0(SALU_CYCLE_1)
	s_and_saveexec_b32 s84, s88
	s_cbranch_execz .LBB69_230
; %bb.221:                              ;   in Loop: Header=BB69_6 Depth=1
	s_mov_b32 s88, exec_lo
                                        ; implicit-def: $sgpr89
	v_cmpx_ge_u32_e64 s21, v41
	s_xor_b32 s88, exec_lo, s88
	s_cbranch_execz .LBB69_227
; %bb.222:                              ;   in Loop: Header=BB69_6 Depth=1
	ds_load_b32 v1, v15 offset:4096
	s_waitcnt lgkmcnt(0)
	v_cmp_ne_u32_e32 vcc_lo, 0, v1
	s_cbranch_vccnz .LBB69_226
; %bb.223:                              ;   in Loop: Header=BB69_6 Depth=1
	s_and_saveexec_b32 s89, s5
	s_cbranch_execz .LBB69_225
; %bb.224:                              ;   in Loop: Header=BB69_6 Depth=1
	v_mov_b32_e32 v1, s21
	ds_store_b32 v15, v1 offset:4100
.LBB69_225:                             ;   in Loop: Header=BB69_6 Depth=1
	s_or_b32 exec_lo, exec_lo, s89
	s_waitcnt lgkmcnt(0)
	s_barrier
	buffer_gl0_inv
.LBB69_226:                             ;   in Loop: Header=BB69_6 Depth=1
	v_or_b32_e32 v24, s13, v24
	v_or_b32_e32 v23, s12, v23
	;; [unrolled: 1-line block ×4, first 2 shown]
	s_mov_b32 s89, 8
.LBB69_227:                             ;   in Loop: Header=BB69_6 Depth=1
	s_or_saveexec_b32 s88, s88
	v_mov_b32_e32 v1, s89
	s_xor_b32 exec_lo, exec_lo, s88
; %bb.228:                              ;   in Loop: Header=BB69_6 Depth=1
	v_subrev_nc_u32_e32 v41, s21, v41
	v_mov_b32_e32 v1, 8
; %bb.229:                              ;   in Loop: Header=BB69_6 Depth=1
	s_or_b32 exec_lo, exec_lo, s88
	s_delay_alu instid0(VALU_DEP_2)
	v_mov_b32_e32 v3, v41
.LBB69_230:                             ;   in Loop: Header=BB69_6 Depth=1
	s_or_b32 exec_lo, exec_lo, s84
	s_delay_alu instid0(SALU_CYCLE_1)
	s_mov_b32 s89, exec_lo
.LBB69_231:                             ;   in Loop: Header=BB69_6 Depth=1
	s_or_b32 exec_lo, exec_lo, s85
	s_delay_alu instid0(VALU_DEP_1)
	v_mov_b32_e32 v41, v3
	s_or_not1_b32 s84, s89, exec_lo
.LBB69_232:                             ;   in Loop: Header=BB69_6 Depth=1
	s_or_b32 exec_lo, exec_lo, s83
	s_delay_alu instid0(SALU_CYCLE_1)
	s_and_not1_b32 s79, s79, exec_lo
	s_and_b32 s11, s11, exec_lo
	v_mov_b32_e32 v42, v41
	s_or_b32 s79, s79, s11
	s_and_not1_b32 s11, s81, exec_lo
	s_and_b32 s81, s87, exec_lo
	s_and_not1_b32 s80, s80, exec_lo
	s_and_b32 s83, s86, exec_lo
	s_or_b32 s81, s11, s81
	s_or_b32 s80, s80, s83
	s_and_b32 s84, s84, exec_lo
.LBB69_233:                             ;   in Loop: Header=BB69_6 Depth=1
	s_or_b32 exec_lo, exec_lo, s82
	s_delay_alu instid0(SALU_CYCLE_1)
	s_and_b32 s82, s79, exec_lo
	s_and_b32 s81, s81, exec_lo
	;; [unrolled: 1-line block ×3, first 2 shown]
	s_or_not1_b32 s11, s84, exec_lo
.LBB69_234:                             ;   in Loop: Header=BB69_6 Depth=1
	s_or_b32 exec_lo, exec_lo, s78
	s_delay_alu instid0(SALU_CYCLE_1)
	s_and_not1_b32 s27, s27, exec_lo
	s_and_b32 s78, s82, exec_lo
	v_mov_b32_e32 v41, v42
	s_or_b32 s27, s27, s78
	s_and_not1_b32 s29, s29, exec_lo
	s_and_b32 s78, s81, exec_lo
	s_and_not1_b32 s28, s28, exec_lo
	s_and_b32 s79, s79, exec_lo
	s_or_b32 s29, s29, s78
	s_or_b32 s28, s28, s79
	s_and_b32 s79, s11, exec_lo
.LBB69_235:                             ;   in Loop: Header=BB69_6 Depth=1
	s_or_b32 exec_lo, exec_lo, s77
	s_delay_alu instid0(SALU_CYCLE_1)
	s_and_b32 s77, s27, exec_lo
	s_and_b32 s29, s29, exec_lo
	;; [unrolled: 1-line block ×3, first 2 shown]
	s_or_not1_b32 s11, s79, exec_lo
.LBB69_236:                             ;   in Loop: Header=BB69_6 Depth=1
	s_or_b32 exec_lo, exec_lo, s22
	s_mov_b32 s22, 0
	s_mov_b32 s28, 0
	s_and_saveexec_b32 s78, s11
	s_delay_alu instid0(SALU_CYCLE_1)
	s_xor_b32 s78, exec_lo, s78
; %bb.237:                              ;   in Loop: Header=BB69_6 Depth=1
	v_cmp_ne_u32_e32 vcc_lo, 8, v1
	v_cmp_eq_u32_e64 s11, 8, v1
	s_and_not1_b32 s77, s77, exec_lo
	s_and_not1_b32 s29, s29, exec_lo
	;; [unrolled: 1-line block ×3, first 2 shown]
	s_and_b32 s28, vcc_lo, exec_lo
	s_and_b32 s22, s11, exec_lo
; %bb.238:                              ;   in Loop: Header=BB69_6 Depth=1
	s_or_b32 exec_lo, exec_lo, s78
	s_delay_alu instid0(SALU_CYCLE_1)
	s_and_not1_b32 s11, s17, exec_lo
	s_and_b32 s17, s77, exec_lo
	s_and_not1_b32 s23, s23, exec_lo
	s_or_b32 s17, s11, s17
	s_and_not1_b32 s11, s24, exec_lo
	s_and_b32 s24, s29, exec_lo
	s_and_b32 s27, s27, exec_lo
	s_or_b32 s24, s11, s24
	s_or_b32 s23, s23, s27
	s_and_b32 s11, s28, exec_lo
	s_and_b32 s22, s22, exec_lo
.LBB69_239:                             ;   in Loop: Header=BB69_6 Depth=1
	s_or_b32 exec_lo, exec_lo, s26
	s_delay_alu instid0(SALU_CYCLE_1)
	s_and_b32 vcc_lo, exec_lo, s25
	s_cbranch_vccz .LBB69_86
.LBB69_240:                             ;   in Loop: Header=BB69_6 Depth=1
	s_delay_alu instid0(VALU_DEP_1) | instskip(SKIP_1) | instid1(SALU_CYCLE_1)
	s_cmp_eq_u32 s21, 1
                                        ; implicit-def: $sgpr25
                                        ; implicit-def: $sgpr26
	s_cselect_b32 s17, -1, 0
	s_and_b32 s24, s17, s10
	s_mov_b32 s10, -1
                                        ; implicit-def: $sgpr17
	s_and_saveexec_b32 s23, s24
	s_cbranch_execz .LBB69_266
; %bb.241:                              ;   in Loop: Header=BB69_6 Depth=1
	ds_load_b32 v1, v15 offset:4096
	s_waitcnt lgkmcnt(0)
	s_barrier
	buffer_gl0_inv
	v_readfirstlane_b32 s17, v1
	s_and_saveexec_b32 s10, s6
	s_cbranch_execz .LBB69_243
; %bb.242:                              ;   in Loop: Header=BB69_6 Depth=1
	v_mov_b32_e32 v14, v15
	ds_store_b64 v32, v[14:15]
.LBB69_243:                             ;   in Loop: Header=BB69_6 Depth=1
	s_or_b32 exec_lo, exec_lo, s10
	v_or_b32_e32 v22, s13, v22
	v_or_b32_e32 v21, s12, v21
	;; [unrolled: 1-line block ×4, first 2 shown]
	s_cmp_eq_u32 s17, 0
	s_waitcnt lgkmcnt(0)
	s_barrier
	buffer_gl0_inv
	s_cbranch_scc1 .LBB69_252
; %bb.244:                              ;   in Loop: Header=BB69_6 Depth=1
	s_add_i32 s10, s17, s53
                                        ; implicit-def: $vgpr5_vgpr6
	s_delay_alu instid0(SALU_CYCLE_1) | instskip(NEXT) | instid1(SALU_CYCLE_1)
	s_mul_hi_u32 s25, s10, s60
	s_mul_i32 s25, s25, s42
	s_delay_alu instid0(SALU_CYCLE_1) | instskip(NEXT) | instid1(SALU_CYCLE_1)
	s_sub_i32 s25, s10, s25
	s_sub_i32 s26, s25, s42
	s_cmp_ge_u32 s25, s42
	s_cselect_b32 s25, s26, s25
	s_delay_alu instid0(SALU_CYCLE_1) | instskip(SKIP_2) | instid1(SALU_CYCLE_1)
	s_sub_i32 s26, s25, s42
	s_cmp_ge_u32 s25, s42
	s_cselect_b32 s25, s26, s25
	s_sub_i32 s26, s10, s25
	s_mov_b32 s10, 0
	s_mov_b32 s25, exec_lo
	v_cmpx_gt_u32_e64 s26, v0
	s_cbranch_execz .LBB69_254
; %bb.245:                              ;   in Loop: Header=BB69_6 Depth=1
	v_dual_mov_b32 v7, v30 :: v_dual_mov_b32 v8, v0
	s_mov_b32 s28, 0
                                        ; implicit-def: $sgpr27
	s_set_inst_prefetch_distance 0x1
	s_branch .LBB69_247
	.p2align	6
.LBB69_246:                             ;   in Loop: Header=BB69_247 Depth=2
	s_or_b32 exec_lo, exec_lo, s10
	s_waitcnt lgkmcnt(0)
	s_barrier
	buffer_gl0_inv
	ds_load_b128 v[3:6], v15 offset:3072
	v_add_nc_u32_e32 v8, s42, v8
	v_add_nc_u32_e32 v7, s64, v7
	s_waitcnt lgkmcnt(0)
	s_barrier
	buffer_gl0_inv
	v_cmp_le_u32_e64 s10, s26, v8
	v_cmp_neq_f64_e32 vcc_lo, 0, v[3:4]
	s_delay_alu instid0(VALU_DEP_2) | instskip(NEXT) | instid1(SALU_CYCLE_1)
	s_or_b32 s10, s10, vcc_lo
	s_and_b32 s10, exec_lo, s10
	s_delay_alu instid0(SALU_CYCLE_1) | instskip(SKIP_2) | instid1(SALU_CYCLE_1)
	s_or_b32 s28, s10, s28
	s_and_not1_b32 s10, s27, exec_lo
	s_and_b32 s27, vcc_lo, exec_lo
	s_or_b32 s27, s10, s27
	s_and_not1_b32 exec_lo, exec_lo, s28
	s_cbranch_execz .LBB69_253
.LBB69_247:                             ;   Parent Loop BB69_6 Depth=1
                                        ; =>  This Inner Loop Header: Depth=2
	v_mov_b32_e32 v3, 0
	v_mov_b32_e32 v4, 0
	v_cmp_gt_u32_e32 vcc_lo, s17, v8
	s_and_saveexec_b32 s10, vcc_lo
	s_cbranch_execz .LBB69_249
; %bb.248:                              ;   in Loop: Header=BB69_247 Depth=2
	ds_load_b64 v[3:4], v7
.LBB69_249:                             ;   in Loop: Header=BB69_247 Depth=2
	s_or_b32 exec_lo, exec_lo, s10
	s_and_saveexec_b32 s10, vcc_lo
	s_cbranch_execz .LBB69_246
; %bb.250:                              ;   in Loop: Header=BB69_247 Depth=2
	s_waitcnt lgkmcnt(0)
	v_cmp_o_f64_e32 vcc_lo, v[3:4], v[3:4]
	v_ashrrev_i32_e32 v1, 31, v4
	s_delay_alu instid0(VALU_DEP_1) | instskip(SKIP_1) | instid1(VALU_DEP_2)
	v_or_b32_e32 v5, 0x80000000, v1
	v_xor_b32_e32 v1, v1, v3
	v_xor_b32_e32 v5, v5, v4
	s_delay_alu instid0(VALU_DEP_1) | instskip(NEXT) | instid1(VALU_DEP_1)
	v_cndmask_b32_e32 v5, -1, v5, vcc_lo
	v_dual_cndmask_b32 v1, -1, v1 :: v_dual_and_b32 v6, v5, v20
	s_delay_alu instid0(VALU_DEP_1) | instskip(NEXT) | instid1(VALU_DEP_1)
	v_and_b32_e32 v5, v1, v19
	v_cmp_eq_u64_e32 vcc_lo, v[5:6], v[21:22]
	s_and_b32 exec_lo, exec_lo, vcc_lo
	s_cbranch_execz .LBB69_246
; %bb.251:                              ;   in Loop: Header=BB69_247 Depth=2
	v_mov_b32_e32 v1, v15
	ds_store_b128 v15, v[1:4] offset:3072
	s_branch .LBB69_246
.LBB69_252:                             ;   in Loop: Header=BB69_6 Depth=1
	s_mov_b32 s25, -1
	s_mov_b32 s10, 0
                                        ; implicit-def: $sgpr26
                                        ; implicit-def: $vgpr5_vgpr6
	s_mov_b32 s17, s25
	s_cbranch_execnz .LBB69_255
	s_branch .LBB69_265
.LBB69_253:                             ;   in Loop: Header=BB69_6 Depth=1
	s_set_inst_prefetch_distance 0x2
	s_or_b32 exec_lo, exec_lo, s28
	s_delay_alu instid0(SALU_CYCLE_1)
	s_and_b32 s10, s27, exec_lo
.LBB69_254:                             ;   in Loop: Header=BB69_6 Depth=1
	s_or_b32 exec_lo, exec_lo, s25
	s_mov_b32 s25, 0
	s_mov_b32 s26, -1
	s_mov_b32 s17, s25
	s_branch .LBB69_265
.LBB69_255:                             ;   in Loop: Header=BB69_6 Depth=1
	s_mov_b32 s10, 0
                                        ; implicit-def: $vgpr5_vgpr6
	s_and_saveexec_b32 s17, s9
	s_cbranch_execz .LBB69_264
; %bb.256:                              ;   in Loop: Header=BB69_6 Depth=1
	v_dual_mov_b32 v14, v13 :: v_dual_mov_b32 v7, v0
	s_mov_b32 s26, 0
                                        ; implicit-def: $sgpr25
	s_branch .LBB69_258
.LBB69_257:                             ;   in Loop: Header=BB69_258 Depth=2
	s_or_b32 exec_lo, exec_lo, s10
	s_waitcnt vmcnt(0) lgkmcnt(0)
	s_barrier
	buffer_gl0_inv
	ds_load_b128 v[3:6], v15 offset:3072
	v_add_nc_u32_e32 v7, s42, v7
	v_add_nc_u32_e32 v14, s44, v14
	s_waitcnt lgkmcnt(0)
	s_barrier
	buffer_gl0_inv
	v_cmp_le_u32_e64 s10, s61, v7
	v_cmp_neq_f64_e32 vcc_lo, 0, v[3:4]
	s_delay_alu instid0(VALU_DEP_2) | instskip(NEXT) | instid1(SALU_CYCLE_1)
	s_or_b32 s10, s10, vcc_lo
	s_and_b32 s10, exec_lo, s10
	s_delay_alu instid0(SALU_CYCLE_1) | instskip(SKIP_2) | instid1(SALU_CYCLE_1)
	s_or_b32 s26, s10, s26
	s_and_not1_b32 s10, s25, exec_lo
	s_and_b32 s25, vcc_lo, exec_lo
	s_or_b32 s25, s10, s25
	s_and_not1_b32 exec_lo, exec_lo, s26
	s_cbranch_execz .LBB69_263
.LBB69_258:                             ;   Parent Loop BB69_6 Depth=1
                                        ; =>  This Inner Loop Header: Depth=2
	v_mov_b32_e32 v3, 0
	v_mov_b32_e32 v4, 0
	v_cmp_gt_u32_e32 vcc_lo, s36, v7
	s_and_saveexec_b32 s27, vcc_lo
	s_cbranch_execz .LBB69_260
; %bb.259:                              ;   in Loop: Header=BB69_258 Depth=2
	v_lshlrev_b64 v[3:4], 3, v[14:15]
	s_delay_alu instid0(VALU_DEP_1) | instskip(NEXT) | instid1(VALU_DEP_1)
	v_add_co_u32 v3, s10, s31, v3
	v_add_co_ci_u32_e64 v4, s10, s33, v4, s10
	global_load_b64 v[3:4], v[3:4], off
.LBB69_260:                             ;   in Loop: Header=BB69_258 Depth=2
	s_or_b32 exec_lo, exec_lo, s27
	s_and_saveexec_b32 s10, vcc_lo
	s_cbranch_execz .LBB69_257
; %bb.261:                              ;   in Loop: Header=BB69_258 Depth=2
	s_waitcnt vmcnt(0)
	v_cmp_o_f64_e32 vcc_lo, v[3:4], v[3:4]
	v_ashrrev_i32_e32 v1, 31, v4
	s_delay_alu instid0(VALU_DEP_1) | instskip(SKIP_1) | instid1(VALU_DEP_2)
	v_or_b32_e32 v5, 0x80000000, v1
	v_xor_b32_e32 v1, v1, v3
	v_xor_b32_e32 v5, v5, v4
	s_delay_alu instid0(VALU_DEP_1) | instskip(NEXT) | instid1(VALU_DEP_1)
	v_cndmask_b32_e32 v5, -1, v5, vcc_lo
	v_dual_cndmask_b32 v1, -1, v1 :: v_dual_and_b32 v6, v5, v20
	s_delay_alu instid0(VALU_DEP_1) | instskip(NEXT) | instid1(VALU_DEP_1)
	v_and_b32_e32 v5, v1, v19
	v_cmp_eq_u64_e32 vcc_lo, v[5:6], v[21:22]
	s_and_b32 exec_lo, exec_lo, vcc_lo
	s_cbranch_execz .LBB69_257
; %bb.262:                              ;   in Loop: Header=BB69_258 Depth=2
	v_mov_b32_e32 v1, v15
	ds_store_b128 v15, v[1:4] offset:3072
	s_branch .LBB69_257
.LBB69_263:                             ;   in Loop: Header=BB69_6 Depth=1
	s_or_b32 exec_lo, exec_lo, s26
	s_delay_alu instid0(SALU_CYCLE_1)
	s_and_b32 s10, s25, exec_lo
.LBB69_264:                             ;   in Loop: Header=BB69_6 Depth=1
	s_or_b32 exec_lo, exec_lo, s17
	s_mov_b32 s26, 0
	s_mov_b32 s25, -1
	s_mov_b32 s17, 0
.LBB69_265:                             ;   in Loop: Header=BB69_6 Depth=1
	s_or_not1_b32 s10, s10, exec_lo
.LBB69_266:                             ;   in Loop: Header=BB69_6 Depth=1
	s_or_b32 exec_lo, exec_lo, s23
                                        ; implicit-def: $vgpr1
                                        ; implicit-def: $vgpr41
                                        ; implicit-def: $vgpr23_vgpr24
                                        ; implicit-def: $vgpr25_vgpr26
                                        ; implicit-def: $vgpr9_vgpr10
	s_and_saveexec_b32 s23, s10
	s_cbranch_execz .LBB69_401
; %bb.267:                              ;   in Loop: Header=BB69_6 Depth=1
	v_mov_b32_e32 v41, 1
	v_mov_b32_e32 v1, 1
	s_xor_b32 s24, s24, -1
	s_mov_b32 s77, 0
	s_and_saveexec_b32 s10, s24
	s_cbranch_execz .LBB69_277
; %bb.268:                              ;   in Loop: Header=BB69_6 Depth=1
	s_mov_b32 s27, exec_lo
                                        ; implicit-def: $sgpr28
                                        ; implicit-def: $sgpr24
	v_cmpx_ge_u32_e64 s21, v40
	s_xor_b32 s27, exec_lo, s27
	s_cbranch_execz .LBB69_274
; %bb.269:                              ;   in Loop: Header=BB69_6 Depth=1
	ds_load_b32 v1, v15 offset:4096
	s_waitcnt lgkmcnt(0)
	v_cmp_ne_u32_e32 vcc_lo, 0, v1
	s_cbranch_vccnz .LBB69_273
; %bb.270:                              ;   in Loop: Header=BB69_6 Depth=1
	s_and_saveexec_b32 s24, s5
	s_cbranch_execz .LBB69_272
; %bb.271:                              ;   in Loop: Header=BB69_6 Depth=1
	v_mov_b32_e32 v1, s21
	ds_store_b32 v15, v1 offset:4100
.LBB69_272:                             ;   in Loop: Header=BB69_6 Depth=1
	s_or_b32 exec_lo, exec_lo, s24
	s_waitcnt lgkmcnt(0)
	s_barrier
	buffer_gl0_inv
.LBB69_273:                             ;   in Loop: Header=BB69_6 Depth=1
	v_or_b32_e32 v22, s13, v22
	v_or_b32_e32 v21, s12, v21
	;; [unrolled: 1-line block ×4, first 2 shown]
	s_mov_b32 s24, 0
	s_mov_b32 s28, 5
.LBB69_274:                             ;   in Loop: Header=BB69_6 Depth=1
	s_or_saveexec_b32 s27, s27
	v_mov_b32_e32 v1, s28
	s_xor_b32 exec_lo, exec_lo, s27
; %bb.275:                              ;   in Loop: Header=BB69_6 Depth=1
	v_subrev_nc_u32_e32 v40, s21, v40
	v_mov_b32_e32 v1, 0
	s_or_b32 s24, s24, exec_lo
; %bb.276:                              ;   in Loop: Header=BB69_6 Depth=1
	s_or_b32 exec_lo, exec_lo, s27
	s_delay_alu instid0(VALU_DEP_2)
	v_mov_b32_e32 v41, v40
	s_and_b32 s77, s24, exec_lo
.LBB69_277:                             ;   in Loop: Header=BB69_6 Depth=1
	s_or_b32 exec_lo, exec_lo, s10
	s_mov_b32 s28, -1
                                        ; implicit-def: $sgpr24
                                        ; implicit-def: $sgpr27
                                        ; implicit-def: $sgpr29
	s_and_saveexec_b32 s10, s77
	s_delay_alu instid0(SALU_CYCLE_1)
	s_xor_b32 s21, exec_lo, s10
	s_cbranch_execz .LBB69_398
; %bb.278:                              ;   in Loop: Header=BB69_6 Depth=1
	v_cmp_eq_u32_e32 vcc_lo, 1, v41
	s_cmp_eq_u32 s20, 1
                                        ; implicit-def: $sgpr24
                                        ; implicit-def: $sgpr27
                                        ; implicit-def: $sgpr28
	s_cselect_b32 s10, -1, 0
	s_delay_alu instid0(SALU_CYCLE_1)
	s_and_b32 s77, s10, vcc_lo
	s_mov_b32 s10, -1
	s_and_saveexec_b32 s29, s77
	s_cbranch_execz .LBB69_304
; %bb.279:                              ;   in Loop: Header=BB69_6 Depth=1
	ds_load_b32 v1, v15 offset:4096
	s_waitcnt lgkmcnt(0)
	s_barrier
	buffer_gl0_inv
	v_readfirstlane_b32 s24, v1
	s_and_saveexec_b32 s10, s6
	s_cbranch_execz .LBB69_281
; %bb.280:                              ;   in Loop: Header=BB69_6 Depth=1
	v_mov_b32_e32 v14, v15
	ds_store_b64 v32, v[14:15]
.LBB69_281:                             ;   in Loop: Header=BB69_6 Depth=1
	s_or_b32 exec_lo, exec_lo, s10
	v_and_b32_e32 v1, s15, v22
	v_and_b32_e32 v3, s14, v21
	s_lshl_b64 s[78:79], 2, s19
	v_or_b32_e32 v20, s13, v20
	v_or_b32_e32 v19, s12, v19
	v_or_b32_e32 v22, s79, v1
	v_or_b32_e32 v21, s78, v3
	s_cmp_eq_u32 s24, 0
	s_waitcnt lgkmcnt(0)
	s_barrier
	buffer_gl0_inv
	s_cbranch_scc1 .LBB69_290
; %bb.282:                              ;   in Loop: Header=BB69_6 Depth=1
	s_add_i32 s10, s24, s53
                                        ; implicit-def: $vgpr5_vgpr6
	s_delay_alu instid0(SALU_CYCLE_1) | instskip(NEXT) | instid1(SALU_CYCLE_1)
	s_mul_hi_u32 s27, s10, s60
	s_mul_i32 s27, s27, s42
	s_delay_alu instid0(SALU_CYCLE_1) | instskip(NEXT) | instid1(SALU_CYCLE_1)
	s_sub_i32 s27, s10, s27
	s_sub_i32 s28, s27, s42
	s_cmp_ge_u32 s27, s42
	s_cselect_b32 s27, s28, s27
	s_delay_alu instid0(SALU_CYCLE_1) | instskip(SKIP_2) | instid1(SALU_CYCLE_1)
	s_sub_i32 s28, s27, s42
	s_cmp_ge_u32 s27, s42
	s_cselect_b32 s27, s28, s27
	s_sub_i32 s28, s10, s27
	s_mov_b32 s10, 0
	s_mov_b32 s27, exec_lo
	v_cmpx_gt_u32_e64 s28, v0
	s_cbranch_execz .LBB69_292
; %bb.283:                              ;   in Loop: Header=BB69_6 Depth=1
	v_dual_mov_b32 v7, v30 :: v_dual_mov_b32 v8, v0
	s_mov_b32 s79, 0
                                        ; implicit-def: $sgpr78
	s_set_inst_prefetch_distance 0x1
	s_branch .LBB69_285
	.p2align	6
.LBB69_284:                             ;   in Loop: Header=BB69_285 Depth=2
	s_or_b32 exec_lo, exec_lo, s10
	s_waitcnt lgkmcnt(0)
	s_barrier
	buffer_gl0_inv
	ds_load_b128 v[3:6], v15 offset:3072
	v_add_nc_u32_e32 v8, s42, v8
	v_add_nc_u32_e32 v7, s64, v7
	s_waitcnt lgkmcnt(0)
	s_barrier
	buffer_gl0_inv
	v_cmp_le_u32_e64 s10, s28, v8
	v_cmp_neq_f64_e32 vcc_lo, 0, v[3:4]
	s_delay_alu instid0(VALU_DEP_2) | instskip(NEXT) | instid1(SALU_CYCLE_1)
	s_or_b32 s10, s10, vcc_lo
	s_and_b32 s10, exec_lo, s10
	s_delay_alu instid0(SALU_CYCLE_1) | instskip(SKIP_2) | instid1(SALU_CYCLE_1)
	s_or_b32 s79, s10, s79
	s_and_not1_b32 s10, s78, exec_lo
	s_and_b32 s78, vcc_lo, exec_lo
	s_or_b32 s78, s10, s78
	s_and_not1_b32 exec_lo, exec_lo, s79
	s_cbranch_execz .LBB69_291
.LBB69_285:                             ;   Parent Loop BB69_6 Depth=1
                                        ; =>  This Inner Loop Header: Depth=2
	v_mov_b32_e32 v3, 0
	v_mov_b32_e32 v4, 0
	v_cmp_gt_u32_e32 vcc_lo, s24, v8
	s_and_saveexec_b32 s10, vcc_lo
	s_cbranch_execz .LBB69_287
; %bb.286:                              ;   in Loop: Header=BB69_285 Depth=2
	ds_load_b64 v[3:4], v7
.LBB69_287:                             ;   in Loop: Header=BB69_285 Depth=2
	s_or_b32 exec_lo, exec_lo, s10
	s_and_saveexec_b32 s10, vcc_lo
	s_cbranch_execz .LBB69_284
; %bb.288:                              ;   in Loop: Header=BB69_285 Depth=2
	s_waitcnt lgkmcnt(0)
	v_cmp_o_f64_e32 vcc_lo, v[3:4], v[3:4]
	v_ashrrev_i32_e32 v1, 31, v4
	s_delay_alu instid0(VALU_DEP_1) | instskip(SKIP_1) | instid1(VALU_DEP_2)
	v_or_b32_e32 v5, 0x80000000, v1
	v_xor_b32_e32 v1, v1, v3
	v_xor_b32_e32 v5, v5, v4
	s_delay_alu instid0(VALU_DEP_1) | instskip(NEXT) | instid1(VALU_DEP_1)
	v_cndmask_b32_e32 v5, -1, v5, vcc_lo
	v_dual_cndmask_b32 v1, -1, v1 :: v_dual_and_b32 v6, v5, v20
	s_delay_alu instid0(VALU_DEP_1) | instskip(NEXT) | instid1(VALU_DEP_1)
	v_and_b32_e32 v5, v1, v19
	v_cmp_eq_u64_e32 vcc_lo, v[5:6], v[21:22]
	s_and_b32 exec_lo, exec_lo, vcc_lo
	s_cbranch_execz .LBB69_284
; %bb.289:                              ;   in Loop: Header=BB69_285 Depth=2
	v_mov_b32_e32 v1, v15
	ds_store_b128 v15, v[1:4] offset:3072
	s_branch .LBB69_284
.LBB69_290:                             ;   in Loop: Header=BB69_6 Depth=1
	s_mov_b32 s24, -1
	s_mov_b32 s10, 0
                                        ; implicit-def: $sgpr27
                                        ; implicit-def: $vgpr5_vgpr6
	s_mov_b32 s28, s24
	s_cbranch_execnz .LBB69_293
	s_branch .LBB69_303
.LBB69_291:                             ;   in Loop: Header=BB69_6 Depth=1
	s_set_inst_prefetch_distance 0x2
	s_or_b32 exec_lo, exec_lo, s79
	s_delay_alu instid0(SALU_CYCLE_1)
	s_and_b32 s10, s78, exec_lo
.LBB69_292:                             ;   in Loop: Header=BB69_6 Depth=1
	s_or_b32 exec_lo, exec_lo, s27
	s_mov_b32 s24, 0
	s_mov_b32 s27, -1
	s_mov_b32 s28, s24
	s_branch .LBB69_303
.LBB69_293:                             ;   in Loop: Header=BB69_6 Depth=1
	s_mov_b32 s10, 0
                                        ; implicit-def: $vgpr5_vgpr6
	s_and_saveexec_b32 s24, s9
	s_cbranch_execz .LBB69_302
; %bb.294:                              ;   in Loop: Header=BB69_6 Depth=1
	v_dual_mov_b32 v14, v13 :: v_dual_mov_b32 v7, v0
	s_mov_b32 s28, 0
                                        ; implicit-def: $sgpr27
	s_branch .LBB69_296
.LBB69_295:                             ;   in Loop: Header=BB69_296 Depth=2
	s_or_b32 exec_lo, exec_lo, s10
	s_waitcnt vmcnt(0) lgkmcnt(0)
	s_barrier
	buffer_gl0_inv
	ds_load_b128 v[3:6], v15 offset:3072
	v_add_nc_u32_e32 v7, s42, v7
	v_add_nc_u32_e32 v14, s44, v14
	s_waitcnt lgkmcnt(0)
	s_barrier
	buffer_gl0_inv
	v_cmp_le_u32_e64 s10, s61, v7
	v_cmp_neq_f64_e32 vcc_lo, 0, v[3:4]
	s_delay_alu instid0(VALU_DEP_2) | instskip(NEXT) | instid1(SALU_CYCLE_1)
	s_or_b32 s10, s10, vcc_lo
	s_and_b32 s10, exec_lo, s10
	s_delay_alu instid0(SALU_CYCLE_1) | instskip(SKIP_2) | instid1(SALU_CYCLE_1)
	s_or_b32 s28, s10, s28
	s_and_not1_b32 s10, s27, exec_lo
	s_and_b32 s27, vcc_lo, exec_lo
	s_or_b32 s27, s10, s27
	s_and_not1_b32 exec_lo, exec_lo, s28
	s_cbranch_execz .LBB69_301
.LBB69_296:                             ;   Parent Loop BB69_6 Depth=1
                                        ; =>  This Inner Loop Header: Depth=2
	v_mov_b32_e32 v3, 0
	v_mov_b32_e32 v4, 0
	v_cmp_gt_u32_e32 vcc_lo, s36, v7
	s_and_saveexec_b32 s78, vcc_lo
	s_cbranch_execz .LBB69_298
; %bb.297:                              ;   in Loop: Header=BB69_296 Depth=2
	v_lshlrev_b64 v[3:4], 3, v[14:15]
	s_delay_alu instid0(VALU_DEP_1) | instskip(NEXT) | instid1(VALU_DEP_1)
	v_add_co_u32 v3, s10, s31, v3
	v_add_co_ci_u32_e64 v4, s10, s33, v4, s10
	global_load_b64 v[3:4], v[3:4], off
.LBB69_298:                             ;   in Loop: Header=BB69_296 Depth=2
	s_or_b32 exec_lo, exec_lo, s78
	s_and_saveexec_b32 s10, vcc_lo
	s_cbranch_execz .LBB69_295
; %bb.299:                              ;   in Loop: Header=BB69_296 Depth=2
	s_waitcnt vmcnt(0)
	v_cmp_o_f64_e32 vcc_lo, v[3:4], v[3:4]
	v_ashrrev_i32_e32 v1, 31, v4
	s_delay_alu instid0(VALU_DEP_1) | instskip(SKIP_1) | instid1(VALU_DEP_2)
	v_or_b32_e32 v5, 0x80000000, v1
	v_xor_b32_e32 v1, v1, v3
	v_xor_b32_e32 v5, v5, v4
	s_delay_alu instid0(VALU_DEP_1) | instskip(NEXT) | instid1(VALU_DEP_1)
	v_cndmask_b32_e32 v5, -1, v5, vcc_lo
	v_dual_cndmask_b32 v1, -1, v1 :: v_dual_and_b32 v6, v5, v20
	s_delay_alu instid0(VALU_DEP_1) | instskip(NEXT) | instid1(VALU_DEP_1)
	v_and_b32_e32 v5, v1, v19
	v_cmp_eq_u64_e32 vcc_lo, v[5:6], v[21:22]
	s_and_b32 exec_lo, exec_lo, vcc_lo
	s_cbranch_execz .LBB69_295
; %bb.300:                              ;   in Loop: Header=BB69_296 Depth=2
	v_mov_b32_e32 v1, v15
	ds_store_b128 v15, v[1:4] offset:3072
	s_branch .LBB69_295
.LBB69_301:                             ;   in Loop: Header=BB69_6 Depth=1
	s_or_b32 exec_lo, exec_lo, s28
	s_delay_alu instid0(SALU_CYCLE_1)
	s_and_b32 s10, s27, exec_lo
.LBB69_302:                             ;   in Loop: Header=BB69_6 Depth=1
	s_or_b32 exec_lo, exec_lo, s24
	s_mov_b32 s27, 0
	s_mov_b32 s24, -1
	s_mov_b32 s28, 0
.LBB69_303:                             ;   in Loop: Header=BB69_6 Depth=1
	s_or_not1_b32 s10, s10, exec_lo
.LBB69_304:                             ;   in Loop: Header=BB69_6 Depth=1
	s_or_b32 exec_lo, exec_lo, s29
	s_mov_b32 s78, 0
                                        ; implicit-def: $vgpr1
	s_and_saveexec_b32 s29, s10
	s_cbranch_execz .LBB69_397
; %bb.305:                              ;   in Loop: Header=BB69_6 Depth=1
	v_mov_b32_e32 v7, 1
	v_mov_b32_e32 v1, 1
	s_xor_b32 s77, s77, -1
	s_mov_b32 s79, 0
	s_and_saveexec_b32 s10, s77
	s_cbranch_execz .LBB69_315
; %bb.306:                              ;   in Loop: Header=BB69_6 Depth=1
	s_mov_b32 s78, exec_lo
                                        ; implicit-def: $sgpr79
                                        ; implicit-def: $sgpr77
	v_cmpx_ge_u32_e64 s20, v41
	s_xor_b32 s78, exec_lo, s78
	s_cbranch_execz .LBB69_312
; %bb.307:                              ;   in Loop: Header=BB69_6 Depth=1
	ds_load_b32 v1, v15 offset:4096
	s_waitcnt lgkmcnt(0)
	v_cmp_ne_u32_e32 vcc_lo, 0, v1
	s_cbranch_vccnz .LBB69_311
; %bb.308:                              ;   in Loop: Header=BB69_6 Depth=1
	s_and_saveexec_b32 s77, s5
	s_cbranch_execz .LBB69_310
; %bb.309:                              ;   in Loop: Header=BB69_6 Depth=1
	v_mov_b32_e32 v1, s20
	ds_store_b32 v15, v1 offset:4100
.LBB69_310:                             ;   in Loop: Header=BB69_6 Depth=1
	s_or_b32 exec_lo, exec_lo, s77
	s_waitcnt lgkmcnt(0)
	s_barrier
	buffer_gl0_inv
.LBB69_311:                             ;   in Loop: Header=BB69_6 Depth=1
	v_and_b32_e32 v1, s15, v22
	v_and_b32_e32 v3, s14, v21
	s_lshl_b64 s[80:81], 2, s19
	v_or_b32_e32 v20, s13, v20
	v_or_b32_e32 v19, s12, v19
	v_or_b32_e32 v22, s81, v1
	v_or_b32_e32 v21, s80, v3
	s_mov_b32 s77, 0
	s_mov_b32 s79, 5
.LBB69_312:                             ;   in Loop: Header=BB69_6 Depth=1
	s_or_saveexec_b32 s78, s78
	v_mov_b32_e32 v1, s79
	s_xor_b32 exec_lo, exec_lo, s78
; %bb.313:                              ;   in Loop: Header=BB69_6 Depth=1
	v_subrev_nc_u32_e32 v41, s20, v41
	v_mov_b32_e32 v1, 0
	s_or_b32 s77, s77, exec_lo
; %bb.314:                              ;   in Loop: Header=BB69_6 Depth=1
	s_or_b32 exec_lo, exec_lo, s78
	s_delay_alu instid0(VALU_DEP_2)
	v_mov_b32_e32 v7, v41
	s_and_b32 s79, s77, exec_lo
.LBB69_315:                             ;   in Loop: Header=BB69_6 Depth=1
	s_or_b32 exec_lo, exec_lo, s10
	s_mov_b32 s10, -1
                                        ; implicit-def: $sgpr77
                                        ; implicit-def: $sgpr78
                                        ; implicit-def: $sgpr80
	s_and_saveexec_b32 s20, s79
	s_cbranch_execz .LBB69_396
; %bb.316:                              ;   in Loop: Header=BB69_6 Depth=1
	v_cmp_eq_u32_e32 vcc_lo, 1, v7
	s_cmp_eq_u32 s18, 1
                                        ; implicit-def: $sgpr77
                                        ; implicit-def: $sgpr78
                                        ; implicit-def: $sgpr79
	s_cselect_b32 s10, -1, 0
	s_delay_alu instid0(SALU_CYCLE_1)
	s_and_b32 s81, s10, vcc_lo
	s_mov_b32 s10, -1
	s_and_saveexec_b32 s80, s81
	s_cbranch_execz .LBB69_342
; %bb.317:                              ;   in Loop: Header=BB69_6 Depth=1
	ds_load_b32 v1, v15 offset:4096
	s_waitcnt lgkmcnt(0)
	s_barrier
	buffer_gl0_inv
	v_readfirstlane_b32 s77, v1
	s_and_saveexec_b32 s10, s6
	s_cbranch_execz .LBB69_319
; %bb.318:                              ;   in Loop: Header=BB69_6 Depth=1
	v_mov_b32_e32 v14, v15
	ds_store_b64 v32, v[14:15]
.LBB69_319:                             ;   in Loop: Header=BB69_6 Depth=1
	s_or_b32 exec_lo, exec_lo, s10
	v_and_b32_e32 v1, s15, v22
	v_and_b32_e32 v3, s14, v21
	s_lshl_b64 s[78:79], 1, s19
	v_or_b32_e32 v20, s13, v20
	v_or_b32_e32 v19, s12, v19
	;; [unrolled: 1-line block ×4, first 2 shown]
	s_cmp_eq_u32 s77, 0
	s_waitcnt lgkmcnt(0)
	s_barrier
	buffer_gl0_inv
	s_cbranch_scc1 .LBB69_328
; %bb.320:                              ;   in Loop: Header=BB69_6 Depth=1
	s_add_i32 s10, s77, s53
                                        ; implicit-def: $vgpr5_vgpr6
	s_delay_alu instid0(SALU_CYCLE_1) | instskip(NEXT) | instid1(SALU_CYCLE_1)
	s_mul_hi_u32 s78, s10, s60
	s_mul_i32 s78, s78, s42
	s_delay_alu instid0(SALU_CYCLE_1) | instskip(NEXT) | instid1(SALU_CYCLE_1)
	s_sub_i32 s78, s10, s78
	s_sub_i32 s79, s78, s42
	s_cmp_ge_u32 s78, s42
	s_cselect_b32 s78, s79, s78
	s_delay_alu instid0(SALU_CYCLE_1) | instskip(SKIP_2) | instid1(SALU_CYCLE_1)
	s_sub_i32 s79, s78, s42
	s_cmp_ge_u32 s78, s42
	s_cselect_b32 s78, s79, s78
	s_sub_i32 s79, s10, s78
	s_mov_b32 s10, 0
	s_mov_b32 s78, exec_lo
	v_cmpx_gt_u32_e64 s79, v0
	s_cbranch_execz .LBB69_330
; %bb.321:                              ;   in Loop: Header=BB69_6 Depth=1
	v_dual_mov_b32 v8, v30 :: v_dual_mov_b32 v9, v0
	s_mov_b32 s83, 0
                                        ; implicit-def: $sgpr82
	s_set_inst_prefetch_distance 0x1
	s_branch .LBB69_323
	.p2align	6
.LBB69_322:                             ;   in Loop: Header=BB69_323 Depth=2
	s_or_b32 exec_lo, exec_lo, s10
	s_waitcnt lgkmcnt(0)
	s_barrier
	buffer_gl0_inv
	ds_load_b128 v[3:6], v15 offset:3072
	v_add_nc_u32_e32 v9, s42, v9
	v_add_nc_u32_e32 v8, s64, v8
	s_waitcnt lgkmcnt(0)
	s_barrier
	buffer_gl0_inv
	v_cmp_le_u32_e64 s10, s79, v9
	v_cmp_neq_f64_e32 vcc_lo, 0, v[3:4]
	s_delay_alu instid0(VALU_DEP_2) | instskip(NEXT) | instid1(SALU_CYCLE_1)
	s_or_b32 s10, s10, vcc_lo
	s_and_b32 s10, exec_lo, s10
	s_delay_alu instid0(SALU_CYCLE_1) | instskip(SKIP_2) | instid1(SALU_CYCLE_1)
	s_or_b32 s83, s10, s83
	s_and_not1_b32 s10, s82, exec_lo
	s_and_b32 s82, vcc_lo, exec_lo
	s_or_b32 s82, s10, s82
	s_and_not1_b32 exec_lo, exec_lo, s83
	s_cbranch_execz .LBB69_329
.LBB69_323:                             ;   Parent Loop BB69_6 Depth=1
                                        ; =>  This Inner Loop Header: Depth=2
	v_mov_b32_e32 v3, 0
	v_mov_b32_e32 v4, 0
	v_cmp_gt_u32_e32 vcc_lo, s77, v9
	s_and_saveexec_b32 s10, vcc_lo
	s_cbranch_execz .LBB69_325
; %bb.324:                              ;   in Loop: Header=BB69_323 Depth=2
	ds_load_b64 v[3:4], v8
.LBB69_325:                             ;   in Loop: Header=BB69_323 Depth=2
	s_or_b32 exec_lo, exec_lo, s10
	s_and_saveexec_b32 s10, vcc_lo
	s_cbranch_execz .LBB69_322
; %bb.326:                              ;   in Loop: Header=BB69_323 Depth=2
	s_waitcnt lgkmcnt(0)
	v_cmp_o_f64_e32 vcc_lo, v[3:4], v[3:4]
	v_ashrrev_i32_e32 v1, 31, v4
	s_delay_alu instid0(VALU_DEP_1) | instskip(SKIP_1) | instid1(VALU_DEP_2)
	v_or_b32_e32 v5, 0x80000000, v1
	v_xor_b32_e32 v1, v1, v3
	v_xor_b32_e32 v5, v5, v4
	s_delay_alu instid0(VALU_DEP_1) | instskip(NEXT) | instid1(VALU_DEP_1)
	v_cndmask_b32_e32 v5, -1, v5, vcc_lo
	v_dual_cndmask_b32 v1, -1, v1 :: v_dual_and_b32 v6, v5, v20
	s_delay_alu instid0(VALU_DEP_1) | instskip(NEXT) | instid1(VALU_DEP_1)
	v_and_b32_e32 v5, v1, v19
	v_cmp_eq_u64_e32 vcc_lo, v[5:6], v[21:22]
	s_and_b32 exec_lo, exec_lo, vcc_lo
	s_cbranch_execz .LBB69_322
; %bb.327:                              ;   in Loop: Header=BB69_323 Depth=2
	v_mov_b32_e32 v1, v15
	ds_store_b128 v15, v[1:4] offset:3072
	s_branch .LBB69_322
.LBB69_328:                             ;   in Loop: Header=BB69_6 Depth=1
	s_mov_b32 s77, -1
	s_mov_b32 s10, 0
                                        ; implicit-def: $sgpr78
                                        ; implicit-def: $vgpr5_vgpr6
	s_mov_b32 s79, s77
	s_cbranch_execnz .LBB69_331
	s_branch .LBB69_341
.LBB69_329:                             ;   in Loop: Header=BB69_6 Depth=1
	s_set_inst_prefetch_distance 0x2
	s_or_b32 exec_lo, exec_lo, s83
	s_delay_alu instid0(SALU_CYCLE_1)
	s_and_b32 s10, s82, exec_lo
.LBB69_330:                             ;   in Loop: Header=BB69_6 Depth=1
	s_or_b32 exec_lo, exec_lo, s78
	s_mov_b32 s77, 0
	s_mov_b32 s78, -1
	s_mov_b32 s79, s77
	s_branch .LBB69_341
.LBB69_331:                             ;   in Loop: Header=BB69_6 Depth=1
	s_mov_b32 s10, 0
                                        ; implicit-def: $vgpr5_vgpr6
	s_and_saveexec_b32 s77, s9
	s_cbranch_execz .LBB69_340
; %bb.332:                              ;   in Loop: Header=BB69_6 Depth=1
	v_mov_b32_e32 v14, v13
	v_mov_b32_e32 v8, v0
	s_mov_b32 s79, 0
                                        ; implicit-def: $sgpr78
	s_branch .LBB69_334
.LBB69_333:                             ;   in Loop: Header=BB69_334 Depth=2
	s_or_b32 exec_lo, exec_lo, s10
	s_waitcnt vmcnt(0) lgkmcnt(0)
	s_barrier
	buffer_gl0_inv
	ds_load_b128 v[3:6], v15 offset:3072
	v_add_nc_u32_e32 v8, s42, v8
	v_add_nc_u32_e32 v14, s44, v14
	s_waitcnt lgkmcnt(0)
	s_barrier
	buffer_gl0_inv
	v_cmp_le_u32_e64 s10, s61, v8
	v_cmp_neq_f64_e32 vcc_lo, 0, v[3:4]
	s_delay_alu instid0(VALU_DEP_2) | instskip(NEXT) | instid1(SALU_CYCLE_1)
	s_or_b32 s10, s10, vcc_lo
	s_and_b32 s10, exec_lo, s10
	s_delay_alu instid0(SALU_CYCLE_1) | instskip(SKIP_2) | instid1(SALU_CYCLE_1)
	s_or_b32 s79, s10, s79
	s_and_not1_b32 s10, s78, exec_lo
	s_and_b32 s78, vcc_lo, exec_lo
	s_or_b32 s78, s10, s78
	s_and_not1_b32 exec_lo, exec_lo, s79
	s_cbranch_execz .LBB69_339
.LBB69_334:                             ;   Parent Loop BB69_6 Depth=1
                                        ; =>  This Inner Loop Header: Depth=2
	v_mov_b32_e32 v3, 0
	v_mov_b32_e32 v4, 0
	v_cmp_gt_u32_e32 vcc_lo, s36, v8
	s_and_saveexec_b32 s82, vcc_lo
	s_cbranch_execz .LBB69_336
; %bb.335:                              ;   in Loop: Header=BB69_334 Depth=2
	v_lshlrev_b64 v[3:4], 3, v[14:15]
	s_delay_alu instid0(VALU_DEP_1) | instskip(NEXT) | instid1(VALU_DEP_1)
	v_add_co_u32 v3, s10, s31, v3
	v_add_co_ci_u32_e64 v4, s10, s33, v4, s10
	global_load_b64 v[3:4], v[3:4], off
.LBB69_336:                             ;   in Loop: Header=BB69_334 Depth=2
	s_or_b32 exec_lo, exec_lo, s82
	s_and_saveexec_b32 s10, vcc_lo
	s_cbranch_execz .LBB69_333
; %bb.337:                              ;   in Loop: Header=BB69_334 Depth=2
	s_waitcnt vmcnt(0)
	v_cmp_o_f64_e32 vcc_lo, v[3:4], v[3:4]
	v_ashrrev_i32_e32 v1, 31, v4
	s_delay_alu instid0(VALU_DEP_1) | instskip(SKIP_1) | instid1(VALU_DEP_2)
	v_or_b32_e32 v5, 0x80000000, v1
	v_xor_b32_e32 v1, v1, v3
	v_xor_b32_e32 v5, v5, v4
	s_delay_alu instid0(VALU_DEP_1) | instskip(NEXT) | instid1(VALU_DEP_1)
	v_cndmask_b32_e32 v5, -1, v5, vcc_lo
	v_dual_cndmask_b32 v1, -1, v1 :: v_dual_and_b32 v6, v5, v20
	s_delay_alu instid0(VALU_DEP_1) | instskip(NEXT) | instid1(VALU_DEP_1)
	v_and_b32_e32 v5, v1, v19
	v_cmp_eq_u64_e32 vcc_lo, v[5:6], v[21:22]
	s_and_b32 exec_lo, exec_lo, vcc_lo
	s_cbranch_execz .LBB69_333
; %bb.338:                              ;   in Loop: Header=BB69_334 Depth=2
	v_mov_b32_e32 v1, v15
	ds_store_b128 v15, v[1:4] offset:3072
	s_branch .LBB69_333
.LBB69_339:                             ;   in Loop: Header=BB69_6 Depth=1
	s_or_b32 exec_lo, exec_lo, s79
	s_delay_alu instid0(SALU_CYCLE_1)
	s_and_b32 s10, s78, exec_lo
.LBB69_340:                             ;   in Loop: Header=BB69_6 Depth=1
	s_or_b32 exec_lo, exec_lo, s77
	s_mov_b32 s78, 0
	s_mov_b32 s77, -1
	s_mov_b32 s79, 0
.LBB69_341:                             ;   in Loop: Header=BB69_6 Depth=1
	s_or_not1_b32 s10, s10, exec_lo
.LBB69_342:                             ;   in Loop: Header=BB69_6 Depth=1
	s_or_b32 exec_lo, exec_lo, s80
	s_mov_b32 s82, 0
                                        ; implicit-def: $vgpr1
	s_and_saveexec_b32 s80, s10
	s_cbranch_execz .LBB69_395
; %bb.343:                              ;   in Loop: Header=BB69_6 Depth=1
	v_dual_mov_b32 v8, 1 :: v_dual_mov_b32 v1, 1
	s_xor_b32 s82, s81, -1
	s_mov_b32 s81, 0
	s_and_saveexec_b32 s10, s82
	s_cbranch_execz .LBB69_353
; %bb.344:                              ;   in Loop: Header=BB69_6 Depth=1
	s_mov_b32 s82, exec_lo
                                        ; implicit-def: $sgpr83
                                        ; implicit-def: $sgpr81
	v_cmpx_ge_u32_e64 s18, v7
	s_xor_b32 s82, exec_lo, s82
	s_cbranch_execz .LBB69_350
; %bb.345:                              ;   in Loop: Header=BB69_6 Depth=1
	ds_load_b32 v1, v15 offset:4096
	s_waitcnt lgkmcnt(0)
	v_cmp_ne_u32_e32 vcc_lo, 0, v1
	s_cbranch_vccnz .LBB69_349
; %bb.346:                              ;   in Loop: Header=BB69_6 Depth=1
	s_and_saveexec_b32 s81, s5
	s_cbranch_execz .LBB69_348
; %bb.347:                              ;   in Loop: Header=BB69_6 Depth=1
	v_mov_b32_e32 v1, s18
	ds_store_b32 v15, v1 offset:4100
.LBB69_348:                             ;   in Loop: Header=BB69_6 Depth=1
	s_or_b32 exec_lo, exec_lo, s81
	s_waitcnt lgkmcnt(0)
	s_barrier
	buffer_gl0_inv
.LBB69_349:                             ;   in Loop: Header=BB69_6 Depth=1
	v_and_b32_e32 v1, s15, v22
	v_and_b32_e32 v3, s14, v21
	s_lshl_b64 s[84:85], 1, s19
	v_or_b32_e32 v20, s13, v20
	v_or_b32_e32 v19, s12, v19
	;; [unrolled: 1-line block ×4, first 2 shown]
	s_mov_b32 s81, 0
	s_mov_b32 s83, 5
.LBB69_350:                             ;   in Loop: Header=BB69_6 Depth=1
	s_or_saveexec_b32 s19, s82
	v_mov_b32_e32 v1, s83
	s_xor_b32 exec_lo, exec_lo, s19
; %bb.351:                              ;   in Loop: Header=BB69_6 Depth=1
	v_subrev_nc_u32_e32 v7, s18, v7
	v_mov_b32_e32 v1, 0
	s_or_b32 s81, s81, exec_lo
; %bb.352:                              ;   in Loop: Header=BB69_6 Depth=1
	s_or_b32 exec_lo, exec_lo, s19
	s_delay_alu instid0(VALU_DEP_2)
	v_mov_b32_e32 v8, v7
	s_and_b32 s81, s81, exec_lo
.LBB69_353:                             ;   in Loop: Header=BB69_6 Depth=1
	s_or_b32 exec_lo, exec_lo, s10
	s_mov_b32 s19, -1
                                        ; implicit-def: $sgpr10
                                        ; implicit-def: $sgpr82
                                        ; implicit-def: $sgpr83
	s_and_saveexec_b32 s18, s81
	s_cbranch_execz .LBB69_394
; %bb.354:                              ;   in Loop: Header=BB69_6 Depth=1
	v_cmp_eq_u32_e32 vcc_lo, 1, v8
	s_cmp_eq_u32 s16, 1
	s_mov_b32 s84, -1
	s_cselect_b32 s10, -1, 0
                                        ; implicit-def: $sgpr82
                                        ; implicit-def: $sgpr83
	s_delay_alu instid0(SALU_CYCLE_1) | instskip(NEXT) | instid1(SALU_CYCLE_1)
	s_and_b32 s19, s10, vcc_lo
                                        ; implicit-def: $sgpr10
	s_and_saveexec_b32 s81, s19
	s_cbranch_execz .LBB69_381
; %bb.355:                              ;   in Loop: Header=BB69_6 Depth=1
	ds_load_b32 v1, v15 offset:4096
	s_waitcnt lgkmcnt(0)
	s_barrier
	buffer_gl0_inv
	v_readfirstlane_b32 s82, v1
	s_and_saveexec_b32 s10, s6
	s_cbranch_execz .LBB69_357
; %bb.356:                              ;   in Loop: Header=BB69_6 Depth=1
	v_mov_b32_e32 v14, v15
	ds_store_b64 v32, v[14:15]
.LBB69_357:                             ;   in Loop: Header=BB69_6 Depth=1
	s_or_b32 exec_lo, exec_lo, s10
	v_and_b32_e32 v22, s15, v22
	v_and_b32_e32 v21, s14, v21
	v_or_b32_e32 v20, s13, v20
	v_or_b32_e32 v19, s12, v19
	s_cmp_eq_u32 s82, 0
	s_waitcnt lgkmcnt(0)
	s_barrier
	buffer_gl0_inv
	s_cbranch_scc1 .LBB69_366
; %bb.358:                              ;   in Loop: Header=BB69_6 Depth=1
	s_add_i32 s10, s82, s53
	s_mov_b32 s85, 0
	s_mul_hi_u32 s83, s10, s60
                                        ; implicit-def: $vgpr5_vgpr6
	s_delay_alu instid0(SALU_CYCLE_1) | instskip(NEXT) | instid1(SALU_CYCLE_1)
	s_mul_i32 s83, s83, s42
	s_sub_i32 s83, s10, s83
	s_delay_alu instid0(SALU_CYCLE_1) | instskip(SKIP_2) | instid1(SALU_CYCLE_1)
	s_sub_i32 s84, s83, s42
	s_cmp_ge_u32 s83, s42
	s_cselect_b32 s83, s84, s83
	s_sub_i32 s84, s83, s42
	s_cmp_ge_u32 s83, s42
	s_cselect_b32 s83, s84, s83
	s_delay_alu instid0(SALU_CYCLE_1)
	s_sub_i32 s84, s10, s83
	s_mov_b32 s83, exec_lo
	v_cmpx_gt_u32_e64 s84, v0
	s_cbranch_execz .LBB69_368
; %bb.359:                              ;   in Loop: Header=BB69_6 Depth=1
	v_mov_b32_e32 v7, v30
	v_mov_b32_e32 v9, v0
	s_mov_b32 s86, 0
                                        ; implicit-def: $sgpr85
	s_set_inst_prefetch_distance 0x1
	s_branch .LBB69_361
	.p2align	6
.LBB69_360:                             ;   in Loop: Header=BB69_361 Depth=2
	s_or_b32 exec_lo, exec_lo, s10
	s_waitcnt lgkmcnt(0)
	s_barrier
	buffer_gl0_inv
	ds_load_b128 v[3:6], v15 offset:3072
	v_add_nc_u32_e32 v9, s42, v9
	v_add_nc_u32_e32 v7, s64, v7
	s_waitcnt lgkmcnt(0)
	s_barrier
	buffer_gl0_inv
	v_cmp_le_u32_e64 s10, s84, v9
	v_cmp_neq_f64_e32 vcc_lo, 0, v[3:4]
	s_delay_alu instid0(VALU_DEP_2) | instskip(NEXT) | instid1(SALU_CYCLE_1)
	s_or_b32 s10, s10, vcc_lo
	s_and_b32 s10, exec_lo, s10
	s_delay_alu instid0(SALU_CYCLE_1) | instskip(SKIP_2) | instid1(SALU_CYCLE_1)
	s_or_b32 s86, s10, s86
	s_and_not1_b32 s10, s85, exec_lo
	s_and_b32 s85, vcc_lo, exec_lo
	s_or_b32 s85, s10, s85
	s_and_not1_b32 exec_lo, exec_lo, s86
	s_cbranch_execz .LBB69_367
.LBB69_361:                             ;   Parent Loop BB69_6 Depth=1
                                        ; =>  This Inner Loop Header: Depth=2
	v_mov_b32_e32 v3, 0
	v_mov_b32_e32 v4, 0
	v_cmp_gt_u32_e32 vcc_lo, s82, v9
	s_and_saveexec_b32 s10, vcc_lo
	s_cbranch_execz .LBB69_363
; %bb.362:                              ;   in Loop: Header=BB69_361 Depth=2
	ds_load_b64 v[3:4], v7
.LBB69_363:                             ;   in Loop: Header=BB69_361 Depth=2
	s_or_b32 exec_lo, exec_lo, s10
	s_and_saveexec_b32 s10, vcc_lo
	s_cbranch_execz .LBB69_360
; %bb.364:                              ;   in Loop: Header=BB69_361 Depth=2
	s_waitcnt lgkmcnt(0)
	v_cmp_o_f64_e32 vcc_lo, v[3:4], v[3:4]
	v_ashrrev_i32_e32 v1, 31, v4
	s_delay_alu instid0(VALU_DEP_1) | instskip(SKIP_1) | instid1(VALU_DEP_2)
	v_or_b32_e32 v5, 0x80000000, v1
	v_xor_b32_e32 v1, v1, v3
	v_xor_b32_e32 v5, v5, v4
	s_delay_alu instid0(VALU_DEP_1) | instskip(NEXT) | instid1(VALU_DEP_1)
	v_cndmask_b32_e32 v5, -1, v5, vcc_lo
	v_dual_cndmask_b32 v1, -1, v1 :: v_dual_and_b32 v6, v5, v20
	s_delay_alu instid0(VALU_DEP_1) | instskip(NEXT) | instid1(VALU_DEP_1)
	v_and_b32_e32 v5, v1, v19
	v_cmp_eq_u64_e32 vcc_lo, v[5:6], v[21:22]
	s_and_b32 exec_lo, exec_lo, vcc_lo
	s_cbranch_execz .LBB69_360
; %bb.365:                              ;   in Loop: Header=BB69_361 Depth=2
	v_mov_b32_e32 v1, v15
	ds_store_b128 v15, v[1:4] offset:3072
	s_branch .LBB69_360
.LBB69_366:                             ;   in Loop: Header=BB69_6 Depth=1
	s_mov_b32 s10, -1
	s_mov_b32 s85, 0
                                        ; implicit-def: $sgpr82
                                        ; implicit-def: $vgpr5_vgpr6
	s_branch .LBB69_369
.LBB69_367:                             ;   in Loop: Header=BB69_6 Depth=1
	s_set_inst_prefetch_distance 0x2
	s_or_b32 exec_lo, exec_lo, s86
	s_delay_alu instid0(SALU_CYCLE_1)
	s_and_b32 s85, s85, exec_lo
.LBB69_368:                             ;   in Loop: Header=BB69_6 Depth=1
	s_or_b32 exec_lo, exec_lo, s83
	s_mov_b32 s10, 0
	s_mov_b32 s82, -1
.LBB69_369:                             ;   in Loop: Header=BB69_6 Depth=1
	s_and_b32 vcc_lo, exec_lo, s10
	s_mov_b32 s83, s10
	s_cbranch_vccz .LBB69_380
; %bb.370:                              ;   in Loop: Header=BB69_6 Depth=1
	s_mov_b32 s85, 0
                                        ; implicit-def: $vgpr5_vgpr6
	s_and_saveexec_b32 s82, s9
	s_cbranch_execz .LBB69_379
; %bb.371:                              ;   in Loop: Header=BB69_6 Depth=1
	v_dual_mov_b32 v14, v13 :: v_dual_mov_b32 v7, v0
	s_mov_b32 s84, 0
                                        ; implicit-def: $sgpr83
	s_branch .LBB69_373
.LBB69_372:                             ;   in Loop: Header=BB69_373 Depth=2
	s_or_b32 exec_lo, exec_lo, s10
	s_waitcnt vmcnt(0) lgkmcnt(0)
	s_barrier
	buffer_gl0_inv
	ds_load_b128 v[3:6], v15 offset:3072
	v_add_nc_u32_e32 v7, s42, v7
	v_add_nc_u32_e32 v14, s44, v14
	s_waitcnt lgkmcnt(0)
	s_barrier
	buffer_gl0_inv
	v_cmp_le_u32_e64 s10, s61, v7
	v_cmp_neq_f64_e32 vcc_lo, 0, v[3:4]
	s_delay_alu instid0(VALU_DEP_2) | instskip(NEXT) | instid1(SALU_CYCLE_1)
	s_or_b32 s10, s10, vcc_lo
	s_and_b32 s10, exec_lo, s10
	s_delay_alu instid0(SALU_CYCLE_1) | instskip(SKIP_2) | instid1(SALU_CYCLE_1)
	s_or_b32 s84, s10, s84
	s_and_not1_b32 s10, s83, exec_lo
	s_and_b32 s83, vcc_lo, exec_lo
	s_or_b32 s83, s10, s83
	s_and_not1_b32 exec_lo, exec_lo, s84
	s_cbranch_execz .LBB69_378
.LBB69_373:                             ;   Parent Loop BB69_6 Depth=1
                                        ; =>  This Inner Loop Header: Depth=2
	v_mov_b32_e32 v3, 0
	v_mov_b32_e32 v4, 0
	v_cmp_gt_u32_e32 vcc_lo, s36, v7
	s_and_saveexec_b32 s85, vcc_lo
	s_cbranch_execz .LBB69_375
; %bb.374:                              ;   in Loop: Header=BB69_373 Depth=2
	v_lshlrev_b64 v[3:4], 3, v[14:15]
	s_delay_alu instid0(VALU_DEP_1) | instskip(NEXT) | instid1(VALU_DEP_1)
	v_add_co_u32 v3, s10, s31, v3
	v_add_co_ci_u32_e64 v4, s10, s33, v4, s10
	global_load_b64 v[3:4], v[3:4], off
.LBB69_375:                             ;   in Loop: Header=BB69_373 Depth=2
	s_or_b32 exec_lo, exec_lo, s85
	s_and_saveexec_b32 s10, vcc_lo
	s_cbranch_execz .LBB69_372
; %bb.376:                              ;   in Loop: Header=BB69_373 Depth=2
	s_waitcnt vmcnt(0)
	v_cmp_o_f64_e32 vcc_lo, v[3:4], v[3:4]
	v_ashrrev_i32_e32 v1, 31, v4
	s_delay_alu instid0(VALU_DEP_1) | instskip(SKIP_1) | instid1(VALU_DEP_2)
	v_or_b32_e32 v5, 0x80000000, v1
	v_xor_b32_e32 v1, v1, v3
	v_xor_b32_e32 v5, v5, v4
	s_delay_alu instid0(VALU_DEP_1) | instskip(NEXT) | instid1(VALU_DEP_1)
	v_cndmask_b32_e32 v5, -1, v5, vcc_lo
	v_dual_cndmask_b32 v1, -1, v1 :: v_dual_and_b32 v6, v5, v20
	s_delay_alu instid0(VALU_DEP_1) | instskip(NEXT) | instid1(VALU_DEP_1)
	v_and_b32_e32 v5, v1, v19
	v_cmp_eq_u64_e32 vcc_lo, v[5:6], v[21:22]
	s_and_b32 exec_lo, exec_lo, vcc_lo
	s_cbranch_execz .LBB69_372
; %bb.377:                              ;   in Loop: Header=BB69_373 Depth=2
	v_mov_b32_e32 v1, v15
	ds_store_b128 v15, v[1:4] offset:3072
	s_branch .LBB69_372
.LBB69_378:                             ;   in Loop: Header=BB69_6 Depth=1
	s_or_b32 exec_lo, exec_lo, s84
	s_delay_alu instid0(SALU_CYCLE_1)
	s_and_b32 s85, s83, exec_lo
.LBB69_379:                             ;   in Loop: Header=BB69_6 Depth=1
	s_or_b32 exec_lo, exec_lo, s82
	s_mov_b32 s82, 0
	s_mov_b32 s10, -1
	s_mov_b32 s83, 0
.LBB69_380:                             ;   in Loop: Header=BB69_6 Depth=1
	s_or_not1_b32 s84, s85, exec_lo
.LBB69_381:                             ;   in Loop: Header=BB69_6 Depth=1
	s_or_b32 exec_lo, exec_lo, s81
	s_mov_b32 s85, 0
                                        ; implicit-def: $vgpr1
                                        ; implicit-def: $vgpr3
	s_and_saveexec_b32 s81, s84
	s_cbranch_execz .LBB69_393
; %bb.382:                              ;   in Loop: Header=BB69_6 Depth=1
	v_mov_b32_e32 v1, 1
	v_mov_b32_e32 v3, 1
	s_xor_b32 s84, s19, -1
	s_delay_alu instid0(SALU_CYCLE_1)
	s_and_saveexec_b32 s19, s84
	s_cbranch_execz .LBB69_392
; %bb.383:                              ;   in Loop: Header=BB69_6 Depth=1
	s_mov_b32 s84, exec_lo
                                        ; implicit-def: $sgpr85
	v_cmpx_ge_u32_e64 s16, v8
	s_xor_b32 s84, exec_lo, s84
	s_cbranch_execz .LBB69_389
; %bb.384:                              ;   in Loop: Header=BB69_6 Depth=1
	ds_load_b32 v1, v15 offset:4096
	s_waitcnt lgkmcnt(0)
	v_cmp_ne_u32_e32 vcc_lo, 0, v1
	s_cbranch_vccnz .LBB69_388
; %bb.385:                              ;   in Loop: Header=BB69_6 Depth=1
	s_and_saveexec_b32 s85, s5
	s_cbranch_execz .LBB69_387
; %bb.386:                              ;   in Loop: Header=BB69_6 Depth=1
	v_mov_b32_e32 v1, s16
	ds_store_b32 v15, v1 offset:4100
.LBB69_387:                             ;   in Loop: Header=BB69_6 Depth=1
	s_or_b32 exec_lo, exec_lo, s85
	s_waitcnt lgkmcnt(0)
	s_barrier
	buffer_gl0_inv
.LBB69_388:                             ;   in Loop: Header=BB69_6 Depth=1
	v_and_b32_e32 v22, s15, v22
	v_and_b32_e32 v21, s14, v21
	v_or_b32_e32 v20, s13, v20
	v_or_b32_e32 v19, s12, v19
	s_mov_b32 s85, 5
.LBB69_389:                             ;   in Loop: Header=BB69_6 Depth=1
	s_or_saveexec_b32 s12, s84
	v_mov_b32_e32 v1, s85
	s_xor_b32 exec_lo, exec_lo, s12
; %bb.390:                              ;   in Loop: Header=BB69_6 Depth=1
	v_subrev_nc_u32_e32 v8, s16, v8
	v_mov_b32_e32 v1, 5
; %bb.391:                              ;   in Loop: Header=BB69_6 Depth=1
	s_or_b32 exec_lo, exec_lo, s12
	s_delay_alu instid0(VALU_DEP_2)
	v_mov_b32_e32 v3, v8
.LBB69_392:                             ;   in Loop: Header=BB69_6 Depth=1
	s_or_b32 exec_lo, exec_lo, s19
	s_delay_alu instid0(SALU_CYCLE_1)
	s_mov_b32 s85, exec_lo
.LBB69_393:                             ;   in Loop: Header=BB69_6 Depth=1
	s_or_b32 exec_lo, exec_lo, s81
	s_delay_alu instid0(VALU_DEP_1)
	v_mov_b32_e32 v8, v3
	s_or_not1_b32 s19, s85, exec_lo
.LBB69_394:                             ;   in Loop: Header=BB69_6 Depth=1
	s_or_b32 exec_lo, exec_lo, s18
	s_delay_alu instid0(SALU_CYCLE_1)
	s_and_not1_b32 s12, s77, exec_lo
	s_and_b32 s10, s10, exec_lo
	s_and_not1_b32 s13, s79, exec_lo
	s_or_b32 s77, s12, s10
	s_and_not1_b32 s10, s78, exec_lo
	s_and_b32 s12, s82, exec_lo
	s_and_b32 s14, s83, exec_lo
	v_mov_b32_e32 v7, v8
	s_or_b32 s78, s10, s12
	s_or_b32 s79, s13, s14
	s_and_b32 s82, s19, exec_lo
.LBB69_395:                             ;   in Loop: Header=BB69_6 Depth=1
	s_or_b32 exec_lo, exec_lo, s80
	s_delay_alu instid0(SALU_CYCLE_1)
	s_and_b32 s80, s77, exec_lo
	s_and_b32 s78, s78, exec_lo
	;; [unrolled: 1-line block ×3, first 2 shown]
	s_or_not1_b32 s10, s82, exec_lo
.LBB69_396:                             ;   in Loop: Header=BB69_6 Depth=1
	s_or_b32 exec_lo, exec_lo, s20
	s_delay_alu instid0(SALU_CYCLE_1)
	s_and_not1_b32 s12, s24, exec_lo
	s_and_b32 s13, s80, exec_lo
	s_and_not1_b32 s14, s28, exec_lo
	s_or_b32 s24, s12, s13
	s_and_not1_b32 s12, s27, exec_lo
	s_and_b32 s13, s78, exec_lo
	s_and_b32 s15, s77, exec_lo
	v_mov_b32_e32 v41, v7
	s_or_b32 s27, s12, s13
	s_or_b32 s28, s14, s15
	s_and_b32 s78, s10, exec_lo
.LBB69_397:                             ;   in Loop: Header=BB69_6 Depth=1
	s_or_b32 exec_lo, exec_lo, s29
	s_delay_alu instid0(SALU_CYCLE_1)
	s_and_b32 s29, s24, exec_lo
	s_and_b32 s27, s27, exec_lo
	;; [unrolled: 1-line block ×3, first 2 shown]
	s_or_not1_b32 s28, s78, exec_lo
.LBB69_398:                             ;   in Loop: Header=BB69_6 Depth=1
	s_or_b32 exec_lo, exec_lo, s21
	s_mov_b32 s10, s22
	s_mov_b32 s12, s11
	s_and_saveexec_b32 s13, s28
; %bb.399:                              ;   in Loop: Header=BB69_6 Depth=1
	v_cmp_eq_u32_e32 vcc_lo, 5, v1
	v_cmp_ne_u32_e64 s10, 5, v1
	s_and_not1_b32 s12, s11, exec_lo
	s_and_not1_b32 s14, s22, exec_lo
	;; [unrolled: 1-line block ×3, first 2 shown]
	s_and_b32 s15, vcc_lo, exec_lo
	s_and_b32 s10, s10, exec_lo
	s_and_not1_b32 s27, s27, exec_lo
	s_and_not1_b32 s24, s24, exec_lo
	s_or_b32 s12, s12, s10
	s_or_b32 s10, s14, s15
; %bb.400:                              ;   in Loop: Header=BB69_6 Depth=1
	s_or_b32 exec_lo, exec_lo, s13
	s_delay_alu instid0(SALU_CYCLE_1)
	s_and_not1_b32 s13, s25, exec_lo
	s_and_b32 s14, s29, exec_lo
	v_dual_mov_b32 v24, v22 :: v_dual_mov_b32 v23, v21
	s_or_b32 s25, s13, s14
	s_and_not1_b32 s13, s26, exec_lo
	s_and_b32 s14, s27, exec_lo
	v_dual_mov_b32 v26, v20 :: v_dual_mov_b32 v25, v19
	v_dual_mov_b32 v10, v6 :: v_dual_mov_b32 v9, v5
	s_and_not1_b32 s15, s17, exec_lo
	s_and_b32 s16, s24, exec_lo
	s_or_b32 s26, s13, s14
	s_and_not1_b32 s11, s11, exec_lo
	s_and_b32 s12, s12, exec_lo
	s_and_not1_b32 s13, s22, exec_lo
	s_and_b32 s10, s10, exec_lo
	s_or_b32 s17, s15, s16
	s_or_b32 s11, s11, s12
	s_or_b32 s22, s13, s10
.LBB69_401:                             ;   in Loop: Header=BB69_6 Depth=1
	s_or_b32 exec_lo, exec_lo, s23
	s_mov_b32 s24, s17
	s_mov_b32 s23, s17
	s_and_saveexec_b32 s10, s22
.LBB69_402:                             ;   in Loop: Header=BB69_6 Depth=1
	v_mov_b32_e32 v1, 0
	s_and_not1_b32 s17, s17, exec_lo
	s_and_not1_b32 s25, s25, exec_lo
	;; [unrolled: 1-line block ×5, first 2 shown]
	s_or_b32 s11, s11, exec_lo
.LBB69_403:                             ;   in Loop: Header=BB69_6 Depth=1
	s_or_b32 exec_lo, exec_lo, s10
	s_delay_alu instid0(SALU_CYCLE_1)
	s_and_not1_b32 s10, s76, exec_lo
	s_and_b32 s13, s17, exec_lo
	s_and_not1_b32 s14, s73, exec_lo
	s_or_b32 s76, s10, s13
	s_and_not1_b32 s10, s75, exec_lo
	s_and_b32 s13, s25, exec_lo
	s_and_b32 s15, s26, exec_lo
	s_or_b32 s75, s10, s13
	s_or_b32 s73, s14, s15
	s_and_not1_b32 s10, s74, exec_lo
	s_and_b32 s13, s24, exec_lo
	s_and_not1_b32 s14, s72, exec_lo
	s_and_b32 s15, s23, exec_lo
	s_mov_b32 s12, -1
	s_or_b32 s74, s10, s13
	s_or_b32 s72, s14, s15
                                        ; implicit-def: $vgpr19_vgpr20
                                        ; implicit-def: $vgpr21_vgpr22
                                        ; implicit-def: $vgpr40
                                        ; implicit-def: $vgpr5_vgpr6
	s_and_saveexec_b32 s10, s11
	s_delay_alu instid0(SALU_CYCLE_1)
	s_xor_b32 s10, exec_lo, s10
	s_cbranch_execz .LBB69_5
; %bb.404:                              ;   in Loop: Header=BB69_6 Depth=1
	s_mov_b32 s11, -1
	s_mov_b32 s13, exec_lo
	v_cmpx_eq_u32_e32 0, v1
	s_cbranch_execz .LBB69_4
; %bb.405:                              ;   in Loop: Header=BB69_6 Depth=1
	s_xor_b32 s66, s66, 1
	s_add_i32 s14, s71, -2
	s_cmp_eq_u32 s71, 0
	s_mov_b32 s71, s14
	s_cselect_b32 s11, -1, 0
	s_xor_b32 s12, exec_lo, -1
	s_or_not1_b32 s11, s11, exec_lo
	s_branch .LBB69_4
.LBB69_406:
	s_or_b32 exec_lo, exec_lo, s43
	s_xor_b32 s9, s70, -1
	s_xor_b32 s12, s68, -1
	;; [unrolled: 1-line block ×5, first 2 shown]
	s_mov_b32 s7, 0
	s_and_saveexec_b32 s8, s6
	s_delay_alu instid0(SALU_CYCLE_1)
	s_xor_b32 s6, exec_lo, s8
	s_cbranch_execz .LBB69_467
; %bb.407:
	s_mov_b32 s8, 0
	s_and_saveexec_b32 s7, s11
	s_delay_alu instid0(SALU_CYCLE_1)
	s_xor_b32 s7, exec_lo, s7
	s_cbranch_execz .LBB69_465
; %bb.408:
	;; [unrolled: 6-line block ×3, first 2 shown]
	s_and_saveexec_b32 s12, s9
	s_delay_alu instid0(SALU_CYCLE_1)
	s_xor_b32 s9, exec_lo, s12
	s_cbranch_execz .LBB69_461
; %bb.410:
	s_and_saveexec_b32 s11, s10
	s_delay_alu instid0(SALU_CYCLE_1)
	s_xor_b32 s10, exec_lo, s11
; %bb.411:
	v_lshrrev_b32_e32 v1, 31, v24
	s_delay_alu instid0(VALU_DEP_1) | instskip(NEXT) | instid1(VALU_DEP_1)
	v_add_co_u32 v1, s11, v1, -1
	v_add_co_ci_u32_e64 v2, null, 0, -1, s11
	s_delay_alu instid0(VALU_DEP_2) | instskip(NEXT) | instid1(VALU_DEP_2)
	v_xor_b32_e32 v9, v1, v23
	v_or_b32_e32 v2, 0x80000000, v2
	s_delay_alu instid0(VALU_DEP_1)
	v_xor_b32_e32 v10, v2, v24
; %bb.412:
	s_or_b32 exec_lo, exec_lo, s10
	s_and_saveexec_b32 s10, s5
	s_cbranch_execz .LBB69_414
; %bb.413:
	v_mov_b32_e32 v1, 0
	ds_store_b32 v1, v1 offset:4108
.LBB69_414:
	s_or_b32 exec_lo, exec_lo, s10
	v_mov_b32_e32 v6, 0
	v_mov_b32_e32 v7, 0
	s_waitcnt lgkmcnt(0)
	s_barrier
	buffer_gl0_inv
	s_and_saveexec_b32 s5, s4
	s_cbranch_execz .LBB69_416
; %bb.415:
	global_load_b64 v[6:7], v[11:12], off
.LBB69_416:
	s_or_b32 exec_lo, exec_lo, s5
	v_cmp_o_f64_e32 vcc_lo, v[9:10], v[9:10]
	v_ashrrev_i32_e32 v2, 31, v10
	s_clause 0x1
	s_load_b32 s5, s[0:1], 0x1c8
	s_load_b32 s10, s[0:1], 0x2a8
	s_mul_i32 s0, s47, s45
	s_mov_b32 s1, 0
	s_add_i32 s11, s36, 31
	v_or_b32_e32 v1, 0x80000000, v2
	v_xor_b32_e32 v4, v2, v9
	s_lshl_b64 s[12:13], s[0:1], 3
	s_mul_i32 s14, s46, s45
	s_and_not1_b32 s11, s11, 31
	v_xor_b32_e32 v3, v1, v10
	v_add_nc_u32_e32 v1, s42, v0
	s_mov_b32 s15, s1
	s_add_u32 s12, s40, s12
	s_addc_u32 s13, s41, s13
	s_lshl_b64 s[14:15], s[14:15], 3
	v_mul_lo_u32 v2, s30, v1
	s_add_u32 s14, s34, s14
	s_mov_b32 s18, -1
	s_addc_u32 s15, s35, s15
	s_mov_b32 s16, 0
	s_mov_b32 s17, exec_lo
	v_dual_cndmask_b32 v5, -1, v3 :: v_dual_cndmask_b32 v4, -1, v4
	v_cmpx_gt_u32_e64 s11, v0
	s_cbranch_execz .LBB69_434
; %bb.417:
	v_mul_lo_u32 v8, s30, v1
	v_mov_b32_e32 v9, 0
	v_mov_b32_e32 v15, v0
                                        ; implicit-def: $sgpr18
                                        ; implicit-def: $vgpr3
	s_branch .LBB69_419
.LBB69_418:                             ;   in Loop: Header=BB69_419 Depth=1
	s_or_b32 exec_lo, exec_lo, s19
	s_xor_b32 s19, s21, -1
	s_and_b32 s0, exec_lo, s0
	s_waitcnt vmcnt(0)
	v_dual_mov_b32 v6, v13 :: v_dual_mov_b32 v7, v14
	s_or_b32 s16, s0, s16
	v_mov_b32_e32 v15, v1
	s_and_not1_b32 s0, s18, exec_lo
	s_and_b32 s18, s19, exec_lo
	s_delay_alu instid0(SALU_CYCLE_1)
	s_or_b32 s18, s0, s18
	s_and_not1_b32 exec_lo, exec_lo, s16
	s_cbranch_execz .LBB69_433
.LBB69_419:                             ; =>This Inner Loop Header: Depth=1
	v_mov_b32_e32 v13, 0
	s_delay_alu instid0(VALU_DEP_2) | instskip(SKIP_1) | instid1(VALU_DEP_1)
	v_dual_mov_b32 v14, 0 :: v_dual_add_nc_u32 v1, s42, v15
	s_mov_b32 s0, exec_lo
	v_cmpx_gt_u32_e64 s36, v1
	s_cbranch_execz .LBB69_421
; %bb.420:                              ;   in Loop: Header=BB69_419 Depth=1
	v_lshlrev_b64 v[13:14], 3, v[8:9]
	s_delay_alu instid0(VALU_DEP_1) | instskip(NEXT) | instid1(VALU_DEP_2)
	v_add_co_u32 v13, vcc_lo, s31, v13
	v_add_co_ci_u32_e32 v14, vcc_lo, s33, v14, vcc_lo
	global_load_b64 v[13:14], v[13:14], off
.LBB69_421:                             ;   in Loop: Header=BB69_419 Depth=1
	s_or_b32 exec_lo, exec_lo, s0
	s_mov_b32 s19, 0
	s_mov_b32 s0, exec_lo
	v_cmpx_gt_u32_e64 s36, v15
	s_cbranch_execz .LBB69_423
; %bb.422:                              ;   in Loop: Header=BB69_419 Depth=1
	s_waitcnt vmcnt(0)
	v_cmp_o_f64_e32 vcc_lo, v[6:7], v[6:7]
	v_ashrrev_i32_e32 v10, 31, v7
	s_delay_alu instid0(VALU_DEP_1) | instskip(SKIP_1) | instid1(VALU_DEP_2)
	v_or_b32_e32 v16, 0x80000000, v10
	v_xor_b32_e32 v10, v10, v6
	v_xor_b32_e32 v16, v16, v7
	s_delay_alu instid0(VALU_DEP_1) | instskip(NEXT) | instid1(VALU_DEP_1)
	v_dual_cndmask_b32 v17, -1, v16 :: v_dual_cndmask_b32 v16, -1, v10
	v_cmp_gt_u64_e32 vcc_lo, v[16:17], v[4:5]
	v_cndmask_b32_e64 v10, 0, 1, vcc_lo
	v_cmp_lt_u64_e32 vcc_lo, v[16:17], v[4:5]
	v_cndmask_b32_e64 v16, 0, 1, vcc_lo
	s_delay_alu instid0(VALU_DEP_1) | instskip(NEXT) | instid1(VALU_DEP_1)
	v_cndmask_b32_e64 v10, v16, v10, s3
	v_and_b32_e32 v10, 1, v10
	s_delay_alu instid0(VALU_DEP_1)
	v_cmp_eq_u32_e32 vcc_lo, 1, v10
	s_and_b32 s19, vcc_lo, exec_lo
.LBB69_423:                             ;   in Loop: Header=BB69_419 Depth=1
	s_or_b32 exec_lo, exec_lo, s0
	v_cndmask_b32_e64 v10, 0, 1, s19
	s_delay_alu instid0(VALU_DEP_1) | instskip(SKIP_2) | instid1(SALU_CYCLE_1)
	v_cmp_ne_u32_e32 vcc_lo, 0, v10
	s_cmp_lg_u32 vcc_lo, 0
	s_cselect_b32 s0, -1, 0
	s_and_b32 s0, s2, s0
	s_delay_alu instid0(SALU_CYCLE_1)
	s_and_saveexec_b32 s20, s0
	s_cbranch_execz .LBB69_427
; %bb.424:                              ;   in Loop: Header=BB69_419 Depth=1
	s_mov_b32 s23, exec_lo
	s_bcnt1_i32_b32 s21, vcc_lo
	s_waitcnt lgkmcnt(0)
	v_mbcnt_lo_u32_b32 v3, s23, 0
	s_mov_b32 s22, exec_lo
                                        ; implicit-def: $vgpr10
	s_delay_alu instid0(VALU_DEP_1)
	v_cmpx_eq_u32_e32 0, v3
	s_cbranch_execz .LBB69_426
; %bb.425:                              ;   in Loop: Header=BB69_419 Depth=1
	s_bcnt1_i32_b32 s0, s23
	s_delay_alu instid0(SALU_CYCLE_1) | instskip(NEXT) | instid1(SALU_CYCLE_1)
	s_mul_i32 s0, s21, s0
	v_mov_b32_e32 v10, s0
	ds_add_rtn_u32 v10, v9, v10 offset:4108
.LBB69_426:                             ;   in Loop: Header=BB69_419 Depth=1
	s_or_b32 exec_lo, exec_lo, s22
	s_waitcnt lgkmcnt(0)
	v_readfirstlane_b32 s0, v10
	s_delay_alu instid0(VALU_DEP_1)
	v_mad_u32_u24 v3, s21, v3, s0
.LBB69_427:                             ;   in Loop: Header=BB69_419 Depth=1
	s_or_b32 exec_lo, exec_lo, s20
	s_waitcnt lgkmcnt(0)
	ds_bpermute_b32 v3, v9, v3
	s_mov_b32 s0, -1
	s_mov_b32 s22, -1
                                        ; implicit-def: $sgpr21
	s_and_saveexec_b32 s20, s19
	s_cbranch_execz .LBB69_431
; %bb.428:                              ;   in Loop: Header=BB69_419 Depth=1
	v_and_b32_e32 v10, vcc_lo, v27
	s_mov_b32 s19, 0
	s_mov_b32 s21, exec_lo
	s_waitcnt lgkmcnt(0)
	s_delay_alu instid0(VALU_DEP_1) | instskip(NEXT) | instid1(VALU_DEP_1)
	v_bcnt_u32_b32 v10, v10, v3
	v_cmpx_gt_u32_e64 s37, v10
	s_cbranch_execz .LBB69_430
; %bb.429:                              ;   in Loop: Header=BB69_419 Depth=1
	v_mul_lo_u32 v16, v10, s5
	v_mov_b32_e32 v17, v9
	v_mul_lo_u32 v18, v10, s10
	v_mov_b32_e32 v19, v9
	s_mov_b32 s19, exec_lo
	s_delay_alu instid0(VALU_DEP_3) | instskip(SKIP_1) | instid1(VALU_DEP_3)
	v_lshlrev_b64 v[20:21], 3, v[16:17]
	v_mov_b32_e32 v16, v9
	v_lshlrev_b64 v[17:18], 3, v[18:19]
	s_delay_alu instid0(VALU_DEP_3) | instskip(NEXT) | instid1(VALU_DEP_4)
	v_add_co_u32 v19, vcc_lo, s12, v20
	v_add_co_ci_u32_e32 v20, vcc_lo, s13, v21, vcc_lo
	s_delay_alu instid0(VALU_DEP_3) | instskip(NEXT) | instid1(VALU_DEP_4)
	v_add_co_u32 v17, vcc_lo, s14, v17
	v_add_co_ci_u32_e32 v18, vcc_lo, s15, v18, vcc_lo
	s_waitcnt vmcnt(0)
	global_store_b64 v[19:20], v[6:7], off
	global_store_b64 v[17:18], v[15:16], off
.LBB69_430:                             ;   in Loop: Header=BB69_419 Depth=1
	s_or_b32 exec_lo, exec_lo, s21
	s_mov_b32 s21, -1
	s_or_not1_b32 s22, s19, exec_lo
.LBB69_431:                             ;   in Loop: Header=BB69_419 Depth=1
	s_or_b32 exec_lo, exec_lo, s20
	s_and_saveexec_b32 s19, s22
	s_cbranch_execz .LBB69_418
; %bb.432:                              ;   in Loop: Header=BB69_419 Depth=1
	v_cmp_le_u32_e32 vcc_lo, s11, v1
	v_add_nc_u32_e32 v8, s44, v8
	s_and_not1_b32 s21, s21, exec_lo
	s_or_not1_b32 s0, vcc_lo, exec_lo
	s_branch .LBB69_418
.LBB69_433:
	s_or_b32 exec_lo, exec_lo, s16
	s_delay_alu instid0(SALU_CYCLE_1)
	s_mov_b32 s16, exec_lo
	s_or_not1_b32 s18, s18, exec_lo
.LBB69_434:
	s_or_b32 exec_lo, exec_lo, s17
	s_and_saveexec_b32 s3, s18
	s_cbranch_execz .LBB69_459
; %bb.435:
	s_waitcnt vmcnt(0)
	v_mov_b32_e32 v6, 0
	v_mov_b32_e32 v7, 0
	s_waitcnt lgkmcnt(0)
	s_waitcnt_vscnt null, 0x0
	s_barrier
	buffer_gl0_inv
	s_and_saveexec_b32 s0, s4
	s_cbranch_execz .LBB69_437
; %bb.436:
	global_load_b64 v[6:7], v[11:12], off
.LBB69_437:
	s_or_b32 exec_lo, exec_lo, s0
	v_mov_b32_e32 v3, 0
	s_mov_b32 s4, 0
                                        ; implicit-def: $sgpr1
                                        ; implicit-def: $sgpr17
                                        ; implicit-def: $sgpr18
                                        ; implicit-def: $vgpr12
	s_branch .LBB69_440
.LBB69_438:                             ;   in Loop: Header=BB69_440 Depth=1
	s_or_b32 exec_lo, exec_lo, s21
	v_mov_b32_e32 v6, v10
	v_dual_mov_b32 v0, v13 :: v_dual_mov_b32 v7, v11
	s_and_not1_b32 s18, s18, exec_lo
	s_and_b32 s20, s23, exec_lo
	s_and_not1_b32 s17, s17, exec_lo
	s_and_b32 s0, s0, exec_lo
	s_or_b32 s18, s18, s20
	s_or_b32 s17, s17, s0
.LBB69_439:                             ;   in Loop: Header=BB69_440 Depth=1
	s_or_b32 exec_lo, exec_lo, s19
	s_xor_b32 s0, s18, -1
	s_and_b32 s19, exec_lo, s17
	s_delay_alu instid0(SALU_CYCLE_1) | instskip(SKIP_2) | instid1(SALU_CYCLE_1)
	s_or_b32 s4, s19, s4
	s_and_not1_b32 s1, s1, exec_lo
	s_and_b32 s0, s0, exec_lo
	s_or_b32 s1, s1, s0
	s_and_not1_b32 exec_lo, exec_lo, s4
	s_cbranch_execz .LBB69_457
.LBB69_440:                             ; =>This Inner Loop Header: Depth=1
	s_or_b32 s18, s18, exec_lo
	s_or_b32 s17, s17, exec_lo
	s_mov_b32 s19, exec_lo
	v_cmpx_gt_u32_e64 s11, v0
	s_cbranch_execz .LBB69_439
; %bb.441:                              ;   in Loop: Header=BB69_440 Depth=1
	v_dual_mov_b32 v8, 0 :: v_dual_add_nc_u32 v13, s42, v0
	v_mov_b32_e32 v9, 0
	s_mov_b32 s0, exec_lo
	s_delay_alu instid0(VALU_DEP_2)
	v_cmpx_gt_u32_e64 s36, v13
	s_cbranch_execz .LBB69_443
; %bb.442:                              ;   in Loop: Header=BB69_440 Depth=1
	v_lshlrev_b64 v[8:9], 3, v[2:3]
	s_delay_alu instid0(VALU_DEP_1) | instskip(NEXT) | instid1(VALU_DEP_2)
	v_add_co_u32 v8, vcc_lo, s31, v8
	v_add_co_ci_u32_e32 v9, vcc_lo, s33, v9, vcc_lo
	global_load_b64 v[8:9], v[8:9], off
.LBB69_443:                             ;   in Loop: Header=BB69_440 Depth=1
	s_or_b32 exec_lo, exec_lo, s0
	s_mov_b32 s21, 0
	s_mov_b32 s0, exec_lo
	v_cmpx_gt_u32_e64 s36, v0
	s_cbranch_execz .LBB69_445
; %bb.444:                              ;   in Loop: Header=BB69_440 Depth=1
	s_waitcnt vmcnt(0)
	v_cmp_o_f64_e32 vcc_lo, v[6:7], v[6:7]
	v_ashrrev_i32_e32 v1, 31, v7
	s_delay_alu instid0(VALU_DEP_1) | instskip(SKIP_1) | instid1(VALU_DEP_2)
	v_or_b32_e32 v10, 0x80000000, v1
	v_xor_b32_e32 v1, v1, v6
	v_xor_b32_e32 v10, v10, v7
	s_delay_alu instid0(VALU_DEP_1) | instskip(NEXT) | instid1(VALU_DEP_1)
	v_dual_cndmask_b32 v11, -1, v10 :: v_dual_cndmask_b32 v10, -1, v1
	v_cmp_eq_u64_e32 vcc_lo, v[10:11], v[4:5]
	s_and_b32 s21, vcc_lo, exec_lo
.LBB69_445:                             ;   in Loop: Header=BB69_440 Depth=1
	s_or_b32 exec_lo, exec_lo, s0
	v_cndmask_b32_e64 v1, 0, 1, s21
	s_delay_alu instid0(VALU_DEP_1) | instskip(SKIP_2) | instid1(SALU_CYCLE_1)
	v_cmp_ne_u32_e32 vcc_lo, 0, v1
	s_cmp_lg_u32 vcc_lo, 0
	s_cselect_b32 s0, -1, 0
	s_and_b32 s0, s2, s0
	s_delay_alu instid0(SALU_CYCLE_1)
	s_and_saveexec_b32 s20, s0
	s_cbranch_execz .LBB69_449
; %bb.446:                              ;   in Loop: Header=BB69_440 Depth=1
	s_mov_b32 s24, exec_lo
	s_bcnt1_i32_b32 s22, vcc_lo
	v_mbcnt_lo_u32_b32 v1, s24, 0
	s_mov_b32 s23, exec_lo
                                        ; implicit-def: $vgpr10
	s_delay_alu instid0(VALU_DEP_1)
	v_cmpx_eq_u32_e32 0, v1
	s_cbranch_execz .LBB69_448
; %bb.447:                              ;   in Loop: Header=BB69_440 Depth=1
	s_bcnt1_i32_b32 s0, s24
	s_delay_alu instid0(SALU_CYCLE_1) | instskip(NEXT) | instid1(SALU_CYCLE_1)
	s_mul_i32 s0, s22, s0
	v_mov_b32_e32 v10, s0
	ds_add_rtn_u32 v10, v3, v10 offset:4108
.LBB69_448:                             ;   in Loop: Header=BB69_440 Depth=1
	s_or_b32 exec_lo, exec_lo, s23
	s_waitcnt lgkmcnt(0)
	v_readfirstlane_b32 s0, v10
	s_delay_alu instid0(VALU_DEP_1)
	v_mad_u32_u24 v12, s22, v1, s0
.LBB69_449:                             ;   in Loop: Header=BB69_440 Depth=1
	s_or_b32 exec_lo, exec_lo, s20
	ds_bpermute_b32 v12, v3, v12
	s_cmp_eq_u32 vcc_lo, 0
	s_mov_b32 s22, -1
	s_cselect_b32 s20, -1, 0
	s_mov_b32 s23, -1
	s_waitcnt lgkmcnt(0)
	v_cmp_gt_u32_e64 s0, s37, v12
	s_delay_alu instid0(VALU_DEP_1)
	s_or_b32 s20, s20, s0
	s_mov_b32 s0, -1
	s_waitcnt vmcnt(0)
	v_cndmask_b32_e64 v11, v7, v9, s20
	v_cndmask_b32_e64 v10, v6, v8, s20
	s_and_b32 s24, s21, s20
	s_delay_alu instid0(SALU_CYCLE_1)
	s_and_saveexec_b32 s21, s24
	s_cbranch_execz .LBB69_455
; %bb.450:                              ;   in Loop: Header=BB69_440 Depth=1
	v_and_b32_e32 v1, vcc_lo, v27
	v_sub_nc_u32_e32 v10, s37, v12
	s_mov_b32 s24, -1
	s_mov_b32 s23, exec_lo
	s_delay_alu instid0(VALU_DEP_2) | instskip(NEXT) | instid1(VALU_DEP_1)
	v_bcnt_u32_b32 v1, v1, 0
	v_cmp_le_u32_e64 s22, v10, v1
	v_cmpx_gt_u32_e64 v10, v1
	s_cbranch_execz .LBB69_454
; %bb.451:                              ;   in Loop: Header=BB69_440 Depth=1
	v_add_nc_u32_e32 v1, v12, v1
	s_delay_alu instid0(VALU_DEP_3) | instskip(SKIP_1) | instid1(VALU_DEP_1)
	s_mov_b32 s25, s22
	s_mov_b32 s24, exec_lo
	v_cmpx_gt_u32_e64 s37, v1
	s_cbranch_execz .LBB69_453
; %bb.452:                              ;   in Loop: Header=BB69_440 Depth=1
	v_mul_lo_u32 v10, v1, s5
	v_mov_b32_e32 v11, v3
	v_mul_lo_u32 v14, v1, s10
	v_mov_b32_e32 v15, v3
	v_mov_b32_e32 v1, v3
	s_or_b32 s25, s22, exec_lo
	v_lshlrev_b64 v[10:11], 3, v[10:11]
	s_delay_alu instid0(VALU_DEP_3) | instskip(NEXT) | instid1(VALU_DEP_2)
	v_lshlrev_b64 v[14:15], 3, v[14:15]
	v_add_co_u32 v10, vcc_lo, s12, v10
	s_delay_alu instid0(VALU_DEP_3) | instskip(NEXT) | instid1(VALU_DEP_3)
	v_add_co_ci_u32_e32 v11, vcc_lo, s13, v11, vcc_lo
	v_add_co_u32 v14, vcc_lo, s14, v14
	s_delay_alu instid0(VALU_DEP_4)
	v_add_co_ci_u32_e32 v15, vcc_lo, s15, v15, vcc_lo
	global_store_b64 v[10:11], v[6:7], off
	global_store_b64 v[14:15], v[0:1], off
.LBB69_453:                             ;   in Loop: Header=BB69_440 Depth=1
	s_or_b32 exec_lo, exec_lo, s24
	s_delay_alu instid0(SALU_CYCLE_1)
	s_and_not1_b32 s22, s22, exec_lo
	s_and_b32 s25, s25, exec_lo
	s_xor_b32 s24, exec_lo, -1
	s_or_b32 s22, s22, s25
.LBB69_454:                             ;   in Loop: Header=BB69_440 Depth=1
	s_or_b32 exec_lo, exec_lo, s23
	v_dual_mov_b32 v11, v9 :: v_dual_mov_b32 v10, v8
	s_or_not1_b32 s23, s24, exec_lo
	s_or_b32 s20, s20, exec_lo
	s_or_not1_b32 s22, s22, exec_lo
.LBB69_455:                             ;   in Loop: Header=BB69_440 Depth=1
	s_or_b32 exec_lo, exec_lo, s21
	s_and_saveexec_b32 s21, s22
	s_cbranch_execz .LBB69_438
; %bb.456:                              ;   in Loop: Header=BB69_440 Depth=1
	v_add_nc_u32_e32 v2, s44, v2
	s_xor_b32 s0, s20, -1
	s_or_b32 s23, s23, exec_lo
	s_or_not1_b32 s0, s0, exec_lo
	s_branch .LBB69_438
.LBB69_457:
	s_or_b32 exec_lo, exec_lo, s4
	s_mov_b32 s0, 0
	s_and_saveexec_b32 s2, s1
	s_delay_alu instid0(SALU_CYCLE_1)
	s_xor_b32 s1, exec_lo, s2
	s_cbranch_execnz .LBB69_489
.LBB69_458:
	s_or_b32 exec_lo, exec_lo, s1
	s_delay_alu instid0(SALU_CYCLE_1)
	s_and_b32 s1, s0, exec_lo
	s_and_not1_b32 s16, s16, exec_lo
.LBB69_459:
	s_or_b32 exec_lo, exec_lo, s3
	s_and_saveexec_b32 s0, s16
	s_delay_alu instid0(SALU_CYCLE_1)
	s_xor_b32 s0, exec_lo, s0
	s_cbranch_execnz .LBB69_485
.LBB69_460:
	s_or_b32 exec_lo, exec_lo, s0
	s_delay_alu instid0(SALU_CYCLE_1)
	s_and_b32 s11, s1, exec_lo
.LBB69_461:
	s_and_not1_saveexec_b32 s0, s9
	s_cbranch_execnz .LBB69_481
.LBB69_462:
	s_or_b32 exec_lo, exec_lo, s0
	s_delay_alu instid0(SALU_CYCLE_1)
	s_and_b32 s11, s11, exec_lo
.LBB69_463:
	s_and_not1_saveexec_b32 s0, s8
	s_cbranch_execnz .LBB69_477
.LBB69_464:
	s_or_b32 exec_lo, exec_lo, s0
	s_delay_alu instid0(SALU_CYCLE_1)
	s_and_b32 s8, s11, exec_lo
.LBB69_465:
	s_and_not1_saveexec_b32 s0, s7
	s_cbranch_execnz .LBB69_473
.LBB69_466:
	s_or_b32 exec_lo, exec_lo, s0
	s_delay_alu instid0(SALU_CYCLE_1)
	s_and_b32 s7, s8, exec_lo
.LBB69_467:
	s_and_not1_saveexec_b32 s0, s6
	s_cbranch_execnz .LBB69_471
; %bb.468:
	s_or_b32 exec_lo, exec_lo, s0
	s_and_saveexec_b32 s0, s7
.LBB69_469:
	; divergent unreachable
.LBB69_470:
	s_nop 0
	s_sendmsg sendmsg(MSG_DEALLOC_VGPRS)
	s_endpgm
.LBB69_471:
	s_cbranch_execnz .LBB69_475
; %bb.472:
	s_or_b32 s7, s7, exec_lo
	s_or_b32 exec_lo, exec_lo, s0
	s_and_saveexec_b32 s0, s7
	s_cbranch_execnz .LBB69_469
	s_branch .LBB69_470
.LBB69_473:
	s_cbranch_execnz .LBB69_479
; %bb.474:
	s_or_b32 s8, s8, exec_lo
	s_branch .LBB69_466
.LBB69_475:
	s_trap 2
	s_sendmsg_rtn_b32 s0, sendmsg(MSG_RTN_GET_DOORBELL)
	s_mov_b32 ttmp2, m0
	s_waitcnt lgkmcnt(0)
	s_and_b32 s0, s0, 0x3ff
	s_delay_alu instid0(SALU_CYCLE_1) | instskip(NEXT) | instid1(SALU_CYCLE_1)
	s_bitset1_b32 s0, 10
	s_mov_b32 m0, s0
	s_sendmsg sendmsg(MSG_INTERRUPT)
	s_mov_b32 m0, ttmp2
.LBB69_476:                             ; =>This Inner Loop Header: Depth=1
	s_sethalt 5
	s_branch .LBB69_476
.LBB69_477:
	s_cbranch_execnz .LBB69_483
; %bb.478:
	s_or_b32 s11, s11, exec_lo
	s_branch .LBB69_464
.LBB69_479:
	s_trap 2
	s_sendmsg_rtn_b32 s0, sendmsg(MSG_RTN_GET_DOORBELL)
	s_mov_b32 ttmp2, m0
	s_waitcnt lgkmcnt(0)
	s_and_b32 s0, s0, 0x3ff
	s_delay_alu instid0(SALU_CYCLE_1) | instskip(NEXT) | instid1(SALU_CYCLE_1)
	s_bitset1_b32 s0, 10
	s_mov_b32 m0, s0
	s_sendmsg sendmsg(MSG_INTERRUPT)
	s_mov_b32 m0, ttmp2
.LBB69_480:                             ; =>This Inner Loop Header: Depth=1
	s_sethalt 5
	s_branch .LBB69_480
.LBB69_481:
	s_cbranch_execnz .LBB69_487
; %bb.482:
	s_or_b32 s11, s11, exec_lo
	s_branch .LBB69_462
.LBB69_483:
	s_trap 2
	s_sendmsg_rtn_b32 s0, sendmsg(MSG_RTN_GET_DOORBELL)
	s_mov_b32 ttmp2, m0
	s_waitcnt lgkmcnt(0)
	s_and_b32 s0, s0, 0x3ff
	s_delay_alu instid0(SALU_CYCLE_1) | instskip(NEXT) | instid1(SALU_CYCLE_1)
	s_bitset1_b32 s0, 10
	s_mov_b32 m0, s0
	s_sendmsg sendmsg(MSG_INTERRUPT)
	s_mov_b32 m0, ttmp2
.LBB69_484:                             ; =>This Inner Loop Header: Depth=1
	s_sethalt 5
	s_branch .LBB69_484
.LBB69_485:
	s_cbranch_execnz .LBB69_491
; %bb.486:
	s_or_b32 s1, s1, exec_lo
	s_branch .LBB69_460
.LBB69_487:
	s_trap 2
	s_sendmsg_rtn_b32 s0, sendmsg(MSG_RTN_GET_DOORBELL)
	s_mov_b32 ttmp2, m0
	s_waitcnt lgkmcnt(0)
	s_and_b32 s0, s0, 0x3ff
	s_delay_alu instid0(SALU_CYCLE_1) | instskip(NEXT) | instid1(SALU_CYCLE_1)
	s_bitset1_b32 s0, 10
	s_mov_b32 m0, s0
	s_sendmsg sendmsg(MSG_INTERRUPT)
	s_mov_b32 m0, ttmp2
.LBB69_488:                             ; =>This Inner Loop Header: Depth=1
	s_sethalt 5
	s_branch .LBB69_488
.LBB69_489:
	s_cbranch_execnz .LBB69_493
; %bb.490:
	s_mov_b32 s0, exec_lo
	s_branch .LBB69_458
.LBB69_491:
	s_trap 2
	s_sendmsg_rtn_b32 s0, sendmsg(MSG_RTN_GET_DOORBELL)
	s_mov_b32 ttmp2, m0
	s_waitcnt lgkmcnt(0)
	s_and_b32 s0, s0, 0x3ff
	s_delay_alu instid0(SALU_CYCLE_1) | instskip(NEXT) | instid1(SALU_CYCLE_1)
	s_bitset1_b32 s0, 10
	s_mov_b32 m0, s0
	s_sendmsg sendmsg(MSG_INTERRUPT)
	s_mov_b32 m0, ttmp2
.LBB69_492:                             ; =>This Inner Loop Header: Depth=1
	s_sethalt 5
	s_branch .LBB69_492
.LBB69_493:
	s_trap 2
	s_sendmsg_rtn_b32 s0, sendmsg(MSG_RTN_GET_DOORBELL)
	s_mov_b32 ttmp2, m0
	s_waitcnt lgkmcnt(0)
	s_and_b32 s0, s0, 0x3ff
	s_delay_alu instid0(SALU_CYCLE_1) | instskip(NEXT) | instid1(SALU_CYCLE_1)
	s_bitset1_b32 s0, 10
	s_mov_b32 m0, s0
	s_sendmsg sendmsg(MSG_INTERRUPT)
	s_mov_b32 m0, ttmp2
.LBB69_494:                             ; =>This Inner Loop Header: Depth=1
	s_sethalt 5
	s_branch .LBB69_494
	.section	.rodata,"a",@progbits
	.p2align	6, 0x0
	.amdhsa_kernel _ZN2at6native6sbtopk10gatherTopKIdjLi1ELb0EEEvNS_4cuda6detail10TensorInfoIKT_T0_EES8_S8_bS8_S8_NS5_IS6_S8_EES8_NS5_IlS8_EES8_PS6_
		.amdhsa_group_segment_fixed_size 4112
		.amdhsa_private_segment_fixed_size 0
		.amdhsa_kernarg_size 952
		.amdhsa_user_sgpr_count 13
		.amdhsa_user_sgpr_dispatch_ptr 0
		.amdhsa_user_sgpr_queue_ptr 0
		.amdhsa_user_sgpr_kernarg_segment_ptr 1
		.amdhsa_user_sgpr_dispatch_id 0
		.amdhsa_user_sgpr_private_segment_size 0
		.amdhsa_wavefront_size32 1
		.amdhsa_uses_dynamic_stack 0
		.amdhsa_enable_private_segment 0
		.amdhsa_system_sgpr_workgroup_id_x 1
		.amdhsa_system_sgpr_workgroup_id_y 1
		.amdhsa_system_sgpr_workgroup_id_z 1
		.amdhsa_system_sgpr_workgroup_info 0
		.amdhsa_system_vgpr_workitem_id 0
		.amdhsa_next_free_vgpr 55
		.amdhsa_next_free_sgpr 91
		.amdhsa_reserve_vcc 1
		.amdhsa_float_round_mode_32 0
		.amdhsa_float_round_mode_16_64 0
		.amdhsa_float_denorm_mode_32 3
		.amdhsa_float_denorm_mode_16_64 3
		.amdhsa_dx10_clamp 1
		.amdhsa_ieee_mode 1
		.amdhsa_fp16_overflow 0
		.amdhsa_workgroup_processor_mode 1
		.amdhsa_memory_ordered 1
		.amdhsa_forward_progress 0
		.amdhsa_shared_vgpr_count 0
		.amdhsa_exception_fp_ieee_invalid_op 0
		.amdhsa_exception_fp_denorm_src 0
		.amdhsa_exception_fp_ieee_div_zero 0
		.amdhsa_exception_fp_ieee_overflow 0
		.amdhsa_exception_fp_ieee_underflow 0
		.amdhsa_exception_fp_ieee_inexact 0
		.amdhsa_exception_int_div_zero 0
	.end_amdhsa_kernel
	.section	.text._ZN2at6native6sbtopk10gatherTopKIdjLi1ELb0EEEvNS_4cuda6detail10TensorInfoIKT_T0_EES8_S8_bS8_S8_NS5_IS6_S8_EES8_NS5_IlS8_EES8_PS6_,"axG",@progbits,_ZN2at6native6sbtopk10gatherTopKIdjLi1ELb0EEEvNS_4cuda6detail10TensorInfoIKT_T0_EES8_S8_bS8_S8_NS5_IS6_S8_EES8_NS5_IlS8_EES8_PS6_,comdat
.Lfunc_end69:
	.size	_ZN2at6native6sbtopk10gatherTopKIdjLi1ELb0EEEvNS_4cuda6detail10TensorInfoIKT_T0_EES8_S8_bS8_S8_NS5_IS6_S8_EES8_NS5_IlS8_EES8_PS6_, .Lfunc_end69-_ZN2at6native6sbtopk10gatherTopKIdjLi1ELb0EEEvNS_4cuda6detail10TensorInfoIKT_T0_EES8_S8_bS8_S8_NS5_IS6_S8_EES8_NS5_IlS8_EES8_PS6_
                                        ; -- End function
	.section	.AMDGPU.csdata,"",@progbits
; Kernel info:
; codeLenInByte = 16752
; NumSgprs: 93
; NumVgprs: 55
; ScratchSize: 0
; MemoryBound: 0
; FloatMode: 240
; IeeeMode: 1
; LDSByteSize: 4112 bytes/workgroup (compile time only)
; SGPRBlocks: 11
; VGPRBlocks: 6
; NumSGPRsForWavesPerEU: 93
; NumVGPRsForWavesPerEU: 55
; Occupancy: 16
; WaveLimiterHint : 1
; COMPUTE_PGM_RSRC2:SCRATCH_EN: 0
; COMPUTE_PGM_RSRC2:USER_SGPR: 13
; COMPUTE_PGM_RSRC2:TRAP_HANDLER: 0
; COMPUTE_PGM_RSRC2:TGID_X_EN: 1
; COMPUTE_PGM_RSRC2:TGID_Y_EN: 1
; COMPUTE_PGM_RSRC2:TGID_Z_EN: 1
; COMPUTE_PGM_RSRC2:TIDIG_COMP_CNT: 0
	.section	.text._ZN2at6native6mbtopk23computeBlockDigitCountsIdjmLi2EEEvNS_4cuda6detail10TensorInfoIKT_T0_EEjPjjS8_iijT1_PSB_Ps,"axG",@progbits,_ZN2at6native6mbtopk23computeBlockDigitCountsIdjmLi2EEEvNS_4cuda6detail10TensorInfoIKT_T0_EEjPjjS8_iijT1_PSB_Ps,comdat
	.protected	_ZN2at6native6mbtopk23computeBlockDigitCountsIdjmLi2EEEvNS_4cuda6detail10TensorInfoIKT_T0_EEjPjjS8_iijT1_PSB_Ps ; -- Begin function _ZN2at6native6mbtopk23computeBlockDigitCountsIdjmLi2EEEvNS_4cuda6detail10TensorInfoIKT_T0_EEjPjjS8_iijT1_PSB_Ps
	.globl	_ZN2at6native6mbtopk23computeBlockDigitCountsIdjmLi2EEEvNS_4cuda6detail10TensorInfoIKT_T0_EEjPjjS8_iijT1_PSB_Ps
	.p2align	8
	.type	_ZN2at6native6mbtopk23computeBlockDigitCountsIdjmLi2EEEvNS_4cuda6detail10TensorInfoIKT_T0_EEjPjjS8_iijT1_PSB_Ps,@function
_ZN2at6native6mbtopk23computeBlockDigitCountsIdjmLi2EEEvNS_4cuda6detail10TensorInfoIKT_T0_EEjPjjS8_iijT1_PSB_Ps: ; @_ZN2at6native6mbtopk23computeBlockDigitCountsIdjmLi2EEEvNS_4cuda6detail10TensorInfoIKT_T0_EEjPjjS8_iijT1_PSB_Ps
; %bb.0:
	s_clause 0x2
	s_load_b32 s16, s[0:1], 0xf8
	s_load_b128 s[4:7], s[0:1], 0xe8
	s_load_b64 s[2:3], s[0:1], 0x118
	s_waitcnt lgkmcnt(0)
	v_cvt_f32_u32_e32 v1, s16
	s_sub_i32 s9, 0, s16
	s_mul_i32 s3, s3, s15
	s_delay_alu instid0(SALU_CYCLE_1) | instskip(NEXT) | instid1(VALU_DEP_1)
	s_add_i32 s3, s3, s14
	v_rcp_iflag_f32_e32 v1, v1
	s_mul_i32 s14, s3, s2
	s_delay_alu instid0(SALU_CYCLE_1) | instskip(SKIP_3) | instid1(VALU_DEP_1)
	s_add_i32 s14, s14, s13
	s_mov_b32 s13, 0
	s_waitcnt_depctr 0xfff
	v_mul_f32_e32 v1, 0x4f7ffffe, v1
	v_cvt_u32_f32_e32 v1, v1
	s_delay_alu instid0(VALU_DEP_1) | instskip(NEXT) | instid1(VALU_DEP_1)
	v_readfirstlane_b32 s8, v1
	s_mul_i32 s9, s9, s8
	s_delay_alu instid0(SALU_CYCLE_1) | instskip(NEXT) | instid1(SALU_CYCLE_1)
	s_mul_hi_u32 s2, s8, s9
	s_add_i32 s8, s8, s2
	s_delay_alu instid0(SALU_CYCLE_1) | instskip(NEXT) | instid1(SALU_CYCLE_1)
	s_mul_hi_u32 s2, s14, s8
	s_mul_i32 s3, s2, s16
	s_add_i32 s8, s2, 1
	s_sub_i32 s3, s14, s3
	s_delay_alu instid0(SALU_CYCLE_1)
	s_sub_i32 s9, s3, s16
	s_cmp_ge_u32 s3, s16
	s_cselect_b32 s2, s8, s2
	s_cselect_b32 s3, s9, s3
	s_add_i32 s8, s2, 1
	s_cmp_ge_u32 s3, s16
	s_cselect_b32 s12, s8, s2
	s_delay_alu instid0(SALU_CYCLE_1)
	s_cmp_ge_u32 s12, s4
	s_cbranch_scc1 .LBB70_23
; %bb.1:
	s_clause 0x2
	s_load_b32 s15, s[0:1], 0xc
	s_load_b128 s[8:11], s[0:1], 0x100
	s_load_b64 s[2:3], s[0:1], 0x110
	s_lshl_b64 s[20:21], s[12:13], 3
	v_cmp_gt_u32_e32 vcc_lo, 0x100, v0
	v_lshlrev_b32_e32 v5, 2, v0
	s_waitcnt lgkmcnt(0)
	s_add_u32 s10, s10, s20
	v_cvt_f32_u32_e32 v1, s15
	s_addc_u32 s11, s11, s21
	s_delay_alu instid0(VALU_DEP_1) | instskip(SKIP_2) | instid1(VALU_DEP_1)
	v_rcp_iflag_f32_e32 v1, v1
	s_waitcnt_depctr 0xfff
	v_mul_f32_e32 v1, 0x4f7ffffe, v1
	v_cvt_u32_f32_e32 v1, v1
	s_delay_alu instid0(VALU_DEP_1)
	v_readfirstlane_b32 s18, v1
	s_and_saveexec_b32 s4, vcc_lo
	s_cbranch_execz .LBB70_3
; %bb.2:
	v_mov_b32_e32 v1, 0
	ds_store_b32 v5, v1
.LBB70_3:
	s_or_b32 exec_lo, exec_lo, s4
	s_load_b32 s4, s[0:1], 0xd8
	s_mul_i32 s13, s12, s16
	s_waitcnt lgkmcnt(0)
	s_sub_i32 s13, s14, s13
	s_barrier
	s_mul_i32 s17, s7, s13
	s_add_i32 s13, s13, 1
	s_lshl_b32 s17, s17, 8
	buffer_gl0_inv
	s_sub_i32 s19, s4, s17
	s_delay_alu instid0(SALU_CYCLE_1) | instskip(SKIP_4) | instid1(VALU_DEP_1)
	s_add_u32 s19, s19, 0xff
	s_addc_u32 s20, 0, 0
	s_cmp_lt_u32 s13, s16
	v_alignbit_b32 v1, s20, s19, 8
	s_mov_b32 s13, 0
	v_readfirstlane_b32 s19, v1
	s_delay_alu instid0(VALU_DEP_1) | instskip(NEXT) | instid1(SALU_CYCLE_1)
	s_cselect_b32 s7, s7, s19
	s_cmp_lt_i32 s7, 1
	s_cbranch_scc1 .LBB70_19
; %bb.4:
	s_sub_i32 s16, 0, s15
	s_load_b64 s[10:11], s[10:11], 0x0
	s_mul_i32 s16, s16, s18
	v_add_nc_u32_e32 v6, s17, v0
	s_mul_hi_u32 s16, s18, s16
	s_delay_alu instid0(SALU_CYCLE_1)
	s_add_i32 s16, s18, s16
	s_load_b64 s[18:19], s[0:1], 0x6c
	s_mul_hi_u32 s16, s12, s16
	s_load_b64 s[0:1], s[0:1], 0x0
	s_mul_i32 s20, s16, s15
	s_add_i32 s21, s16, 1
	s_sub_i32 s20, s12, s20
	s_delay_alu instid0(SALU_CYCLE_1)
	s_sub_i32 s22, s20, s15
	s_cmp_ge_u32 s20, s15
	s_cselect_b32 s16, s21, s16
	s_cselect_b32 s20, s22, s20
	s_add_i32 s21, s16, 1
	s_cmp_ge_u32 s20, s15
	s_cselect_b32 s16, s21, s16
	s_delay_alu instid0(SALU_CYCLE_1) | instskip(NEXT) | instid1(SALU_CYCLE_1)
	s_mul_i32 s15, s16, s15
	s_sub_i32 s12, s12, s15
	s_waitcnt lgkmcnt(0)
	s_mul_i32 s15, s16, s18
	s_mul_i32 s12, s12, s19
	s_delay_alu instid0(SALU_CYCLE_1) | instskip(NEXT) | instid1(SALU_CYCLE_1)
	s_add_i32 s12, s15, s12
	s_lshl_b64 s[18:19], s[12:13], 3
	s_delay_alu instid0(SALU_CYCLE_1)
	s_add_u32 s12, s0, s18
	s_addc_u32 s15, s1, s19
	s_and_b32 s1, s6, 0xff
	s_cmp_eq_u32 s7, 1
	s_cbranch_scc1 .LBB70_14
; %bb.5:
	v_dual_mov_b32 v2, 0 :: v_dual_add_nc_u32 v1, 0x100, v6
	v_mul_lo_u32 v8, s5, v6
	v_dual_mov_b32 v9, 1 :: v_dual_mov_b32 v10, v6
	s_delay_alu instid0(VALU_DEP_3)
	v_mul_lo_u32 v7, s5, v1
	s_and_b32 s6, s7, 0x7ffffffe
	s_lshl_b32 s13, s5, 9
	s_mov_b32 s16, 0
	s_mov_b32 s17, 0
	s_branch .LBB70_7
.LBB70_6:                               ;   in Loop: Header=BB70_7 Depth=1
	s_or_b32 exec_lo, exec_lo, s18
	v_add_nc_u32_e32 v10, 0x200, v10
	s_add_i32 s17, s17, 2
	s_add_i32 s16, s16, s13
	s_cmp_eq_u32 s6, s17
	s_cbranch_scc1 .LBB70_13
.LBB70_7:                               ; =>This Inner Loop Header: Depth=1
	s_mov_b32 s18, exec_lo
	v_cmpx_gt_u32_e64 s4, v10
	s_cbranch_execz .LBB70_10
; %bb.8:                                ;   in Loop: Header=BB70_7 Depth=1
	v_add_nc_u32_e32 v1, s16, v8
	s_delay_alu instid0(VALU_DEP_1) | instskip(NEXT) | instid1(VALU_DEP_1)
	v_lshlrev_b64 v[3:4], 3, v[1:2]
	v_add_co_u32 v3, s0, s12, v3
	s_delay_alu instid0(VALU_DEP_1) | instskip(SKIP_4) | instid1(VALU_DEP_1)
	v_add_co_ci_u32_e64 v4, s0, s15, v4, s0
	global_load_b64 v[3:4], v[3:4], off
	s_waitcnt vmcnt(0)
	v_cmp_o_f64_e64 s0, v[3:4], v[3:4]
	v_ashrrev_i32_e32 v1, 31, v4
	v_or_b32_e32 v11, 0x80000000, v1
	v_xor_b32_e32 v1, v1, v3
	s_delay_alu instid0(VALU_DEP_2) | instskip(NEXT) | instid1(VALU_DEP_1)
	v_xor_b32_e32 v11, v11, v4
	v_cndmask_b32_e64 v4, -1, v11, s0
	s_delay_alu instid0(VALU_DEP_3) | instskip(NEXT) | instid1(VALU_DEP_2)
	v_cndmask_b32_e64 v3, -1, v1, s0
	v_xor_b32_e32 v1, s11, v4
	s_delay_alu instid0(VALU_DEP_2) | instskip(NEXT) | instid1(VALU_DEP_2)
	v_xor_b32_e32 v11, s10, v3
	v_and_b32_e32 v12, s9, v1
	s_delay_alu instid0(VALU_DEP_2) | instskip(NEXT) | instid1(VALU_DEP_1)
	v_and_b32_e32 v11, s8, v11
	v_cmp_eq_u64_e64 s0, 0, v[11:12]
	s_delay_alu instid0(VALU_DEP_1)
	s_and_b32 exec_lo, exec_lo, s0
	s_cbranch_execz .LBB70_10
; %bb.9:                                ;   in Loop: Header=BB70_7 Depth=1
	v_lshrrev_b64 v[3:4], s1, v[3:4]
	s_delay_alu instid0(VALU_DEP_1) | instskip(NEXT) | instid1(VALU_DEP_1)
	v_and_b32_e32 v1, 0xff, v3
	v_lshlrev_b32_e32 v1, 2, v1
	ds_add_u32 v1, v9
.LBB70_10:                              ;   in Loop: Header=BB70_7 Depth=1
	s_or_b32 exec_lo, exec_lo, s18
	v_add_nc_u32_e32 v1, 0x100, v10
	s_mov_b32 s18, exec_lo
	s_delay_alu instid0(VALU_DEP_1)
	v_cmpx_gt_u32_e64 s4, v1
	s_cbranch_execz .LBB70_6
; %bb.11:                               ;   in Loop: Header=BB70_7 Depth=1
	v_add_nc_u32_e32 v1, s16, v7
	s_delay_alu instid0(VALU_DEP_1) | instskip(NEXT) | instid1(VALU_DEP_1)
	v_lshlrev_b64 v[3:4], 3, v[1:2]
	v_add_co_u32 v3, s0, s12, v3
	s_delay_alu instid0(VALU_DEP_1) | instskip(SKIP_4) | instid1(VALU_DEP_1)
	v_add_co_ci_u32_e64 v4, s0, s15, v4, s0
	global_load_b64 v[3:4], v[3:4], off
	s_waitcnt vmcnt(0)
	v_cmp_o_f64_e64 s0, v[3:4], v[3:4]
	v_ashrrev_i32_e32 v1, 31, v4
	v_or_b32_e32 v11, 0x80000000, v1
	v_xor_b32_e32 v1, v1, v3
	s_delay_alu instid0(VALU_DEP_2) | instskip(NEXT) | instid1(VALU_DEP_1)
	v_xor_b32_e32 v11, v11, v4
	v_cndmask_b32_e64 v4, -1, v11, s0
	s_delay_alu instid0(VALU_DEP_3) | instskip(NEXT) | instid1(VALU_DEP_2)
	v_cndmask_b32_e64 v3, -1, v1, s0
	v_xor_b32_e32 v1, s11, v4
	s_delay_alu instid0(VALU_DEP_2) | instskip(NEXT) | instid1(VALU_DEP_2)
	v_xor_b32_e32 v11, s10, v3
	v_and_b32_e32 v12, s9, v1
	s_delay_alu instid0(VALU_DEP_2) | instskip(NEXT) | instid1(VALU_DEP_1)
	v_and_b32_e32 v11, s8, v11
	v_cmp_eq_u64_e64 s0, 0, v[11:12]
	s_delay_alu instid0(VALU_DEP_1)
	s_and_b32 exec_lo, exec_lo, s0
	s_cbranch_execz .LBB70_6
; %bb.12:                               ;   in Loop: Header=BB70_7 Depth=1
	v_lshrrev_b64 v[3:4], s1, v[3:4]
	s_delay_alu instid0(VALU_DEP_1) | instskip(NEXT) | instid1(VALU_DEP_1)
	v_and_b32_e32 v1, 0xff, v3
	v_lshlrev_b32_e32 v1, 2, v1
	ds_add_u32 v1, v9
	s_branch .LBB70_6
.LBB70_13:
	s_lshl_b32 s13, s6, 8
.LBB70_14:
	s_bitcmp0_b32 s7, 0
	s_cbranch_scc1 .LBB70_19
; %bb.15:
	v_add_nc_u32_e32 v1, s13, v6
	s_delay_alu instid0(VALU_DEP_1) | instskip(NEXT) | instid1(VALU_DEP_1)
	v_cmp_gt_u32_e64 s0, s4, v1
	s_and_saveexec_b32 s4, s0
	s_cbranch_execz .LBB70_18
; %bb.16:
	v_mul_lo_u32 v1, v1, s5
	v_mov_b32_e32 v2, 0
	s_delay_alu instid0(VALU_DEP_1) | instskip(NEXT) | instid1(VALU_DEP_1)
	v_lshlrev_b64 v[1:2], 3, v[1:2]
	v_add_co_u32 v1, s0, s12, v1
	s_delay_alu instid0(VALU_DEP_1) | instskip(SKIP_4) | instid1(VALU_DEP_1)
	v_add_co_ci_u32_e64 v2, s0, s15, v2, s0
	global_load_b64 v[1:2], v[1:2], off
	s_waitcnt vmcnt(0)
	v_cmp_o_f64_e64 s0, v[1:2], v[1:2]
	v_ashrrev_i32_e32 v3, 31, v2
	v_or_b32_e32 v4, 0x80000000, v3
	v_xor_b32_e32 v1, v3, v1
	s_delay_alu instid0(VALU_DEP_2) | instskip(NEXT) | instid1(VALU_DEP_1)
	v_xor_b32_e32 v4, v4, v2
	v_cndmask_b32_e64 v2, -1, v4, s0
	s_delay_alu instid0(VALU_DEP_3) | instskip(NEXT) | instid1(VALU_DEP_2)
	v_cndmask_b32_e64 v1, -1, v1, s0
	v_xor_b32_e32 v3, s11, v2
	s_delay_alu instid0(VALU_DEP_2) | instskip(NEXT) | instid1(VALU_DEP_2)
	v_xor_b32_e32 v6, s10, v1
	v_and_b32_e32 v4, s9, v3
	s_delay_alu instid0(VALU_DEP_2) | instskip(NEXT) | instid1(VALU_DEP_1)
	v_and_b32_e32 v3, s8, v6
	v_cmp_eq_u64_e64 s0, 0, v[3:4]
	s_delay_alu instid0(VALU_DEP_1)
	s_and_b32 exec_lo, exec_lo, s0
	s_cbranch_execz .LBB70_18
; %bb.17:
	v_lshrrev_b64 v[1:2], s1, v[1:2]
	s_delay_alu instid0(VALU_DEP_1) | instskip(NEXT) | instid1(VALU_DEP_1)
	v_dual_mov_b32 v2, 1 :: v_dual_and_b32 v1, 0xff, v1
	v_lshlrev_b32_e32 v1, 2, v1
	ds_add_u32 v1, v2
.LBB70_18:
	s_or_b32 exec_lo, exec_lo, s4
.LBB70_19:
	v_mov_b32_e32 v1, 0
	s_waitcnt lgkmcnt(0)
	s_barrier
	buffer_gl0_inv
	s_and_saveexec_b32 s0, vcc_lo
	s_cbranch_execz .LBB70_21
; %bb.20:
	ds_load_b32 v1, v5
.LBB70_21:
	s_or_b32 exec_lo, exec_lo, s0
	s_and_saveexec_b32 s0, vcc_lo
	s_cbranch_execz .LBB70_23
; %bb.22:
	v_lshl_or_b32 v2, s14, 8, v0
	v_mov_b32_e32 v3, 0
	s_delay_alu instid0(VALU_DEP_1) | instskip(NEXT) | instid1(VALU_DEP_1)
	v_lshlrev_b64 v[2:3], 1, v[2:3]
	v_add_co_u32 v2, vcc_lo, s2, v2
	s_delay_alu instid0(VALU_DEP_2)
	v_add_co_ci_u32_e32 v3, vcc_lo, s3, v3, vcc_lo
	s_waitcnt lgkmcnt(0)
	global_store_b16 v[2:3], v1, off
.LBB70_23:
	s_nop 0
	s_sendmsg sendmsg(MSG_DEALLOC_VGPRS)
	s_endpgm
	.section	.rodata,"a",@progbits
	.p2align	6, 0x0
	.amdhsa_kernel _ZN2at6native6mbtopk23computeBlockDigitCountsIdjmLi2EEEvNS_4cuda6detail10TensorInfoIKT_T0_EEjPjjS8_iijT1_PSB_Ps
		.amdhsa_group_segment_fixed_size 1024
		.amdhsa_private_segment_fixed_size 0
		.amdhsa_kernarg_size 536
		.amdhsa_user_sgpr_count 13
		.amdhsa_user_sgpr_dispatch_ptr 0
		.amdhsa_user_sgpr_queue_ptr 0
		.amdhsa_user_sgpr_kernarg_segment_ptr 1
		.amdhsa_user_sgpr_dispatch_id 0
		.amdhsa_user_sgpr_private_segment_size 0
		.amdhsa_wavefront_size32 1
		.amdhsa_uses_dynamic_stack 0
		.amdhsa_enable_private_segment 0
		.amdhsa_system_sgpr_workgroup_id_x 1
		.amdhsa_system_sgpr_workgroup_id_y 1
		.amdhsa_system_sgpr_workgroup_id_z 1
		.amdhsa_system_sgpr_workgroup_info 0
		.amdhsa_system_vgpr_workitem_id 0
		.amdhsa_next_free_vgpr 13
		.amdhsa_next_free_sgpr 23
		.amdhsa_reserve_vcc 1
		.amdhsa_float_round_mode_32 0
		.amdhsa_float_round_mode_16_64 0
		.amdhsa_float_denorm_mode_32 3
		.amdhsa_float_denorm_mode_16_64 3
		.amdhsa_dx10_clamp 1
		.amdhsa_ieee_mode 1
		.amdhsa_fp16_overflow 0
		.amdhsa_workgroup_processor_mode 1
		.amdhsa_memory_ordered 1
		.amdhsa_forward_progress 0
		.amdhsa_shared_vgpr_count 0
		.amdhsa_exception_fp_ieee_invalid_op 0
		.amdhsa_exception_fp_denorm_src 0
		.amdhsa_exception_fp_ieee_div_zero 0
		.amdhsa_exception_fp_ieee_overflow 0
		.amdhsa_exception_fp_ieee_underflow 0
		.amdhsa_exception_fp_ieee_inexact 0
		.amdhsa_exception_int_div_zero 0
	.end_amdhsa_kernel
	.section	.text._ZN2at6native6mbtopk23computeBlockDigitCountsIdjmLi2EEEvNS_4cuda6detail10TensorInfoIKT_T0_EEjPjjS8_iijT1_PSB_Ps,"axG",@progbits,_ZN2at6native6mbtopk23computeBlockDigitCountsIdjmLi2EEEvNS_4cuda6detail10TensorInfoIKT_T0_EEjPjjS8_iijT1_PSB_Ps,comdat
.Lfunc_end70:
	.size	_ZN2at6native6mbtopk23computeBlockDigitCountsIdjmLi2EEEvNS_4cuda6detail10TensorInfoIKT_T0_EEjPjjS8_iijT1_PSB_Ps, .Lfunc_end70-_ZN2at6native6mbtopk23computeBlockDigitCountsIdjmLi2EEEvNS_4cuda6detail10TensorInfoIKT_T0_EEjPjjS8_iijT1_PSB_Ps
                                        ; -- End function
	.section	.AMDGPU.csdata,"",@progbits
; Kernel info:
; codeLenInByte = 1388
; NumSgprs: 25
; NumVgprs: 13
; ScratchSize: 0
; MemoryBound: 0
; FloatMode: 240
; IeeeMode: 1
; LDSByteSize: 1024 bytes/workgroup (compile time only)
; SGPRBlocks: 3
; VGPRBlocks: 1
; NumSGPRsForWavesPerEU: 25
; NumVGPRsForWavesPerEU: 13
; Occupancy: 16
; WaveLimiterHint : 1
; COMPUTE_PGM_RSRC2:SCRATCH_EN: 0
; COMPUTE_PGM_RSRC2:USER_SGPR: 13
; COMPUTE_PGM_RSRC2:TRAP_HANDLER: 0
; COMPUTE_PGM_RSRC2:TGID_X_EN: 1
; COMPUTE_PGM_RSRC2:TGID_Y_EN: 1
; COMPUTE_PGM_RSRC2:TGID_Z_EN: 1
; COMPUTE_PGM_RSRC2:TIDIG_COMP_CNT: 0
	.section	.text._ZN2at6native6mbtopk10gatherTopKIdjLi2EEEvNS_4cuda6detail10TensorInfoIKT_T0_EES8_S8_bjS8_NS5_IS6_S8_EES8_NS5_IlS8_EES8_jjPS6_PjSD_j,"axG",@progbits,_ZN2at6native6mbtopk10gatherTopKIdjLi2EEEvNS_4cuda6detail10TensorInfoIKT_T0_EES8_S8_bjS8_NS5_IS6_S8_EES8_NS5_IlS8_EES8_jjPS6_PjSD_j,comdat
	.protected	_ZN2at6native6mbtopk10gatherTopKIdjLi2EEEvNS_4cuda6detail10TensorInfoIKT_T0_EES8_S8_bjS8_NS5_IS6_S8_EES8_NS5_IlS8_EES8_jjPS6_PjSD_j ; -- Begin function _ZN2at6native6mbtopk10gatherTopKIdjLi2EEEvNS_4cuda6detail10TensorInfoIKT_T0_EES8_S8_bjS8_NS5_IS6_S8_EES8_NS5_IlS8_EES8_jjPS6_PjSD_j
	.globl	_ZN2at6native6mbtopk10gatherTopKIdjLi2EEEvNS_4cuda6detail10TensorInfoIKT_T0_EES8_S8_bjS8_NS5_IS6_S8_EES8_NS5_IlS8_EES8_jjPS6_PjSD_j
	.p2align	8
	.type	_ZN2at6native6mbtopk10gatherTopKIdjLi2EEEvNS_4cuda6detail10TensorInfoIKT_T0_EES8_S8_bjS8_NS5_IS6_S8_EES8_NS5_IlS8_EES8_jjPS6_PjSD_j,@function
_ZN2at6native6mbtopk10gatherTopKIdjLi2EEEvNS_4cuda6detail10TensorInfoIKT_T0_EES8_S8_bjS8_NS5_IS6_S8_EES8_NS5_IlS8_EES8_jjPS6_PjSD_j: ; @_ZN2at6native6mbtopk10gatherTopKIdjLi2EEEvNS_4cuda6detail10TensorInfoIKT_T0_EES8_S8_bjS8_NS5_IS6_S8_EES8_NS5_IlS8_EES8_jjPS6_PjSD_j
; %bb.0:
	s_clause 0x1
	s_load_b64 s[2:3], s[0:1], 0x2d8
	s_load_b32 s4, s[0:1], 0x2d0
	s_waitcnt lgkmcnt(0)
	s_mul_i32 s3, s3, s15
	s_delay_alu instid0(SALU_CYCLE_1) | instskip(NEXT) | instid1(SALU_CYCLE_1)
	s_add_i32 s3, s3, s14
	s_mul_i32 s2, s3, s2
	s_delay_alu instid0(SALU_CYCLE_1) | instskip(NEXT) | instid1(SALU_CYCLE_1)
	s_add_i32 s2, s2, s13
	s_cmp_ge_u32 s2, s4
	s_cbranch_scc1 .LBB71_40
; %bb.1:
	s_clause 0x3
	s_load_b256 s[4:11], s[0:1], 0x2a8
	s_load_b32 s39, s[0:1], 0xc
	s_load_b32 s38, s[0:1], 0xfc
	s_load_b32 s33, s[0:1], 0x1dc
	s_mov_b32 s23, 0
	s_clause 0x4
	s_load_b64 s[18:19], s[0:1], 0xf0
	s_load_b64 s[30:31], s[0:1], 0x6c
	;; [unrolled: 1-line block ×5, first 2 shown]
	s_waitcnt lgkmcnt(0)
	v_cvt_f32_u32_e32 v1, s6
	v_cvt_f32_u32_e32 v2, s39
	;; [unrolled: 1-line block ×4, first 2 shown]
	s_sub_i32 s7, 0, s6
	v_rcp_iflag_f32_e32 v1, v1
	v_rcp_iflag_f32_e32 v2, v2
	;; [unrolled: 1-line block ×4, first 2 shown]
	v_mul_f32_e32 v1, 0x4f7ffffe, v1
	s_delay_alu instid0(VALU_DEP_1) | instskip(NEXT) | instid1(VALU_DEP_1)
	v_cvt_u32_f32_e32 v1, v1
	v_readfirstlane_b32 s3, v1
	s_waitcnt_depctr 0xfff
	v_dual_mul_f32 v1, 0x4f7ffffe, v2 :: v_dual_mul_f32 v2, 0x4f7ffffe, v3
	v_mul_f32_e32 v3, 0x4f7ffffe, v4
	s_mul_i32 s7, s7, s3
	s_delay_alu instid0(VALU_DEP_2)
	v_cvt_u32_f32_e32 v1, v1
	s_mul_hi_u32 s7, s3, s7
	v_cvt_u32_f32_e32 v2, v2
	s_add_i32 s3, s3, s7
	v_cvt_u32_f32_e32 v3, v3
	s_mul_hi_u32 s3, s2, s3
	v_readfirstlane_b32 s13, v1
	s_mul_i32 s7, s3, s6
	s_add_i32 s12, s3, 1
	s_sub_i32 s7, s2, s7
	v_readfirstlane_b32 s26, v2
	s_sub_i32 s14, s7, s6
	s_cmp_ge_u32 s7, s6
	v_readfirstlane_b32 s27, v3
	s_cselect_b32 s3, s12, s3
	s_cselect_b32 s7, s14, s7
	s_add_i32 s12, s3, 1
	s_cmp_ge_u32 s7, s6
	s_cselect_b32 s22, s12, s3
	s_sub_i32 s3, 0, s39
	s_sub_i32 s7, 0, s38
	s_sub_i32 s14, 0, s33
	s_mul_i32 s12, s22, s6
	s_mul_i32 s3, s3, s13
	;; [unrolled: 1-line block ×4, first 2 shown]
	s_sub_i32 s7, s2, s12
	s_mul_hi_u32 s2, s13, s3
	s_mul_hi_u32 s3, s26, s28
	;; [unrolled: 1-line block ×3, first 2 shown]
	s_lshl_b64 s[14:15], s[22:23], 3
	s_add_i32 s13, s13, s2
	s_add_i32 s34, s26, s3
	;; [unrolled: 1-line block ×3, first 2 shown]
	s_add_u32 s2, s8, s14
	s_addc_u32 s3, s9, s15
	s_load_b64 s[28:29], s[0:1], 0x23c
	s_load_b64 s[26:27], s[2:3], 0x0
	v_cmp_ne_u32_e64 s2, 0, v0
	v_cmp_eq_u32_e64 s3, 0, v0
	s_mul_hi_u32 s42, s22, s13
	s_mul_hi_u32 s41, s22, s34
	;; [unrolled: 1-line block ×3, first 2 shown]
	s_delay_alu instid0(VALU_DEP_1)
	s_and_saveexec_b32 s43, s3
	s_cbranch_execz .LBB71_17
; %bb.2:
	s_load_b64 s[8:9], s[0:1], 0x2c8
	s_mov_b32 s13, s23
	s_delay_alu instid0(SALU_CYCLE_1) | instskip(NEXT) | instid1(SALU_CYCLE_1)
	s_lshl_b64 s[34:35], s[12:13], 2
	s_add_u32 s12, s10, s34
	s_addc_u32 s13, s11, s35
	s_waitcnt lgkmcnt(0)
	s_add_u32 s14, s8, s34
	s_addc_u32 s15, s9, s35
	s_cmp_lt_u32 s6, 4
	s_cbranch_scc1 .LBB71_14
; %bb.3:
	s_mov_b32 s44, s23
	s_mov_b32 s45, s23
	;; [unrolled: 1-line block ×3, first 2 shown]
.LBB71_4:                               ; =>This Inner Loop Header: Depth=1
	s_add_u32 s12, s10, s34
	s_addc_u32 s13, s11, s35
	s_add_u32 s36, s8, s34
	s_load_b128 s[12:15], s[12:13], 0x0
	s_addc_u32 s37, s9, s35
	s_cmp_ge_u32 s46, s7
	s_cbranch_scc0 .LBB71_11
; %bb.5:                                ;   in Loop: Header=BB71_4 Depth=1
	s_add_i32 s47, s46, 1
	s_delay_alu instid0(SALU_CYCLE_1)
	s_cmp_ge_u32 s47, s7
	s_cbranch_scc0 .LBB71_12
.LBB71_6:                               ;   in Loop: Header=BB71_4 Depth=1
	s_add_i32 s47, s47, 1
	s_delay_alu instid0(SALU_CYCLE_1)
	s_cmp_ge_u32 s47, s7
	s_cbranch_scc0 .LBB71_13
.LBB71_7:                               ;   in Loop: Header=BB71_4 Depth=1
	s_add_i32 s47, s47, 1
	s_delay_alu instid0(SALU_CYCLE_1)
	s_cmp_ge_u32 s47, s7
	s_cbranch_scc1 .LBB71_9
.LBB71_8:                               ;   in Loop: Header=BB71_4 Depth=1
	s_load_b32 s36, s[36:37], 0xc
	s_waitcnt lgkmcnt(0)
	s_add_i32 s23, s23, s15
	s_add_i32 s44, s36, s44
.LBB71_9:                               ;   in Loop: Header=BB71_4 Depth=1
	s_waitcnt lgkmcnt(0)
	s_add_i32 s12, s12, s45
	s_delay_alu instid0(SALU_CYCLE_1) | instskip(NEXT) | instid1(SALU_CYCLE_1)
	s_add_i32 s12, s12, s13
	s_add_i32 s12, s12, s14
	s_delay_alu instid0(SALU_CYCLE_1)
	s_add_i32 s45, s12, s15
	s_add_u32 s10, s10, 16
	s_addc_u32 s11, s11, 0
	s_add_u32 s8, s8, 16
	s_addc_u32 s9, s9, 0
	s_add_i32 s37, s47, 4
	s_add_u32 s14, s8, s34
	s_addc_u32 s15, s9, s35
	s_add_u32 s12, s10, s34
	s_addc_u32 s13, s11, s35
	s_add_i32 s36, s47, 1
	s_cmp_ge_u32 s37, s6
	s_cbranch_scc1 .LBB71_15
; %bb.10:                               ;   in Loop: Header=BB71_4 Depth=1
	s_mov_b32 s46, s36
	s_branch .LBB71_4
.LBB71_11:                              ;   in Loop: Header=BB71_4 Depth=1
	s_load_b32 s47, s[36:37], 0x0
	s_waitcnt lgkmcnt(0)
	s_add_i32 s23, s12, s23
	s_add_i32 s44, s47, s44
	;; [unrolled: 1-line block ×3, first 2 shown]
	s_delay_alu instid0(SALU_CYCLE_1)
	s_cmp_ge_u32 s47, s7
	s_cbranch_scc1 .LBB71_6
.LBB71_12:                              ;   in Loop: Header=BB71_4 Depth=1
	s_load_b32 s48, s[36:37], 0x4
	s_waitcnt lgkmcnt(0)
	s_add_i32 s23, s23, s13
	s_add_i32 s44, s48, s44
	;; [unrolled: 1-line block ×3, first 2 shown]
	s_delay_alu instid0(SALU_CYCLE_1)
	s_cmp_ge_u32 s47, s7
	s_cbranch_scc1 .LBB71_7
.LBB71_13:                              ;   in Loop: Header=BB71_4 Depth=1
	s_load_b32 s48, s[36:37], 0x8
	s_waitcnt lgkmcnt(0)
	s_add_i32 s23, s23, s14
	s_add_i32 s44, s48, s44
	;; [unrolled: 1-line block ×3, first 2 shown]
	s_delay_alu instid0(SALU_CYCLE_1)
	s_cmp_ge_u32 s47, s7
	s_cbranch_scc0 .LBB71_8
	s_branch .LBB71_9
.LBB71_14:
	s_mov_b32 s44, 0
	s_mov_b32 s45, 0
	;; [unrolled: 1-line block ×3, first 2 shown]
	s_delay_alu instid0(SALU_CYCLE_1)
	s_cmp_ge_u32 s8, s6
	s_cbranch_scc0 .LBB71_38
	s_branch .LBB71_16
.LBB71_15:
	s_add_i32 s8, s46, 4
	s_delay_alu instid0(SALU_CYCLE_1)
	s_cmp_ge_u32 s8, s6
	s_cbranch_scc0 .LBB71_38
.LBB71_16:
	v_dual_mov_b32 v1, s44 :: v_dual_mov_b32 v2, s45
	v_dual_mov_b32 v3, s23 :: v_dual_mov_b32 v4, 0
	ds_store_b96 v4, v[1:3] offset:1056
.LBB71_17:
	s_or_b32 exec_lo, exec_lo, s43
	s_load_b128 s[8:11], s[0:1], 0xd8
	s_waitcnt lgkmcnt(0)
	s_mul_i32 s11, s5, s7
	s_add_i32 s7, s7, 1
	s_lshl_b32 s23, s11, 8
	s_barrier
	buffer_gl0_inv
	s_sub_i32 s11, s8, s23
	s_delay_alu instid0(SALU_CYCLE_1) | instskip(SKIP_4) | instid1(VALU_DEP_1)
	s_add_u32 s11, s11, 0xff
	s_addc_u32 s12, 0, 0
	s_cmp_lt_u32 s7, s6
	v_alignbit_b32 v1, s12, s11, 8
	s_mov_b32 s7, 0
	v_readfirstlane_b32 s11, v1
	s_delay_alu instid0(VALU_DEP_1) | instskip(NEXT) | instid1(SALU_CYCLE_1)
	s_cselect_b32 s5, s5, s11
	s_cmp_eq_u32 s5, 0
	s_cbranch_scc1 .LBB71_40
; %bb.18:
	s_mul_i32 s6, s42, s39
	s_add_i32 s11, s42, 1
	s_sub_i32 s6, s22, s6
	v_dual_mov_b32 v5, 0 :: v_dual_add_nc_u32 v6, -1, v0
	s_sub_i32 s12, s6, s39
	s_cmp_ge_u32 s6, s39
	v_lshrrev_b32_e32 v4, 5, v0
	s_cselect_b32 s11, s11, s42
	s_cselect_b32 s6, s12, s6
	s_add_i32 s12, s11, 1
	s_cmp_ge_u32 s6, s39
	s_mul_i32 s6, s41, s38
	s_cselect_b32 s11, s12, s11
	s_sub_i32 s12, s22, s6
	s_mul_i32 s6, s11, s39
	s_mul_i32 s11, s11, s30
	s_sub_i32 s6, s22, s6
	s_add_i32 s13, s41, 1
	s_mul_i32 s6, s6, s31
	s_sub_i32 s14, s12, s38
	s_add_i32 s6, s11, s6
	s_cmp_ge_u32 s12, s38
	v_cmp_o_f64_e64 s30, s[26:27], s[26:27]
	s_cselect_b32 s13, s13, s41
	s_cselect_b32 s12, s14, s12
	s_add_i32 s14, s13, 1
	s_cmp_ge_u32 s12, s38
	s_mul_i32 s11, s40, s33
	s_cselect_b32 s12, s14, s13
	s_sub_i32 s11, s22, s11
	s_mul_i32 s13, s12, s38
	s_mul_i32 s12, s12, s24
	s_sub_i32 s13, s22, s13
	s_add_i32 s15, s40, 1
	s_mul_i32 s13, s13, s25
	s_sub_i32 s24, s11, s33
	s_add_i32 s14, s12, s13
	s_cmp_ge_u32 s11, s33
	ds_load_b96 v[1:3], v5 offset:1056
	s_cselect_b32 s12, s15, s40
	s_cselect_b32 s11, s24, s11
	s_add_i32 s13, s12, 1
	s_cmp_ge_u32 s11, s33
	s_mov_b32 s15, s7
	s_cselect_b32 s11, s13, s12
	v_add_lshl_u32 v9, v4, v0, 2
	s_mul_i32 s12, s11, s33
	s_mul_i32 s11, s11, s28
	s_sub_i32 s12, s22, s12
	v_lshrrev_b32_e32 v4, 2, v0
	s_mul_i32 s22, s12, s29
	s_lshl_b64 s[12:13], s[6:7], 3
	s_add_i32 s6, s11, s22
	s_add_u32 s11, s20, s12
	s_addc_u32 s12, s21, s13
	s_lshl_b64 s[14:15], s[14:15], 3
	v_lshrrev_b32_e32 v7, 5, v6
	s_add_u32 s13, s18, s14
	s_addc_u32 s14, s19, s15
	s_lshl_b64 s[6:7], s[6:7], 3
	s_waitcnt lgkmcnt(0)
	v_add_nc_u32_e32 v8, v1, v2
	s_add_u32 s15, s16, s6
	s_addc_u32 s16, s17, s7
	s_load_b32 s17, s[0:1], 0xe8
	s_ashr_i32 s6, s27, 31
	v_lshlrev_b32_e32 v2, 3, v0
	s_or_b32 s7, s6, 0x80000000
	v_add_nc_u32_e32 v1, s23, v0
	s_xor_b64 s[6:7], s[6:7], s[26:27]
	s_and_b32 s18, s30, exec_lo
	s_cselect_b32 s7, s7, -1
	s_cselect_b32 s6, s6, -1
	s_bitcmp1_b32 s10, 0
	s_load_b32 s10, s[0:1], 0x1c8
	v_mbcnt_lo_u32_b32 v10, -1, 0
	v_cmp_gt_u32_e64 s0, 32, v0
	v_add_lshl_u32 v0, v4, v2, 2
	v_add_lshl_u32 v11, v7, v6, 2
	s_cselect_b32 s1, -1, 0
	v_and_b32_e32 v12, 15, v10
	v_bfe_i32 v13, v10, 4, 1
	v_add_nc_u32_e32 v14, -1, v10
                                        ; implicit-def: $vgpr6_vgpr7
	s_waitcnt lgkmcnt(0)
	v_mul_lo_u32 v4, s17, v1
	s_lshl_b32 s17, s17, 8
	s_branch .LBB71_21
.LBB71_19:                              ;   in Loop: Header=BB71_21 Depth=1
	s_or_b32 exec_lo, exec_lo, s18
	v_add_nc_u32_e32 v8, v17, v8
.LBB71_20:                              ;   in Loop: Header=BB71_21 Depth=1
	v_add_nc_u32_e32 v3, v16, v3
	v_add_nc_u32_e32 v4, s17, v4
	;; [unrolled: 1-line block ×3, first 2 shown]
	s_add_i32 s5, s5, -1
	s_delay_alu instid0(SALU_CYCLE_1)
	s_cmp_lg_u32 s5, 0
	s_cbranch_scc0 .LBB71_40
.LBB71_21:                              ; =>This Inner Loop Header: Depth=1
	v_dual_mov_b32 v2, 0 :: v_dual_mov_b32 v15, 0
	s_mov_b32 s18, exec_lo
	v_cmpx_gt_u32_e64 s8, v1
	s_cbranch_execz .LBB71_23
; %bb.22:                               ;   in Loop: Header=BB71_21 Depth=1
	s_delay_alu instid0(VALU_DEP_3) | instskip(NEXT) | instid1(VALU_DEP_1)
	v_lshlrev_b64 v[6:7], 3, v[4:5]
	v_add_co_u32 v6, vcc_lo, s11, v6
	s_delay_alu instid0(VALU_DEP_2) | instskip(SKIP_4) | instid1(VALU_DEP_1)
	v_add_co_ci_u32_e32 v7, vcc_lo, s12, v7, vcc_lo
	global_load_b64 v[6:7], v[6:7], off
	s_waitcnt vmcnt(0)
	v_cmp_o_f64_e32 vcc_lo, v[6:7], v[6:7]
	v_ashrrev_i32_e32 v2, 31, v7
	v_or_b32_e32 v15, 0x80000000, v2
	v_xor_b32_e32 v2, v2, v6
	s_delay_alu instid0(VALU_DEP_2) | instskip(NEXT) | instid1(VALU_DEP_1)
	v_xor_b32_e32 v15, v15, v7
	v_dual_cndmask_b32 v16, -1, v15 :: v_dual_cndmask_b32 v15, -1, v2
	s_delay_alu instid0(VALU_DEP_1) | instskip(SKIP_4) | instid1(VALU_DEP_2)
	v_cmp_lt_u64_e32 vcc_lo, s[6:7], v[15:16]
	v_cndmask_b32_e64 v2, 0, 1, vcc_lo
	v_cmp_gt_u64_e32 vcc_lo, s[6:7], v[15:16]
	v_cndmask_b32_e64 v17, 0, 1, vcc_lo
	v_cmp_eq_u64_e32 vcc_lo, s[6:7], v[15:16]
	v_cndmask_b32_e64 v2, v17, v2, s1
	v_cndmask_b32_e64 v15, 0, 1, vcc_lo
	s_delay_alu instid0(VALU_DEP_2)
	v_and_b32_e32 v2, 1, v2
.LBB71_23:                              ;   in Loop: Header=BB71_21 Depth=1
	s_or_b32 exec_lo, exec_lo, s18
	ds_store_b32 v9, v2
	s_waitcnt lgkmcnt(0)
	s_waitcnt_vscnt null, 0x0
	s_barrier
	buffer_gl0_inv
	s_and_saveexec_b32 s18, s0
	s_cbranch_execz .LBB71_25
; %bb.24:                               ;   in Loop: Header=BB71_21 Depth=1
	ds_load_2addr_b32 v[16:17], v0 offset1:1
	ds_load_2addr_b32 v[18:19], v0 offset0:2 offset1:3
	ds_load_2addr_b32 v[20:21], v0 offset0:4 offset1:5
	;; [unrolled: 1-line block ×3, first 2 shown]
	v_cmp_ne_u32_e32 vcc_lo, 0, v12
	; wave barrier
	s_waitcnt lgkmcnt(3)
	v_add_nc_u32_e32 v17, v17, v16
	s_waitcnt lgkmcnt(2)
	s_delay_alu instid0(VALU_DEP_1) | instskip(SKIP_1) | instid1(VALU_DEP_1)
	v_add3_u32 v17, v17, v18, v19
	s_waitcnt lgkmcnt(1)
	v_add3_u32 v17, v17, v20, v21
	s_waitcnt lgkmcnt(0)
	s_delay_alu instid0(VALU_DEP_1) | instskip(NEXT) | instid1(VALU_DEP_1)
	v_add3_u32 v17, v17, v22, v23
	v_mov_b32_dpp v18, v17 row_shr:1 row_mask:0xf bank_mask:0xf
	s_delay_alu instid0(VALU_DEP_1) | instskip(SKIP_1) | instid1(VALU_DEP_2)
	v_cndmask_b32_e32 v18, 0, v18, vcc_lo
	v_cmp_lt_u32_e32 vcc_lo, 1, v12
	v_add_nc_u32_e32 v17, v18, v17
	s_delay_alu instid0(VALU_DEP_1) | instskip(NEXT) | instid1(VALU_DEP_1)
	v_mov_b32_dpp v18, v17 row_shr:2 row_mask:0xf bank_mask:0xf
	v_cndmask_b32_e32 v18, 0, v18, vcc_lo
	v_cmp_lt_u32_e32 vcc_lo, 3, v12
	s_delay_alu instid0(VALU_DEP_2) | instskip(NEXT) | instid1(VALU_DEP_1)
	v_add_nc_u32_e32 v17, v17, v18
	v_mov_b32_dpp v18, v17 row_shr:4 row_mask:0xf bank_mask:0xf
	s_delay_alu instid0(VALU_DEP_1) | instskip(SKIP_1) | instid1(VALU_DEP_2)
	v_cndmask_b32_e32 v18, 0, v18, vcc_lo
	v_cmp_lt_u32_e32 vcc_lo, 7, v12
	v_add_nc_u32_e32 v17, v17, v18
	s_delay_alu instid0(VALU_DEP_1) | instskip(NEXT) | instid1(VALU_DEP_1)
	v_mov_b32_dpp v18, v17 row_shr:8 row_mask:0xf bank_mask:0xf
	v_cndmask_b32_e32 v18, 0, v18, vcc_lo
	v_cmp_gt_i32_e32 vcc_lo, 0, v14
	s_delay_alu instid0(VALU_DEP_2)
	v_add_nc_u32_e32 v17, v17, v18
	v_cndmask_b32_e32 v19, v14, v10, vcc_lo
	ds_swizzle_b32 v18, v17 offset:swizzle(BROADCAST,32,15)
	v_lshlrev_b32_e32 v19, 2, v19
	s_waitcnt lgkmcnt(0)
	v_and_b32_e32 v18, v13, v18
	s_delay_alu instid0(VALU_DEP_1) | instskip(SKIP_3) | instid1(VALU_DEP_1)
	v_add_nc_u32_e32 v17, v17, v18
	ds_bpermute_b32 v17, v19, v17
	s_waitcnt lgkmcnt(0)
	v_add_nc_u32_e32 v16, v17, v16
	v_cndmask_b32_e64 v22, v16, v2, s3
	ds_store_b32 v0, v22
	; wave barrier
	ds_load_2addr_b32 v[16:17], v0 offset0:1 offset1:2
	ds_load_2addr_b32 v[18:19], v0 offset0:3 offset1:4
	;; [unrolled: 1-line block ×3, first 2 shown]
	ds_load_b32 v23, v0 offset:28
	s_waitcnt lgkmcnt(3)
	v_add_nc_u32_e32 v16, v16, v22
	s_delay_alu instid0(VALU_DEP_1) | instskip(SKIP_1) | instid1(VALU_DEP_1)
	v_add_nc_u32_e32 v17, v17, v16
	s_waitcnt lgkmcnt(2)
	v_add_nc_u32_e32 v18, v18, v17
	s_delay_alu instid0(VALU_DEP_1) | instskip(SKIP_1) | instid1(VALU_DEP_1)
	v_add_nc_u32_e32 v19, v19, v18
	s_waitcnt lgkmcnt(1)
	v_add_nc_u32_e32 v20, v20, v19
	s_delay_alu instid0(VALU_DEP_1) | instskip(SKIP_1) | instid1(VALU_DEP_1)
	v_add_nc_u32_e32 v21, v21, v20
	s_waitcnt lgkmcnt(0)
	v_add_nc_u32_e32 v22, v23, v21
	ds_store_2addr_b32 v0, v16, v17 offset0:1 offset1:2
	ds_store_2addr_b32 v0, v18, v19 offset0:3 offset1:4
	ds_store_2addr_b32 v0, v20, v21 offset0:5 offset1:6
	ds_store_b32 v0, v22 offset:28
.LBB71_25:                              ;   in Loop: Header=BB71_21 Depth=1
	s_or_b32 exec_lo, exec_lo, s18
	v_mov_b32_e32 v17, 0
	s_waitcnt lgkmcnt(0)
	s_barrier
	buffer_gl0_inv
	s_and_saveexec_b32 s18, s2
	s_cbranch_execz .LBB71_27
; %bb.26:                               ;   in Loop: Header=BB71_21 Depth=1
	ds_load_b32 v17, v11
.LBB71_27:                              ;   in Loop: Header=BB71_21 Depth=1
	s_or_b32 exec_lo, exec_lo, s18
	ds_load_b32 v16, v5 offset:1048
	s_mov_b32 s18, exec_lo
	s_waitcnt lgkmcnt(0)
	s_barrier
	buffer_gl0_inv
	v_cmpx_ne_u32_e32 0, v2
	s_cbranch_execz .LBB71_29
; %bb.28:                               ;   in Loop: Header=BB71_21 Depth=1
	v_add_nc_u32_e32 v2, v17, v3
	v_mov_b32_e32 v18, v5
	v_mov_b32_e32 v20, v5
	s_delay_alu instid0(VALU_DEP_3) | instskip(SKIP_2) | instid1(VALU_DEP_3)
	v_mul_lo_u32 v17, v2, s10
	v_mul_lo_u32 v19, v2, s4
	v_mov_b32_e32 v2, v5
	v_lshlrev_b64 v[17:18], 3, v[17:18]
	s_delay_alu instid0(VALU_DEP_3) | instskip(NEXT) | instid1(VALU_DEP_2)
	v_lshlrev_b64 v[19:20], 3, v[19:20]
	v_add_co_u32 v17, vcc_lo, s13, v17
	s_delay_alu instid0(VALU_DEP_3) | instskip(NEXT) | instid1(VALU_DEP_3)
	v_add_co_ci_u32_e32 v18, vcc_lo, s14, v18, vcc_lo
	v_add_co_u32 v19, vcc_lo, s15, v19
	s_delay_alu instid0(VALU_DEP_4)
	v_add_co_ci_u32_e32 v20, vcc_lo, s16, v20, vcc_lo
	global_store_b64 v[17:18], v[6:7], off
	global_store_b64 v[19:20], v[1:2], off
.LBB71_29:                              ;   in Loop: Header=BB71_21 Depth=1
	s_or_b32 exec_lo, exec_lo, s18
	v_cmp_le_u32_e32 vcc_lo, s9, v8
	s_cbranch_vccnz .LBB71_20
; %bb.30:                               ;   in Loop: Header=BB71_21 Depth=1
	ds_store_b32 v9, v15
	s_waitcnt lgkmcnt(0)
	s_waitcnt_vscnt null, 0x0
	s_barrier
	buffer_gl0_inv
	s_and_saveexec_b32 s18, s0
	s_cbranch_execz .LBB71_32
; %bb.31:                               ;   in Loop: Header=BB71_21 Depth=1
	ds_load_2addr_b32 v[17:18], v0 offset1:1
	ds_load_2addr_b32 v[19:20], v0 offset0:2 offset1:3
	ds_load_2addr_b32 v[21:22], v0 offset0:4 offset1:5
	;; [unrolled: 1-line block ×3, first 2 shown]
	v_cmp_ne_u32_e32 vcc_lo, 0, v12
	; wave barrier
	s_waitcnt lgkmcnt(3)
	v_add_nc_u32_e32 v2, v18, v17
	s_waitcnt lgkmcnt(2)
	s_delay_alu instid0(VALU_DEP_1) | instskip(SKIP_1) | instid1(VALU_DEP_1)
	v_add3_u32 v2, v2, v19, v20
	s_waitcnt lgkmcnt(1)
	v_add3_u32 v2, v2, v21, v22
	s_waitcnt lgkmcnt(0)
	s_delay_alu instid0(VALU_DEP_1) | instskip(NEXT) | instid1(VALU_DEP_1)
	v_add3_u32 v2, v2, v23, v24
	v_mov_b32_dpp v18, v2 row_shr:1 row_mask:0xf bank_mask:0xf
	s_delay_alu instid0(VALU_DEP_1) | instskip(SKIP_1) | instid1(VALU_DEP_2)
	v_cndmask_b32_e32 v18, 0, v18, vcc_lo
	v_cmp_lt_u32_e32 vcc_lo, 1, v12
	v_add_nc_u32_e32 v2, v18, v2
	s_delay_alu instid0(VALU_DEP_1) | instskip(NEXT) | instid1(VALU_DEP_1)
	v_mov_b32_dpp v18, v2 row_shr:2 row_mask:0xf bank_mask:0xf
	v_cndmask_b32_e32 v18, 0, v18, vcc_lo
	v_cmp_lt_u32_e32 vcc_lo, 3, v12
	s_delay_alu instid0(VALU_DEP_2) | instskip(NEXT) | instid1(VALU_DEP_1)
	v_add_nc_u32_e32 v2, v2, v18
	v_mov_b32_dpp v18, v2 row_shr:4 row_mask:0xf bank_mask:0xf
	s_delay_alu instid0(VALU_DEP_1) | instskip(SKIP_1) | instid1(VALU_DEP_2)
	v_cndmask_b32_e32 v18, 0, v18, vcc_lo
	v_cmp_lt_u32_e32 vcc_lo, 7, v12
	v_add_nc_u32_e32 v2, v2, v18
	s_delay_alu instid0(VALU_DEP_1) | instskip(NEXT) | instid1(VALU_DEP_1)
	v_mov_b32_dpp v18, v2 row_shr:8 row_mask:0xf bank_mask:0xf
	v_cndmask_b32_e32 v18, 0, v18, vcc_lo
	v_cmp_gt_i32_e32 vcc_lo, 0, v14
	s_delay_alu instid0(VALU_DEP_2)
	v_add_nc_u32_e32 v2, v2, v18
	v_cndmask_b32_e32 v19, v14, v10, vcc_lo
	ds_swizzle_b32 v18, v2 offset:swizzle(BROADCAST,32,15)
	v_lshlrev_b32_e32 v19, 2, v19
	s_waitcnt lgkmcnt(0)
	v_and_b32_e32 v18, v13, v18
	s_delay_alu instid0(VALU_DEP_1) | instskip(SKIP_3) | instid1(VALU_DEP_1)
	v_add_nc_u32_e32 v2, v2, v18
	ds_bpermute_b32 v2, v19, v2
	s_waitcnt lgkmcnt(0)
	v_add_nc_u32_e32 v2, v2, v17
	v_cndmask_b32_e64 v2, v2, v15, s3
	ds_store_b32 v0, v2
	; wave barrier
	ds_load_2addr_b32 v[17:18], v0 offset0:1 offset1:2
	ds_load_2addr_b32 v[19:20], v0 offset0:3 offset1:4
	;; [unrolled: 1-line block ×3, first 2 shown]
	ds_load_b32 v23, v0 offset:28
	s_waitcnt lgkmcnt(3)
	v_add_nc_u32_e32 v2, v17, v2
	s_delay_alu instid0(VALU_DEP_1) | instskip(SKIP_1) | instid1(VALU_DEP_1)
	v_add_nc_u32_e32 v17, v18, v2
	s_waitcnt lgkmcnt(2)
	v_add_nc_u32_e32 v18, v19, v17
	s_delay_alu instid0(VALU_DEP_1) | instskip(SKIP_1) | instid1(VALU_DEP_1)
	v_add_nc_u32_e32 v19, v20, v18
	;; [unrolled: 4-line block ×3, first 2 shown]
	s_waitcnt lgkmcnt(0)
	v_add_nc_u32_e32 v22, v23, v21
	ds_store_2addr_b32 v0, v2, v17 offset0:1 offset1:2
	ds_store_2addr_b32 v0, v18, v19 offset0:3 offset1:4
	;; [unrolled: 1-line block ×3, first 2 shown]
	ds_store_b32 v0, v22 offset:28
.LBB71_32:                              ;   in Loop: Header=BB71_21 Depth=1
	s_or_b32 exec_lo, exec_lo, s18
	v_mov_b32_e32 v2, 0
	s_waitcnt lgkmcnt(0)
	s_barrier
	buffer_gl0_inv
	s_and_saveexec_b32 s18, s2
	s_cbranch_execz .LBB71_34
; %bb.33:                               ;   in Loop: Header=BB71_21 Depth=1
	ds_load_b32 v2, v11
.LBB71_34:                              ;   in Loop: Header=BB71_21 Depth=1
	s_or_b32 exec_lo, exec_lo, s18
	ds_load_b32 v17, v5 offset:1048
	s_mov_b32 s18, exec_lo
	s_waitcnt lgkmcnt(0)
	s_barrier
	buffer_gl0_inv
	v_cmpx_ne_u32_e32 0, v15
	s_cbranch_execz .LBB71_19
; %bb.35:                               ;   in Loop: Header=BB71_21 Depth=1
	v_add_nc_u32_e32 v2, v2, v8
	s_delay_alu instid0(VALU_DEP_1)
	v_cmp_gt_u32_e32 vcc_lo, s9, v2
	s_and_b32 exec_lo, exec_lo, vcc_lo
	s_cbranch_execz .LBB71_19
; %bb.36:                               ;   in Loop: Header=BB71_21 Depth=1
	v_mul_lo_u32 v18, v2, s10
	v_mov_b32_e32 v19, v5
	v_mul_lo_u32 v20, v2, s4
	v_mov_b32_e32 v21, v5
	v_mov_b32_e32 v2, v5
	s_delay_alu instid0(VALU_DEP_4) | instskip(NEXT) | instid1(VALU_DEP_3)
	v_lshlrev_b64 v[18:19], 3, v[18:19]
	v_lshlrev_b64 v[20:21], 3, v[20:21]
	s_delay_alu instid0(VALU_DEP_2) | instskip(NEXT) | instid1(VALU_DEP_3)
	v_add_co_u32 v18, vcc_lo, s13, v18
	v_add_co_ci_u32_e32 v19, vcc_lo, s14, v19, vcc_lo
	s_delay_alu instid0(VALU_DEP_3) | instskip(NEXT) | instid1(VALU_DEP_4)
	v_add_co_u32 v20, vcc_lo, s15, v20
	v_add_co_ci_u32_e32 v21, vcc_lo, s16, v21, vcc_lo
	global_store_b64 v[18:19], v[6:7], off
	global_store_b64 v[20:21], v[1:2], off
	s_branch .LBB71_19
	.p2align	6
.LBB71_37:                              ;   in Loop: Header=BB71_38 Depth=1
	s_add_u32 s12, s12, 4
	s_addc_u32 s13, s13, 0
	s_waitcnt lgkmcnt(0)
	s_add_i32 s45, s9, s45
	s_add_u32 s14, s14, 4
	s_addc_u32 s15, s15, 0
	s_add_i32 s8, s8, 1
	s_delay_alu instid0(SALU_CYCLE_1)
	s_cmp_lt_u32 s8, s6
	s_cbranch_scc0 .LBB71_16
.LBB71_38:                              ; =>This Inner Loop Header: Depth=1
	s_load_b32 s9, s[12:13], 0x0
	s_cmp_ge_u32 s8, s7
	s_cbranch_scc1 .LBB71_37
; %bb.39:                               ;   in Loop: Header=BB71_38 Depth=1
	s_load_b32 s10, s[14:15], 0x0
	s_waitcnt lgkmcnt(0)
	s_add_i32 s23, s9, s23
	s_add_i32 s44, s10, s44
	s_branch .LBB71_37
.LBB71_40:
	s_nop 0
	s_sendmsg sendmsg(MSG_DEALLOC_VGPRS)
	s_endpgm
	.section	.rodata,"a",@progbits
	.p2align	6, 0x0
	.amdhsa_kernel _ZN2at6native6mbtopk10gatherTopKIdjLi2EEEvNS_4cuda6detail10TensorInfoIKT_T0_EES8_S8_bjS8_NS5_IS6_S8_EES8_NS5_IlS8_EES8_jjPS6_PjSD_j
		.amdhsa_group_segment_fixed_size 1068
		.amdhsa_private_segment_fixed_size 0
		.amdhsa_kernarg_size 984
		.amdhsa_user_sgpr_count 13
		.amdhsa_user_sgpr_dispatch_ptr 0
		.amdhsa_user_sgpr_queue_ptr 0
		.amdhsa_user_sgpr_kernarg_segment_ptr 1
		.amdhsa_user_sgpr_dispatch_id 0
		.amdhsa_user_sgpr_private_segment_size 0
		.amdhsa_wavefront_size32 1
		.amdhsa_uses_dynamic_stack 0
		.amdhsa_enable_private_segment 0
		.amdhsa_system_sgpr_workgroup_id_x 1
		.amdhsa_system_sgpr_workgroup_id_y 1
		.amdhsa_system_sgpr_workgroup_id_z 1
		.amdhsa_system_sgpr_workgroup_info 0
		.amdhsa_system_vgpr_workitem_id 0
		.amdhsa_next_free_vgpr 25
		.amdhsa_next_free_sgpr 49
		.amdhsa_reserve_vcc 1
		.amdhsa_float_round_mode_32 0
		.amdhsa_float_round_mode_16_64 0
		.amdhsa_float_denorm_mode_32 3
		.amdhsa_float_denorm_mode_16_64 3
		.amdhsa_dx10_clamp 1
		.amdhsa_ieee_mode 1
		.amdhsa_fp16_overflow 0
		.amdhsa_workgroup_processor_mode 1
		.amdhsa_memory_ordered 1
		.amdhsa_forward_progress 0
		.amdhsa_shared_vgpr_count 0
		.amdhsa_exception_fp_ieee_invalid_op 0
		.amdhsa_exception_fp_denorm_src 0
		.amdhsa_exception_fp_ieee_div_zero 0
		.amdhsa_exception_fp_ieee_overflow 0
		.amdhsa_exception_fp_ieee_underflow 0
		.amdhsa_exception_fp_ieee_inexact 0
		.amdhsa_exception_int_div_zero 0
	.end_amdhsa_kernel
	.section	.text._ZN2at6native6mbtopk10gatherTopKIdjLi2EEEvNS_4cuda6detail10TensorInfoIKT_T0_EES8_S8_bjS8_NS5_IS6_S8_EES8_NS5_IlS8_EES8_jjPS6_PjSD_j,"axG",@progbits,_ZN2at6native6mbtopk10gatherTopKIdjLi2EEEvNS_4cuda6detail10TensorInfoIKT_T0_EES8_S8_bjS8_NS5_IS6_S8_EES8_NS5_IlS8_EES8_jjPS6_PjSD_j,comdat
.Lfunc_end71:
	.size	_ZN2at6native6mbtopk10gatherTopKIdjLi2EEEvNS_4cuda6detail10TensorInfoIKT_T0_EES8_S8_bjS8_NS5_IS6_S8_EES8_NS5_IlS8_EES8_jjPS6_PjSD_j, .Lfunc_end71-_ZN2at6native6mbtopk10gatherTopKIdjLi2EEEvNS_4cuda6detail10TensorInfoIKT_T0_EES8_S8_bjS8_NS5_IS6_S8_EES8_NS5_IlS8_EES8_jjPS6_PjSD_j
                                        ; -- End function
	.section	.AMDGPU.csdata,"",@progbits
; Kernel info:
; codeLenInByte = 2864
; NumSgprs: 51
; NumVgprs: 25
; ScratchSize: 0
; MemoryBound: 0
; FloatMode: 240
; IeeeMode: 1
; LDSByteSize: 1068 bytes/workgroup (compile time only)
; SGPRBlocks: 6
; VGPRBlocks: 3
; NumSGPRsForWavesPerEU: 51
; NumVGPRsForWavesPerEU: 25
; Occupancy: 16
; WaveLimiterHint : 1
; COMPUTE_PGM_RSRC2:SCRATCH_EN: 0
; COMPUTE_PGM_RSRC2:USER_SGPR: 13
; COMPUTE_PGM_RSRC2:TRAP_HANDLER: 0
; COMPUTE_PGM_RSRC2:TGID_X_EN: 1
; COMPUTE_PGM_RSRC2:TGID_Y_EN: 1
; COMPUTE_PGM_RSRC2:TGID_Z_EN: 1
; COMPUTE_PGM_RSRC2:TIDIG_COMP_CNT: 0
	.section	.text._ZN2at6native6sbtopk10gatherTopKIdjLi2ELb0EEEvNS_4cuda6detail10TensorInfoIKT_T0_EES8_S8_bS8_S8_NS5_IS6_S8_EES8_NS5_IlS8_EES8_PS6_,"axG",@progbits,_ZN2at6native6sbtopk10gatherTopKIdjLi2ELb0EEEvNS_4cuda6detail10TensorInfoIKT_T0_EES8_S8_bS8_S8_NS5_IS6_S8_EES8_NS5_IlS8_EES8_PS6_,comdat
	.protected	_ZN2at6native6sbtopk10gatherTopKIdjLi2ELb0EEEvNS_4cuda6detail10TensorInfoIKT_T0_EES8_S8_bS8_S8_NS5_IS6_S8_EES8_NS5_IlS8_EES8_PS6_ ; -- Begin function _ZN2at6native6sbtopk10gatherTopKIdjLi2ELb0EEEvNS_4cuda6detail10TensorInfoIKT_T0_EES8_S8_bS8_S8_NS5_IS6_S8_EES8_NS5_IlS8_EES8_PS6_
	.globl	_ZN2at6native6sbtopk10gatherTopKIdjLi2ELb0EEEvNS_4cuda6detail10TensorInfoIKT_T0_EES8_S8_bS8_S8_NS5_IS6_S8_EES8_NS5_IlS8_EES8_PS6_
	.p2align	8
	.type	_ZN2at6native6sbtopk10gatherTopKIdjLi2ELb0EEEvNS_4cuda6detail10TensorInfoIKT_T0_EES8_S8_bS8_S8_NS5_IS6_S8_EES8_NS5_IlS8_EES8_PS6_,@function
_ZN2at6native6sbtopk10gatherTopKIdjLi2ELb0EEEvNS_4cuda6detail10TensorInfoIKT_T0_EES8_S8_bS8_S8_NS5_IS6_S8_EES8_NS5_IlS8_EES8_PS6_: ; @_ZN2at6native6sbtopk10gatherTopKIdjLi2ELb0EEEvNS_4cuda6detail10TensorInfoIKT_T0_EES8_S8_bS8_S8_NS5_IS6_S8_EES8_NS5_IlS8_EES8_PS6_
; %bb.0:
	s_clause 0x1
	s_load_b64 s[4:5], s[0:1], 0x2b8
	s_load_b128 s[36:39], s[0:1], 0xd8
	s_add_u32 s6, s0, 0x2b8
	s_addc_u32 s7, s1, 0
	s_waitcnt lgkmcnt(0)
	s_mul_i32 s2, s5, s15
	s_delay_alu instid0(SALU_CYCLE_1) | instskip(NEXT) | instid1(SALU_CYCLE_1)
	s_add_i32 s2, s2, s14
	s_mul_i32 s49, s2, s4
	s_delay_alu instid0(SALU_CYCLE_1) | instskip(NEXT) | instid1(SALU_CYCLE_1)
	s_add_i32 s49, s49, s13
	s_cmp_ge_u32 s49, s39
	s_cbranch_scc1 .LBB72_470
; %bb.1:
	s_clause 0x9
	s_load_b32 s10, s[0:1], 0xc
	s_load_b32 s51, s[0:1], 0xfc
	;; [unrolled: 1-line block ×3, first 2 shown]
	s_load_b64 s[30:31], s[0:1], 0xf0
	s_load_b64 s[42:43], s[0:1], 0x23c
	;; [unrolled: 1-line block ×4, first 2 shown]
	s_load_b32 s34, s[0:1], 0xe8
	s_load_b64 s[2:3], s[0:1], 0x6c
	s_load_b64 s[8:9], s[0:1], 0x0
	v_cmp_eq_u32_e64 s5, 0, v0
	s_mov_b32 s47, 0
	s_waitcnt lgkmcnt(0)
	v_cvt_f32_u32_e32 v1, s10
	v_cvt_f32_u32_e32 v2, s51
	;; [unrolled: 1-line block ×3, first 2 shown]
	s_sub_i32 s11, 0, s10
	s_sub_i32 s16, 0, s51
	v_rcp_iflag_f32_e32 v1, v1
	v_rcp_iflag_f32_e32 v2, v2
	;; [unrolled: 1-line block ×3, first 2 shown]
	s_sub_i32 s17, 0, s50
	s_waitcnt_depctr 0xfff
	v_dual_mul_f32 v1, 0x4f7ffffe, v1 :: v_dual_mul_f32 v2, 0x4f7ffffe, v2
	v_mul_f32_e32 v3, 0x4f7ffffe, v3
	s_delay_alu instid0(VALU_DEP_2) | instskip(NEXT) | instid1(VALU_DEP_3)
	v_cvt_u32_f32_e32 v1, v1
	v_cvt_u32_f32_e32 v2, v2
	s_delay_alu instid0(VALU_DEP_3) | instskip(NEXT) | instid1(VALU_DEP_3)
	v_cvt_u32_f32_e32 v3, v3
	v_readfirstlane_b32 s12, v1
	s_delay_alu instid0(VALU_DEP_3) | instskip(NEXT) | instid1(VALU_DEP_3)
	v_readfirstlane_b32 s14, v2
	v_readfirstlane_b32 s15, v3
	s_delay_alu instid0(VALU_DEP_3) | instskip(NEXT) | instid1(VALU_DEP_2)
	s_mul_i32 s11, s11, s12
	s_mul_i32 s16, s16, s14
	s_delay_alu instid0(VALU_DEP_1)
	s_mul_i32 s17, s17, s15
	s_mul_hi_u32 s11, s12, s11
	s_mul_hi_u32 s16, s14, s16
	;; [unrolled: 1-line block ×3, first 2 shown]
	s_add_i32 s12, s12, s11
	s_add_i32 s14, s14, s16
	;; [unrolled: 1-line block ×3, first 2 shown]
	s_mul_hi_u32 s11, s49, s12
	s_mul_hi_u32 s53, s49, s14
	;; [unrolled: 1-line block ×3, first 2 shown]
	s_and_saveexec_b32 s12, s5
	s_cbranch_execz .LBB72_3
; %bb.2:
	v_dual_mov_b32 v1, 0 :: v_dual_mov_b32 v2, s36
	s_delay_alu instid0(VALU_DEP_1)
	v_mov_b32_e32 v3, v1
	ds_store_b96 v1, v[1:3] offset:4096
.LBB72_3:
	s_or_b32 exec_lo, exec_lo, s12
	s_mul_i32 s12, s11, s10
	s_add_i32 s14, s11, 1
	s_sub_i32 s12, s49, s12
	s_waitcnt lgkmcnt(0)
	s_sub_i32 s15, s12, s10
	s_cmp_ge_u32 s12, s10
	s_barrier
	s_cselect_b32 s11, s14, s11
	s_cselect_b32 s12, s15, s12
	buffer_gl0_inv
	s_load_b32 s15, s[6:7], 0xc
	s_add_i32 s14, s11, 1
	s_cmp_ge_u32 s12, s10
	v_mbcnt_lo_u32_b32 v28, -1, 0
	s_cselect_b32 s11, s14, s11
	v_cmp_gt_u32_e32 vcc_lo, 32, v0
	s_mul_i32 s10, s11, s10
	s_mul_i32 s2, s11, s2
	s_sub_i32 s10, s49, s10
	v_dual_mov_b32 v14, 0 :: v_dual_lshlrev_b32 v29, 2, v0
	s_mul_i32 s10, s10, s3
	v_mul_lo_u32 v15, v0, s34
	s_add_i32 s46, s2, s10
	v_cmp_gt_i32_e64 s2, 4, v28
	s_lshl_b64 s[10:11], s[46:47], 3
	v_lshrrev_b32_e32 v3, 3, v0
	s_add_u32 s33, s8, s10
	s_addc_u32 s35, s9, s11
	s_bitcmp1_b32 s38, 0
	v_dual_mov_b32 v5, 0 :: v_dual_lshlrev_b32 v32, 3, v0
	s_cselect_b32 s3, -1, 0
	s_waitcnt lgkmcnt(0)
	s_and_b32 s46, s15, 0xffff
	s_bfe_u32 s8, s15, 0xb0005
	s_lshl_b32 s55, s46, 2
	s_and_b32 s54, vcc_lo, s2
	v_cvt_f32_u32_e32 v1, s55
	s_xor_b32 s56, s3, -1
	s_cmpk_gt_u32 s36, 0x180
	v_cvt_f32_u32_e32 v2, s46
	s_cselect_b32 s57, -1, 0
	v_rcp_iflag_f32_e32 v1, v1
	s_cmp_gt_u32 s46, 31
	v_dual_mov_b32 v21, 0 :: v_dual_and_b32 v30, 0x7c, v3
	s_cselect_b32 s58, -1, 0
	s_add_i32 s59, s46, -1
	v_mov_b32_e32 v16, v14
	s_add_i32 s9, s59, s36
	s_cmp_lt_u32 s13, s4
	v_or_b32_e32 v3, 3, v29
	s_waitcnt_depctr 0xfff
	v_mul_f32_e32 v1, 0x4f7ffffe, v1
	s_cselect_b32 s2, 12, 18
	v_dual_mov_b32 v22, 0 :: v_dual_add_nc_u32 v33, 0xc00, v32
	s_add_u32 s38, s6, s2
	s_delay_alu instid0(VALU_DEP_2)
	v_cvt_u32_f32_e32 v1, v1
	s_addc_u32 s39, s7, 0
	s_add_i32 s2, s8, -1
	s_bfe_u32 s60, s46, 0x30005
	s_cmp_gt_u32 s2, 6
	v_readfirstlane_b32 s2, v1
	s_cselect_b32 s61, -1, 0
	s_and_b32 s62, s8, 0x7f8
	s_cmp_lg_u32 s60, 0
	v_rcp_iflag_f32_e32 v1, v2
	s_cselect_b32 s63, -1, 0
	s_sub_i32 s6, 0, s55
	v_mad_u64_u32 v[18:19], null, s34, v29, s[34:35]
	s_mul_i32 s6, s6, s2
	v_mul_lo_u32 v35, s34, v3
	s_mul_hi_u32 s6, s2, s6
	v_dual_mov_b32 v19, v21 :: v_dual_lshlrev_b32 v36, 2, v15
	s_add_i32 s64, s2, s6
	v_cmp_gt_u32_e64 s4, s36, v0
	s_mul_hi_u32 s6, s36, s64
	v_cmp_eq_u32_e64 s2, 0, v28
	s_mul_i32 s6, s6, s55
	v_lshlrev_b32_e32 v38, 5, v0
	s_sub_i32 s6, s36, s6
	v_lshl_or_b32 v39, v28, 2, 0xc00
	s_sub_i32 s7, s6, s55
	s_cmp_ge_u32 s6, s55
	v_mov_b32_e32 v6, 0
	s_cselect_b32 s6, s7, s6
	v_mov_b32_e32 v40, s37
	s_sub_i32 s7, s6, s55
	s_cmp_ge_u32 s6, s55
	v_mov_b32_e32 v20, v22
	s_cselect_b32 s10, s7, s6
	s_sub_i32 s6, 0, s46
	s_sub_i32 s65, s36, s10
	s_delay_alu instid0(SALU_CYCLE_1) | instskip(SKIP_3) | instid1(VALU_DEP_2)
	v_dual_mul_f32 v4, 0x4f7ffffe, v1 :: v_dual_add_nc_u32 v31, s65, v0
	v_lshlrev_b64 v[1:2], 3, v[15:16]
	s_mul_i32 s48, s34, s46
	s_mov_b32 s77, 62
	v_cvt_u32_f32_e32 v4, v4
	v_mul_lo_u32 v13, v31, s34
	s_mov_b32 s72, 0
	v_add_co_u32 v11, vcc_lo, s33, v1
	s_delay_alu instid0(VALU_DEP_3) | instskip(SKIP_2) | instid1(VALU_DEP_3)
	v_readfirstlane_b32 s8, v4
	v_add_co_ci_u32_e32 v12, vcc_lo, s35, v2, vcc_lo
	v_lshlrev_b64 v[1:2], v28, -1
                                        ; implicit-def: $sgpr71
                                        ; implicit-def: $sgpr75
                                        ; implicit-def: $sgpr74
                                        ; implicit-def: $sgpr76
                                        ; implicit-def: $sgpr73
                                        ; implicit-def: $sgpr78
                                        ; implicit-def: $sgpr80
                                        ; implicit-def: $sgpr79
                                        ; implicit-def: $sgpr81
                                        ; implicit-def: $sgpr82
	s_mul_i32 s6, s6, s8
	s_delay_alu instid0(SALU_CYCLE_1) | instskip(NEXT) | instid1(SALU_CYCLE_1)
	s_mul_hi_u32 s6, s8, s6
	s_add_i32 s66, s8, s6
	s_delay_alu instid0(VALU_DEP_1) | instskip(SKIP_2) | instid1(SALU_CYCLE_1)
	v_not_b32_e32 v27, v1
	v_lshlrev_b64 v[1:2], 3, v[13:14]
	s_mul_hi_u32 s6, s9, s66
	s_mul_i32 s7, s6, s46
	v_cmp_gt_u32_e64 s6, 2, v0
	s_sub_i32 s7, s9, s7
	s_delay_alu instid0(VALU_DEP_2)
	v_add_co_u32 v16, vcc_lo, s33, v1
	v_add3_u32 v1, s46, s36, v0
	s_sub_i32 s8, s7, s46
	s_cmp_ge_u32 s7, s46
	v_add_co_ci_u32_e32 v17, vcc_lo, s35, v2, vcc_lo
	s_cselect_b32 s8, s8, s7
	v_or_b32_e32 v2, 2, v29
	v_subrev_nc_u32_e32 v1, s10, v1
	s_sub_i32 s11, s8, s46
	s_cmp_ge_u32 s8, s46
	v_cmp_gt_u32_e64 s7, s65, v29
	s_cselect_b32 s11, s11, s8
	v_mul_lo_u32 v34, s34, v2
	v_mul_lo_u32 v37, s34, v1
	s_sub_i32 s67, s9, s11
	v_cmp_gt_u32_e64 s8, s36, v31
	v_cmp_gt_u32_e64 s9, s67, v0
	v_mov_b32_e32 v2, 0x3ff00000
	s_lshl_b32 s68, s48, 2
	s_lshl_b32 s69, s46, 5
	;; [unrolled: 1-line block ×3, first 2 shown]
	s_branch .LBB72_6
.LBB72_4:                               ;   in Loop: Header=BB72_6 Depth=1
	s_or_b32 exec_lo, exec_lo, s13
	v_dual_mov_b32 v19, v25 :: v_dual_mov_b32 v20, v26
	v_dual_mov_b32 v21, v23 :: v_dual_mov_b32 v22, v24
	v_mov_b32_e32 v40, v41
	v_dual_mov_b32 v5, v9 :: v_dual_mov_b32 v6, v10
	s_and_not1_b32 s13, s82, exec_lo
	s_and_b32 s12, s12, exec_lo
	s_and_not1_b32 s81, s81, exec_lo
	s_or_b32 s82, s13, s12
	s_and_not1_b32 s79, s79, exec_lo
	s_and_not1_b32 s80, s80, exec_lo
	;; [unrolled: 1-line block ×3, first 2 shown]
	s_or_not1_b32 s12, s11, exec_lo
.LBB72_5:                               ;   in Loop: Header=BB72_6 Depth=1
	s_or_b32 exec_lo, exec_lo, s10
	s_delay_alu instid0(SALU_CYCLE_1) | instskip(NEXT) | instid1(SALU_CYCLE_1)
	s_and_b32 s10, exec_lo, s12
	s_or_b32 s47, s10, s47
	s_and_not1_b32 s10, s73, exec_lo
	s_and_b32 s11, s82, exec_lo
	s_and_not1_b32 s12, s76, exec_lo
	s_or_b32 s73, s10, s11
	s_and_b32 s10, s81, exec_lo
	s_and_not1_b32 s11, s74, exec_lo
	s_and_b32 s13, s79, exec_lo
	s_or_b32 s76, s12, s10
	s_or_b32 s74, s11, s13
	s_and_not1_b32 s10, s75, exec_lo
	s_and_b32 s11, s80, exec_lo
	s_and_not1_b32 s12, s71, exec_lo
	s_and_b32 s13, s78, exec_lo
	s_or_b32 s75, s10, s11
	s_or_b32 s71, s12, s13
	s_and_not1_b32 exec_lo, exec_lo, s47
	s_cbranch_execz .LBB72_406
.LBB72_6:                               ; =>This Loop Header: Depth=1
                                        ;     Child Loop BB72_14 Depth 2
                                        ;     Child Loop BB72_29 Depth 2
	;; [unrolled: 1-line block ×24, first 2 shown]
	ds_load_b64 v[3:4], v14 offset:4096
	s_waitcnt lgkmcnt(0)
	v_readfirstlane_b32 s83, v3
	s_delay_alu instid0(VALU_DEP_1)
	s_cmp_lg_u32 s83, 0
	s_cbranch_scc1 .LBB72_36
; %bb.7:                                ;   in Loop: Header=BB72_6 Depth=1
	s_and_b32 vcc_lo, exec_lo, s57
	s_cbranch_vccz .LBB72_22
; %bb.8:                                ;   in Loop: Header=BB72_6 Depth=1
	v_cmp_gt_u32_e32 vcc_lo, 0x181, v4
	s_mov_b32 s83, 0
	s_mov_b32 s10, 0
	s_cbranch_vccz .LBB72_23
; %bb.9:                                ;   in Loop: Header=BB72_6 Depth=1
	v_mov_b32_e32 v3, 0
	v_mov_b32_e32 v4, 0
	s_and_saveexec_b32 s10, s4
	s_cbranch_execz .LBB72_11
; %bb.10:                               ;   in Loop: Header=BB72_6 Depth=1
	global_load_b64 v[3:4], v[11:12], off
.LBB72_11:                              ;   in Loop: Header=BB72_6 Depth=1
	s_or_b32 exec_lo, exec_lo, s10
	s_and_saveexec_b32 s12, s4
	s_cbranch_execz .LBB72_87
; %bb.12:                               ;   in Loop: Header=BB72_6 Depth=1
	global_load_u16 v1, v14, s[38:39]
	v_mov_b32_e32 v10, v0
	s_mov_b32 s13, 0
	s_waitcnt vmcnt(0)
	v_add_nc_u32_e32 v7, v0, v1
	v_mul_lo_u32 v9, s34, v1
	s_delay_alu instid0(VALU_DEP_2)
	v_mul_lo_u32 v13, s34, v7
	s_branch .LBB72_14
.LBB72_13:                              ;   in Loop: Header=BB72_14 Depth=2
	s_or_b32 exec_lo, exec_lo, s11
	s_waitcnt vmcnt(0)
	v_mov_b32_e32 v3, v7
	v_dual_mov_b32 v4, v8 :: v_dual_add_nc_u32 v13, v13, v9
	s_and_not1_b32 exec_lo, exec_lo, s13
	s_cbranch_execz .LBB72_87
.LBB72_14:                              ;   Parent Loop BB72_6 Depth=1
                                        ; =>  This Inner Loop Header: Depth=2
	v_dual_mov_b32 v7, 0 :: v_dual_add_nc_u32 v10, v10, v1
	v_mov_b32_e32 v8, 0
	s_mov_b32 s11, exec_lo
	s_delay_alu instid0(VALU_DEP_2)
	v_cmp_le_u32_e32 vcc_lo, s36, v10
	v_cmpx_gt_u32_e64 s36, v10
	s_cbranch_execz .LBB72_16
; %bb.15:                               ;   in Loop: Header=BB72_14 Depth=2
	v_lshlrev_b64 v[7:8], 3, v[13:14]
	s_delay_alu instid0(VALU_DEP_1) | instskip(NEXT) | instid1(VALU_DEP_1)
	v_add_co_u32 v7, s10, s33, v7
	v_add_co_ci_u32_e64 v8, s10, s35, v8, s10
	global_load_b64 v[7:8], v[7:8], off
.LBB72_16:                              ;   in Loop: Header=BB72_14 Depth=2
	s_or_b32 exec_lo, exec_lo, s11
	v_cmp_o_f64_e64 s10, v[3:4], v[3:4]
	s_waitcnt lgkmcnt(0)
	v_ashrrev_i32_e32 v23, 31, v4
	s_delay_alu instid0(VALU_DEP_1) | instskip(SKIP_1) | instid1(VALU_DEP_2)
	v_or_b32_e32 v24, 0x80000000, v23
	v_xor_b32_e32 v23, v23, v3
	v_xor_b32_e32 v24, v24, v4
	s_delay_alu instid0(VALU_DEP_1) | instskip(NEXT) | instid1(VALU_DEP_3)
	v_cndmask_b32_e64 v24, -1, v24, s10
	v_cndmask_b32_e64 v23, -1, v23, s10
	s_delay_alu instid0(VALU_DEP_2) | instskip(NEXT) | instid1(VALU_DEP_2)
	v_and_b32_e32 v24, v24, v20
	v_and_b32_e32 v23, v23, v19
	s_delay_alu instid0(VALU_DEP_1) | instskip(SKIP_1) | instid1(VALU_DEP_2)
	v_cmp_eq_u64_e64 s10, v[23:24], v[21:22]
	v_mov_b32_e32 v23, 0
	s_cmp_lg_u32 s10, 0
	s_cselect_b32 s11, -1, 0
	s_delay_alu instid0(SALU_CYCLE_1) | instskip(NEXT) | instid1(SALU_CYCLE_1)
	s_and_b32 s11, s2, s11
	s_and_saveexec_b32 s14, s11
	s_cbranch_execz .LBB72_20
; %bb.17:                               ;   in Loop: Header=BB72_14 Depth=2
	s_mov_b32 s17, exec_lo
	s_bcnt1_i32_b32 s15, s10
	v_mbcnt_lo_u32_b32 v23, s17, 0
	s_mov_b32 s16, exec_lo
                                        ; implicit-def: $vgpr24
	s_delay_alu instid0(VALU_DEP_1)
	v_cmpx_eq_u32_e32 0, v23
	s_cbranch_execz .LBB72_19
; %bb.18:                               ;   in Loop: Header=BB72_14 Depth=2
	s_bcnt1_i32_b32 s11, s17
	s_delay_alu instid0(SALU_CYCLE_1) | instskip(NEXT) | instid1(SALU_CYCLE_1)
	s_mul_i32 s11, s15, s11
	v_mov_b32_e32 v24, s11
	ds_add_rtn_u32 v24, v14, v24 offset:4104
.LBB72_19:                              ;   in Loop: Header=BB72_14 Depth=2
	s_or_b32 exec_lo, exec_lo, s16
	s_waitcnt lgkmcnt(0)
	v_readfirstlane_b32 s11, v24
	s_delay_alu instid0(VALU_DEP_1)
	v_mad_u32_u24 v23, s15, v23, s11
.LBB72_20:                              ;   in Loop: Header=BB72_14 Depth=2
	s_or_b32 exec_lo, exec_lo, s14
	ds_bpermute_b32 v23, v14, v23
	s_and_b32 s11, exec_lo, vcc_lo
	s_delay_alu instid0(SALU_CYCLE_1)
	s_or_b32 s13, s11, s13
	s_and_saveexec_b32 s11, s10
	s_cbranch_execz .LBB72_13
; %bb.21:                               ;   in Loop: Header=BB72_14 Depth=2
	v_and_b32_e32 v24, s10, v27
	s_delay_alu instid0(VALU_DEP_1) | instskip(NEXT) | instid1(VALU_DEP_1)
	v_bcnt_u32_b32 v24, v24, 0
	v_lshlrev_b32_e32 v24, 3, v24
	s_waitcnt lgkmcnt(0)
	s_delay_alu instid0(VALU_DEP_1)
	v_lshl_add_u32 v23, v23, 3, v24
	ds_store_b64 v23, v[3:4]
	s_branch .LBB72_13
.LBB72_22:                              ;   in Loop: Header=BB72_6 Depth=1
	s_mov_b32 s83, -1
	s_mov_b32 s10, 0
.LBB72_23:                              ;   in Loop: Header=BB72_6 Depth=1
	s_and_b32 vcc_lo, exec_lo, s83
	s_cbranch_vccz .LBB72_34
.LBB72_24:                              ;   in Loop: Header=BB72_6 Depth=1
	v_mov_b32_e32 v3, 0
	v_mov_b32_e32 v4, 0
	s_and_saveexec_b32 s10, s4
	s_cbranch_execz .LBB72_26
; %bb.25:                               ;   in Loop: Header=BB72_6 Depth=1
	global_load_b64 v[3:4], v[11:12], off
.LBB72_26:                              ;   in Loop: Header=BB72_6 Depth=1
	s_or_b32 exec_lo, exec_lo, s10
	s_and_saveexec_b32 s11, s4
	s_cbranch_execz .LBB72_31
; %bb.27:                               ;   in Loop: Header=BB72_6 Depth=1
	global_load_u16 v1, v14, s[38:39]
	v_mov_b32_e32 v24, v0
	s_mov_b32 s12, 0
	v_mov_b32_e32 v23, v32
	s_waitcnt vmcnt(0)
	v_add_nc_u32_e32 v7, v0, v1
	v_mul_lo_u32 v9, s34, v1
	v_lshlrev_b32_e32 v10, 3, v1
	s_delay_alu instid0(VALU_DEP_3)
	v_mul_lo_u32 v13, s34, v7
	s_set_inst_prefetch_distance 0x1
	s_branch .LBB72_29
	.p2align	6
.LBB72_28:                              ;   in Loop: Header=BB72_29 Depth=2
	s_or_b32 exec_lo, exec_lo, s13
	ds_store_b64 v23, v[3:4]
	s_waitcnt vmcnt(0)
	v_mov_b32_e32 v3, v7
	v_dual_mov_b32 v4, v8 :: v_dual_add_nc_u32 v23, v23, v10
	v_add_nc_u32_e32 v13, v13, v9
	s_and_b32 s10, exec_lo, vcc_lo
	s_delay_alu instid0(SALU_CYCLE_1) | instskip(NEXT) | instid1(SALU_CYCLE_1)
	s_or_b32 s12, s10, s12
	s_and_not1_b32 exec_lo, exec_lo, s12
	s_cbranch_execz .LBB72_31
.LBB72_29:                              ;   Parent Loop BB72_6 Depth=1
                                        ; =>  This Inner Loop Header: Depth=2
	v_dual_mov_b32 v7, 0 :: v_dual_add_nc_u32 v24, v24, v1
	v_mov_b32_e32 v8, 0
	s_mov_b32 s13, exec_lo
	s_delay_alu instid0(VALU_DEP_2)
	v_cmp_le_u32_e32 vcc_lo, s36, v24
	v_cmpx_gt_u32_e64 s36, v24
	s_cbranch_execz .LBB72_28
; %bb.30:                               ;   in Loop: Header=BB72_29 Depth=2
	v_lshlrev_b64 v[7:8], 3, v[13:14]
	s_delay_alu instid0(VALU_DEP_1) | instskip(NEXT) | instid1(VALU_DEP_1)
	v_add_co_u32 v7, s10, s33, v7
	v_add_co_ci_u32_e64 v8, s10, s35, v8, s10
	global_load_b64 v[7:8], v[7:8], off
	s_branch .LBB72_28
.LBB72_31:                              ;   in Loop: Header=BB72_6 Depth=1
	s_set_inst_prefetch_distance 0x2
	s_or_b32 exec_lo, exec_lo, s11
	s_waitcnt vmcnt(0) lgkmcnt(0)
	s_barrier
	buffer_gl0_inv
	s_and_saveexec_b32 s10, s5
	s_cbranch_execz .LBB72_33
; %bb.32:                               ;   in Loop: Header=BB72_6 Depth=1
	v_mov_b32_e32 v1, s36
	ds_store_b32 v14, v1 offset:4096
.LBB72_33:                              ;   in Loop: Header=BB72_6 Depth=1
	s_or_b32 exec_lo, exec_lo, s10
	s_mov_b32 s10, -1
	s_waitcnt lgkmcnt(0)
	s_barrier
                                        ; implicit-def: $sgpr83
.LBB72_34:                              ;   in Loop: Header=BB72_6 Depth=1
	s_and_b32 vcc_lo, exec_lo, s10
	s_cbranch_vccz .LBB72_36
; %bb.35:                               ;   in Loop: Header=BB72_6 Depth=1
	buffer_gl0_inv
	ds_load_b32 v1, v14 offset:4096
	s_waitcnt lgkmcnt(0)
	v_readfirstlane_b32 s83, v1
.LBB72_36:                              ;   in Loop: Header=BB72_6 Depth=1
	s_delay_alu instid0(VALU_DEP_1)
	s_cmp_lt_i32 s83, 1
	s_cbranch_scc0 .LBB72_48
; %bb.37:                               ;   in Loop: Header=BB72_6 Depth=1
	v_dual_mov_b32 v7, 0 :: v_dual_mov_b32 v8, 0
	v_dual_mov_b32 v9, 0 :: v_dual_mov_b32 v10, 0
	s_mov_b32 s25, 0
	s_and_saveexec_b32 s24, s7
	s_cbranch_execz .LBB72_41
; %bb.38:                               ;   in Loop: Header=BB72_6 Depth=1
	v_mov_b32_e32 v1, v29
	s_and_b32 s26, s77, 0xfe
	s_mov_b32 s27, 0
	s_mov_b32 s28, 0
	;; [unrolled: 1-line block ×5, first 2 shown]
.LBB72_39:                              ;   Parent Loop BB72_6 Depth=1
                                        ; =>  This Inner Loop Header: Depth=2
	v_dual_mov_b32 v42, v14 :: v_dual_add_nc_u32 v13, s27, v36
	v_dual_mov_b32 v26, v14 :: v_dual_add_nc_u32 v1, s55, v1
	s_delay_alu instid0(VALU_DEP_2) | instskip(SKIP_1) | instid1(VALU_DEP_1)
	v_lshlrev_b64 v[3:4], 3, v[13:14]
	v_add_nc_u32_e32 v13, s27, v18
	v_lshlrev_b64 v[7:8], 3, v[13:14]
	v_add_nc_u32_e32 v13, s27, v34
	s_delay_alu instid0(VALU_DEP_4) | instskip(SKIP_1) | instid1(VALU_DEP_3)
	v_add_co_u32 v3, vcc_lo, s33, v3
	v_add_co_ci_u32_e32 v4, vcc_lo, s35, v4, vcc_lo
	v_lshlrev_b64 v[9:10], 3, v[13:14]
	v_add_nc_u32_e32 v13, s27, v35
	v_add_co_u32 v7, vcc_lo, s33, v7
	global_load_b64 v[3:4], v[3:4], off
	v_add_co_ci_u32_e32 v8, vcc_lo, s35, v8, vcc_lo
	v_lshlrev_b64 v[23:24], 3, v[13:14]
	v_add_co_u32 v9, vcc_lo, s33, v9
	v_add_co_ci_u32_e32 v10, vcc_lo, s35, v10, vcc_lo
	s_clause 0x1
	global_load_b64 v[7:8], v[7:8], off
	global_load_b64 v[9:10], v[9:10], off
	v_add_co_u32 v23, vcc_lo, s33, v23
	v_add_co_ci_u32_e32 v24, vcc_lo, s35, v24, vcc_lo
	v_cmp_le_u32_e32 vcc_lo, s65, v1
	s_add_i32 s27, s27, s68
	global_load_b64 v[23:24], v[23:24], off
	s_waitcnt vmcnt(3)
	v_cmp_o_f64_e64 s10, v[3:4], v[3:4]
	v_ashrrev_i32_e32 v13, 31, v4
	s_delay_alu instid0(VALU_DEP_1)
	v_or_b32_e32 v41, 0x80000000, v13
	v_xor_b32_e32 v13, v13, v3
	s_waitcnt vmcnt(2)
	v_cmp_o_f64_e64 s11, v[7:8], v[7:8]
	s_waitcnt vmcnt(1)
	v_cmp_o_f64_e64 s12, v[9:10], v[9:10]
	v_xor_b32_e32 v41, v41, v4
	v_ashrrev_i32_e32 v44, 31, v10
	v_ashrrev_i32_e32 v43, 31, v8
	s_delay_alu instid0(VALU_DEP_2) | instskip(SKIP_2) | instid1(VALU_DEP_3)
	v_or_b32_e32 v3, 0x80000000, v44
	s_waitcnt vmcnt(0)
	v_cmp_o_f64_e64 s13, v[23:24], v[23:24]
	v_or_b32_e32 v45, 0x80000000, v43
	v_xor_b32_e32 v43, v43, v7
	v_xor_b32_e32 v47, v44, v9
	;; [unrolled: 1-line block ×3, first 2 shown]
	s_delay_alu instid0(VALU_DEP_4) | instskip(SKIP_2) | instid1(VALU_DEP_2)
	v_xor_b32_e32 v45, v45, v8
	v_cndmask_b32_e64 v4, -1, v41, s10
	v_ashrrev_i32_e32 v41, 31, v24
	v_dual_mov_b32 v25, v14 :: v_dual_and_b32 v10, v4, v20
	s_delay_alu instid0(VALU_DEP_2) | instskip(SKIP_3) | instid1(VALU_DEP_4)
	v_or_b32_e32 v7, 0x80000000, v41
	v_xor_b32_e32 v41, v41, v23
	v_cndmask_b32_e64 v8, -1, v45, s11
	v_cndmask_b32_e64 v23, -1, v47, s12
	v_xor_b32_e32 v7, v7, v24
	v_cndmask_b32_e64 v24, -1, v3, s12
	v_cndmask_b32_e64 v3, -1, v13, s10
	v_and_b32_e32 v44, v8, v20
	v_and_b32_e32 v47, v23, v19
	s_delay_alu instid0(VALU_DEP_4) | instskip(NEXT) | instid1(VALU_DEP_4)
	v_and_b32_e32 v48, v24, v20
	v_and_b32_e32 v9, v3, v19
	v_lshrrev_b64 v[3:4], s26, v[3:4]
	v_cndmask_b32_e64 v46, -1, v7, s13
	v_cndmask_b32_e64 v7, -1, v43, s11
	;; [unrolled: 1-line block ×3, first 2 shown]
	v_cmp_eq_u64_e64 s10, v[9:10], v[21:22]
	v_cmp_eq_u64_e64 s16, v[47:48], v[21:22]
	v_and_b32_e32 v13, 3, v3
	v_and_b32_e32 v43, v7, v19
	v_lshrrev_b64 v[7:8], s26, v[7:8]
	v_lshrrev_b64 v[3:4], s26, v[23:24]
	v_and_b32_e32 v49, v46, v20
	v_cmp_eq_u64_e64 s12, 0, v[13:14]
	v_cmp_eq_u64_e64 s13, 1, v[13:14]
	;; [unrolled: 1-line block ×3, first 2 shown]
	v_and_b32_e32 v24, 3, v7
	v_cmp_eq_u64_e64 s15, 3, v[13:14]
	v_cmp_eq_u64_e64 s11, v[43:44], v[21:22]
	s_and_b32 s12, s10, s12
	v_and_b32_e32 v41, 3, v3
	v_cmp_eq_u64_e64 s17, 0, v[24:25]
	v_cmp_eq_u64_e64 s18, 1, v[24:25]
	;; [unrolled: 1-line block ×3, first 2 shown]
	v_lshrrev_b64 v[7:8], s26, v[45:46]
	v_cndmask_b32_e64 v3, 0, 1, s12
	s_and_b32 s12, s10, s13
	v_cmp_eq_u64_e64 s20, 3, v[24:25]
	v_cndmask_b32_e64 v4, 0, 1, s12
	s_and_b32 s12, s10, s14
	s_and_b32 s10, s10, s15
	v_cndmask_b32_e64 v8, 0, 1, s12
	v_cmp_eq_u64_e64 s12, 0, v[41:42]
	v_cmp_eq_u64_e64 s13, 1, v[41:42]
	v_cndmask_b32_e64 v9, 0, 1, s10
	s_and_b32 s17, s11, s17
	s_and_b32 s18, s11, s18
	;; [unrolled: 1-line block ×3, first 2 shown]
	v_and_b32_e32 v48, v45, v19
	v_and_b32_e32 v25, 3, v7
	v_cmp_eq_u64_e64 s14, 2, v[41:42]
	v_cmp_eq_u64_e64 s15, 3, v[41:42]
	v_cmp_ne_u32_e64 s21, 0, v3
	v_cndmask_b32_e64 v3, 0, 1, s17
	v_cmp_ne_u32_e64 s17, 0, v4
	v_cndmask_b32_e64 v4, 0, 1, s18
	v_cndmask_b32_e64 v7, 0, 1, s19
	s_and_b32 s11, s11, s20
	v_cmp_ne_u32_e64 s18, 0, v8
	v_cndmask_b32_e64 v8, 0, 1, s11
	v_cmp_ne_u32_e64 s19, 0, v9
	s_and_b32 s12, s16, s12
	s_and_b32 s13, s16, s13
	v_cmp_eq_u64_e64 s10, v[48:49], v[21:22]
	v_cmp_eq_u64_e64 s11, 0, v[25:26]
	;; [unrolled: 1-line block ×5, first 2 shown]
	s_bcnt1_i32_b32 s86, s21
	v_cmp_ne_u32_e64 s21, 0, v3
	v_cndmask_b32_e64 v3, 0, 1, s12
	v_cmp_ne_u32_e64 s12, 0, v4
	v_cndmask_b32_e64 v4, 0, 1, s13
	v_cmp_ne_u32_e64 s13, 0, v7
	s_and_b32 s14, s16, s14
	s_and_b32 s15, s16, s15
	v_cndmask_b32_e64 v7, 0, 1, s14
	v_cmp_ne_u32_e64 s14, 0, v8
	v_cndmask_b32_e64 v8, 0, 1, s15
	s_bcnt1_i32_b32 s19, s19
	s_and_b32 s11, s10, s11
	s_add_i32 s19, s19, s28
	s_bcnt1_i32_b32 s28, s12
	s_and_b32 s12, s10, s20
	s_bcnt1_i32_b32 s20, s13
	s_and_b32 s13, s10, s22
	s_and_b32 s10, s10, s23
	v_cmp_ne_u32_e64 s15, 0, v3
	v_cndmask_b32_e64 v3, 0, 1, s11
	v_cmp_ne_u32_e64 s11, 0, v4
	v_cndmask_b32_e64 v4, 0, 1, s12
	;; [unrolled: 2-line block ×4, first 2 shown]
	s_bcnt1_i32_b32 s18, s18
	s_add_i32 s16, s86, s85
	s_add_i32 s18, s18, s29
	s_bcnt1_i32_b32 s21, s21
	s_bcnt1_i32_b32 s14, s14
	s_bcnt1_i32_b32 s17, s17
	s_add_i32 s16, s16, s21
	s_add_i32 s18, s18, s20
	;; [unrolled: 1-line block ×3, first 2 shown]
	v_cmp_ne_u32_e64 s10, 0, v3
	s_bcnt1_i32_b32 s19, s11
	v_cmp_ne_u32_e64 s11, 0, v4
	s_bcnt1_i32_b32 s20, s12
	;; [unrolled: 2-line block ×3, first 2 shown]
	v_cmp_ne_u32_e64 s13, 0, v8
	s_add_i32 s17, s17, s84
	s_bcnt1_i32_b32 s15, s15
	s_add_i32 s17, s17, s28
	s_add_i32 s15, s16, s15
	;; [unrolled: 1-line block ×5, first 2 shown]
	s_bcnt1_i32_b32 s10, s10
	s_bcnt1_i32_b32 s11, s11
	s_bcnt1_i32_b32 s12, s12
	s_bcnt1_i32_b32 s13, s13
	s_add_i32 s85, s15, s10
	s_add_i32 s84, s16, s11
	;; [unrolled: 1-line block ×4, first 2 shown]
	v_mov_b32_e32 v9, s29
	v_dual_mov_b32 v7, s85 :: v_dual_mov_b32 v8, s84
	v_mov_b32_e32 v10, s28
	s_or_b32 s25, vcc_lo, s25
	s_delay_alu instid0(SALU_CYCLE_1)
	s_and_not1_b32 exec_lo, exec_lo, s25
	s_cbranch_execnz .LBB72_39
; %bb.40:                               ;   in Loop: Header=BB72_6 Depth=1
	s_or_b32 exec_lo, exec_lo, s25
.LBB72_41:                              ;   in Loop: Header=BB72_6 Depth=1
	s_delay_alu instid0(SALU_CYCLE_1)
	s_or_b32 exec_lo, exec_lo, s24
	v_mov_b32_e32 v25, 0
	v_mov_b32_e32 v26, 0
	s_and_saveexec_b32 s10, s8
	s_cbranch_execz .LBB72_43
; %bb.42:                               ;   in Loop: Header=BB72_6 Depth=1
	global_load_b64 v[25:26], v[16:17], off
.LBB72_43:                              ;   in Loop: Header=BB72_6 Depth=1
	s_or_b32 exec_lo, exec_lo, s10
	s_and_saveexec_b32 s14, s8
	s_cbranch_execz .LBB72_50
; %bb.44:                               ;   in Loop: Header=BB72_6 Depth=1
	v_mov_b32_e32 v3, v37
	v_mov_b32_e32 v1, v31
	s_and_b32 s16, s77, 0xfe
	s_mov_b32 s15, 0
	s_branch .LBB72_46
.LBB72_45:                              ;   in Loop: Header=BB72_46 Depth=2
	s_or_b32 exec_lo, exec_lo, s11
	s_waitcnt vmcnt(0)
	v_cmp_o_f64_e64 s10, v[25:26], v[25:26]
	v_ashrrev_i32_e32 v4, 31, v26
	s_and_b32 s12, exec_lo, vcc_lo
	v_add_nc_u32_e32 v3, s48, v3
	s_or_b32 s15, s12, s15
	s_delay_alu instid0(VALU_DEP_2) | instskip(SKIP_1) | instid1(VALU_DEP_2)
	v_or_b32_e32 v13, 0x80000000, v4
	v_xor_b32_e32 v4, v4, v25
	v_xor_b32_e32 v13, v13, v26
	s_delay_alu instid0(VALU_DEP_1) | instskip(NEXT) | instid1(VALU_DEP_3)
	v_cndmask_b32_e64 v26, -1, v13, s10
	v_cndmask_b32_e64 v25, -1, v4, s10
	s_delay_alu instid0(VALU_DEP_1) | instskip(SKIP_2) | instid1(VALU_DEP_3)
	v_lshrrev_b64 v[41:42], s16, v[25:26]
	v_and_b32_e32 v26, v26, v20
	v_and_b32_e32 v25, v25, v19
	;; [unrolled: 1-line block ×3, first 2 shown]
	s_delay_alu instid0(VALU_DEP_2) | instskip(NEXT) | instid1(VALU_DEP_2)
	v_cmp_eq_u64_e64 s10, v[25:26], v[21:22]
	v_cmp_eq_u64_e64 s11, 0, v[13:14]
	v_cmp_eq_u64_e32 vcc_lo, 1, v[13:14]
	v_cmp_eq_u64_e64 s12, 2, v[13:14]
	v_cmp_eq_u64_e64 s13, 3, v[13:14]
	s_delay_alu instid0(VALU_DEP_4) | instskip(NEXT) | instid1(SALU_CYCLE_1)
	s_and_b32 s11, s10, s11
	v_cndmask_b32_e64 v4, 0, 1, s11
	s_and_b32 s11, s10, vcc_lo
	s_delay_alu instid0(SALU_CYCLE_1)
	v_cndmask_b32_e64 v13, 0, 1, s11
	s_and_b32 s11, s10, s12
	s_and_b32 s10, s10, s13
	v_cndmask_b32_e64 v25, 0, 1, s11
	v_cndmask_b32_e64 v26, 0, 1, s10
	v_cmp_ne_u32_e32 vcc_lo, 0, v4
	v_cmp_ne_u32_e64 s10, 0, v13
	s_delay_alu instid0(VALU_DEP_4) | instskip(NEXT) | instid1(VALU_DEP_4)
	v_cmp_ne_u32_e64 s11, 0, v25
	v_cmp_ne_u32_e64 s12, 0, v26
	v_mov_b32_e32 v26, v24
	s_bcnt1_i32_b32 s13, vcc_lo
	s_bcnt1_i32_b32 s10, s10
	s_bcnt1_i32_b32 s11, s11
	s_bcnt1_i32_b32 s12, s12
	v_add_nc_u32_e32 v7, s13, v7
	v_add_nc_u32_e32 v8, s10, v8
	;; [unrolled: 1-line block ×3, first 2 shown]
	v_dual_mov_b32 v25, v23 :: v_dual_add_nc_u32 v10, s12, v10
	s_and_not1_b32 exec_lo, exec_lo, s15
	s_cbranch_execz .LBB72_49
.LBB72_46:                              ;   Parent Loop BB72_6 Depth=1
                                        ; =>  This Inner Loop Header: Depth=2
	s_delay_alu instid0(VALU_DEP_1) | instskip(SKIP_3) | instid1(VALU_DEP_3)
	v_add_nc_u32_e32 v1, s46, v1
	v_mov_b32_e32 v23, 0
	v_mov_b32_e32 v24, 0
	s_mov_b32 s11, exec_lo
	v_cmp_le_u32_e32 vcc_lo, s36, v1
	v_cmpx_gt_u32_e64 s36, v1
	s_cbranch_execz .LBB72_45
; %bb.47:                               ;   in Loop: Header=BB72_46 Depth=2
	v_mov_b32_e32 v4, v14
	s_delay_alu instid0(VALU_DEP_1) | instskip(NEXT) | instid1(VALU_DEP_1)
	v_lshlrev_b64 v[23:24], 3, v[3:4]
	v_add_co_u32 v23, s10, s33, v23
	s_delay_alu instid0(VALU_DEP_1)
	v_add_co_ci_u32_e64 v24, s10, s35, v24, s10
	global_load_b64 v[23:24], v[23:24], off
	s_branch .LBB72_45
.LBB72_48:                              ;   in Loop: Header=BB72_6 Depth=1
                                        ; implicit-def: $vgpr10
	s_cbranch_execnz .LBB72_51
	s_branch .LBB72_60
.LBB72_49:                              ;   in Loop: Header=BB72_6 Depth=1
	s_or_b32 exec_lo, exec_lo, s15
.LBB72_50:                              ;   in Loop: Header=BB72_6 Depth=1
	s_delay_alu instid0(SALU_CYCLE_1)
	s_or_b32 exec_lo, exec_lo, s14
	s_branch .LBB72_60
.LBB72_51:                              ;   in Loop: Header=BB72_6 Depth=1
	s_mul_hi_u32 s10, s83, s64
	v_dual_mov_b32 v7, 0 :: v_dual_mov_b32 v8, 0
	s_mul_i32 s10, s10, s55
	v_dual_mov_b32 v9, 0 :: v_dual_mov_b32 v10, 0
	s_sub_i32 s10, s83, s10
	s_mov_b32 s86, 0
	s_sub_i32 s11, s10, s55
	s_cmp_ge_u32 s10, s55
	s_mov_b32 s85, exec_lo
	s_cselect_b32 s10, s11, s10
	s_delay_alu instid0(SALU_CYCLE_1) | instskip(SKIP_2) | instid1(SALU_CYCLE_1)
	s_sub_i32 s11, s10, s55
	s_cmp_ge_u32 s10, s55
	s_cselect_b32 s10, s11, s10
	s_sub_i32 s84, s83, s10
	s_delay_alu instid0(SALU_CYCLE_1)
	v_cmpx_gt_u32_e64 s84, v29
	s_cbranch_execz .LBB72_55
; %bb.52:                               ;   in Loop: Header=BB72_6 Depth=1
	v_mov_b32_e32 v1, v38
	v_mov_b32_e32 v3, v29
	s_and_b32 s87, s77, 0xfe
	s_mov_b32 s88, 0
	s_mov_b32 s89, 0
	;; [unrolled: 1-line block ×4, first 2 shown]
.LBB72_53:                              ;   Parent Loop BB72_6 Depth=1
                                        ; =>  This Inner Loop Header: Depth=2
	ds_load_b128 v[7:10], v1
	s_waitcnt vmcnt(0)
	ds_load_b128 v[23:26], v1 offset:16
	v_dual_mov_b32 v42, v14 :: v_dual_add_nc_u32 v3, s55, v3
	v_dual_mov_b32 v44, v14 :: v_dual_add_nc_u32 v1, s69, v1
	s_delay_alu instid0(VALU_DEP_2)
	v_cmp_le_u32_e32 vcc_lo, s84, v3
	s_waitcnt lgkmcnt(1)
	v_cmp_o_f64_e64 s11, v[7:8], v[7:8]
	s_waitcnt lgkmcnt(0)
	v_cmp_o_f64_e64 s13, v[25:26], v[25:26]
	v_cmp_o_f64_e64 s10, v[9:10], v[9:10]
	;; [unrolled: 1-line block ×3, first 2 shown]
	v_ashrrev_i32_e32 v4, 31, v8
	v_ashrrev_i32_e32 v43, 31, v26
	v_ashrrev_i32_e32 v13, 31, v10
	v_ashrrev_i32_e32 v41, 31, v24
	s_delay_alu instid0(VALU_DEP_4) | instskip(NEXT) | instid1(VALU_DEP_4)
	v_or_b32_e32 v45, 0x80000000, v4
	v_or_b32_e32 v49, 0x80000000, v43
	s_delay_alu instid0(VALU_DEP_4) | instskip(NEXT) | instid1(VALU_DEP_4)
	v_or_b32_e32 v47, 0x80000000, v13
	v_or_b32_e32 v48, 0x80000000, v41
	v_xor_b32_e32 v4, v4, v7
	v_xor_b32_e32 v45, v45, v8
	v_xor_b32_e32 v7, v49, v26
	v_xor_b32_e32 v13, v13, v9
	v_xor_b32_e32 v47, v47, v10
	v_xor_b32_e32 v9, v48, v24
	v_xor_b32_e32 v41, v41, v23
	v_xor_b32_e32 v43, v43, v25
	v_cndmask_b32_e64 v8, -1, v45, s11
	v_cndmask_b32_e64 v26, -1, v7, s13
	;; [unrolled: 1-line block ×7, first 2 shown]
	v_dual_mov_b32 v46, v14 :: v_dual_and_b32 v47, v7, v19
	v_and_b32_e32 v48, v8, v20
	v_lshrrev_b64 v[7:8], s87, v[7:8]
	v_cndmask_b32_e64 v25, -1, v43, s13
	v_and_b32_e32 v49, v9, v19
	v_lshrrev_b64 v[8:9], s87, v[9:10]
	v_and_b32_e32 v50, v10, v20
	v_lshrrev_b64 v[9:10], s87, v[23:24]
	v_and_b32_e32 v52, v24, v20
	v_and_b32_e32 v51, v23, v19
	v_lshrrev_b64 v[23:24], s87, v[25:26]
	v_and_b32_e32 v13, 3, v7
	v_and_b32_e32 v41, 3, v8
	;; [unrolled: 1-line block ×3, first 2 shown]
	v_cmp_eq_u64_e64 s10, v[47:48], v[21:22]
	v_and_b32_e32 v54, v26, v20
	v_cmp_eq_u64_e64 s14, 0, v[13:14]
	v_and_b32_e32 v53, v25, v19
	v_and_b32_e32 v45, 3, v23
	v_cmp_eq_u64_e64 s11, v[49:50], v[21:22]
	v_cmp_eq_u64_e64 s15, 0, v[41:42]
	;; [unrolled: 1-line block ×6, first 2 shown]
	s_and_b32 s14, s10, s14
	v_cmp_eq_u64_e64 s18, 1, v[13:14]
	v_cndmask_b32_e64 v4, 0, 1, s14
	s_and_b32 s14, s11, s15
	v_cmp_eq_u64_e64 s19, 1, v[41:42]
	v_cndmask_b32_e64 v7, 0, 1, s14
	;; [unrolled: 3-line block ×4, first 2 shown]
	s_and_b32 s14, s10, s18
	v_cmp_eq_u64_e64 s22, 2, v[13:14]
	v_cmp_eq_u64_e64 s26, 3, v[13:14]
	v_cndmask_b32_e64 v10, 0, 1, s14
	s_and_b32 s14, s11, s19
	v_cmp_eq_u64_e64 s23, 2, v[41:42]
	v_cmp_eq_u64_e64 s27, 3, v[41:42]
	v_cndmask_b32_e64 v13, 0, 1, s14
	;; [unrolled: 4-line block ×4, first 2 shown]
	s_and_b32 s14, s10, s22
	s_and_b32 s10, s10, s26
	v_cndmask_b32_e64 v25, 0, 1, s14
	s_and_b32 s14, s11, s23
	v_cndmask_b32_e64 v43, 0, 1, s10
	;; [unrolled: 2-line block ×7, first 2 shown]
	v_cndmask_b32_e64 v46, 0, 1, s10
	v_cmp_ne_u32_e64 s10, 0, v4
	v_cmp_ne_u32_e64 s14, 0, v10
	;; [unrolled: 1-line block ×12, first 2 shown]
	s_bcnt1_i32_b32 s10, s10
	s_bcnt1_i32_b32 s14, s14
	;; [unrolled: 1-line block ×4, first 2 shown]
	v_cmp_ne_u32_e64 s13, 0, v9
	v_cmp_ne_u32_e64 s17, 0, v24
	v_cmp_ne_u32_e64 s21, 0, v42
	v_cmp_ne_u32_e64 s25, 0, v46
	s_bcnt1_i32_b32 s11, s11
	s_bcnt1_i32_b32 s15, s15
	s_bcnt1_i32_b32 s19, s19
	s_bcnt1_i32_b32 s23, s23
	s_add_i32 s10, s10, s91
	s_add_i32 s14, s14, s90
	s_add_i32 s18, s18, s89
	s_add_i32 s22, s22, s88
	s_bcnt1_i32_b32 s12, s12
	s_bcnt1_i32_b32 s16, s16
	s_bcnt1_i32_b32 s20, s20
	s_bcnt1_i32_b32 s24, s24
	s_add_i32 s10, s10, s11
	s_add_i32 s11, s14, s15
	s_add_i32 s14, s18, s19
	s_add_i32 s15, s22, s23
	;; [unrolled: 8-line block ×3, first 2 shown]
	s_add_i32 s91, s10, s13
	s_add_i32 s90, s11, s17
	;; [unrolled: 1-line block ×4, first 2 shown]
	s_delay_alu instid0(SALU_CYCLE_1) | instskip(SKIP_2) | instid1(SALU_CYCLE_1)
	v_dual_mov_b32 v7, s91 :: v_dual_mov_b32 v10, s88
	v_dual_mov_b32 v8, s90 :: v_dual_mov_b32 v9, s89
	s_or_b32 s86, vcc_lo, s86
	s_and_not1_b32 exec_lo, exec_lo, s86
	s_cbranch_execnz .LBB72_53
; %bb.54:                               ;   in Loop: Header=BB72_6 Depth=1
	s_or_b32 exec_lo, exec_lo, s86
.LBB72_55:                              ;   in Loop: Header=BB72_6 Depth=1
	s_delay_alu instid0(SALU_CYCLE_1) | instskip(SKIP_2) | instid1(VALU_DEP_1)
	s_or_b32 exec_lo, exec_lo, s85
	v_add_nc_u32_e32 v1, s84, v0
	s_mov_b32 s15, exec_lo
	v_cmpx_gt_u32_e64 s83, v1
	s_cbranch_execz .LBB72_59
; %bb.56:                               ;   in Loop: Header=BB72_6 Depth=1
	v_lshlrev_b32_e32 v3, 3, v1
	s_and_b32 s17, s77, 0xfe
	s_mov_b32 s16, 0
.LBB72_57:                              ;   Parent Loop BB72_6 Depth=1
                                        ; =>  This Inner Loop Header: Depth=2
	ds_load_b64 v[23:24], v3
	v_add_nc_u32_e32 v1, s46, v1
	s_delay_alu instid0(VALU_DEP_1) | instskip(SKIP_3) | instid1(VALU_DEP_1)
	v_cmp_le_u32_e64 s10, s83, v1
	s_waitcnt lgkmcnt(0)
	v_cmp_o_f64_e32 vcc_lo, v[23:24], v[23:24]
	v_ashrrev_i32_e32 v4, 31, v24
	v_or_b32_e32 v13, 0x80000000, v4
	v_xor_b32_e32 v4, v4, v23
	s_delay_alu instid0(VALU_DEP_2) | instskip(NEXT) | instid1(VALU_DEP_1)
	v_xor_b32_e32 v13, v13, v24
	v_dual_cndmask_b32 v24, -1, v13 :: v_dual_add_nc_u32 v3, s70, v3
	s_delay_alu instid0(VALU_DEP_3) | instskip(SKIP_1) | instid1(VALU_DEP_2)
	v_cndmask_b32_e32 v23, -1, v4, vcc_lo
	s_waitcnt vmcnt(0)
	v_and_b32_e32 v26, v24, v20
	s_delay_alu instid0(VALU_DEP_2) | instskip(SKIP_1) | instid1(VALU_DEP_2)
	v_and_b32_e32 v25, v23, v19
	v_lshrrev_b64 v[23:24], s17, v[23:24]
	v_cmp_eq_u64_e32 vcc_lo, v[25:26], v[21:22]
	s_delay_alu instid0(VALU_DEP_2) | instskip(NEXT) | instid1(VALU_DEP_1)
	v_and_b32_e32 v13, 3, v23
	v_cmp_eq_u64_e64 s11, 0, v[13:14]
	v_cmp_eq_u64_e64 s12, 1, v[13:14]
	;; [unrolled: 1-line block ×4, first 2 shown]
	s_delay_alu instid0(VALU_DEP_4) | instskip(NEXT) | instid1(SALU_CYCLE_1)
	s_and_b32 s11, vcc_lo, s11
	v_cndmask_b32_e64 v4, 0, 1, s11
	s_delay_alu instid0(VALU_DEP_4) | instskip(NEXT) | instid1(SALU_CYCLE_1)
	s_and_b32 s11, vcc_lo, s12
	v_cndmask_b32_e64 v13, 0, 1, s11
	s_and_b32 s11, vcc_lo, s13
	s_delay_alu instid0(SALU_CYCLE_1)
	v_cndmask_b32_e64 v23, 0, 1, s11
	s_and_b32 s11, vcc_lo, s14
	v_cmp_ne_u32_e32 vcc_lo, 0, v4
	v_cndmask_b32_e64 v24, 0, 1, s11
	v_cmp_ne_u32_e64 s11, 0, v13
	v_cmp_ne_u32_e64 s12, 0, v23
	s_bcnt1_i32_b32 s14, vcc_lo
	s_delay_alu instid0(VALU_DEP_3) | instskip(NEXT) | instid1(VALU_DEP_3)
	v_cmp_ne_u32_e64 s13, 0, v24
	s_bcnt1_i32_b32 s11, s11
	s_delay_alu instid0(VALU_DEP_2)
	s_bcnt1_i32_b32 s12, s12
	v_add_nc_u32_e32 v7, s14, v7
	v_add_nc_u32_e32 v8, s11, v8
	s_bcnt1_i32_b32 s13, s13
	v_add_nc_u32_e32 v9, s12, v9
	v_add_nc_u32_e32 v10, s13, v10
	s_or_b32 s16, s10, s16
	s_delay_alu instid0(SALU_CYCLE_1)
	s_and_not1_b32 exec_lo, exec_lo, s16
	s_cbranch_execnz .LBB72_57
; %bb.58:                               ;   in Loop: Header=BB72_6 Depth=1
	s_or_b32 exec_lo, exec_lo, s16
.LBB72_59:                              ;   in Loop: Header=BB72_6 Depth=1
	s_delay_alu instid0(SALU_CYCLE_1)
	s_or_b32 exec_lo, exec_lo, s15
.LBB72_60:                              ;   in Loop: Header=BB72_6 Depth=1
	s_lshl_b32 s10, s72, 7
	s_and_saveexec_b32 s11, s2
	s_cbranch_execz .LBB72_62
; %bb.61:                               ;   in Loop: Header=BB72_6 Depth=1
	v_or_b32_e32 v1, s10, v30
	s_delay_alu instid0(VALU_DEP_1)
	v_lshlrev_b32_e32 v1, 2, v1
	ds_store_b128 v1, v[7:10] offset:3072
.LBB72_62:                              ;   in Loop: Header=BB72_6 Depth=1
	s_or_b32 exec_lo, exec_lo, s11
	s_waitcnt vmcnt(0) lgkmcnt(0)
	s_barrier
	buffer_gl0_inv
	s_and_saveexec_b32 s11, s54
	s_cbranch_execz .LBB72_72
; %bb.63:                               ;   in Loop: Header=BB72_6 Depth=1
	v_mov_b32_e32 v1, 0
	s_and_not1_b32 vcc_lo, exec_lo, s58
	s_cbranch_vccnz .LBB72_71
; %bb.64:                               ;   in Loop: Header=BB72_6 Depth=1
	v_mov_b32_e32 v1, 0
	s_and_not1_b32 vcc_lo, exec_lo, s61
	s_mov_b32 s12, 0
	s_cbranch_vccnz .LBB72_68
; %bb.65:                               ;   in Loop: Header=BB72_6 Depth=1
	v_lshl_add_u32 v3, s72, 9, v39
	v_mov_b32_e32 v1, 0
	.p2align	6
.LBB72_66:                              ;   Parent Loop BB72_6 Depth=1
                                        ; =>  This Inner Loop Header: Depth=2
	ds_load_2addr_b32 v[7:8], v3 offset1:4
	ds_load_2addr_b32 v[9:10], v3 offset0:8 offset1:12
	ds_load_2addr_b32 v[23:24], v3 offset0:16 offset1:20
	;; [unrolled: 1-line block ×3, first 2 shown]
	v_add_nc_u32_e32 v3, 0x80, v3
	s_add_i32 s12, s12, 8
	s_delay_alu instid0(SALU_CYCLE_1) | instskip(SKIP_3) | instid1(VALU_DEP_1)
	s_cmp_eq_u32 s62, s12
	s_waitcnt lgkmcnt(3)
	v_add3_u32 v1, v7, v1, v8
	s_waitcnt lgkmcnt(2)
	v_add3_u32 v1, v9, v1, v10
	s_waitcnt lgkmcnt(1)
	s_delay_alu instid0(VALU_DEP_1) | instskip(SKIP_1) | instid1(VALU_DEP_1)
	v_add3_u32 v1, v23, v1, v24
	s_waitcnt lgkmcnt(0)
	v_add3_u32 v1, v25, v1, v26
	s_cbranch_scc0 .LBB72_66
; %bb.67:                               ;   in Loop: Header=BB72_6 Depth=1
	s_mov_b32 s12, s62
.LBB72_68:                              ;   in Loop: Header=BB72_6 Depth=1
	s_and_not1_b32 vcc_lo, exec_lo, s63
	s_cbranch_vccnz .LBB72_71
; %bb.69:                               ;   in Loop: Header=BB72_6 Depth=1
	s_lshl_b32 s13, s72, 9
	s_lshl_b32 s12, s12, 4
	s_delay_alu instid0(SALU_CYCLE_1)
	v_add3_u32 v3, s13, s12, v39
	s_mov_b32 s12, s60
.LBB72_70:                              ;   Parent Loop BB72_6 Depth=1
                                        ; =>  This Inner Loop Header: Depth=2
	ds_load_b32 v4, v3
	v_add_nc_u32_e32 v3, 16, v3
	s_add_i32 s12, s12, -1
	s_delay_alu instid0(SALU_CYCLE_1)
	s_cmp_lg_u32 s12, 0
	s_waitcnt lgkmcnt(0)
	v_add_nc_u32_e32 v1, v4, v1
	s_cbranch_scc1 .LBB72_70
.LBB72_71:                              ;   in Loop: Header=BB72_6 Depth=1
	v_add_lshl_u32 v3, s10, v28, 2
	ds_store_b32 v3, v1 offset:3072
.LBB72_72:                              ;   in Loop: Header=BB72_6 Depth=1
	s_or_b32 exec_lo, exec_lo, s11
	s_lshl_b32 s10, s10, 2
	s_waitcnt lgkmcnt(0)
	v_mov_b32_e32 v1, s10
	s_barrier
	buffer_gl0_inv
	s_and_b32 s19, s77, 0xfe
	v_cmp_eq_u32_e64 s10, 1, v40
	ds_load_b128 v[7:10], v1 offset:3072
	s_lshl_b64 s[12:13], 3, s19
	s_mov_b32 s22, 0
	s_and_not1_b32 vcc_lo, exec_lo, s56
	s_not_b64 s[14:15], s[12:13]
	s_waitcnt lgkmcnt(0)
	v_readfirstlane_b32 s16, v7
	v_readfirstlane_b32 s18, v8
	;; [unrolled: 1-line block ×4, first 2 shown]
	s_cbranch_vccnz .LBB72_85
; %bb.73:                               ;   in Loop: Header=BB72_6 Depth=1
	s_cmp_eq_u32 s16, 1
	v_dual_mov_b32 v24, v22 :: v_dual_mov_b32 v23, v21
	v_dual_mov_b32 v26, v20 :: v_dual_mov_b32 v25, v19
	;; [unrolled: 1-line block ×3, first 2 shown]
	s_cselect_b32 s11, -1, 0
	s_mov_b32 s28, -1
	s_and_b32 s27, s11, s10
                                        ; implicit-def: $sgpr17
                                        ; implicit-def: $sgpr24
                                        ; implicit-def: $sgpr23
	s_delay_alu instid0(SALU_CYCLE_1)
	s_and_saveexec_b32 s22, s27
	s_cbranch_execz .LBB72_104
; %bb.74:                               ;   in Loop: Header=BB72_6 Depth=1
	ds_load_b32 v1, v14 offset:4096
	s_waitcnt lgkmcnt(0)
	s_barrier
	buffer_gl0_inv
	v_readfirstlane_b32 s17, v1
	s_and_saveexec_b32 s11, s6
	s_cbranch_execz .LBB72_76
; %bb.75:                               ;   in Loop: Header=BB72_6 Depth=1
	v_mov_b32_e32 v13, v14
	ds_store_b64 v33, v[13:14]
.LBB72_76:                              ;   in Loop: Header=BB72_6 Depth=1
	s_or_b32 exec_lo, exec_lo, s11
	v_and_b32_e32 v24, s15, v22
	v_and_b32_e32 v23, s14, v21
	v_or_b32_e32 v26, s13, v20
	v_or_b32_e32 v25, s12, v19
	s_cmp_eq_u32 s17, 0
	s_waitcnt lgkmcnt(0)
	s_barrier
	buffer_gl0_inv
	s_cbranch_scc1 .LBB72_90
; %bb.77:                               ;   in Loop: Header=BB72_6 Depth=1
	s_add_i32 s11, s17, s59
                                        ; implicit-def: $vgpr9_vgpr10
	s_delay_alu instid0(SALU_CYCLE_1) | instskip(NEXT) | instid1(SALU_CYCLE_1)
	s_mul_hi_u32 s23, s11, s66
	s_mul_i32 s23, s23, s46
	s_delay_alu instid0(SALU_CYCLE_1) | instskip(NEXT) | instid1(SALU_CYCLE_1)
	s_sub_i32 s23, s11, s23
	s_sub_i32 s24, s23, s46
	s_cmp_ge_u32 s23, s46
	s_cselect_b32 s23, s24, s23
	s_delay_alu instid0(SALU_CYCLE_1) | instskip(SKIP_2) | instid1(SALU_CYCLE_1)
	s_sub_i32 s24, s23, s46
	s_cmp_ge_u32 s23, s46
	s_cselect_b32 s23, s24, s23
	s_sub_i32 s24, s11, s23
	s_mov_b32 s11, 0
	s_mov_b32 s23, exec_lo
	v_cmpx_gt_u32_e64 s24, v0
	s_cbranch_execz .LBB72_92
; %bb.78:                               ;   in Loop: Header=BB72_6 Depth=1
	v_mov_b32_e32 v13, v32
	v_mov_b32_e32 v41, v0
	s_mov_b32 s26, 0
                                        ; implicit-def: $sgpr25
	s_set_inst_prefetch_distance 0x1
	s_branch .LBB72_80
	.p2align	6
.LBB72_79:                              ;   in Loop: Header=BB72_80 Depth=2
	s_or_b32 exec_lo, exec_lo, s11
	s_waitcnt lgkmcnt(0)
	s_barrier
	buffer_gl0_inv
	ds_load_b128 v[7:10], v14 offset:3072
	v_add_nc_u32_e32 v41, s46, v41
	v_add_nc_u32_e32 v13, s70, v13
	s_waitcnt lgkmcnt(0)
	s_barrier
	buffer_gl0_inv
	v_cmp_le_u32_e64 s11, s24, v41
	v_cmp_neq_f64_e32 vcc_lo, 0, v[7:8]
	s_delay_alu instid0(VALU_DEP_2) | instskip(NEXT) | instid1(SALU_CYCLE_1)
	s_or_b32 s11, s11, vcc_lo
	s_and_b32 s11, exec_lo, s11
	s_delay_alu instid0(SALU_CYCLE_1) | instskip(SKIP_2) | instid1(SALU_CYCLE_1)
	s_or_b32 s26, s11, s26
	s_and_not1_b32 s11, s25, exec_lo
	s_and_b32 s25, vcc_lo, exec_lo
	s_or_b32 s25, s11, s25
	s_and_not1_b32 exec_lo, exec_lo, s26
	s_cbranch_execz .LBB72_91
.LBB72_80:                              ;   Parent Loop BB72_6 Depth=1
                                        ; =>  This Inner Loop Header: Depth=2
	v_mov_b32_e32 v3, 0
	v_mov_b32_e32 v4, 0
	v_cmp_gt_u32_e32 vcc_lo, s17, v41
	s_and_saveexec_b32 s11, vcc_lo
	s_cbranch_execz .LBB72_82
; %bb.81:                               ;   in Loop: Header=BB72_80 Depth=2
	ds_load_b64 v[3:4], v13
.LBB72_82:                              ;   in Loop: Header=BB72_80 Depth=2
	s_or_b32 exec_lo, exec_lo, s11
	s_and_saveexec_b32 s11, vcc_lo
	s_cbranch_execz .LBB72_79
; %bb.83:                               ;   in Loop: Header=BB72_80 Depth=2
	s_waitcnt lgkmcnt(0)
	v_cmp_o_f64_e32 vcc_lo, v[3:4], v[3:4]
	v_ashrrev_i32_e32 v1, 31, v4
	s_delay_alu instid0(VALU_DEP_1) | instskip(SKIP_1) | instid1(VALU_DEP_2)
	v_or_b32_e32 v7, 0x80000000, v1
	v_xor_b32_e32 v1, v1, v3
	v_xor_b32_e32 v7, v7, v4
	s_delay_alu instid0(VALU_DEP_1) | instskip(NEXT) | instid1(VALU_DEP_1)
	v_cndmask_b32_e32 v7, -1, v7, vcc_lo
	v_dual_cndmask_b32 v1, -1, v1 :: v_dual_and_b32 v8, v7, v26
	s_delay_alu instid0(VALU_DEP_1) | instskip(NEXT) | instid1(VALU_DEP_1)
	v_and_b32_e32 v7, v1, v25
	v_cmp_eq_u64_e32 vcc_lo, v[7:8], v[23:24]
	s_and_b32 exec_lo, exec_lo, vcc_lo
	s_cbranch_execz .LBB72_79
; %bb.84:                               ;   in Loop: Header=BB72_80 Depth=2
	v_mov_b32_e32 v1, v14
	ds_store_b128 v14, v[1:4] offset:3072
	s_branch .LBB72_79
.LBB72_85:                              ;   in Loop: Header=BB72_6 Depth=1
	s_mov_b32 s11, 0
                                        ; implicit-def: $sgpr23
                                        ; implicit-def: $sgpr24
                                        ; implicit-def: $sgpr17
                                        ; implicit-def: $vgpr1
                                        ; implicit-def: $vgpr41
                                        ; implicit-def: $vgpr23_vgpr24
                                        ; implicit-def: $vgpr25_vgpr26
                                        ; implicit-def: $vgpr9_vgpr10
	s_cbranch_execnz .LBB72_240
.LBB72_86:                              ;   in Loop: Header=BB72_6 Depth=1
	s_mov_b32 s25, s17
	s_mov_b32 s26, s17
	s_and_saveexec_b32 s10, s22
	s_cbranch_execnz .LBB72_402
	s_branch .LBB72_403
.LBB72_87:                              ;   in Loop: Header=BB72_6 Depth=1
	s_or_b32 exec_lo, exec_lo, s12
	s_waitcnt vmcnt(0) lgkmcnt(0)
	s_barrier
	buffer_gl0_inv
	s_and_saveexec_b32 s10, s5
	s_cbranch_execz .LBB72_89
; %bb.88:                               ;   in Loop: Header=BB72_6 Depth=1
	ds_load_b32 v1, v14 offset:4104
	s_waitcnt lgkmcnt(0)
	ds_store_b32 v14, v1 offset:4096
.LBB72_89:                              ;   in Loop: Header=BB72_6 Depth=1
	s_or_b32 exec_lo, exec_lo, s10
	s_waitcnt lgkmcnt(0)
	s_mov_b32 s10, -1
	s_barrier
	s_and_b32 vcc_lo, exec_lo, s83
	s_cbranch_vccnz .LBB72_24
	s_branch .LBB72_34
.LBB72_90:                              ;   in Loop: Header=BB72_6 Depth=1
	s_mov_b32 s17, -1
	s_mov_b32 s11, 0
                                        ; implicit-def: $sgpr23
                                        ; implicit-def: $vgpr9_vgpr10
	s_mov_b32 s24, s17
	s_cbranch_execnz .LBB72_93
	s_branch .LBB72_103
.LBB72_91:                              ;   in Loop: Header=BB72_6 Depth=1
	s_set_inst_prefetch_distance 0x2
	s_or_b32 exec_lo, exec_lo, s26
	s_delay_alu instid0(SALU_CYCLE_1)
	s_and_b32 s11, s25, exec_lo
.LBB72_92:                              ;   in Loop: Header=BB72_6 Depth=1
	s_or_b32 exec_lo, exec_lo, s23
	s_mov_b32 s23, -1
	s_mov_b32 s17, 0
	s_delay_alu instid0(SALU_CYCLE_1)
	s_mov_b32 s24, s17
	s_branch .LBB72_103
.LBB72_93:                              ;   in Loop: Header=BB72_6 Depth=1
	s_mov_b32 s11, 0
                                        ; implicit-def: $vgpr9_vgpr10
	s_and_saveexec_b32 s17, s9
	s_cbranch_execz .LBB72_102
; %bb.94:                               ;   in Loop: Header=BB72_6 Depth=1
	v_mov_b32_e32 v13, v15
	v_mov_b32_e32 v41, v0
	s_mov_b32 s24, 0
                                        ; implicit-def: $sgpr23
	s_branch .LBB72_96
.LBB72_95:                              ;   in Loop: Header=BB72_96 Depth=2
	s_or_b32 exec_lo, exec_lo, s11
	s_waitcnt vmcnt(0) lgkmcnt(0)
	s_barrier
	buffer_gl0_inv
	ds_load_b128 v[7:10], v14 offset:3072
	v_add_nc_u32_e32 v41, s46, v41
	v_add_nc_u32_e32 v13, s48, v13
	s_waitcnt lgkmcnt(0)
	s_barrier
	buffer_gl0_inv
	v_cmp_le_u32_e64 s11, s67, v41
	v_cmp_neq_f64_e32 vcc_lo, 0, v[7:8]
	s_delay_alu instid0(VALU_DEP_2) | instskip(NEXT) | instid1(SALU_CYCLE_1)
	s_or_b32 s11, s11, vcc_lo
	s_and_b32 s11, exec_lo, s11
	s_delay_alu instid0(SALU_CYCLE_1) | instskip(SKIP_2) | instid1(SALU_CYCLE_1)
	s_or_b32 s24, s11, s24
	s_and_not1_b32 s11, s23, exec_lo
	s_and_b32 s23, vcc_lo, exec_lo
	s_or_b32 s23, s11, s23
	s_and_not1_b32 exec_lo, exec_lo, s24
	s_cbranch_execz .LBB72_101
.LBB72_96:                              ;   Parent Loop BB72_6 Depth=1
                                        ; =>  This Inner Loop Header: Depth=2
	v_mov_b32_e32 v3, 0
	v_mov_b32_e32 v4, 0
	v_cmp_gt_u32_e32 vcc_lo, s36, v41
	s_and_saveexec_b32 s25, vcc_lo
	s_cbranch_execz .LBB72_98
; %bb.97:                               ;   in Loop: Header=BB72_96 Depth=2
	v_lshlrev_b64 v[3:4], 3, v[13:14]
	s_delay_alu instid0(VALU_DEP_1) | instskip(NEXT) | instid1(VALU_DEP_1)
	v_add_co_u32 v3, s11, s33, v3
	v_add_co_ci_u32_e64 v4, s11, s35, v4, s11
	global_load_b64 v[3:4], v[3:4], off
.LBB72_98:                              ;   in Loop: Header=BB72_96 Depth=2
	s_or_b32 exec_lo, exec_lo, s25
	s_and_saveexec_b32 s11, vcc_lo
	s_cbranch_execz .LBB72_95
; %bb.99:                               ;   in Loop: Header=BB72_96 Depth=2
	s_waitcnt vmcnt(0)
	v_cmp_o_f64_e32 vcc_lo, v[3:4], v[3:4]
	v_ashrrev_i32_e32 v1, 31, v4
	s_delay_alu instid0(VALU_DEP_1) | instskip(SKIP_1) | instid1(VALU_DEP_2)
	v_or_b32_e32 v7, 0x80000000, v1
	v_xor_b32_e32 v1, v1, v3
	v_xor_b32_e32 v7, v7, v4
	s_delay_alu instid0(VALU_DEP_1) | instskip(NEXT) | instid1(VALU_DEP_1)
	v_cndmask_b32_e32 v7, -1, v7, vcc_lo
	v_dual_cndmask_b32 v1, -1, v1 :: v_dual_and_b32 v8, v7, v26
	s_delay_alu instid0(VALU_DEP_1) | instskip(NEXT) | instid1(VALU_DEP_1)
	v_and_b32_e32 v7, v1, v25
	v_cmp_eq_u64_e32 vcc_lo, v[7:8], v[23:24]
	s_and_b32 exec_lo, exec_lo, vcc_lo
	s_cbranch_execz .LBB72_95
; %bb.100:                              ;   in Loop: Header=BB72_96 Depth=2
	v_mov_b32_e32 v1, v14
	ds_store_b128 v14, v[1:4] offset:3072
	s_branch .LBB72_95
.LBB72_101:                             ;   in Loop: Header=BB72_6 Depth=1
	s_or_b32 exec_lo, exec_lo, s24
	s_delay_alu instid0(SALU_CYCLE_1)
	s_and_b32 s11, s23, exec_lo
.LBB72_102:                             ;   in Loop: Header=BB72_6 Depth=1
	s_or_b32 exec_lo, exec_lo, s17
	s_mov_b32 s24, -1
	s_mov_b32 s17, 0
	s_mov_b32 s23, 0
.LBB72_103:                             ;   in Loop: Header=BB72_6 Depth=1
	s_or_not1_b32 s28, s11, exec_lo
.LBB72_104:                             ;   in Loop: Header=BB72_6 Depth=1
	s_or_b32 exec_lo, exec_lo, s22
	s_mov_b32 s25, 0
	s_mov_b32 s22, 0
	;; [unrolled: 1-line block ×3, first 2 shown]
                                        ; implicit-def: $vgpr1
                                        ; implicit-def: $vgpr41
	s_and_saveexec_b32 s26, s28
	s_cbranch_execz .LBB72_239
; %bb.105:                              ;   in Loop: Header=BB72_6 Depth=1
	v_mov_b32_e32 v41, 1
	v_mov_b32_e32 v1, 1
	s_xor_b32 s27, s27, -1
	s_delay_alu instid0(SALU_CYCLE_1)
	s_and_saveexec_b32 s11, s27
	s_cbranch_execz .LBB72_115
; %bb.106:                              ;   in Loop: Header=BB72_6 Depth=1
	s_mov_b32 s27, exec_lo
                                        ; implicit-def: $sgpr28
                                        ; implicit-def: $sgpr22
	v_cmpx_ge_u32_e64 s16, v40
	s_xor_b32 s27, exec_lo, s27
	s_cbranch_execz .LBB72_112
; %bb.107:                              ;   in Loop: Header=BB72_6 Depth=1
	ds_load_b32 v1, v14 offset:4096
	s_waitcnt lgkmcnt(0)
	v_cmp_ne_u32_e32 vcc_lo, 0, v1
	s_cbranch_vccnz .LBB72_111
; %bb.108:                              ;   in Loop: Header=BB72_6 Depth=1
	s_and_saveexec_b32 s22, s5
	s_cbranch_execz .LBB72_110
; %bb.109:                              ;   in Loop: Header=BB72_6 Depth=1
	v_mov_b32_e32 v1, s16
	ds_store_b32 v14, v1 offset:4100
.LBB72_110:                             ;   in Loop: Header=BB72_6 Depth=1
	s_or_b32 exec_lo, exec_lo, s22
	s_waitcnt lgkmcnt(0)
	s_barrier
	buffer_gl0_inv
.LBB72_111:                             ;   in Loop: Header=BB72_6 Depth=1
	v_and_b32_e32 v24, s15, v24
	v_and_b32_e32 v23, s14, v23
	v_or_b32_e32 v26, s13, v26
	v_or_b32_e32 v25, s12, v25
	s_mov_b32 s22, 0
	s_mov_b32 s28, 8
.LBB72_112:                             ;   in Loop: Header=BB72_6 Depth=1
	s_or_saveexec_b32 s27, s27
	v_mov_b32_e32 v1, s28
	v_mov_b32_e32 v41, v40
	s_xor_b32 exec_lo, exec_lo, s27
; %bb.113:                              ;   in Loop: Header=BB72_6 Depth=1
	v_subrev_nc_u32_e32 v41, s16, v40
	v_mov_b32_e32 v1, 0
	s_or_b32 s22, s22, exec_lo
; %bb.114:                              ;   in Loop: Header=BB72_6 Depth=1
	s_or_b32 exec_lo, exec_lo, s27
	s_delay_alu instid0(SALU_CYCLE_1)
	s_and_b32 s22, s22, exec_lo
.LBB72_115:                             ;   in Loop: Header=BB72_6 Depth=1
	s_or_b32 exec_lo, exec_lo, s11
	s_mov_b32 s11, -1
                                        ; implicit-def: $sgpr27
                                        ; implicit-def: $sgpr29
                                        ; implicit-def: $sgpr83
	s_and_saveexec_b32 s28, s22
	s_delay_alu instid0(SALU_CYCLE_1)
	s_xor_b32 s22, exec_lo, s28
	s_cbranch_execz .LBB72_236
; %bb.116:                              ;   in Loop: Header=BB72_6 Depth=1
	v_cmp_eq_u32_e32 vcc_lo, 1, v41
	s_cmp_eq_u32 s18, 1
                                        ; implicit-def: $sgpr27
                                        ; implicit-def: $sgpr29
                                        ; implicit-def: $sgpr28
	s_cselect_b32 s11, -1, 0
	s_delay_alu instid0(SALU_CYCLE_1)
	s_and_b32 s84, s11, vcc_lo
	s_mov_b32 s11, -1
	s_and_saveexec_b32 s83, s84
	s_cbranch_execz .LBB72_142
; %bb.117:                              ;   in Loop: Header=BB72_6 Depth=1
	ds_load_b32 v1, v14 offset:4096
	s_waitcnt lgkmcnt(0)
	s_barrier
	buffer_gl0_inv
	v_readfirstlane_b32 s27, v1
	s_and_saveexec_b32 s11, s6
	s_cbranch_execz .LBB72_119
; %bb.118:                              ;   in Loop: Header=BB72_6 Depth=1
	v_mov_b32_e32 v13, v14
	ds_store_b64 v33, v[13:14]
.LBB72_119:                             ;   in Loop: Header=BB72_6 Depth=1
	s_or_b32 exec_lo, exec_lo, s11
	v_and_b32_e32 v1, s15, v24
	v_and_b32_e32 v3, s14, v23
	s_lshl_b64 s[28:29], 1, s19
	v_or_b32_e32 v26, s13, v26
	v_or_b32_e32 v25, s12, v25
	;; [unrolled: 1-line block ×4, first 2 shown]
	s_cmp_eq_u32 s27, 0
	s_waitcnt lgkmcnt(0)
	s_barrier
	buffer_gl0_inv
	s_cbranch_scc1 .LBB72_128
; %bb.120:                              ;   in Loop: Header=BB72_6 Depth=1
	s_add_i32 s11, s27, s59
                                        ; implicit-def: $vgpr9_vgpr10
	s_delay_alu instid0(SALU_CYCLE_1) | instskip(NEXT) | instid1(SALU_CYCLE_1)
	s_mul_hi_u32 s28, s11, s66
	s_mul_i32 s28, s28, s46
	s_delay_alu instid0(SALU_CYCLE_1) | instskip(NEXT) | instid1(SALU_CYCLE_1)
	s_sub_i32 s28, s11, s28
	s_sub_i32 s29, s28, s46
	s_cmp_ge_u32 s28, s46
	s_cselect_b32 s28, s29, s28
	s_delay_alu instid0(SALU_CYCLE_1) | instskip(SKIP_2) | instid1(SALU_CYCLE_1)
	s_sub_i32 s29, s28, s46
	s_cmp_ge_u32 s28, s46
	s_cselect_b32 s28, s29, s28
	s_sub_i32 s29, s11, s28
	s_mov_b32 s11, 0
	s_mov_b32 s28, exec_lo
	v_cmpx_gt_u32_e64 s29, v0
	s_cbranch_execz .LBB72_130
; %bb.121:                              ;   in Loop: Header=BB72_6 Depth=1
	v_mov_b32_e32 v13, v32
	v_mov_b32_e32 v42, v0
	s_mov_b32 s86, 0
                                        ; implicit-def: $sgpr85
	s_set_inst_prefetch_distance 0x1
	s_branch .LBB72_123
	.p2align	6
.LBB72_122:                             ;   in Loop: Header=BB72_123 Depth=2
	s_or_b32 exec_lo, exec_lo, s11
	s_waitcnt lgkmcnt(0)
	s_barrier
	buffer_gl0_inv
	ds_load_b128 v[7:10], v14 offset:3072
	v_add_nc_u32_e32 v42, s46, v42
	v_add_nc_u32_e32 v13, s70, v13
	s_waitcnt lgkmcnt(0)
	s_barrier
	buffer_gl0_inv
	v_cmp_le_u32_e64 s11, s29, v42
	v_cmp_neq_f64_e32 vcc_lo, 0, v[7:8]
	s_delay_alu instid0(VALU_DEP_2) | instskip(NEXT) | instid1(SALU_CYCLE_1)
	s_or_b32 s11, s11, vcc_lo
	s_and_b32 s11, exec_lo, s11
	s_delay_alu instid0(SALU_CYCLE_1) | instskip(SKIP_2) | instid1(SALU_CYCLE_1)
	s_or_b32 s86, s11, s86
	s_and_not1_b32 s11, s85, exec_lo
	s_and_b32 s85, vcc_lo, exec_lo
	s_or_b32 s85, s11, s85
	s_and_not1_b32 exec_lo, exec_lo, s86
	s_cbranch_execz .LBB72_129
.LBB72_123:                             ;   Parent Loop BB72_6 Depth=1
                                        ; =>  This Inner Loop Header: Depth=2
	v_mov_b32_e32 v3, 0
	v_mov_b32_e32 v4, 0
	v_cmp_gt_u32_e32 vcc_lo, s27, v42
	s_and_saveexec_b32 s11, vcc_lo
	s_cbranch_execz .LBB72_125
; %bb.124:                              ;   in Loop: Header=BB72_123 Depth=2
	ds_load_b64 v[3:4], v13
.LBB72_125:                             ;   in Loop: Header=BB72_123 Depth=2
	s_or_b32 exec_lo, exec_lo, s11
	s_and_saveexec_b32 s11, vcc_lo
	s_cbranch_execz .LBB72_122
; %bb.126:                              ;   in Loop: Header=BB72_123 Depth=2
	s_waitcnt lgkmcnt(0)
	v_cmp_o_f64_e32 vcc_lo, v[3:4], v[3:4]
	v_ashrrev_i32_e32 v1, 31, v4
	s_delay_alu instid0(VALU_DEP_1) | instskip(SKIP_1) | instid1(VALU_DEP_2)
	v_or_b32_e32 v7, 0x80000000, v1
	v_xor_b32_e32 v1, v1, v3
	v_xor_b32_e32 v7, v7, v4
	s_delay_alu instid0(VALU_DEP_1) | instskip(NEXT) | instid1(VALU_DEP_1)
	v_cndmask_b32_e32 v7, -1, v7, vcc_lo
	v_dual_cndmask_b32 v1, -1, v1 :: v_dual_and_b32 v8, v7, v26
	s_delay_alu instid0(VALU_DEP_1) | instskip(NEXT) | instid1(VALU_DEP_1)
	v_and_b32_e32 v7, v1, v25
	v_cmp_eq_u64_e32 vcc_lo, v[7:8], v[23:24]
	s_and_b32 exec_lo, exec_lo, vcc_lo
	s_cbranch_execz .LBB72_122
; %bb.127:                              ;   in Loop: Header=BB72_123 Depth=2
	v_mov_b32_e32 v1, v14
	ds_store_b128 v14, v[1:4] offset:3072
	s_branch .LBB72_122
.LBB72_128:                             ;   in Loop: Header=BB72_6 Depth=1
	s_mov_b32 s27, -1
	s_mov_b32 s11, 0
                                        ; implicit-def: $sgpr28
                                        ; implicit-def: $vgpr9_vgpr10
	s_mov_b32 s29, s27
	s_cbranch_execnz .LBB72_131
	s_branch .LBB72_141
.LBB72_129:                             ;   in Loop: Header=BB72_6 Depth=1
	s_set_inst_prefetch_distance 0x2
	s_or_b32 exec_lo, exec_lo, s86
	s_delay_alu instid0(SALU_CYCLE_1)
	s_and_b32 s11, s85, exec_lo
.LBB72_130:                             ;   in Loop: Header=BB72_6 Depth=1
	s_or_b32 exec_lo, exec_lo, s28
	s_mov_b32 s28, -1
	s_mov_b32 s27, 0
	s_delay_alu instid0(SALU_CYCLE_1)
	s_mov_b32 s29, s27
	s_branch .LBB72_141
.LBB72_131:                             ;   in Loop: Header=BB72_6 Depth=1
	s_mov_b32 s11, 0
                                        ; implicit-def: $vgpr9_vgpr10
	s_and_saveexec_b32 s27, s9
	s_cbranch_execz .LBB72_140
; %bb.132:                              ;   in Loop: Header=BB72_6 Depth=1
	v_dual_mov_b32 v13, v15 :: v_dual_mov_b32 v42, v0
	s_mov_b32 s29, 0
                                        ; implicit-def: $sgpr28
	s_branch .LBB72_134
.LBB72_133:                             ;   in Loop: Header=BB72_134 Depth=2
	s_or_b32 exec_lo, exec_lo, s11
	s_waitcnt vmcnt(0) lgkmcnt(0)
	s_barrier
	buffer_gl0_inv
	ds_load_b128 v[7:10], v14 offset:3072
	v_add_nc_u32_e32 v42, s46, v42
	v_add_nc_u32_e32 v13, s48, v13
	s_waitcnt lgkmcnt(0)
	s_barrier
	buffer_gl0_inv
	v_cmp_le_u32_e64 s11, s67, v42
	v_cmp_neq_f64_e32 vcc_lo, 0, v[7:8]
	s_delay_alu instid0(VALU_DEP_2) | instskip(NEXT) | instid1(SALU_CYCLE_1)
	s_or_b32 s11, s11, vcc_lo
	s_and_b32 s11, exec_lo, s11
	s_delay_alu instid0(SALU_CYCLE_1) | instskip(SKIP_2) | instid1(SALU_CYCLE_1)
	s_or_b32 s29, s11, s29
	s_and_not1_b32 s11, s28, exec_lo
	s_and_b32 s28, vcc_lo, exec_lo
	s_or_b32 s28, s11, s28
	s_and_not1_b32 exec_lo, exec_lo, s29
	s_cbranch_execz .LBB72_139
.LBB72_134:                             ;   Parent Loop BB72_6 Depth=1
                                        ; =>  This Inner Loop Header: Depth=2
	v_mov_b32_e32 v3, 0
	v_mov_b32_e32 v4, 0
	v_cmp_gt_u32_e32 vcc_lo, s36, v42
	s_and_saveexec_b32 s85, vcc_lo
	s_cbranch_execz .LBB72_136
; %bb.135:                              ;   in Loop: Header=BB72_134 Depth=2
	v_lshlrev_b64 v[3:4], 3, v[13:14]
	s_delay_alu instid0(VALU_DEP_1) | instskip(NEXT) | instid1(VALU_DEP_1)
	v_add_co_u32 v3, s11, s33, v3
	v_add_co_ci_u32_e64 v4, s11, s35, v4, s11
	global_load_b64 v[3:4], v[3:4], off
.LBB72_136:                             ;   in Loop: Header=BB72_134 Depth=2
	s_or_b32 exec_lo, exec_lo, s85
	s_and_saveexec_b32 s11, vcc_lo
	s_cbranch_execz .LBB72_133
; %bb.137:                              ;   in Loop: Header=BB72_134 Depth=2
	s_waitcnt vmcnt(0)
	v_cmp_o_f64_e32 vcc_lo, v[3:4], v[3:4]
	v_ashrrev_i32_e32 v1, 31, v4
	s_delay_alu instid0(VALU_DEP_1) | instskip(SKIP_1) | instid1(VALU_DEP_2)
	v_or_b32_e32 v7, 0x80000000, v1
	v_xor_b32_e32 v1, v1, v3
	v_xor_b32_e32 v7, v7, v4
	s_delay_alu instid0(VALU_DEP_1) | instskip(NEXT) | instid1(VALU_DEP_1)
	v_cndmask_b32_e32 v7, -1, v7, vcc_lo
	v_dual_cndmask_b32 v1, -1, v1 :: v_dual_and_b32 v8, v7, v26
	s_delay_alu instid0(VALU_DEP_1) | instskip(NEXT) | instid1(VALU_DEP_1)
	v_and_b32_e32 v7, v1, v25
	v_cmp_eq_u64_e32 vcc_lo, v[7:8], v[23:24]
	s_and_b32 exec_lo, exec_lo, vcc_lo
	s_cbranch_execz .LBB72_133
; %bb.138:                              ;   in Loop: Header=BB72_134 Depth=2
	v_mov_b32_e32 v1, v14
	ds_store_b128 v14, v[1:4] offset:3072
	s_branch .LBB72_133
.LBB72_139:                             ;   in Loop: Header=BB72_6 Depth=1
	s_or_b32 exec_lo, exec_lo, s29
	s_delay_alu instid0(SALU_CYCLE_1)
	s_and_b32 s11, s28, exec_lo
.LBB72_140:                             ;   in Loop: Header=BB72_6 Depth=1
	s_or_b32 exec_lo, exec_lo, s27
	s_mov_b32 s29, -1
	s_mov_b32 s27, 0
	s_mov_b32 s28, 0
.LBB72_141:                             ;   in Loop: Header=BB72_6 Depth=1
	s_or_not1_b32 s11, s11, exec_lo
.LBB72_142:                             ;   in Loop: Header=BB72_6 Depth=1
	s_or_b32 exec_lo, exec_lo, s83
	s_mov_b32 s85, 0
                                        ; implicit-def: $vgpr1
	s_and_saveexec_b32 s83, s11
	s_cbranch_execz .LBB72_235
; %bb.143:                              ;   in Loop: Header=BB72_6 Depth=1
	v_dual_mov_b32 v42, 1 :: v_dual_mov_b32 v1, 1
	s_xor_b32 s84, s84, -1
	s_mov_b32 s86, 0
	s_and_saveexec_b32 s11, s84
	s_cbranch_execz .LBB72_153
; %bb.144:                              ;   in Loop: Header=BB72_6 Depth=1
	s_mov_b32 s85, exec_lo
                                        ; implicit-def: $sgpr86
                                        ; implicit-def: $sgpr84
	v_cmpx_ge_u32_e64 s18, v41
	s_xor_b32 s85, exec_lo, s85
	s_cbranch_execz .LBB72_150
; %bb.145:                              ;   in Loop: Header=BB72_6 Depth=1
	ds_load_b32 v1, v14 offset:4096
	s_waitcnt lgkmcnt(0)
	v_cmp_ne_u32_e32 vcc_lo, 0, v1
	s_cbranch_vccnz .LBB72_149
; %bb.146:                              ;   in Loop: Header=BB72_6 Depth=1
	s_and_saveexec_b32 s84, s5
	s_cbranch_execz .LBB72_148
; %bb.147:                              ;   in Loop: Header=BB72_6 Depth=1
	v_mov_b32_e32 v1, s18
	ds_store_b32 v14, v1 offset:4100
.LBB72_148:                             ;   in Loop: Header=BB72_6 Depth=1
	s_or_b32 exec_lo, exec_lo, s84
	s_waitcnt lgkmcnt(0)
	s_barrier
	buffer_gl0_inv
.LBB72_149:                             ;   in Loop: Header=BB72_6 Depth=1
	v_and_b32_e32 v1, s15, v24
	v_and_b32_e32 v3, s14, v23
	s_lshl_b64 s[86:87], 1, s19
	v_or_b32_e32 v26, s13, v26
	v_or_b32_e32 v25, s12, v25
	v_or_b32_e32 v24, s87, v1
	v_or_b32_e32 v23, s86, v3
	s_mov_b32 s84, 0
	s_mov_b32 s86, 8
.LBB72_150:                             ;   in Loop: Header=BB72_6 Depth=1
	s_or_saveexec_b32 s85, s85
	v_mov_b32_e32 v1, s86
	s_xor_b32 exec_lo, exec_lo, s85
; %bb.151:                              ;   in Loop: Header=BB72_6 Depth=1
	v_subrev_nc_u32_e32 v41, s18, v41
	v_mov_b32_e32 v1, 0
	s_or_b32 s84, s84, exec_lo
; %bb.152:                              ;   in Loop: Header=BB72_6 Depth=1
	s_or_b32 exec_lo, exec_lo, s85
	s_delay_alu instid0(VALU_DEP_2)
	v_mov_b32_e32 v42, v41
	s_and_b32 s86, s84, exec_lo
.LBB72_153:                             ;   in Loop: Header=BB72_6 Depth=1
	s_or_b32 exec_lo, exec_lo, s11
	s_mov_b32 s11, -1
                                        ; implicit-def: $sgpr85
                                        ; implicit-def: $sgpr87
                                        ; implicit-def: $sgpr88
	s_and_saveexec_b32 s84, s86
	s_cbranch_execz .LBB72_234
; %bb.154:                              ;   in Loop: Header=BB72_6 Depth=1
	v_cmp_eq_u32_e32 vcc_lo, 1, v42
	s_cmp_eq_u32 s20, 1
                                        ; implicit-def: $sgpr85
                                        ; implicit-def: $sgpr87
                                        ; implicit-def: $sgpr86
	s_cselect_b32 s11, -1, 0
	s_delay_alu instid0(SALU_CYCLE_1)
	s_and_b32 s89, s11, vcc_lo
	s_mov_b32 s11, -1
	s_and_saveexec_b32 s88, s89
	s_cbranch_execz .LBB72_180
; %bb.155:                              ;   in Loop: Header=BB72_6 Depth=1
	ds_load_b32 v1, v14 offset:4096
	s_waitcnt lgkmcnt(0)
	s_barrier
	buffer_gl0_inv
	v_readfirstlane_b32 s85, v1
	s_and_saveexec_b32 s11, s6
	s_cbranch_execz .LBB72_157
; %bb.156:                              ;   in Loop: Header=BB72_6 Depth=1
	v_mov_b32_e32 v13, v14
	ds_store_b64 v33, v[13:14]
.LBB72_157:                             ;   in Loop: Header=BB72_6 Depth=1
	s_or_b32 exec_lo, exec_lo, s11
	v_and_b32_e32 v1, s15, v24
	v_and_b32_e32 v3, s14, v23
	s_lshl_b64 s[86:87], 2, s19
	v_or_b32_e32 v26, s13, v26
	v_or_b32_e32 v25, s12, v25
	;; [unrolled: 1-line block ×4, first 2 shown]
	s_cmp_eq_u32 s85, 0
	s_waitcnt lgkmcnt(0)
	s_barrier
	buffer_gl0_inv
	s_cbranch_scc1 .LBB72_166
; %bb.158:                              ;   in Loop: Header=BB72_6 Depth=1
	s_add_i32 s11, s85, s59
                                        ; implicit-def: $vgpr9_vgpr10
	s_delay_alu instid0(SALU_CYCLE_1) | instskip(NEXT) | instid1(SALU_CYCLE_1)
	s_mul_hi_u32 s86, s11, s66
	s_mul_i32 s86, s86, s46
	s_delay_alu instid0(SALU_CYCLE_1) | instskip(NEXT) | instid1(SALU_CYCLE_1)
	s_sub_i32 s86, s11, s86
	s_sub_i32 s87, s86, s46
	s_cmp_ge_u32 s86, s46
	s_cselect_b32 s86, s87, s86
	s_delay_alu instid0(SALU_CYCLE_1) | instskip(SKIP_2) | instid1(SALU_CYCLE_1)
	s_sub_i32 s87, s86, s46
	s_cmp_ge_u32 s86, s46
	s_cselect_b32 s86, s87, s86
	s_sub_i32 s87, s11, s86
	s_mov_b32 s11, 0
	s_mov_b32 s86, exec_lo
	v_cmpx_gt_u32_e64 s87, v0
	s_cbranch_execz .LBB72_168
; %bb.159:                              ;   in Loop: Header=BB72_6 Depth=1
	v_mov_b32_e32 v13, v32
	v_mov_b32_e32 v41, v0
	s_mov_b32 s91, 0
                                        ; implicit-def: $sgpr90
	s_set_inst_prefetch_distance 0x1
	s_branch .LBB72_161
	.p2align	6
.LBB72_160:                             ;   in Loop: Header=BB72_161 Depth=2
	s_or_b32 exec_lo, exec_lo, s11
	s_waitcnt lgkmcnt(0)
	s_barrier
	buffer_gl0_inv
	ds_load_b128 v[7:10], v14 offset:3072
	v_add_nc_u32_e32 v41, s46, v41
	v_add_nc_u32_e32 v13, s70, v13
	s_waitcnt lgkmcnt(0)
	s_barrier
	buffer_gl0_inv
	v_cmp_le_u32_e64 s11, s87, v41
	v_cmp_neq_f64_e32 vcc_lo, 0, v[7:8]
	s_delay_alu instid0(VALU_DEP_2) | instskip(NEXT) | instid1(SALU_CYCLE_1)
	s_or_b32 s11, s11, vcc_lo
	s_and_b32 s11, exec_lo, s11
	s_delay_alu instid0(SALU_CYCLE_1) | instskip(SKIP_2) | instid1(SALU_CYCLE_1)
	s_or_b32 s91, s11, s91
	s_and_not1_b32 s11, s90, exec_lo
	s_and_b32 s90, vcc_lo, exec_lo
	s_or_b32 s90, s11, s90
	s_and_not1_b32 exec_lo, exec_lo, s91
	s_cbranch_execz .LBB72_167
.LBB72_161:                             ;   Parent Loop BB72_6 Depth=1
                                        ; =>  This Inner Loop Header: Depth=2
	v_mov_b32_e32 v3, 0
	v_mov_b32_e32 v4, 0
	v_cmp_gt_u32_e32 vcc_lo, s85, v41
	s_and_saveexec_b32 s11, vcc_lo
	s_cbranch_execz .LBB72_163
; %bb.162:                              ;   in Loop: Header=BB72_161 Depth=2
	ds_load_b64 v[3:4], v13
.LBB72_163:                             ;   in Loop: Header=BB72_161 Depth=2
	s_or_b32 exec_lo, exec_lo, s11
	s_and_saveexec_b32 s11, vcc_lo
	s_cbranch_execz .LBB72_160
; %bb.164:                              ;   in Loop: Header=BB72_161 Depth=2
	s_waitcnt lgkmcnt(0)
	v_cmp_o_f64_e32 vcc_lo, v[3:4], v[3:4]
	v_ashrrev_i32_e32 v1, 31, v4
	s_delay_alu instid0(VALU_DEP_1) | instskip(SKIP_1) | instid1(VALU_DEP_2)
	v_or_b32_e32 v7, 0x80000000, v1
	v_xor_b32_e32 v1, v1, v3
	v_xor_b32_e32 v7, v7, v4
	s_delay_alu instid0(VALU_DEP_1) | instskip(NEXT) | instid1(VALU_DEP_1)
	v_cndmask_b32_e32 v7, -1, v7, vcc_lo
	v_dual_cndmask_b32 v1, -1, v1 :: v_dual_and_b32 v8, v7, v26
	s_delay_alu instid0(VALU_DEP_1) | instskip(NEXT) | instid1(VALU_DEP_1)
	v_and_b32_e32 v7, v1, v25
	v_cmp_eq_u64_e32 vcc_lo, v[7:8], v[23:24]
	s_and_b32 exec_lo, exec_lo, vcc_lo
	s_cbranch_execz .LBB72_160
; %bb.165:                              ;   in Loop: Header=BB72_161 Depth=2
	v_mov_b32_e32 v1, v14
	ds_store_b128 v14, v[1:4] offset:3072
	s_branch .LBB72_160
.LBB72_166:                             ;   in Loop: Header=BB72_6 Depth=1
	s_mov_b32 s85, -1
	s_mov_b32 s11, 0
                                        ; implicit-def: $sgpr86
                                        ; implicit-def: $vgpr9_vgpr10
	s_mov_b32 s87, s85
	s_cbranch_execnz .LBB72_169
	s_branch .LBB72_179
.LBB72_167:                             ;   in Loop: Header=BB72_6 Depth=1
	s_set_inst_prefetch_distance 0x2
	s_or_b32 exec_lo, exec_lo, s91
	s_delay_alu instid0(SALU_CYCLE_1)
	s_and_b32 s11, s90, exec_lo
.LBB72_168:                             ;   in Loop: Header=BB72_6 Depth=1
	s_or_b32 exec_lo, exec_lo, s86
	s_mov_b32 s86, -1
	s_mov_b32 s85, 0
	s_delay_alu instid0(SALU_CYCLE_1)
	s_mov_b32 s87, s85
	s_branch .LBB72_179
.LBB72_169:                             ;   in Loop: Header=BB72_6 Depth=1
	s_mov_b32 s11, 0
                                        ; implicit-def: $vgpr9_vgpr10
	s_and_saveexec_b32 s85, s9
	s_cbranch_execz .LBB72_178
; %bb.170:                              ;   in Loop: Header=BB72_6 Depth=1
	v_mov_b32_e32 v13, v15
	v_mov_b32_e32 v41, v0
	s_mov_b32 s87, 0
                                        ; implicit-def: $sgpr86
	s_branch .LBB72_172
.LBB72_171:                             ;   in Loop: Header=BB72_172 Depth=2
	s_or_b32 exec_lo, exec_lo, s11
	s_waitcnt vmcnt(0) lgkmcnt(0)
	s_barrier
	buffer_gl0_inv
	ds_load_b128 v[7:10], v14 offset:3072
	v_add_nc_u32_e32 v41, s46, v41
	v_add_nc_u32_e32 v13, s48, v13
	s_waitcnt lgkmcnt(0)
	s_barrier
	buffer_gl0_inv
	v_cmp_le_u32_e64 s11, s67, v41
	v_cmp_neq_f64_e32 vcc_lo, 0, v[7:8]
	s_delay_alu instid0(VALU_DEP_2) | instskip(NEXT) | instid1(SALU_CYCLE_1)
	s_or_b32 s11, s11, vcc_lo
	s_and_b32 s11, exec_lo, s11
	s_delay_alu instid0(SALU_CYCLE_1) | instskip(SKIP_2) | instid1(SALU_CYCLE_1)
	s_or_b32 s87, s11, s87
	s_and_not1_b32 s11, s86, exec_lo
	s_and_b32 s86, vcc_lo, exec_lo
	s_or_b32 s86, s11, s86
	s_and_not1_b32 exec_lo, exec_lo, s87
	s_cbranch_execz .LBB72_177
.LBB72_172:                             ;   Parent Loop BB72_6 Depth=1
                                        ; =>  This Inner Loop Header: Depth=2
	v_mov_b32_e32 v3, 0
	v_mov_b32_e32 v4, 0
	v_cmp_gt_u32_e32 vcc_lo, s36, v41
	s_and_saveexec_b32 s90, vcc_lo
	s_cbranch_execz .LBB72_174
; %bb.173:                              ;   in Loop: Header=BB72_172 Depth=2
	v_lshlrev_b64 v[3:4], 3, v[13:14]
	s_delay_alu instid0(VALU_DEP_1) | instskip(NEXT) | instid1(VALU_DEP_1)
	v_add_co_u32 v3, s11, s33, v3
	v_add_co_ci_u32_e64 v4, s11, s35, v4, s11
	global_load_b64 v[3:4], v[3:4], off
.LBB72_174:                             ;   in Loop: Header=BB72_172 Depth=2
	s_or_b32 exec_lo, exec_lo, s90
	s_and_saveexec_b32 s11, vcc_lo
	s_cbranch_execz .LBB72_171
; %bb.175:                              ;   in Loop: Header=BB72_172 Depth=2
	s_waitcnt vmcnt(0)
	v_cmp_o_f64_e32 vcc_lo, v[3:4], v[3:4]
	v_ashrrev_i32_e32 v1, 31, v4
	s_delay_alu instid0(VALU_DEP_1) | instskip(SKIP_1) | instid1(VALU_DEP_2)
	v_or_b32_e32 v7, 0x80000000, v1
	v_xor_b32_e32 v1, v1, v3
	v_xor_b32_e32 v7, v7, v4
	s_delay_alu instid0(VALU_DEP_1) | instskip(NEXT) | instid1(VALU_DEP_1)
	v_cndmask_b32_e32 v7, -1, v7, vcc_lo
	v_dual_cndmask_b32 v1, -1, v1 :: v_dual_and_b32 v8, v7, v26
	s_delay_alu instid0(VALU_DEP_1) | instskip(NEXT) | instid1(VALU_DEP_1)
	v_and_b32_e32 v7, v1, v25
	v_cmp_eq_u64_e32 vcc_lo, v[7:8], v[23:24]
	s_and_b32 exec_lo, exec_lo, vcc_lo
	s_cbranch_execz .LBB72_171
; %bb.176:                              ;   in Loop: Header=BB72_172 Depth=2
	v_mov_b32_e32 v1, v14
	ds_store_b128 v14, v[1:4] offset:3072
	s_branch .LBB72_171
.LBB72_177:                             ;   in Loop: Header=BB72_6 Depth=1
	s_or_b32 exec_lo, exec_lo, s87
	s_delay_alu instid0(SALU_CYCLE_1)
	s_and_b32 s11, s86, exec_lo
.LBB72_178:                             ;   in Loop: Header=BB72_6 Depth=1
	s_or_b32 exec_lo, exec_lo, s85
	s_mov_b32 s87, -1
	s_mov_b32 s85, 0
	s_mov_b32 s86, 0
.LBB72_179:                             ;   in Loop: Header=BB72_6 Depth=1
	s_or_not1_b32 s11, s11, exec_lo
.LBB72_180:                             ;   in Loop: Header=BB72_6 Depth=1
	s_or_b32 exec_lo, exec_lo, s88
	s_mov_b32 s90, 0
                                        ; implicit-def: $vgpr1
	s_and_saveexec_b32 s88, s11
	s_cbranch_execz .LBB72_233
; %bb.181:                              ;   in Loop: Header=BB72_6 Depth=1
	v_mov_b32_e32 v41, 1
	v_mov_b32_e32 v1, 1
	s_xor_b32 s89, s89, -1
	s_mov_b32 s91, 0
	s_and_saveexec_b32 s11, s89
	s_cbranch_execz .LBB72_191
; %bb.182:                              ;   in Loop: Header=BB72_6 Depth=1
	s_mov_b32 s90, exec_lo
                                        ; implicit-def: $sgpr91
                                        ; implicit-def: $sgpr89
	v_cmpx_ge_u32_e64 s20, v42
	s_xor_b32 s90, exec_lo, s90
	s_cbranch_execz .LBB72_188
; %bb.183:                              ;   in Loop: Header=BB72_6 Depth=1
	ds_load_b32 v1, v14 offset:4096
	s_waitcnt lgkmcnt(0)
	v_cmp_ne_u32_e32 vcc_lo, 0, v1
	s_cbranch_vccnz .LBB72_187
; %bb.184:                              ;   in Loop: Header=BB72_6 Depth=1
	s_and_saveexec_b32 s89, s5
	s_cbranch_execz .LBB72_186
; %bb.185:                              ;   in Loop: Header=BB72_6 Depth=1
	v_mov_b32_e32 v1, s20
	ds_store_b32 v14, v1 offset:4100
.LBB72_186:                             ;   in Loop: Header=BB72_6 Depth=1
	s_or_b32 exec_lo, exec_lo, s89
	s_waitcnt lgkmcnt(0)
	s_barrier
	buffer_gl0_inv
.LBB72_187:                             ;   in Loop: Header=BB72_6 Depth=1
	v_and_b32_e32 v1, s15, v24
	v_and_b32_e32 v3, s14, v23
	s_lshl_b64 s[92:93], 2, s19
	v_or_b32_e32 v26, s13, v26
	v_or_b32_e32 v25, s12, v25
	;; [unrolled: 1-line block ×4, first 2 shown]
	s_mov_b32 s89, 0
	s_mov_b32 s91, 8
.LBB72_188:                             ;   in Loop: Header=BB72_6 Depth=1
	s_or_saveexec_b32 s90, s90
	v_mov_b32_e32 v1, s91
	s_xor_b32 exec_lo, exec_lo, s90
; %bb.189:                              ;   in Loop: Header=BB72_6 Depth=1
	v_subrev_nc_u32_e32 v42, s20, v42
	v_mov_b32_e32 v1, 0
	s_or_b32 s89, s89, exec_lo
; %bb.190:                              ;   in Loop: Header=BB72_6 Depth=1
	s_or_b32 exec_lo, exec_lo, s90
	s_delay_alu instid0(VALU_DEP_2)
	v_mov_b32_e32 v41, v42
	s_and_b32 s91, s89, exec_lo
.LBB72_191:                             ;   in Loop: Header=BB72_6 Depth=1
	s_or_b32 exec_lo, exec_lo, s11
	s_mov_b32 s90, -1
                                        ; implicit-def: $sgpr11
                                        ; implicit-def: $sgpr93
                                        ; implicit-def: $sgpr92
	s_and_saveexec_b32 s89, s91
	s_cbranch_execz .LBB72_232
; %bb.192:                              ;   in Loop: Header=BB72_6 Depth=1
	v_cmp_eq_u32_e32 vcc_lo, 1, v41
	s_cmp_eq_u32 s21, 1
	s_mov_b32 s94, -1
	s_cselect_b32 s11, -1, 0
                                        ; implicit-def: $sgpr93
                                        ; implicit-def: $sgpr92
	s_delay_alu instid0(SALU_CYCLE_1) | instskip(NEXT) | instid1(SALU_CYCLE_1)
	s_and_b32 s90, s11, vcc_lo
                                        ; implicit-def: $sgpr11
	s_and_saveexec_b32 s91, s90
	s_cbranch_execz .LBB72_219
; %bb.193:                              ;   in Loop: Header=BB72_6 Depth=1
	ds_load_b32 v1, v14 offset:4096
	s_waitcnt lgkmcnt(0)
	s_barrier
	buffer_gl0_inv
	v_readfirstlane_b32 s92, v1
	s_and_saveexec_b32 s11, s6
	s_cbranch_execz .LBB72_195
; %bb.194:                              ;   in Loop: Header=BB72_6 Depth=1
	v_mov_b32_e32 v13, v14
	ds_store_b64 v33, v[13:14]
.LBB72_195:                             ;   in Loop: Header=BB72_6 Depth=1
	s_or_b32 exec_lo, exec_lo, s11
	v_or_b32_e32 v24, s13, v24
	v_or_b32_e32 v23, s12, v23
	;; [unrolled: 1-line block ×4, first 2 shown]
	s_cmp_eq_u32 s92, 0
	s_waitcnt lgkmcnt(0)
	s_barrier
	buffer_gl0_inv
	s_cbranch_scc1 .LBB72_204
; %bb.196:                              ;   in Loop: Header=BB72_6 Depth=1
	s_add_i32 s11, s92, s59
	s_mov_b32 s95, 0
	s_mul_hi_u32 s93, s11, s66
                                        ; implicit-def: $vgpr9_vgpr10
	s_delay_alu instid0(SALU_CYCLE_1) | instskip(NEXT) | instid1(SALU_CYCLE_1)
	s_mul_i32 s93, s93, s46
	s_sub_i32 s93, s11, s93
	s_delay_alu instid0(SALU_CYCLE_1) | instskip(SKIP_2) | instid1(SALU_CYCLE_1)
	s_sub_i32 s94, s93, s46
	s_cmp_ge_u32 s93, s46
	s_cselect_b32 s93, s94, s93
	s_sub_i32 s94, s93, s46
	s_cmp_ge_u32 s93, s46
	s_cselect_b32 s93, s94, s93
	s_delay_alu instid0(SALU_CYCLE_1)
	s_sub_i32 s94, s11, s93
	s_mov_b32 s93, exec_lo
	v_cmpx_gt_u32_e64 s94, v0
	s_cbranch_execz .LBB72_206
; %bb.197:                              ;   in Loop: Header=BB72_6 Depth=1
	v_mov_b32_e32 v13, v32
	v_mov_b32_e32 v42, v0
	s_mov_b32 s96, 0
                                        ; implicit-def: $sgpr95
	s_set_inst_prefetch_distance 0x1
	s_branch .LBB72_199
	.p2align	6
.LBB72_198:                             ;   in Loop: Header=BB72_199 Depth=2
	s_or_b32 exec_lo, exec_lo, s11
	s_waitcnt lgkmcnt(0)
	s_barrier
	buffer_gl0_inv
	ds_load_b128 v[7:10], v14 offset:3072
	v_add_nc_u32_e32 v42, s46, v42
	v_add_nc_u32_e32 v13, s70, v13
	s_waitcnt lgkmcnt(0)
	s_barrier
	buffer_gl0_inv
	v_cmp_le_u32_e64 s11, s94, v42
	v_cmp_neq_f64_e32 vcc_lo, 0, v[7:8]
	s_delay_alu instid0(VALU_DEP_2) | instskip(NEXT) | instid1(SALU_CYCLE_1)
	s_or_b32 s11, s11, vcc_lo
	s_and_b32 s11, exec_lo, s11
	s_delay_alu instid0(SALU_CYCLE_1) | instskip(SKIP_2) | instid1(SALU_CYCLE_1)
	s_or_b32 s96, s11, s96
	s_and_not1_b32 s11, s95, exec_lo
	s_and_b32 s95, vcc_lo, exec_lo
	s_or_b32 s95, s11, s95
	s_and_not1_b32 exec_lo, exec_lo, s96
	s_cbranch_execz .LBB72_205
.LBB72_199:                             ;   Parent Loop BB72_6 Depth=1
                                        ; =>  This Inner Loop Header: Depth=2
	v_mov_b32_e32 v3, 0
	v_mov_b32_e32 v4, 0
	v_cmp_gt_u32_e32 vcc_lo, s92, v42
	s_and_saveexec_b32 s11, vcc_lo
	s_cbranch_execz .LBB72_201
; %bb.200:                              ;   in Loop: Header=BB72_199 Depth=2
	ds_load_b64 v[3:4], v13
.LBB72_201:                             ;   in Loop: Header=BB72_199 Depth=2
	s_or_b32 exec_lo, exec_lo, s11
	s_and_saveexec_b32 s11, vcc_lo
	s_cbranch_execz .LBB72_198
; %bb.202:                              ;   in Loop: Header=BB72_199 Depth=2
	s_waitcnt lgkmcnt(0)
	v_cmp_o_f64_e32 vcc_lo, v[3:4], v[3:4]
	v_ashrrev_i32_e32 v1, 31, v4
	s_delay_alu instid0(VALU_DEP_1) | instskip(SKIP_1) | instid1(VALU_DEP_2)
	v_or_b32_e32 v7, 0x80000000, v1
	v_xor_b32_e32 v1, v1, v3
	v_xor_b32_e32 v7, v7, v4
	s_delay_alu instid0(VALU_DEP_1) | instskip(NEXT) | instid1(VALU_DEP_1)
	v_cndmask_b32_e32 v7, -1, v7, vcc_lo
	v_dual_cndmask_b32 v1, -1, v1 :: v_dual_and_b32 v8, v7, v26
	s_delay_alu instid0(VALU_DEP_1) | instskip(NEXT) | instid1(VALU_DEP_1)
	v_and_b32_e32 v7, v1, v25
	v_cmp_eq_u64_e32 vcc_lo, v[7:8], v[23:24]
	s_and_b32 exec_lo, exec_lo, vcc_lo
	s_cbranch_execz .LBB72_198
; %bb.203:                              ;   in Loop: Header=BB72_199 Depth=2
	v_mov_b32_e32 v1, v14
	ds_store_b128 v14, v[1:4] offset:3072
	s_branch .LBB72_198
.LBB72_204:                             ;   in Loop: Header=BB72_6 Depth=1
	s_mov_b32 s11, -1
	s_mov_b32 s95, 0
                                        ; implicit-def: $sgpr92
                                        ; implicit-def: $vgpr9_vgpr10
	s_branch .LBB72_207
.LBB72_205:                             ;   in Loop: Header=BB72_6 Depth=1
	s_set_inst_prefetch_distance 0x2
	s_or_b32 exec_lo, exec_lo, s96
	s_delay_alu instid0(SALU_CYCLE_1)
	s_and_b32 s95, s95, exec_lo
.LBB72_206:                             ;   in Loop: Header=BB72_6 Depth=1
	s_or_b32 exec_lo, exec_lo, s93
	s_mov_b32 s92, -1
	s_mov_b32 s11, 0
.LBB72_207:                             ;   in Loop: Header=BB72_6 Depth=1
	s_delay_alu instid0(SALU_CYCLE_1)
	s_and_b32 vcc_lo, exec_lo, s11
	s_mov_b32 s93, s11
	s_cbranch_vccz .LBB72_218
; %bb.208:                              ;   in Loop: Header=BB72_6 Depth=1
	s_mov_b32 s95, 0
                                        ; implicit-def: $vgpr9_vgpr10
	s_and_saveexec_b32 s92, s9
	s_cbranch_execz .LBB72_217
; %bb.209:                              ;   in Loop: Header=BB72_6 Depth=1
	v_dual_mov_b32 v13, v15 :: v_dual_mov_b32 v42, v0
	s_mov_b32 s94, 0
                                        ; implicit-def: $sgpr93
	s_branch .LBB72_211
.LBB72_210:                             ;   in Loop: Header=BB72_211 Depth=2
	s_or_b32 exec_lo, exec_lo, s11
	s_waitcnt vmcnt(0) lgkmcnt(0)
	s_barrier
	buffer_gl0_inv
	ds_load_b128 v[7:10], v14 offset:3072
	v_add_nc_u32_e32 v42, s46, v42
	v_add_nc_u32_e32 v13, s48, v13
	s_waitcnt lgkmcnt(0)
	s_barrier
	buffer_gl0_inv
	v_cmp_le_u32_e64 s11, s67, v42
	v_cmp_neq_f64_e32 vcc_lo, 0, v[7:8]
	s_delay_alu instid0(VALU_DEP_2) | instskip(NEXT) | instid1(SALU_CYCLE_1)
	s_or_b32 s11, s11, vcc_lo
	s_and_b32 s11, exec_lo, s11
	s_delay_alu instid0(SALU_CYCLE_1) | instskip(SKIP_2) | instid1(SALU_CYCLE_1)
	s_or_b32 s94, s11, s94
	s_and_not1_b32 s11, s93, exec_lo
	s_and_b32 s93, vcc_lo, exec_lo
	s_or_b32 s93, s11, s93
	s_and_not1_b32 exec_lo, exec_lo, s94
	s_cbranch_execz .LBB72_216
.LBB72_211:                             ;   Parent Loop BB72_6 Depth=1
                                        ; =>  This Inner Loop Header: Depth=2
	v_mov_b32_e32 v3, 0
	v_mov_b32_e32 v4, 0
	v_cmp_gt_u32_e32 vcc_lo, s36, v42
	s_and_saveexec_b32 s95, vcc_lo
	s_cbranch_execz .LBB72_213
; %bb.212:                              ;   in Loop: Header=BB72_211 Depth=2
	v_lshlrev_b64 v[3:4], 3, v[13:14]
	s_delay_alu instid0(VALU_DEP_1) | instskip(NEXT) | instid1(VALU_DEP_1)
	v_add_co_u32 v3, s11, s33, v3
	v_add_co_ci_u32_e64 v4, s11, s35, v4, s11
	global_load_b64 v[3:4], v[3:4], off
.LBB72_213:                             ;   in Loop: Header=BB72_211 Depth=2
	s_or_b32 exec_lo, exec_lo, s95
	s_and_saveexec_b32 s11, vcc_lo
	s_cbranch_execz .LBB72_210
; %bb.214:                              ;   in Loop: Header=BB72_211 Depth=2
	s_waitcnt vmcnt(0)
	v_cmp_o_f64_e32 vcc_lo, v[3:4], v[3:4]
	v_ashrrev_i32_e32 v1, 31, v4
	s_delay_alu instid0(VALU_DEP_1) | instskip(SKIP_1) | instid1(VALU_DEP_2)
	v_or_b32_e32 v7, 0x80000000, v1
	v_xor_b32_e32 v1, v1, v3
	v_xor_b32_e32 v7, v7, v4
	s_delay_alu instid0(VALU_DEP_1) | instskip(NEXT) | instid1(VALU_DEP_1)
	v_cndmask_b32_e32 v7, -1, v7, vcc_lo
	v_dual_cndmask_b32 v1, -1, v1 :: v_dual_and_b32 v8, v7, v26
	s_delay_alu instid0(VALU_DEP_1) | instskip(NEXT) | instid1(VALU_DEP_1)
	v_and_b32_e32 v7, v1, v25
	v_cmp_eq_u64_e32 vcc_lo, v[7:8], v[23:24]
	s_and_b32 exec_lo, exec_lo, vcc_lo
	s_cbranch_execz .LBB72_210
; %bb.215:                              ;   in Loop: Header=BB72_211 Depth=2
	v_mov_b32_e32 v1, v14
	ds_store_b128 v14, v[1:4] offset:3072
	s_branch .LBB72_210
.LBB72_216:                             ;   in Loop: Header=BB72_6 Depth=1
	s_or_b32 exec_lo, exec_lo, s94
	s_delay_alu instid0(SALU_CYCLE_1)
	s_and_b32 s95, s93, exec_lo
.LBB72_217:                             ;   in Loop: Header=BB72_6 Depth=1
	s_or_b32 exec_lo, exec_lo, s92
	s_mov_b32 s93, -1
	s_mov_b32 s11, 0
	s_mov_b32 s92, 0
.LBB72_218:                             ;   in Loop: Header=BB72_6 Depth=1
	s_or_not1_b32 s94, s95, exec_lo
.LBB72_219:                             ;   in Loop: Header=BB72_6 Depth=1
	s_or_b32 exec_lo, exec_lo, s91
	s_mov_b32 s95, 0
                                        ; implicit-def: $vgpr1
                                        ; implicit-def: $vgpr3
	s_and_saveexec_b32 s91, s94
	s_cbranch_execz .LBB72_231
; %bb.220:                              ;   in Loop: Header=BB72_6 Depth=1
	v_mov_b32_e32 v1, 1
	v_mov_b32_e32 v3, 1
	s_xor_b32 s94, s90, -1
	s_delay_alu instid0(SALU_CYCLE_1)
	s_and_saveexec_b32 s90, s94
	s_cbranch_execz .LBB72_230
; %bb.221:                              ;   in Loop: Header=BB72_6 Depth=1
	s_mov_b32 s94, exec_lo
                                        ; implicit-def: $sgpr95
	v_cmpx_ge_u32_e64 s21, v41
	s_xor_b32 s94, exec_lo, s94
	s_cbranch_execz .LBB72_227
; %bb.222:                              ;   in Loop: Header=BB72_6 Depth=1
	ds_load_b32 v1, v14 offset:4096
	s_waitcnt lgkmcnt(0)
	v_cmp_ne_u32_e32 vcc_lo, 0, v1
	s_cbranch_vccnz .LBB72_226
; %bb.223:                              ;   in Loop: Header=BB72_6 Depth=1
	s_and_saveexec_b32 s95, s5
	s_cbranch_execz .LBB72_225
; %bb.224:                              ;   in Loop: Header=BB72_6 Depth=1
	v_mov_b32_e32 v1, s21
	ds_store_b32 v14, v1 offset:4100
.LBB72_225:                             ;   in Loop: Header=BB72_6 Depth=1
	s_or_b32 exec_lo, exec_lo, s95
	s_waitcnt lgkmcnt(0)
	s_barrier
	buffer_gl0_inv
.LBB72_226:                             ;   in Loop: Header=BB72_6 Depth=1
	v_or_b32_e32 v24, s13, v24
	v_or_b32_e32 v23, s12, v23
	v_or_b32_e32 v26, s13, v26
	v_or_b32_e32 v25, s12, v25
	s_mov_b32 s95, 8
.LBB72_227:                             ;   in Loop: Header=BB72_6 Depth=1
	s_or_saveexec_b32 s94, s94
	v_mov_b32_e32 v1, s95
	s_xor_b32 exec_lo, exec_lo, s94
; %bb.228:                              ;   in Loop: Header=BB72_6 Depth=1
	v_subrev_nc_u32_e32 v41, s21, v41
	v_mov_b32_e32 v1, 8
; %bb.229:                              ;   in Loop: Header=BB72_6 Depth=1
	s_or_b32 exec_lo, exec_lo, s94
	s_delay_alu instid0(VALU_DEP_2)
	v_mov_b32_e32 v3, v41
.LBB72_230:                             ;   in Loop: Header=BB72_6 Depth=1
	s_or_b32 exec_lo, exec_lo, s90
	s_delay_alu instid0(SALU_CYCLE_1)
	s_mov_b32 s95, exec_lo
.LBB72_231:                             ;   in Loop: Header=BB72_6 Depth=1
	s_or_b32 exec_lo, exec_lo, s91
	s_delay_alu instid0(VALU_DEP_1)
	v_mov_b32_e32 v41, v3
	s_or_not1_b32 s90, s95, exec_lo
.LBB72_232:                             ;   in Loop: Header=BB72_6 Depth=1
	s_or_b32 exec_lo, exec_lo, s89
	s_delay_alu instid0(SALU_CYCLE_1)
	s_and_not1_b32 s85, s85, exec_lo
	s_and_b32 s11, s11, exec_lo
	v_mov_b32_e32 v42, v41
	s_or_b32 s85, s85, s11
	s_and_not1_b32 s11, s87, exec_lo
	s_and_b32 s87, s93, exec_lo
	s_and_not1_b32 s86, s86, exec_lo
	s_and_b32 s89, s92, exec_lo
	s_or_b32 s87, s11, s87
	s_or_b32 s86, s86, s89
	s_and_b32 s90, s90, exec_lo
.LBB72_233:                             ;   in Loop: Header=BB72_6 Depth=1
	s_or_b32 exec_lo, exec_lo, s88
	s_delay_alu instid0(SALU_CYCLE_1)
	s_and_b32 s88, s85, exec_lo
	s_and_b32 s87, s87, exec_lo
	;; [unrolled: 1-line block ×3, first 2 shown]
	s_or_not1_b32 s11, s90, exec_lo
.LBB72_234:                             ;   in Loop: Header=BB72_6 Depth=1
	s_or_b32 exec_lo, exec_lo, s84
	s_delay_alu instid0(SALU_CYCLE_1)
	s_and_not1_b32 s27, s27, exec_lo
	s_and_b32 s84, s88, exec_lo
	v_mov_b32_e32 v41, v42
	s_or_b32 s27, s27, s84
	s_and_not1_b32 s29, s29, exec_lo
	s_and_b32 s84, s87, exec_lo
	s_and_not1_b32 s28, s28, exec_lo
	s_and_b32 s85, s85, exec_lo
	s_or_b32 s29, s29, s84
	s_or_b32 s28, s28, s85
	s_and_b32 s85, s11, exec_lo
.LBB72_235:                             ;   in Loop: Header=BB72_6 Depth=1
	s_or_b32 exec_lo, exec_lo, s83
	s_delay_alu instid0(SALU_CYCLE_1)
	s_and_b32 s83, s27, exec_lo
	s_and_b32 s29, s29, exec_lo
	;; [unrolled: 1-line block ×3, first 2 shown]
	s_or_not1_b32 s11, s85, exec_lo
.LBB72_236:                             ;   in Loop: Header=BB72_6 Depth=1
	s_or_b32 exec_lo, exec_lo, s22
	s_mov_b32 s22, 0
	s_mov_b32 s28, 0
	s_and_saveexec_b32 s84, s11
	s_delay_alu instid0(SALU_CYCLE_1)
	s_xor_b32 s84, exec_lo, s84
; %bb.237:                              ;   in Loop: Header=BB72_6 Depth=1
	v_cmp_ne_u32_e32 vcc_lo, 8, v1
	v_cmp_eq_u32_e64 s11, 8, v1
	s_and_not1_b32 s83, s83, exec_lo
	s_and_not1_b32 s29, s29, exec_lo
	;; [unrolled: 1-line block ×3, first 2 shown]
	s_and_b32 s28, vcc_lo, exec_lo
	s_and_b32 s22, s11, exec_lo
; %bb.238:                              ;   in Loop: Header=BB72_6 Depth=1
	s_or_b32 exec_lo, exec_lo, s84
	s_delay_alu instid0(SALU_CYCLE_1)
	s_and_not1_b32 s11, s17, exec_lo
	s_and_b32 s17, s83, exec_lo
	s_and_not1_b32 s23, s23, exec_lo
	s_or_b32 s17, s11, s17
	s_and_not1_b32 s11, s24, exec_lo
	s_and_b32 s24, s29, exec_lo
	s_and_b32 s27, s27, exec_lo
	s_or_b32 s24, s11, s24
	s_or_b32 s23, s23, s27
	s_and_b32 s11, s28, exec_lo
	s_and_b32 s22, s22, exec_lo
.LBB72_239:                             ;   in Loop: Header=BB72_6 Depth=1
	s_or_b32 exec_lo, exec_lo, s26
	s_delay_alu instid0(SALU_CYCLE_1)
	s_and_b32 vcc_lo, exec_lo, s25
	s_cbranch_vccz .LBB72_86
.LBB72_240:                             ;   in Loop: Header=BB72_6 Depth=1
	s_delay_alu instid0(VALU_DEP_1) | instskip(SKIP_1) | instid1(SALU_CYCLE_1)
	s_cmp_eq_u32 s21, 1
                                        ; implicit-def: $sgpr25
                                        ; implicit-def: $sgpr26
	s_cselect_b32 s17, -1, 0
	s_and_b32 s24, s17, s10
	s_mov_b32 s10, -1
                                        ; implicit-def: $sgpr17
	s_and_saveexec_b32 s23, s24
	s_cbranch_execz .LBB72_266
; %bb.241:                              ;   in Loop: Header=BB72_6 Depth=1
	ds_load_b32 v1, v14 offset:4096
	s_waitcnt lgkmcnt(0)
	s_barrier
	buffer_gl0_inv
	v_readfirstlane_b32 s17, v1
	s_and_saveexec_b32 s10, s6
	s_cbranch_execz .LBB72_243
; %bb.242:                              ;   in Loop: Header=BB72_6 Depth=1
	v_mov_b32_e32 v13, v14
	ds_store_b64 v33, v[13:14]
.LBB72_243:                             ;   in Loop: Header=BB72_6 Depth=1
	s_or_b32 exec_lo, exec_lo, s10
	v_or_b32_e32 v22, s13, v22
	v_or_b32_e32 v21, s12, v21
	;; [unrolled: 1-line block ×4, first 2 shown]
	s_cmp_eq_u32 s17, 0
	s_waitcnt lgkmcnt(0)
	s_barrier
	buffer_gl0_inv
	s_cbranch_scc1 .LBB72_252
; %bb.244:                              ;   in Loop: Header=BB72_6 Depth=1
	s_add_i32 s10, s17, s59
                                        ; implicit-def: $vgpr5_vgpr6
	s_delay_alu instid0(SALU_CYCLE_1) | instskip(NEXT) | instid1(SALU_CYCLE_1)
	s_mul_hi_u32 s25, s10, s66
	s_mul_i32 s25, s25, s46
	s_delay_alu instid0(SALU_CYCLE_1) | instskip(NEXT) | instid1(SALU_CYCLE_1)
	s_sub_i32 s25, s10, s25
	s_sub_i32 s26, s25, s46
	s_cmp_ge_u32 s25, s46
	s_cselect_b32 s25, s26, s25
	s_delay_alu instid0(SALU_CYCLE_1) | instskip(SKIP_2) | instid1(SALU_CYCLE_1)
	s_sub_i32 s26, s25, s46
	s_cmp_ge_u32 s25, s46
	s_cselect_b32 s25, s26, s25
	s_sub_i32 s26, s10, s25
	s_mov_b32 s10, 0
	s_mov_b32 s25, exec_lo
	v_cmpx_gt_u32_e64 s26, v0
	s_cbranch_execz .LBB72_254
; %bb.245:                              ;   in Loop: Header=BB72_6 Depth=1
	v_mov_b32_e32 v7, v32
	v_mov_b32_e32 v8, v0
	s_mov_b32 s28, 0
                                        ; implicit-def: $sgpr27
	s_set_inst_prefetch_distance 0x1
	s_branch .LBB72_247
	.p2align	6
.LBB72_246:                             ;   in Loop: Header=BB72_247 Depth=2
	s_or_b32 exec_lo, exec_lo, s10
	s_waitcnt lgkmcnt(0)
	s_barrier
	buffer_gl0_inv
	ds_load_b128 v[3:6], v14 offset:3072
	v_add_nc_u32_e32 v8, s46, v8
	v_add_nc_u32_e32 v7, s70, v7
	s_waitcnt lgkmcnt(0)
	s_barrier
	buffer_gl0_inv
	v_cmp_le_u32_e64 s10, s26, v8
	v_cmp_neq_f64_e32 vcc_lo, 0, v[3:4]
	s_delay_alu instid0(VALU_DEP_2) | instskip(NEXT) | instid1(SALU_CYCLE_1)
	s_or_b32 s10, s10, vcc_lo
	s_and_b32 s10, exec_lo, s10
	s_delay_alu instid0(SALU_CYCLE_1) | instskip(SKIP_2) | instid1(SALU_CYCLE_1)
	s_or_b32 s28, s10, s28
	s_and_not1_b32 s10, s27, exec_lo
	s_and_b32 s27, vcc_lo, exec_lo
	s_or_b32 s27, s10, s27
	s_and_not1_b32 exec_lo, exec_lo, s28
	s_cbranch_execz .LBB72_253
.LBB72_247:                             ;   Parent Loop BB72_6 Depth=1
                                        ; =>  This Inner Loop Header: Depth=2
	v_mov_b32_e32 v3, 0
	v_mov_b32_e32 v4, 0
	v_cmp_gt_u32_e32 vcc_lo, s17, v8
	s_and_saveexec_b32 s10, vcc_lo
	s_cbranch_execz .LBB72_249
; %bb.248:                              ;   in Loop: Header=BB72_247 Depth=2
	ds_load_b64 v[3:4], v7
.LBB72_249:                             ;   in Loop: Header=BB72_247 Depth=2
	s_or_b32 exec_lo, exec_lo, s10
	s_and_saveexec_b32 s10, vcc_lo
	s_cbranch_execz .LBB72_246
; %bb.250:                              ;   in Loop: Header=BB72_247 Depth=2
	s_waitcnt lgkmcnt(0)
	v_cmp_o_f64_e32 vcc_lo, v[3:4], v[3:4]
	v_ashrrev_i32_e32 v1, 31, v4
	s_delay_alu instid0(VALU_DEP_1) | instskip(SKIP_1) | instid1(VALU_DEP_2)
	v_or_b32_e32 v5, 0x80000000, v1
	v_xor_b32_e32 v1, v1, v3
	v_xor_b32_e32 v5, v5, v4
	s_delay_alu instid0(VALU_DEP_1) | instskip(NEXT) | instid1(VALU_DEP_1)
	v_cndmask_b32_e32 v5, -1, v5, vcc_lo
	v_dual_cndmask_b32 v1, -1, v1 :: v_dual_and_b32 v6, v5, v20
	s_delay_alu instid0(VALU_DEP_1) | instskip(NEXT) | instid1(VALU_DEP_1)
	v_and_b32_e32 v5, v1, v19
	v_cmp_eq_u64_e32 vcc_lo, v[5:6], v[21:22]
	s_and_b32 exec_lo, exec_lo, vcc_lo
	s_cbranch_execz .LBB72_246
; %bb.251:                              ;   in Loop: Header=BB72_247 Depth=2
	v_mov_b32_e32 v1, v14
	ds_store_b128 v14, v[1:4] offset:3072
	s_branch .LBB72_246
.LBB72_252:                             ;   in Loop: Header=BB72_6 Depth=1
	s_mov_b32 s25, -1
	s_mov_b32 s10, 0
                                        ; implicit-def: $sgpr26
                                        ; implicit-def: $vgpr5_vgpr6
	s_mov_b32 s17, s25
	s_cbranch_execnz .LBB72_255
	s_branch .LBB72_265
.LBB72_253:                             ;   in Loop: Header=BB72_6 Depth=1
	s_set_inst_prefetch_distance 0x2
	s_or_b32 exec_lo, exec_lo, s28
	s_delay_alu instid0(SALU_CYCLE_1)
	s_and_b32 s10, s27, exec_lo
.LBB72_254:                             ;   in Loop: Header=BB72_6 Depth=1
	s_or_b32 exec_lo, exec_lo, s25
	s_mov_b32 s25, 0
	s_mov_b32 s26, -1
	s_mov_b32 s17, s25
	s_branch .LBB72_265
.LBB72_255:                             ;   in Loop: Header=BB72_6 Depth=1
	s_mov_b32 s10, 0
                                        ; implicit-def: $vgpr5_vgpr6
	s_and_saveexec_b32 s17, s9
	s_cbranch_execz .LBB72_264
; %bb.256:                              ;   in Loop: Header=BB72_6 Depth=1
	v_mov_b32_e32 v13, v15
	v_mov_b32_e32 v7, v0
	s_mov_b32 s26, 0
                                        ; implicit-def: $sgpr25
	s_branch .LBB72_258
.LBB72_257:                             ;   in Loop: Header=BB72_258 Depth=2
	s_or_b32 exec_lo, exec_lo, s10
	s_waitcnt vmcnt(0) lgkmcnt(0)
	s_barrier
	buffer_gl0_inv
	ds_load_b128 v[3:6], v14 offset:3072
	v_add_nc_u32_e32 v7, s46, v7
	v_add_nc_u32_e32 v13, s48, v13
	s_waitcnt lgkmcnt(0)
	s_barrier
	buffer_gl0_inv
	v_cmp_le_u32_e64 s10, s67, v7
	v_cmp_neq_f64_e32 vcc_lo, 0, v[3:4]
	s_delay_alu instid0(VALU_DEP_2) | instskip(NEXT) | instid1(SALU_CYCLE_1)
	s_or_b32 s10, s10, vcc_lo
	s_and_b32 s10, exec_lo, s10
	s_delay_alu instid0(SALU_CYCLE_1) | instskip(SKIP_2) | instid1(SALU_CYCLE_1)
	s_or_b32 s26, s10, s26
	s_and_not1_b32 s10, s25, exec_lo
	s_and_b32 s25, vcc_lo, exec_lo
	s_or_b32 s25, s10, s25
	s_and_not1_b32 exec_lo, exec_lo, s26
	s_cbranch_execz .LBB72_263
.LBB72_258:                             ;   Parent Loop BB72_6 Depth=1
                                        ; =>  This Inner Loop Header: Depth=2
	v_mov_b32_e32 v3, 0
	v_mov_b32_e32 v4, 0
	v_cmp_gt_u32_e32 vcc_lo, s36, v7
	s_and_saveexec_b32 s27, vcc_lo
	s_cbranch_execz .LBB72_260
; %bb.259:                              ;   in Loop: Header=BB72_258 Depth=2
	v_lshlrev_b64 v[3:4], 3, v[13:14]
	s_delay_alu instid0(VALU_DEP_1) | instskip(NEXT) | instid1(VALU_DEP_1)
	v_add_co_u32 v3, s10, s33, v3
	v_add_co_ci_u32_e64 v4, s10, s35, v4, s10
	global_load_b64 v[3:4], v[3:4], off
.LBB72_260:                             ;   in Loop: Header=BB72_258 Depth=2
	s_or_b32 exec_lo, exec_lo, s27
	s_and_saveexec_b32 s10, vcc_lo
	s_cbranch_execz .LBB72_257
; %bb.261:                              ;   in Loop: Header=BB72_258 Depth=2
	s_waitcnt vmcnt(0)
	v_cmp_o_f64_e32 vcc_lo, v[3:4], v[3:4]
	v_ashrrev_i32_e32 v1, 31, v4
	s_delay_alu instid0(VALU_DEP_1) | instskip(SKIP_1) | instid1(VALU_DEP_2)
	v_or_b32_e32 v5, 0x80000000, v1
	v_xor_b32_e32 v1, v1, v3
	v_xor_b32_e32 v5, v5, v4
	s_delay_alu instid0(VALU_DEP_1) | instskip(NEXT) | instid1(VALU_DEP_1)
	v_cndmask_b32_e32 v5, -1, v5, vcc_lo
	v_dual_cndmask_b32 v1, -1, v1 :: v_dual_and_b32 v6, v5, v20
	s_delay_alu instid0(VALU_DEP_1) | instskip(NEXT) | instid1(VALU_DEP_1)
	v_and_b32_e32 v5, v1, v19
	v_cmp_eq_u64_e32 vcc_lo, v[5:6], v[21:22]
	s_and_b32 exec_lo, exec_lo, vcc_lo
	s_cbranch_execz .LBB72_257
; %bb.262:                              ;   in Loop: Header=BB72_258 Depth=2
	v_mov_b32_e32 v1, v14
	ds_store_b128 v14, v[1:4] offset:3072
	s_branch .LBB72_257
.LBB72_263:                             ;   in Loop: Header=BB72_6 Depth=1
	s_or_b32 exec_lo, exec_lo, s26
	s_delay_alu instid0(SALU_CYCLE_1)
	s_and_b32 s10, s25, exec_lo
.LBB72_264:                             ;   in Loop: Header=BB72_6 Depth=1
	s_or_b32 exec_lo, exec_lo, s17
	s_mov_b32 s26, 0
	s_mov_b32 s25, -1
	s_mov_b32 s17, 0
.LBB72_265:                             ;   in Loop: Header=BB72_6 Depth=1
	s_or_not1_b32 s10, s10, exec_lo
.LBB72_266:                             ;   in Loop: Header=BB72_6 Depth=1
	s_or_b32 exec_lo, exec_lo, s23
                                        ; implicit-def: $vgpr1
                                        ; implicit-def: $vgpr41
                                        ; implicit-def: $vgpr23_vgpr24
                                        ; implicit-def: $vgpr25_vgpr26
                                        ; implicit-def: $vgpr9_vgpr10
	s_and_saveexec_b32 s23, s10
	s_cbranch_execz .LBB72_401
; %bb.267:                              ;   in Loop: Header=BB72_6 Depth=1
	v_mov_b32_e32 v41, 1
	v_mov_b32_e32 v1, 1
	s_xor_b32 s24, s24, -1
	s_mov_b32 s83, 0
	s_and_saveexec_b32 s10, s24
	s_cbranch_execz .LBB72_277
; %bb.268:                              ;   in Loop: Header=BB72_6 Depth=1
	s_mov_b32 s27, exec_lo
                                        ; implicit-def: $sgpr28
                                        ; implicit-def: $sgpr24
	v_cmpx_ge_u32_e64 s21, v40
	s_xor_b32 s27, exec_lo, s27
	s_cbranch_execz .LBB72_274
; %bb.269:                              ;   in Loop: Header=BB72_6 Depth=1
	ds_load_b32 v1, v14 offset:4096
	s_waitcnt lgkmcnt(0)
	v_cmp_ne_u32_e32 vcc_lo, 0, v1
	s_cbranch_vccnz .LBB72_273
; %bb.270:                              ;   in Loop: Header=BB72_6 Depth=1
	s_and_saveexec_b32 s24, s5
	s_cbranch_execz .LBB72_272
; %bb.271:                              ;   in Loop: Header=BB72_6 Depth=1
	v_mov_b32_e32 v1, s21
	ds_store_b32 v14, v1 offset:4100
.LBB72_272:                             ;   in Loop: Header=BB72_6 Depth=1
	s_or_b32 exec_lo, exec_lo, s24
	s_waitcnt lgkmcnt(0)
	s_barrier
	buffer_gl0_inv
.LBB72_273:                             ;   in Loop: Header=BB72_6 Depth=1
	v_or_b32_e32 v22, s13, v22
	v_or_b32_e32 v21, s12, v21
	;; [unrolled: 1-line block ×4, first 2 shown]
	s_mov_b32 s24, 0
	s_mov_b32 s28, 5
.LBB72_274:                             ;   in Loop: Header=BB72_6 Depth=1
	s_or_saveexec_b32 s27, s27
	v_mov_b32_e32 v1, s28
	s_xor_b32 exec_lo, exec_lo, s27
; %bb.275:                              ;   in Loop: Header=BB72_6 Depth=1
	v_subrev_nc_u32_e32 v40, s21, v40
	v_mov_b32_e32 v1, 0
	s_or_b32 s24, s24, exec_lo
; %bb.276:                              ;   in Loop: Header=BB72_6 Depth=1
	s_or_b32 exec_lo, exec_lo, s27
	s_delay_alu instid0(VALU_DEP_2)
	v_mov_b32_e32 v41, v40
	s_and_b32 s83, s24, exec_lo
.LBB72_277:                             ;   in Loop: Header=BB72_6 Depth=1
	s_or_b32 exec_lo, exec_lo, s10
	s_mov_b32 s28, -1
                                        ; implicit-def: $sgpr24
                                        ; implicit-def: $sgpr27
                                        ; implicit-def: $sgpr29
	s_and_saveexec_b32 s10, s83
	s_delay_alu instid0(SALU_CYCLE_1)
	s_xor_b32 s21, exec_lo, s10
	s_cbranch_execz .LBB72_398
; %bb.278:                              ;   in Loop: Header=BB72_6 Depth=1
	v_cmp_eq_u32_e32 vcc_lo, 1, v41
	s_cmp_eq_u32 s20, 1
                                        ; implicit-def: $sgpr24
                                        ; implicit-def: $sgpr27
                                        ; implicit-def: $sgpr28
	s_cselect_b32 s10, -1, 0
	s_delay_alu instid0(SALU_CYCLE_1)
	s_and_b32 s83, s10, vcc_lo
	s_mov_b32 s10, -1
	s_and_saveexec_b32 s29, s83
	s_cbranch_execz .LBB72_304
; %bb.279:                              ;   in Loop: Header=BB72_6 Depth=1
	ds_load_b32 v1, v14 offset:4096
	s_waitcnt lgkmcnt(0)
	s_barrier
	buffer_gl0_inv
	v_readfirstlane_b32 s24, v1
	s_and_saveexec_b32 s10, s6
	s_cbranch_execz .LBB72_281
; %bb.280:                              ;   in Loop: Header=BB72_6 Depth=1
	v_mov_b32_e32 v13, v14
	ds_store_b64 v33, v[13:14]
.LBB72_281:                             ;   in Loop: Header=BB72_6 Depth=1
	s_or_b32 exec_lo, exec_lo, s10
	v_and_b32_e32 v1, s15, v22
	v_and_b32_e32 v3, s14, v21
	s_lshl_b64 s[84:85], 2, s19
	v_or_b32_e32 v20, s13, v20
	v_or_b32_e32 v19, s12, v19
	;; [unrolled: 1-line block ×4, first 2 shown]
	s_cmp_eq_u32 s24, 0
	s_waitcnt lgkmcnt(0)
	s_barrier
	buffer_gl0_inv
	s_cbranch_scc1 .LBB72_290
; %bb.282:                              ;   in Loop: Header=BB72_6 Depth=1
	s_add_i32 s10, s24, s59
                                        ; implicit-def: $vgpr5_vgpr6
	s_delay_alu instid0(SALU_CYCLE_1) | instskip(NEXT) | instid1(SALU_CYCLE_1)
	s_mul_hi_u32 s27, s10, s66
	s_mul_i32 s27, s27, s46
	s_delay_alu instid0(SALU_CYCLE_1) | instskip(NEXT) | instid1(SALU_CYCLE_1)
	s_sub_i32 s27, s10, s27
	s_sub_i32 s28, s27, s46
	s_cmp_ge_u32 s27, s46
	s_cselect_b32 s27, s28, s27
	s_delay_alu instid0(SALU_CYCLE_1) | instskip(SKIP_2) | instid1(SALU_CYCLE_1)
	s_sub_i32 s28, s27, s46
	s_cmp_ge_u32 s27, s46
	s_cselect_b32 s27, s28, s27
	s_sub_i32 s28, s10, s27
	s_mov_b32 s10, 0
	s_mov_b32 s27, exec_lo
	v_cmpx_gt_u32_e64 s28, v0
	s_cbranch_execz .LBB72_292
; %bb.283:                              ;   in Loop: Header=BB72_6 Depth=1
	v_mov_b32_e32 v7, v32
	v_mov_b32_e32 v8, v0
	s_mov_b32 s85, 0
                                        ; implicit-def: $sgpr84
	s_set_inst_prefetch_distance 0x1
	s_branch .LBB72_285
	.p2align	6
.LBB72_284:                             ;   in Loop: Header=BB72_285 Depth=2
	s_or_b32 exec_lo, exec_lo, s10
	s_waitcnt lgkmcnt(0)
	s_barrier
	buffer_gl0_inv
	ds_load_b128 v[3:6], v14 offset:3072
	v_add_nc_u32_e32 v8, s46, v8
	v_add_nc_u32_e32 v7, s70, v7
	s_waitcnt lgkmcnt(0)
	s_barrier
	buffer_gl0_inv
	v_cmp_le_u32_e64 s10, s28, v8
	v_cmp_neq_f64_e32 vcc_lo, 0, v[3:4]
	s_delay_alu instid0(VALU_DEP_2) | instskip(NEXT) | instid1(SALU_CYCLE_1)
	s_or_b32 s10, s10, vcc_lo
	s_and_b32 s10, exec_lo, s10
	s_delay_alu instid0(SALU_CYCLE_1) | instskip(SKIP_2) | instid1(SALU_CYCLE_1)
	s_or_b32 s85, s10, s85
	s_and_not1_b32 s10, s84, exec_lo
	s_and_b32 s84, vcc_lo, exec_lo
	s_or_b32 s84, s10, s84
	s_and_not1_b32 exec_lo, exec_lo, s85
	s_cbranch_execz .LBB72_291
.LBB72_285:                             ;   Parent Loop BB72_6 Depth=1
                                        ; =>  This Inner Loop Header: Depth=2
	v_mov_b32_e32 v3, 0
	v_mov_b32_e32 v4, 0
	v_cmp_gt_u32_e32 vcc_lo, s24, v8
	s_and_saveexec_b32 s10, vcc_lo
	s_cbranch_execz .LBB72_287
; %bb.286:                              ;   in Loop: Header=BB72_285 Depth=2
	ds_load_b64 v[3:4], v7
.LBB72_287:                             ;   in Loop: Header=BB72_285 Depth=2
	s_or_b32 exec_lo, exec_lo, s10
	s_and_saveexec_b32 s10, vcc_lo
	s_cbranch_execz .LBB72_284
; %bb.288:                              ;   in Loop: Header=BB72_285 Depth=2
	s_waitcnt lgkmcnt(0)
	v_cmp_o_f64_e32 vcc_lo, v[3:4], v[3:4]
	v_ashrrev_i32_e32 v1, 31, v4
	s_delay_alu instid0(VALU_DEP_1) | instskip(SKIP_1) | instid1(VALU_DEP_2)
	v_or_b32_e32 v5, 0x80000000, v1
	v_xor_b32_e32 v1, v1, v3
	v_xor_b32_e32 v5, v5, v4
	s_delay_alu instid0(VALU_DEP_1) | instskip(NEXT) | instid1(VALU_DEP_1)
	v_cndmask_b32_e32 v5, -1, v5, vcc_lo
	v_dual_cndmask_b32 v1, -1, v1 :: v_dual_and_b32 v6, v5, v20
	s_delay_alu instid0(VALU_DEP_1) | instskip(NEXT) | instid1(VALU_DEP_1)
	v_and_b32_e32 v5, v1, v19
	v_cmp_eq_u64_e32 vcc_lo, v[5:6], v[21:22]
	s_and_b32 exec_lo, exec_lo, vcc_lo
	s_cbranch_execz .LBB72_284
; %bb.289:                              ;   in Loop: Header=BB72_285 Depth=2
	v_mov_b32_e32 v1, v14
	ds_store_b128 v14, v[1:4] offset:3072
	s_branch .LBB72_284
.LBB72_290:                             ;   in Loop: Header=BB72_6 Depth=1
	s_mov_b32 s24, -1
	s_mov_b32 s10, 0
                                        ; implicit-def: $sgpr27
                                        ; implicit-def: $vgpr5_vgpr6
	s_mov_b32 s28, s24
	s_cbranch_execnz .LBB72_293
	s_branch .LBB72_303
.LBB72_291:                             ;   in Loop: Header=BB72_6 Depth=1
	s_set_inst_prefetch_distance 0x2
	s_or_b32 exec_lo, exec_lo, s85
	s_delay_alu instid0(SALU_CYCLE_1)
	s_and_b32 s10, s84, exec_lo
.LBB72_292:                             ;   in Loop: Header=BB72_6 Depth=1
	s_or_b32 exec_lo, exec_lo, s27
	s_mov_b32 s24, 0
	s_mov_b32 s27, -1
	s_mov_b32 s28, s24
	s_branch .LBB72_303
.LBB72_293:                             ;   in Loop: Header=BB72_6 Depth=1
	s_mov_b32 s10, 0
                                        ; implicit-def: $vgpr5_vgpr6
	s_and_saveexec_b32 s24, s9
	s_cbranch_execz .LBB72_302
; %bb.294:                              ;   in Loop: Header=BB72_6 Depth=1
	v_mov_b32_e32 v13, v15
	v_mov_b32_e32 v7, v0
	s_mov_b32 s28, 0
                                        ; implicit-def: $sgpr27
	s_branch .LBB72_296
.LBB72_295:                             ;   in Loop: Header=BB72_296 Depth=2
	s_or_b32 exec_lo, exec_lo, s10
	s_waitcnt vmcnt(0) lgkmcnt(0)
	s_barrier
	buffer_gl0_inv
	ds_load_b128 v[3:6], v14 offset:3072
	v_add_nc_u32_e32 v7, s46, v7
	v_add_nc_u32_e32 v13, s48, v13
	s_waitcnt lgkmcnt(0)
	s_barrier
	buffer_gl0_inv
	v_cmp_le_u32_e64 s10, s67, v7
	v_cmp_neq_f64_e32 vcc_lo, 0, v[3:4]
	s_delay_alu instid0(VALU_DEP_2) | instskip(NEXT) | instid1(SALU_CYCLE_1)
	s_or_b32 s10, s10, vcc_lo
	s_and_b32 s10, exec_lo, s10
	s_delay_alu instid0(SALU_CYCLE_1) | instskip(SKIP_2) | instid1(SALU_CYCLE_1)
	s_or_b32 s28, s10, s28
	s_and_not1_b32 s10, s27, exec_lo
	s_and_b32 s27, vcc_lo, exec_lo
	s_or_b32 s27, s10, s27
	s_and_not1_b32 exec_lo, exec_lo, s28
	s_cbranch_execz .LBB72_301
.LBB72_296:                             ;   Parent Loop BB72_6 Depth=1
                                        ; =>  This Inner Loop Header: Depth=2
	v_mov_b32_e32 v3, 0
	v_mov_b32_e32 v4, 0
	v_cmp_gt_u32_e32 vcc_lo, s36, v7
	s_and_saveexec_b32 s84, vcc_lo
	s_cbranch_execz .LBB72_298
; %bb.297:                              ;   in Loop: Header=BB72_296 Depth=2
	v_lshlrev_b64 v[3:4], 3, v[13:14]
	s_delay_alu instid0(VALU_DEP_1) | instskip(NEXT) | instid1(VALU_DEP_1)
	v_add_co_u32 v3, s10, s33, v3
	v_add_co_ci_u32_e64 v4, s10, s35, v4, s10
	global_load_b64 v[3:4], v[3:4], off
.LBB72_298:                             ;   in Loop: Header=BB72_296 Depth=2
	s_or_b32 exec_lo, exec_lo, s84
	s_and_saveexec_b32 s10, vcc_lo
	s_cbranch_execz .LBB72_295
; %bb.299:                              ;   in Loop: Header=BB72_296 Depth=2
	s_waitcnt vmcnt(0)
	v_cmp_o_f64_e32 vcc_lo, v[3:4], v[3:4]
	v_ashrrev_i32_e32 v1, 31, v4
	s_delay_alu instid0(VALU_DEP_1) | instskip(SKIP_1) | instid1(VALU_DEP_2)
	v_or_b32_e32 v5, 0x80000000, v1
	v_xor_b32_e32 v1, v1, v3
	v_xor_b32_e32 v5, v5, v4
	s_delay_alu instid0(VALU_DEP_1) | instskip(NEXT) | instid1(VALU_DEP_1)
	v_cndmask_b32_e32 v5, -1, v5, vcc_lo
	v_dual_cndmask_b32 v1, -1, v1 :: v_dual_and_b32 v6, v5, v20
	s_delay_alu instid0(VALU_DEP_1) | instskip(NEXT) | instid1(VALU_DEP_1)
	v_and_b32_e32 v5, v1, v19
	v_cmp_eq_u64_e32 vcc_lo, v[5:6], v[21:22]
	s_and_b32 exec_lo, exec_lo, vcc_lo
	s_cbranch_execz .LBB72_295
; %bb.300:                              ;   in Loop: Header=BB72_296 Depth=2
	v_mov_b32_e32 v1, v14
	ds_store_b128 v14, v[1:4] offset:3072
	s_branch .LBB72_295
.LBB72_301:                             ;   in Loop: Header=BB72_6 Depth=1
	s_or_b32 exec_lo, exec_lo, s28
	s_delay_alu instid0(SALU_CYCLE_1)
	s_and_b32 s10, s27, exec_lo
.LBB72_302:                             ;   in Loop: Header=BB72_6 Depth=1
	s_or_b32 exec_lo, exec_lo, s24
	s_mov_b32 s27, 0
	s_mov_b32 s24, -1
	s_mov_b32 s28, 0
.LBB72_303:                             ;   in Loop: Header=BB72_6 Depth=1
	s_or_not1_b32 s10, s10, exec_lo
.LBB72_304:                             ;   in Loop: Header=BB72_6 Depth=1
	s_or_b32 exec_lo, exec_lo, s29
	s_mov_b32 s84, 0
                                        ; implicit-def: $vgpr1
	s_and_saveexec_b32 s29, s10
	s_cbranch_execz .LBB72_397
; %bb.305:                              ;   in Loop: Header=BB72_6 Depth=1
	v_mov_b32_e32 v7, 1
	v_mov_b32_e32 v1, 1
	s_xor_b32 s83, s83, -1
	s_mov_b32 s85, 0
	s_and_saveexec_b32 s10, s83
	s_cbranch_execz .LBB72_315
; %bb.306:                              ;   in Loop: Header=BB72_6 Depth=1
	s_mov_b32 s84, exec_lo
                                        ; implicit-def: $sgpr85
                                        ; implicit-def: $sgpr83
	v_cmpx_ge_u32_e64 s20, v41
	s_xor_b32 s84, exec_lo, s84
	s_cbranch_execz .LBB72_312
; %bb.307:                              ;   in Loop: Header=BB72_6 Depth=1
	ds_load_b32 v1, v14 offset:4096
	s_waitcnt lgkmcnt(0)
	v_cmp_ne_u32_e32 vcc_lo, 0, v1
	s_cbranch_vccnz .LBB72_311
; %bb.308:                              ;   in Loop: Header=BB72_6 Depth=1
	s_and_saveexec_b32 s83, s5
	s_cbranch_execz .LBB72_310
; %bb.309:                              ;   in Loop: Header=BB72_6 Depth=1
	v_mov_b32_e32 v1, s20
	ds_store_b32 v14, v1 offset:4100
.LBB72_310:                             ;   in Loop: Header=BB72_6 Depth=1
	s_or_b32 exec_lo, exec_lo, s83
	s_waitcnt lgkmcnt(0)
	s_barrier
	buffer_gl0_inv
.LBB72_311:                             ;   in Loop: Header=BB72_6 Depth=1
	v_and_b32_e32 v1, s15, v22
	v_and_b32_e32 v3, s14, v21
	s_lshl_b64 s[86:87], 2, s19
	v_or_b32_e32 v20, s13, v20
	v_or_b32_e32 v19, s12, v19
	v_or_b32_e32 v22, s87, v1
	v_or_b32_e32 v21, s86, v3
	s_mov_b32 s83, 0
	s_mov_b32 s85, 5
.LBB72_312:                             ;   in Loop: Header=BB72_6 Depth=1
	s_or_saveexec_b32 s84, s84
	v_mov_b32_e32 v1, s85
	s_xor_b32 exec_lo, exec_lo, s84
; %bb.313:                              ;   in Loop: Header=BB72_6 Depth=1
	v_subrev_nc_u32_e32 v41, s20, v41
	v_mov_b32_e32 v1, 0
	s_or_b32 s83, s83, exec_lo
; %bb.314:                              ;   in Loop: Header=BB72_6 Depth=1
	s_or_b32 exec_lo, exec_lo, s84
	s_delay_alu instid0(VALU_DEP_2)
	v_mov_b32_e32 v7, v41
	s_and_b32 s85, s83, exec_lo
.LBB72_315:                             ;   in Loop: Header=BB72_6 Depth=1
	s_or_b32 exec_lo, exec_lo, s10
	s_mov_b32 s10, -1
                                        ; implicit-def: $sgpr83
                                        ; implicit-def: $sgpr84
                                        ; implicit-def: $sgpr86
	s_and_saveexec_b32 s20, s85
	s_cbranch_execz .LBB72_396
; %bb.316:                              ;   in Loop: Header=BB72_6 Depth=1
	v_cmp_eq_u32_e32 vcc_lo, 1, v7
	s_cmp_eq_u32 s18, 1
                                        ; implicit-def: $sgpr83
                                        ; implicit-def: $sgpr84
                                        ; implicit-def: $sgpr85
	s_cselect_b32 s10, -1, 0
	s_delay_alu instid0(SALU_CYCLE_1)
	s_and_b32 s87, s10, vcc_lo
	s_mov_b32 s10, -1
	s_and_saveexec_b32 s86, s87
	s_cbranch_execz .LBB72_342
; %bb.317:                              ;   in Loop: Header=BB72_6 Depth=1
	ds_load_b32 v1, v14 offset:4096
	s_waitcnt lgkmcnt(0)
	s_barrier
	buffer_gl0_inv
	v_readfirstlane_b32 s83, v1
	s_and_saveexec_b32 s10, s6
	s_cbranch_execz .LBB72_319
; %bb.318:                              ;   in Loop: Header=BB72_6 Depth=1
	v_mov_b32_e32 v13, v14
	ds_store_b64 v33, v[13:14]
.LBB72_319:                             ;   in Loop: Header=BB72_6 Depth=1
	s_or_b32 exec_lo, exec_lo, s10
	v_and_b32_e32 v1, s15, v22
	v_and_b32_e32 v3, s14, v21
	s_lshl_b64 s[84:85], 1, s19
	v_or_b32_e32 v20, s13, v20
	v_or_b32_e32 v19, s12, v19
	;; [unrolled: 1-line block ×4, first 2 shown]
	s_cmp_eq_u32 s83, 0
	s_waitcnt lgkmcnt(0)
	s_barrier
	buffer_gl0_inv
	s_cbranch_scc1 .LBB72_328
; %bb.320:                              ;   in Loop: Header=BB72_6 Depth=1
	s_add_i32 s10, s83, s59
                                        ; implicit-def: $vgpr5_vgpr6
	s_delay_alu instid0(SALU_CYCLE_1) | instskip(NEXT) | instid1(SALU_CYCLE_1)
	s_mul_hi_u32 s84, s10, s66
	s_mul_i32 s84, s84, s46
	s_delay_alu instid0(SALU_CYCLE_1) | instskip(NEXT) | instid1(SALU_CYCLE_1)
	s_sub_i32 s84, s10, s84
	s_sub_i32 s85, s84, s46
	s_cmp_ge_u32 s84, s46
	s_cselect_b32 s84, s85, s84
	s_delay_alu instid0(SALU_CYCLE_1) | instskip(SKIP_2) | instid1(SALU_CYCLE_1)
	s_sub_i32 s85, s84, s46
	s_cmp_ge_u32 s84, s46
	s_cselect_b32 s84, s85, s84
	s_sub_i32 s85, s10, s84
	s_mov_b32 s10, 0
	s_mov_b32 s84, exec_lo
	v_cmpx_gt_u32_e64 s85, v0
	s_cbranch_execz .LBB72_330
; %bb.321:                              ;   in Loop: Header=BB72_6 Depth=1
	v_mov_b32_e32 v8, v32
	v_mov_b32_e32 v9, v0
	s_mov_b32 s89, 0
                                        ; implicit-def: $sgpr88
	s_set_inst_prefetch_distance 0x1
	s_branch .LBB72_323
	.p2align	6
.LBB72_322:                             ;   in Loop: Header=BB72_323 Depth=2
	s_or_b32 exec_lo, exec_lo, s10
	s_waitcnt lgkmcnt(0)
	s_barrier
	buffer_gl0_inv
	ds_load_b128 v[3:6], v14 offset:3072
	v_add_nc_u32_e32 v9, s46, v9
	v_add_nc_u32_e32 v8, s70, v8
	s_waitcnt lgkmcnt(0)
	s_barrier
	buffer_gl0_inv
	v_cmp_le_u32_e64 s10, s85, v9
	v_cmp_neq_f64_e32 vcc_lo, 0, v[3:4]
	s_delay_alu instid0(VALU_DEP_2) | instskip(NEXT) | instid1(SALU_CYCLE_1)
	s_or_b32 s10, s10, vcc_lo
	s_and_b32 s10, exec_lo, s10
	s_delay_alu instid0(SALU_CYCLE_1) | instskip(SKIP_2) | instid1(SALU_CYCLE_1)
	s_or_b32 s89, s10, s89
	s_and_not1_b32 s10, s88, exec_lo
	s_and_b32 s88, vcc_lo, exec_lo
	s_or_b32 s88, s10, s88
	s_and_not1_b32 exec_lo, exec_lo, s89
	s_cbranch_execz .LBB72_329
.LBB72_323:                             ;   Parent Loop BB72_6 Depth=1
                                        ; =>  This Inner Loop Header: Depth=2
	v_mov_b32_e32 v3, 0
	v_mov_b32_e32 v4, 0
	v_cmp_gt_u32_e32 vcc_lo, s83, v9
	s_and_saveexec_b32 s10, vcc_lo
	s_cbranch_execz .LBB72_325
; %bb.324:                              ;   in Loop: Header=BB72_323 Depth=2
	ds_load_b64 v[3:4], v8
.LBB72_325:                             ;   in Loop: Header=BB72_323 Depth=2
	s_or_b32 exec_lo, exec_lo, s10
	s_and_saveexec_b32 s10, vcc_lo
	s_cbranch_execz .LBB72_322
; %bb.326:                              ;   in Loop: Header=BB72_323 Depth=2
	s_waitcnt lgkmcnt(0)
	v_cmp_o_f64_e32 vcc_lo, v[3:4], v[3:4]
	v_ashrrev_i32_e32 v1, 31, v4
	s_delay_alu instid0(VALU_DEP_1) | instskip(SKIP_1) | instid1(VALU_DEP_2)
	v_or_b32_e32 v5, 0x80000000, v1
	v_xor_b32_e32 v1, v1, v3
	v_xor_b32_e32 v5, v5, v4
	s_delay_alu instid0(VALU_DEP_1) | instskip(NEXT) | instid1(VALU_DEP_1)
	v_cndmask_b32_e32 v5, -1, v5, vcc_lo
	v_dual_cndmask_b32 v1, -1, v1 :: v_dual_and_b32 v6, v5, v20
	s_delay_alu instid0(VALU_DEP_1) | instskip(NEXT) | instid1(VALU_DEP_1)
	v_and_b32_e32 v5, v1, v19
	v_cmp_eq_u64_e32 vcc_lo, v[5:6], v[21:22]
	s_and_b32 exec_lo, exec_lo, vcc_lo
	s_cbranch_execz .LBB72_322
; %bb.327:                              ;   in Loop: Header=BB72_323 Depth=2
	v_mov_b32_e32 v1, v14
	ds_store_b128 v14, v[1:4] offset:3072
	s_branch .LBB72_322
.LBB72_328:                             ;   in Loop: Header=BB72_6 Depth=1
	s_mov_b32 s83, -1
	s_mov_b32 s10, 0
                                        ; implicit-def: $sgpr84
                                        ; implicit-def: $vgpr5_vgpr6
	s_mov_b32 s85, s83
	s_cbranch_execnz .LBB72_331
	s_branch .LBB72_341
.LBB72_329:                             ;   in Loop: Header=BB72_6 Depth=1
	s_set_inst_prefetch_distance 0x2
	s_or_b32 exec_lo, exec_lo, s89
	s_delay_alu instid0(SALU_CYCLE_1)
	s_and_b32 s10, s88, exec_lo
.LBB72_330:                             ;   in Loop: Header=BB72_6 Depth=1
	s_or_b32 exec_lo, exec_lo, s84
	s_mov_b32 s83, 0
	s_mov_b32 s84, -1
	s_mov_b32 s85, s83
	s_branch .LBB72_341
.LBB72_331:                             ;   in Loop: Header=BB72_6 Depth=1
	s_mov_b32 s10, 0
                                        ; implicit-def: $vgpr5_vgpr6
	s_and_saveexec_b32 s83, s9
	s_cbranch_execz .LBB72_340
; %bb.332:                              ;   in Loop: Header=BB72_6 Depth=1
	v_dual_mov_b32 v13, v15 :: v_dual_mov_b32 v8, v0
	s_mov_b32 s85, 0
                                        ; implicit-def: $sgpr84
	s_branch .LBB72_334
.LBB72_333:                             ;   in Loop: Header=BB72_334 Depth=2
	s_or_b32 exec_lo, exec_lo, s10
	s_waitcnt vmcnt(0) lgkmcnt(0)
	s_barrier
	buffer_gl0_inv
	ds_load_b128 v[3:6], v14 offset:3072
	v_add_nc_u32_e32 v8, s46, v8
	v_add_nc_u32_e32 v13, s48, v13
	s_waitcnt lgkmcnt(0)
	s_barrier
	buffer_gl0_inv
	v_cmp_le_u32_e64 s10, s67, v8
	v_cmp_neq_f64_e32 vcc_lo, 0, v[3:4]
	s_delay_alu instid0(VALU_DEP_2) | instskip(NEXT) | instid1(SALU_CYCLE_1)
	s_or_b32 s10, s10, vcc_lo
	s_and_b32 s10, exec_lo, s10
	s_delay_alu instid0(SALU_CYCLE_1) | instskip(SKIP_2) | instid1(SALU_CYCLE_1)
	s_or_b32 s85, s10, s85
	s_and_not1_b32 s10, s84, exec_lo
	s_and_b32 s84, vcc_lo, exec_lo
	s_or_b32 s84, s10, s84
	s_and_not1_b32 exec_lo, exec_lo, s85
	s_cbranch_execz .LBB72_339
.LBB72_334:                             ;   Parent Loop BB72_6 Depth=1
                                        ; =>  This Inner Loop Header: Depth=2
	v_mov_b32_e32 v3, 0
	v_mov_b32_e32 v4, 0
	v_cmp_gt_u32_e32 vcc_lo, s36, v8
	s_and_saveexec_b32 s88, vcc_lo
	s_cbranch_execz .LBB72_336
; %bb.335:                              ;   in Loop: Header=BB72_334 Depth=2
	v_lshlrev_b64 v[3:4], 3, v[13:14]
	s_delay_alu instid0(VALU_DEP_1) | instskip(NEXT) | instid1(VALU_DEP_1)
	v_add_co_u32 v3, s10, s33, v3
	v_add_co_ci_u32_e64 v4, s10, s35, v4, s10
	global_load_b64 v[3:4], v[3:4], off
.LBB72_336:                             ;   in Loop: Header=BB72_334 Depth=2
	s_or_b32 exec_lo, exec_lo, s88
	s_and_saveexec_b32 s10, vcc_lo
	s_cbranch_execz .LBB72_333
; %bb.337:                              ;   in Loop: Header=BB72_334 Depth=2
	s_waitcnt vmcnt(0)
	v_cmp_o_f64_e32 vcc_lo, v[3:4], v[3:4]
	v_ashrrev_i32_e32 v1, 31, v4
	s_delay_alu instid0(VALU_DEP_1) | instskip(SKIP_1) | instid1(VALU_DEP_2)
	v_or_b32_e32 v5, 0x80000000, v1
	v_xor_b32_e32 v1, v1, v3
	v_xor_b32_e32 v5, v5, v4
	s_delay_alu instid0(VALU_DEP_1) | instskip(NEXT) | instid1(VALU_DEP_1)
	v_cndmask_b32_e32 v5, -1, v5, vcc_lo
	v_dual_cndmask_b32 v1, -1, v1 :: v_dual_and_b32 v6, v5, v20
	s_delay_alu instid0(VALU_DEP_1) | instskip(NEXT) | instid1(VALU_DEP_1)
	v_and_b32_e32 v5, v1, v19
	v_cmp_eq_u64_e32 vcc_lo, v[5:6], v[21:22]
	s_and_b32 exec_lo, exec_lo, vcc_lo
	s_cbranch_execz .LBB72_333
; %bb.338:                              ;   in Loop: Header=BB72_334 Depth=2
	v_mov_b32_e32 v1, v14
	ds_store_b128 v14, v[1:4] offset:3072
	s_branch .LBB72_333
.LBB72_339:                             ;   in Loop: Header=BB72_6 Depth=1
	s_or_b32 exec_lo, exec_lo, s85
	s_delay_alu instid0(SALU_CYCLE_1)
	s_and_b32 s10, s84, exec_lo
.LBB72_340:                             ;   in Loop: Header=BB72_6 Depth=1
	s_or_b32 exec_lo, exec_lo, s83
	s_mov_b32 s84, 0
	s_mov_b32 s83, -1
	s_mov_b32 s85, 0
.LBB72_341:                             ;   in Loop: Header=BB72_6 Depth=1
	s_or_not1_b32 s10, s10, exec_lo
.LBB72_342:                             ;   in Loop: Header=BB72_6 Depth=1
	s_or_b32 exec_lo, exec_lo, s86
	s_mov_b32 s88, 0
                                        ; implicit-def: $vgpr1
	s_and_saveexec_b32 s86, s10
	s_cbranch_execz .LBB72_395
; %bb.343:                              ;   in Loop: Header=BB72_6 Depth=1
	v_dual_mov_b32 v8, 1 :: v_dual_mov_b32 v1, 1
	s_xor_b32 s88, s87, -1
	s_mov_b32 s87, 0
	s_and_saveexec_b32 s10, s88
	s_cbranch_execz .LBB72_353
; %bb.344:                              ;   in Loop: Header=BB72_6 Depth=1
	s_mov_b32 s88, exec_lo
                                        ; implicit-def: $sgpr89
                                        ; implicit-def: $sgpr87
	v_cmpx_ge_u32_e64 s18, v7
	s_xor_b32 s88, exec_lo, s88
	s_cbranch_execz .LBB72_350
; %bb.345:                              ;   in Loop: Header=BB72_6 Depth=1
	ds_load_b32 v1, v14 offset:4096
	s_waitcnt lgkmcnt(0)
	v_cmp_ne_u32_e32 vcc_lo, 0, v1
	s_cbranch_vccnz .LBB72_349
; %bb.346:                              ;   in Loop: Header=BB72_6 Depth=1
	s_and_saveexec_b32 s87, s5
	s_cbranch_execz .LBB72_348
; %bb.347:                              ;   in Loop: Header=BB72_6 Depth=1
	v_mov_b32_e32 v1, s18
	ds_store_b32 v14, v1 offset:4100
.LBB72_348:                             ;   in Loop: Header=BB72_6 Depth=1
	s_or_b32 exec_lo, exec_lo, s87
	s_waitcnt lgkmcnt(0)
	s_barrier
	buffer_gl0_inv
.LBB72_349:                             ;   in Loop: Header=BB72_6 Depth=1
	v_and_b32_e32 v1, s15, v22
	v_and_b32_e32 v3, s14, v21
	s_lshl_b64 s[90:91], 1, s19
	v_or_b32_e32 v20, s13, v20
	v_or_b32_e32 v19, s12, v19
	;; [unrolled: 1-line block ×4, first 2 shown]
	s_mov_b32 s87, 0
	s_mov_b32 s89, 5
.LBB72_350:                             ;   in Loop: Header=BB72_6 Depth=1
	s_or_saveexec_b32 s19, s88
	v_mov_b32_e32 v1, s89
	s_xor_b32 exec_lo, exec_lo, s19
; %bb.351:                              ;   in Loop: Header=BB72_6 Depth=1
	v_subrev_nc_u32_e32 v7, s18, v7
	v_mov_b32_e32 v1, 0
	s_or_b32 s87, s87, exec_lo
; %bb.352:                              ;   in Loop: Header=BB72_6 Depth=1
	s_or_b32 exec_lo, exec_lo, s19
	s_delay_alu instid0(VALU_DEP_2)
	v_mov_b32_e32 v8, v7
	s_and_b32 s87, s87, exec_lo
.LBB72_353:                             ;   in Loop: Header=BB72_6 Depth=1
	s_or_b32 exec_lo, exec_lo, s10
	s_mov_b32 s19, -1
                                        ; implicit-def: $sgpr10
                                        ; implicit-def: $sgpr88
                                        ; implicit-def: $sgpr89
	s_and_saveexec_b32 s18, s87
	s_cbranch_execz .LBB72_394
; %bb.354:                              ;   in Loop: Header=BB72_6 Depth=1
	v_cmp_eq_u32_e32 vcc_lo, 1, v8
	s_cmp_eq_u32 s16, 1
	s_mov_b32 s90, -1
	s_cselect_b32 s10, -1, 0
                                        ; implicit-def: $sgpr88
                                        ; implicit-def: $sgpr89
	s_delay_alu instid0(SALU_CYCLE_1) | instskip(NEXT) | instid1(SALU_CYCLE_1)
	s_and_b32 s19, s10, vcc_lo
                                        ; implicit-def: $sgpr10
	s_and_saveexec_b32 s87, s19
	s_cbranch_execz .LBB72_381
; %bb.355:                              ;   in Loop: Header=BB72_6 Depth=1
	ds_load_b32 v1, v14 offset:4096
	s_waitcnt lgkmcnt(0)
	s_barrier
	buffer_gl0_inv
	v_readfirstlane_b32 s88, v1
	s_and_saveexec_b32 s10, s6
	s_cbranch_execz .LBB72_357
; %bb.356:                              ;   in Loop: Header=BB72_6 Depth=1
	v_mov_b32_e32 v13, v14
	ds_store_b64 v33, v[13:14]
.LBB72_357:                             ;   in Loop: Header=BB72_6 Depth=1
	s_or_b32 exec_lo, exec_lo, s10
	v_and_b32_e32 v22, s15, v22
	v_and_b32_e32 v21, s14, v21
	v_or_b32_e32 v20, s13, v20
	v_or_b32_e32 v19, s12, v19
	s_cmp_eq_u32 s88, 0
	s_waitcnt lgkmcnt(0)
	s_barrier
	buffer_gl0_inv
	s_cbranch_scc1 .LBB72_366
; %bb.358:                              ;   in Loop: Header=BB72_6 Depth=1
	s_add_i32 s10, s88, s59
	s_mov_b32 s91, 0
	s_mul_hi_u32 s89, s10, s66
                                        ; implicit-def: $vgpr5_vgpr6
	s_delay_alu instid0(SALU_CYCLE_1) | instskip(NEXT) | instid1(SALU_CYCLE_1)
	s_mul_i32 s89, s89, s46
	s_sub_i32 s89, s10, s89
	s_delay_alu instid0(SALU_CYCLE_1) | instskip(SKIP_2) | instid1(SALU_CYCLE_1)
	s_sub_i32 s90, s89, s46
	s_cmp_ge_u32 s89, s46
	s_cselect_b32 s89, s90, s89
	s_sub_i32 s90, s89, s46
	s_cmp_ge_u32 s89, s46
	s_cselect_b32 s89, s90, s89
	s_delay_alu instid0(SALU_CYCLE_1)
	s_sub_i32 s90, s10, s89
	s_mov_b32 s89, exec_lo
	v_cmpx_gt_u32_e64 s90, v0
	s_cbranch_execz .LBB72_368
; %bb.359:                              ;   in Loop: Header=BB72_6 Depth=1
	v_mov_b32_e32 v7, v32
	v_mov_b32_e32 v9, v0
	s_mov_b32 s92, 0
                                        ; implicit-def: $sgpr91
	s_set_inst_prefetch_distance 0x1
	s_branch .LBB72_361
	.p2align	6
.LBB72_360:                             ;   in Loop: Header=BB72_361 Depth=2
	s_or_b32 exec_lo, exec_lo, s10
	s_waitcnt lgkmcnt(0)
	s_barrier
	buffer_gl0_inv
	ds_load_b128 v[3:6], v14 offset:3072
	v_add_nc_u32_e32 v9, s46, v9
	v_add_nc_u32_e32 v7, s70, v7
	s_waitcnt lgkmcnt(0)
	s_barrier
	buffer_gl0_inv
	v_cmp_le_u32_e64 s10, s90, v9
	v_cmp_neq_f64_e32 vcc_lo, 0, v[3:4]
	s_delay_alu instid0(VALU_DEP_2) | instskip(NEXT) | instid1(SALU_CYCLE_1)
	s_or_b32 s10, s10, vcc_lo
	s_and_b32 s10, exec_lo, s10
	s_delay_alu instid0(SALU_CYCLE_1) | instskip(SKIP_2) | instid1(SALU_CYCLE_1)
	s_or_b32 s92, s10, s92
	s_and_not1_b32 s10, s91, exec_lo
	s_and_b32 s91, vcc_lo, exec_lo
	s_or_b32 s91, s10, s91
	s_and_not1_b32 exec_lo, exec_lo, s92
	s_cbranch_execz .LBB72_367
.LBB72_361:                             ;   Parent Loop BB72_6 Depth=1
                                        ; =>  This Inner Loop Header: Depth=2
	v_mov_b32_e32 v3, 0
	v_mov_b32_e32 v4, 0
	v_cmp_gt_u32_e32 vcc_lo, s88, v9
	s_and_saveexec_b32 s10, vcc_lo
	s_cbranch_execz .LBB72_363
; %bb.362:                              ;   in Loop: Header=BB72_361 Depth=2
	ds_load_b64 v[3:4], v7
.LBB72_363:                             ;   in Loop: Header=BB72_361 Depth=2
	s_or_b32 exec_lo, exec_lo, s10
	s_and_saveexec_b32 s10, vcc_lo
	s_cbranch_execz .LBB72_360
; %bb.364:                              ;   in Loop: Header=BB72_361 Depth=2
	s_waitcnt lgkmcnt(0)
	v_cmp_o_f64_e32 vcc_lo, v[3:4], v[3:4]
	v_ashrrev_i32_e32 v1, 31, v4
	s_delay_alu instid0(VALU_DEP_1) | instskip(SKIP_1) | instid1(VALU_DEP_2)
	v_or_b32_e32 v5, 0x80000000, v1
	v_xor_b32_e32 v1, v1, v3
	v_xor_b32_e32 v5, v5, v4
	s_delay_alu instid0(VALU_DEP_1) | instskip(NEXT) | instid1(VALU_DEP_1)
	v_cndmask_b32_e32 v5, -1, v5, vcc_lo
	v_dual_cndmask_b32 v1, -1, v1 :: v_dual_and_b32 v6, v5, v20
	s_delay_alu instid0(VALU_DEP_1) | instskip(NEXT) | instid1(VALU_DEP_1)
	v_and_b32_e32 v5, v1, v19
	v_cmp_eq_u64_e32 vcc_lo, v[5:6], v[21:22]
	s_and_b32 exec_lo, exec_lo, vcc_lo
	s_cbranch_execz .LBB72_360
; %bb.365:                              ;   in Loop: Header=BB72_361 Depth=2
	v_mov_b32_e32 v1, v14
	ds_store_b128 v14, v[1:4] offset:3072
	s_branch .LBB72_360
.LBB72_366:                             ;   in Loop: Header=BB72_6 Depth=1
	s_mov_b32 s10, -1
	s_mov_b32 s91, 0
                                        ; implicit-def: $sgpr88
                                        ; implicit-def: $vgpr5_vgpr6
	s_branch .LBB72_369
.LBB72_367:                             ;   in Loop: Header=BB72_6 Depth=1
	s_set_inst_prefetch_distance 0x2
	s_or_b32 exec_lo, exec_lo, s92
	s_delay_alu instid0(SALU_CYCLE_1)
	s_and_b32 s91, s91, exec_lo
.LBB72_368:                             ;   in Loop: Header=BB72_6 Depth=1
	s_or_b32 exec_lo, exec_lo, s89
	s_mov_b32 s10, 0
	s_mov_b32 s88, -1
.LBB72_369:                             ;   in Loop: Header=BB72_6 Depth=1
	s_and_b32 vcc_lo, exec_lo, s10
	s_mov_b32 s89, s10
	s_cbranch_vccz .LBB72_380
; %bb.370:                              ;   in Loop: Header=BB72_6 Depth=1
	s_mov_b32 s91, 0
                                        ; implicit-def: $vgpr5_vgpr6
	s_and_saveexec_b32 s88, s9
	s_cbranch_execz .LBB72_379
; %bb.371:                              ;   in Loop: Header=BB72_6 Depth=1
	v_mov_b32_e32 v13, v15
	v_mov_b32_e32 v7, v0
	s_mov_b32 s90, 0
                                        ; implicit-def: $sgpr89
	s_branch .LBB72_373
.LBB72_372:                             ;   in Loop: Header=BB72_373 Depth=2
	s_or_b32 exec_lo, exec_lo, s10
	s_waitcnt vmcnt(0) lgkmcnt(0)
	s_barrier
	buffer_gl0_inv
	ds_load_b128 v[3:6], v14 offset:3072
	v_add_nc_u32_e32 v7, s46, v7
	v_add_nc_u32_e32 v13, s48, v13
	s_waitcnt lgkmcnt(0)
	s_barrier
	buffer_gl0_inv
	v_cmp_le_u32_e64 s10, s67, v7
	v_cmp_neq_f64_e32 vcc_lo, 0, v[3:4]
	s_delay_alu instid0(VALU_DEP_2) | instskip(NEXT) | instid1(SALU_CYCLE_1)
	s_or_b32 s10, s10, vcc_lo
	s_and_b32 s10, exec_lo, s10
	s_delay_alu instid0(SALU_CYCLE_1) | instskip(SKIP_2) | instid1(SALU_CYCLE_1)
	s_or_b32 s90, s10, s90
	s_and_not1_b32 s10, s89, exec_lo
	s_and_b32 s89, vcc_lo, exec_lo
	s_or_b32 s89, s10, s89
	s_and_not1_b32 exec_lo, exec_lo, s90
	s_cbranch_execz .LBB72_378
.LBB72_373:                             ;   Parent Loop BB72_6 Depth=1
                                        ; =>  This Inner Loop Header: Depth=2
	v_mov_b32_e32 v3, 0
	v_mov_b32_e32 v4, 0
	v_cmp_gt_u32_e32 vcc_lo, s36, v7
	s_and_saveexec_b32 s91, vcc_lo
	s_cbranch_execz .LBB72_375
; %bb.374:                              ;   in Loop: Header=BB72_373 Depth=2
	v_lshlrev_b64 v[3:4], 3, v[13:14]
	s_delay_alu instid0(VALU_DEP_1) | instskip(NEXT) | instid1(VALU_DEP_1)
	v_add_co_u32 v3, s10, s33, v3
	v_add_co_ci_u32_e64 v4, s10, s35, v4, s10
	global_load_b64 v[3:4], v[3:4], off
.LBB72_375:                             ;   in Loop: Header=BB72_373 Depth=2
	s_or_b32 exec_lo, exec_lo, s91
	s_and_saveexec_b32 s10, vcc_lo
	s_cbranch_execz .LBB72_372
; %bb.376:                              ;   in Loop: Header=BB72_373 Depth=2
	s_waitcnt vmcnt(0)
	v_cmp_o_f64_e32 vcc_lo, v[3:4], v[3:4]
	v_ashrrev_i32_e32 v1, 31, v4
	s_delay_alu instid0(VALU_DEP_1) | instskip(SKIP_1) | instid1(VALU_DEP_2)
	v_or_b32_e32 v5, 0x80000000, v1
	v_xor_b32_e32 v1, v1, v3
	v_xor_b32_e32 v5, v5, v4
	s_delay_alu instid0(VALU_DEP_1) | instskip(NEXT) | instid1(VALU_DEP_1)
	v_cndmask_b32_e32 v5, -1, v5, vcc_lo
	v_dual_cndmask_b32 v1, -1, v1 :: v_dual_and_b32 v6, v5, v20
	s_delay_alu instid0(VALU_DEP_1) | instskip(NEXT) | instid1(VALU_DEP_1)
	v_and_b32_e32 v5, v1, v19
	v_cmp_eq_u64_e32 vcc_lo, v[5:6], v[21:22]
	s_and_b32 exec_lo, exec_lo, vcc_lo
	s_cbranch_execz .LBB72_372
; %bb.377:                              ;   in Loop: Header=BB72_373 Depth=2
	v_mov_b32_e32 v1, v14
	ds_store_b128 v14, v[1:4] offset:3072
	s_branch .LBB72_372
.LBB72_378:                             ;   in Loop: Header=BB72_6 Depth=1
	s_or_b32 exec_lo, exec_lo, s90
	s_delay_alu instid0(SALU_CYCLE_1)
	s_and_b32 s91, s89, exec_lo
.LBB72_379:                             ;   in Loop: Header=BB72_6 Depth=1
	s_or_b32 exec_lo, exec_lo, s88
	s_mov_b32 s88, 0
	s_mov_b32 s10, -1
	s_mov_b32 s89, 0
.LBB72_380:                             ;   in Loop: Header=BB72_6 Depth=1
	s_or_not1_b32 s90, s91, exec_lo
.LBB72_381:                             ;   in Loop: Header=BB72_6 Depth=1
	s_or_b32 exec_lo, exec_lo, s87
	s_mov_b32 s91, 0
                                        ; implicit-def: $vgpr1
                                        ; implicit-def: $vgpr3
	s_and_saveexec_b32 s87, s90
	s_cbranch_execz .LBB72_393
; %bb.382:                              ;   in Loop: Header=BB72_6 Depth=1
	v_mov_b32_e32 v1, 1
	v_mov_b32_e32 v3, 1
	s_xor_b32 s90, s19, -1
	s_delay_alu instid0(SALU_CYCLE_1)
	s_and_saveexec_b32 s19, s90
	s_cbranch_execz .LBB72_392
; %bb.383:                              ;   in Loop: Header=BB72_6 Depth=1
	s_mov_b32 s90, exec_lo
                                        ; implicit-def: $sgpr91
	v_cmpx_ge_u32_e64 s16, v8
	s_xor_b32 s90, exec_lo, s90
	s_cbranch_execz .LBB72_389
; %bb.384:                              ;   in Loop: Header=BB72_6 Depth=1
	ds_load_b32 v1, v14 offset:4096
	s_waitcnt lgkmcnt(0)
	v_cmp_ne_u32_e32 vcc_lo, 0, v1
	s_cbranch_vccnz .LBB72_388
; %bb.385:                              ;   in Loop: Header=BB72_6 Depth=1
	s_and_saveexec_b32 s91, s5
	s_cbranch_execz .LBB72_387
; %bb.386:                              ;   in Loop: Header=BB72_6 Depth=1
	v_mov_b32_e32 v1, s16
	ds_store_b32 v14, v1 offset:4100
.LBB72_387:                             ;   in Loop: Header=BB72_6 Depth=1
	s_or_b32 exec_lo, exec_lo, s91
	s_waitcnt lgkmcnt(0)
	s_barrier
	buffer_gl0_inv
.LBB72_388:                             ;   in Loop: Header=BB72_6 Depth=1
	v_and_b32_e32 v22, s15, v22
	v_and_b32_e32 v21, s14, v21
	v_or_b32_e32 v20, s13, v20
	v_or_b32_e32 v19, s12, v19
	s_mov_b32 s91, 5
.LBB72_389:                             ;   in Loop: Header=BB72_6 Depth=1
	s_or_saveexec_b32 s12, s90
	v_mov_b32_e32 v1, s91
	s_xor_b32 exec_lo, exec_lo, s12
; %bb.390:                              ;   in Loop: Header=BB72_6 Depth=1
	v_subrev_nc_u32_e32 v8, s16, v8
	v_mov_b32_e32 v1, 5
; %bb.391:                              ;   in Loop: Header=BB72_6 Depth=1
	s_or_b32 exec_lo, exec_lo, s12
	s_delay_alu instid0(VALU_DEP_2)
	v_mov_b32_e32 v3, v8
.LBB72_392:                             ;   in Loop: Header=BB72_6 Depth=1
	s_or_b32 exec_lo, exec_lo, s19
	s_delay_alu instid0(SALU_CYCLE_1)
	s_mov_b32 s91, exec_lo
.LBB72_393:                             ;   in Loop: Header=BB72_6 Depth=1
	s_or_b32 exec_lo, exec_lo, s87
	s_delay_alu instid0(VALU_DEP_1)
	v_mov_b32_e32 v8, v3
	s_or_not1_b32 s19, s91, exec_lo
.LBB72_394:                             ;   in Loop: Header=BB72_6 Depth=1
	s_or_b32 exec_lo, exec_lo, s18
	s_delay_alu instid0(SALU_CYCLE_1)
	s_and_not1_b32 s12, s83, exec_lo
	s_and_b32 s10, s10, exec_lo
	s_and_not1_b32 s13, s85, exec_lo
	s_or_b32 s83, s12, s10
	s_and_not1_b32 s10, s84, exec_lo
	s_and_b32 s12, s88, exec_lo
	s_and_b32 s14, s89, exec_lo
	v_mov_b32_e32 v7, v8
	s_or_b32 s84, s10, s12
	s_or_b32 s85, s13, s14
	s_and_b32 s88, s19, exec_lo
.LBB72_395:                             ;   in Loop: Header=BB72_6 Depth=1
	s_or_b32 exec_lo, exec_lo, s86
	s_delay_alu instid0(SALU_CYCLE_1)
	s_and_b32 s86, s83, exec_lo
	s_and_b32 s84, s84, exec_lo
	;; [unrolled: 1-line block ×3, first 2 shown]
	s_or_not1_b32 s10, s88, exec_lo
.LBB72_396:                             ;   in Loop: Header=BB72_6 Depth=1
	s_or_b32 exec_lo, exec_lo, s20
	s_delay_alu instid0(SALU_CYCLE_1)
	s_and_not1_b32 s12, s24, exec_lo
	s_and_b32 s13, s86, exec_lo
	s_and_not1_b32 s14, s28, exec_lo
	s_or_b32 s24, s12, s13
	s_and_not1_b32 s12, s27, exec_lo
	s_and_b32 s13, s84, exec_lo
	s_and_b32 s15, s83, exec_lo
	v_mov_b32_e32 v41, v7
	s_or_b32 s27, s12, s13
	s_or_b32 s28, s14, s15
	s_and_b32 s84, s10, exec_lo
.LBB72_397:                             ;   in Loop: Header=BB72_6 Depth=1
	s_or_b32 exec_lo, exec_lo, s29
	s_delay_alu instid0(SALU_CYCLE_1)
	s_and_b32 s29, s24, exec_lo
	s_and_b32 s27, s27, exec_lo
	;; [unrolled: 1-line block ×3, first 2 shown]
	s_or_not1_b32 s28, s84, exec_lo
.LBB72_398:                             ;   in Loop: Header=BB72_6 Depth=1
	s_or_b32 exec_lo, exec_lo, s21
	s_mov_b32 s10, s22
	s_mov_b32 s12, s11
	s_and_saveexec_b32 s13, s28
; %bb.399:                              ;   in Loop: Header=BB72_6 Depth=1
	v_cmp_eq_u32_e32 vcc_lo, 5, v1
	v_cmp_ne_u32_e64 s10, 5, v1
	s_and_not1_b32 s12, s11, exec_lo
	s_and_not1_b32 s14, s22, exec_lo
	;; [unrolled: 1-line block ×3, first 2 shown]
	s_and_b32 s15, vcc_lo, exec_lo
	s_and_b32 s10, s10, exec_lo
	s_and_not1_b32 s27, s27, exec_lo
	s_and_not1_b32 s24, s24, exec_lo
	s_or_b32 s12, s12, s10
	s_or_b32 s10, s14, s15
; %bb.400:                              ;   in Loop: Header=BB72_6 Depth=1
	s_or_b32 exec_lo, exec_lo, s13
	s_delay_alu instid0(SALU_CYCLE_1)
	s_and_not1_b32 s13, s25, exec_lo
	s_and_b32 s14, s29, exec_lo
	v_dual_mov_b32 v24, v22 :: v_dual_mov_b32 v23, v21
	s_or_b32 s25, s13, s14
	s_and_not1_b32 s13, s26, exec_lo
	s_and_b32 s14, s27, exec_lo
	v_dual_mov_b32 v26, v20 :: v_dual_mov_b32 v25, v19
	v_dual_mov_b32 v10, v6 :: v_dual_mov_b32 v9, v5
	s_and_not1_b32 s15, s17, exec_lo
	s_and_b32 s16, s24, exec_lo
	s_or_b32 s26, s13, s14
	s_and_not1_b32 s11, s11, exec_lo
	s_and_b32 s12, s12, exec_lo
	s_and_not1_b32 s13, s22, exec_lo
	s_and_b32 s10, s10, exec_lo
	s_or_b32 s17, s15, s16
	s_or_b32 s11, s11, s12
	;; [unrolled: 1-line block ×3, first 2 shown]
.LBB72_401:                             ;   in Loop: Header=BB72_6 Depth=1
	s_or_b32 exec_lo, exec_lo, s23
	s_mov_b32 s24, s17
	s_mov_b32 s23, s17
	s_and_saveexec_b32 s10, s22
.LBB72_402:                             ;   in Loop: Header=BB72_6 Depth=1
	v_mov_b32_e32 v1, 0
	s_and_not1_b32 s17, s17, exec_lo
	s_and_not1_b32 s25, s25, exec_lo
	;; [unrolled: 1-line block ×5, first 2 shown]
	s_or_b32 s11, s11, exec_lo
.LBB72_403:                             ;   in Loop: Header=BB72_6 Depth=1
	s_or_b32 exec_lo, exec_lo, s10
	s_delay_alu instid0(SALU_CYCLE_1)
	s_and_not1_b32 s10, s82, exec_lo
	s_and_b32 s13, s17, exec_lo
	s_and_not1_b32 s14, s79, exec_lo
	s_or_b32 s82, s10, s13
	s_and_not1_b32 s10, s81, exec_lo
	s_and_b32 s13, s25, exec_lo
	s_and_b32 s15, s26, exec_lo
	s_or_b32 s81, s10, s13
	s_or_b32 s79, s14, s15
	s_and_not1_b32 s10, s80, exec_lo
	s_and_b32 s13, s24, exec_lo
	s_and_not1_b32 s14, s78, exec_lo
	s_and_b32 s15, s23, exec_lo
	s_mov_b32 s12, -1
	s_or_b32 s80, s10, s13
	s_or_b32 s78, s14, s15
                                        ; implicit-def: $vgpr19_vgpr20
                                        ; implicit-def: $vgpr21_vgpr22
                                        ; implicit-def: $vgpr40
                                        ; implicit-def: $vgpr5_vgpr6
	s_and_saveexec_b32 s10, s11
	s_delay_alu instid0(SALU_CYCLE_1)
	s_xor_b32 s10, exec_lo, s10
	s_cbranch_execz .LBB72_5
; %bb.404:                              ;   in Loop: Header=BB72_6 Depth=1
	s_mov_b32 s11, -1
	s_mov_b32 s13, exec_lo
	v_cmpx_eq_u32_e32 0, v1
	s_cbranch_execz .LBB72_4
; %bb.405:                              ;   in Loop: Header=BB72_6 Depth=1
	s_xor_b32 s72, s72, 1
	s_add_i32 s14, s77, -2
	s_cmp_eq_u32 s77, 0
	s_mov_b32 s77, s14
	s_cselect_b32 s11, -1, 0
	s_xor_b32 s12, exec_lo, -1
	s_or_not1_b32 s11, s11, exec_lo
	s_branch .LBB72_4
.LBB72_406:
	s_or_b32 exec_lo, exec_lo, s47
	s_xor_b32 s7, s76, -1
	s_xor_b32 s12, s74, -1
	;; [unrolled: 1-line block ×5, first 2 shown]
	s_mov_b32 s9, 0
	s_and_saveexec_b32 s10, s8
	s_delay_alu instid0(SALU_CYCLE_1)
	s_xor_b32 s8, exec_lo, s10
	s_cbranch_execz .LBB72_467
; %bb.407:
	s_mov_b32 s10, 0
	s_and_saveexec_b32 s9, s11
	s_delay_alu instid0(SALU_CYCLE_1)
	s_xor_b32 s9, exec_lo, s9
	s_cbranch_execz .LBB72_465
; %bb.408:
	s_mov_b32 s11, 0
	s_and_saveexec_b32 s10, s12
	s_delay_alu instid0(SALU_CYCLE_1)
	s_xor_b32 s10, exec_lo, s10
	s_cbranch_execz .LBB72_463
; %bb.409:
	s_mov_b32 s12, 0
	s_and_saveexec_b32 s11, s7
	s_delay_alu instid0(SALU_CYCLE_1)
	s_xor_b32 s11, exec_lo, s11
	s_cbranch_execz .LBB72_461
; %bb.410:
	s_and_saveexec_b32 s7, s6
	s_delay_alu instid0(SALU_CYCLE_1)
	s_xor_b32 s6, exec_lo, s7
; %bb.411:
	v_lshrrev_b32_e32 v1, 31, v24
	s_delay_alu instid0(VALU_DEP_1) | instskip(NEXT) | instid1(VALU_DEP_1)
	v_add_co_u32 v1, s7, v1, -1
	v_add_co_ci_u32_e64 v2, null, 0, -1, s7
	s_delay_alu instid0(VALU_DEP_2) | instskip(NEXT) | instid1(VALU_DEP_2)
	v_xor_b32_e32 v9, v1, v23
	v_or_b32_e32 v2, 0x80000000, v2
	s_delay_alu instid0(VALU_DEP_1)
	v_xor_b32_e32 v10, v2, v24
; %bb.412:
	s_or_b32 exec_lo, exec_lo, s6
	s_and_saveexec_b32 s6, s5
	s_cbranch_execz .LBB72_414
; %bb.413:
	v_mov_b32_e32 v1, 0
	ds_store_b32 v1, v1 offset:4108
.LBB72_414:
	s_or_b32 exec_lo, exec_lo, s6
	v_mov_b32_e32 v6, 0
	v_mov_b32_e32 v7, 0
	s_waitcnt lgkmcnt(0)
	s_barrier
	buffer_gl0_inv
	s_and_saveexec_b32 s5, s4
	s_cbranch_execz .LBB72_416
; %bb.415:
	global_load_b64 v[6:7], v[11:12], off
.LBB72_416:
	s_or_b32 exec_lo, exec_lo, s5
	s_mul_i32 s6, s53, s51
	v_cmp_o_f64_e32 vcc_lo, v[9:10], v[9:10]
	s_add_i32 s5, s36, 31
	s_sub_i32 s6, s49, s6
	s_add_i32 s13, s53, 1
	s_and_not1_b32 s5, s5, 31
	s_sub_i32 s15, s6, s51
	s_cmp_ge_u32 s6, s51
	s_clause 0x1
	s_load_b32 s12, s[0:1], 0x1c8
	s_load_b32 s1, s[0:1], 0x2a8
	s_cselect_b32 s0, s13, s53
	s_cselect_b32 s6, s15, s6
	s_add_i32 s13, s0, 1
	s_cmp_ge_u32 s6, s51
	s_mul_i32 s14, s52, s50
	s_cselect_b32 s0, s13, s0
	s_sub_i32 s13, s49, s14
	s_mul_i32 s6, s0, s51
	s_mul_i32 s0, s0, s44
	s_sub_i32 s6, s49, s6
	v_ashrrev_i32_e32 v2, 31, v10
	s_mul_i32 s6, s6, s45
	s_add_i32 s14, s52, 1
	s_sub_i32 s16, s13, s50
	s_add_i32 s6, s0, s6
	s_cmp_ge_u32 s13, s50
	v_or_b32_e32 v1, 0x80000000, v2
	s_cselect_b32 s0, s14, s52
	s_cselect_b32 s13, s16, s13
	s_add_i32 s14, s0, 1
	s_cmp_ge_u32 s13, s50
	v_xor_b32_e32 v3, v1, v10
	s_cselect_b32 s0, s14, s0
	v_add_nc_u32_e32 v1, s46, v0
	s_mul_i32 s13, s0, s50
	s_mov_b32 s7, 0
	s_sub_i32 s13, s49, s13
	v_xor_b32_e32 v4, v2, v9
	s_mul_i32 s0, s0, s42
	s_mul_i32 s13, s13, s43
	v_mul_lo_u32 v2, s34, v1
	s_lshl_b64 s[16:17], s[6:7], 3
	s_mov_b32 s15, s7
	s_add_i32 s14, s0, s13
	s_add_u32 s6, s30, s16
	v_dual_cndmask_b32 v5, -1, v3 :: v_dual_cndmask_b32 v4, -1, v4
	s_addc_u32 s13, s31, s17
	s_lshl_b64 s[14:15], s[14:15], 3
	s_mov_b32 s18, -1
	s_add_u32 s14, s40, s14
	s_addc_u32 s15, s41, s15
	s_mov_b32 s16, 0
	s_mov_b32 s17, exec_lo
	v_cmpx_gt_u32_e64 s5, v0
	s_cbranch_execz .LBB72_434
; %bb.417:
	v_mul_lo_u32 v8, s34, v1
	v_mov_b32_e32 v9, 0
	v_mov_b32_e32 v15, v0
                                        ; implicit-def: $sgpr18
                                        ; implicit-def: $vgpr3
	s_branch .LBB72_419
.LBB72_418:                             ;   in Loop: Header=BB72_419 Depth=1
	s_or_b32 exec_lo, exec_lo, s19
	s_xor_b32 s19, s21, -1
	s_and_b32 s0, exec_lo, s0
	s_waitcnt vmcnt(0)
	v_dual_mov_b32 v6, v13 :: v_dual_mov_b32 v7, v14
	s_or_b32 s16, s0, s16
	v_mov_b32_e32 v15, v1
	s_and_not1_b32 s0, s18, exec_lo
	s_and_b32 s18, s19, exec_lo
	s_delay_alu instid0(SALU_CYCLE_1)
	s_or_b32 s18, s0, s18
	s_and_not1_b32 exec_lo, exec_lo, s16
	s_cbranch_execz .LBB72_433
.LBB72_419:                             ; =>This Inner Loop Header: Depth=1
	v_mov_b32_e32 v13, 0
	s_delay_alu instid0(VALU_DEP_2) | instskip(SKIP_1) | instid1(VALU_DEP_1)
	v_dual_mov_b32 v14, 0 :: v_dual_add_nc_u32 v1, s46, v15
	s_mov_b32 s0, exec_lo
	v_cmpx_gt_u32_e64 s36, v1
	s_cbranch_execz .LBB72_421
; %bb.420:                              ;   in Loop: Header=BB72_419 Depth=1
	v_lshlrev_b64 v[13:14], 3, v[8:9]
	s_delay_alu instid0(VALU_DEP_1) | instskip(NEXT) | instid1(VALU_DEP_2)
	v_add_co_u32 v13, vcc_lo, s33, v13
	v_add_co_ci_u32_e32 v14, vcc_lo, s35, v14, vcc_lo
	global_load_b64 v[13:14], v[13:14], off
.LBB72_421:                             ;   in Loop: Header=BB72_419 Depth=1
	s_or_b32 exec_lo, exec_lo, s0
	s_mov_b32 s19, 0
	s_mov_b32 s0, exec_lo
	v_cmpx_gt_u32_e64 s36, v15
	s_cbranch_execz .LBB72_423
; %bb.422:                              ;   in Loop: Header=BB72_419 Depth=1
	s_waitcnt vmcnt(0)
	v_cmp_o_f64_e32 vcc_lo, v[6:7], v[6:7]
	v_ashrrev_i32_e32 v10, 31, v7
	s_delay_alu instid0(VALU_DEP_1) | instskip(SKIP_1) | instid1(VALU_DEP_2)
	v_or_b32_e32 v16, 0x80000000, v10
	v_xor_b32_e32 v10, v10, v6
	v_xor_b32_e32 v16, v16, v7
	s_delay_alu instid0(VALU_DEP_1) | instskip(NEXT) | instid1(VALU_DEP_1)
	v_dual_cndmask_b32 v17, -1, v16 :: v_dual_cndmask_b32 v16, -1, v10
	v_cmp_gt_u64_e32 vcc_lo, v[16:17], v[4:5]
	v_cndmask_b32_e64 v10, 0, 1, vcc_lo
	v_cmp_lt_u64_e32 vcc_lo, v[16:17], v[4:5]
	v_cndmask_b32_e64 v16, 0, 1, vcc_lo
	s_delay_alu instid0(VALU_DEP_1) | instskip(NEXT) | instid1(VALU_DEP_1)
	v_cndmask_b32_e64 v10, v16, v10, s3
	v_and_b32_e32 v10, 1, v10
	s_delay_alu instid0(VALU_DEP_1)
	v_cmp_eq_u32_e32 vcc_lo, 1, v10
	s_and_b32 s19, vcc_lo, exec_lo
.LBB72_423:                             ;   in Loop: Header=BB72_419 Depth=1
	s_or_b32 exec_lo, exec_lo, s0
	v_cndmask_b32_e64 v10, 0, 1, s19
	s_delay_alu instid0(VALU_DEP_1) | instskip(SKIP_2) | instid1(SALU_CYCLE_1)
	v_cmp_ne_u32_e32 vcc_lo, 0, v10
	s_cmp_lg_u32 vcc_lo, 0
	s_cselect_b32 s0, -1, 0
	s_and_b32 s0, s2, s0
	s_delay_alu instid0(SALU_CYCLE_1)
	s_and_saveexec_b32 s20, s0
	s_cbranch_execz .LBB72_427
; %bb.424:                              ;   in Loop: Header=BB72_419 Depth=1
	s_mov_b32 s23, exec_lo
	s_bcnt1_i32_b32 s21, vcc_lo
	s_waitcnt lgkmcnt(0)
	v_mbcnt_lo_u32_b32 v3, s23, 0
	s_mov_b32 s22, exec_lo
                                        ; implicit-def: $vgpr10
	s_delay_alu instid0(VALU_DEP_1)
	v_cmpx_eq_u32_e32 0, v3
	s_cbranch_execz .LBB72_426
; %bb.425:                              ;   in Loop: Header=BB72_419 Depth=1
	s_bcnt1_i32_b32 s0, s23
	s_delay_alu instid0(SALU_CYCLE_1) | instskip(NEXT) | instid1(SALU_CYCLE_1)
	s_mul_i32 s0, s21, s0
	v_mov_b32_e32 v10, s0
	ds_add_rtn_u32 v10, v9, v10 offset:4108
.LBB72_426:                             ;   in Loop: Header=BB72_419 Depth=1
	s_or_b32 exec_lo, exec_lo, s22
	s_waitcnt lgkmcnt(0)
	v_readfirstlane_b32 s0, v10
	s_delay_alu instid0(VALU_DEP_1)
	v_mad_u32_u24 v3, s21, v3, s0
.LBB72_427:                             ;   in Loop: Header=BB72_419 Depth=1
	s_or_b32 exec_lo, exec_lo, s20
	s_waitcnt lgkmcnt(0)
	ds_bpermute_b32 v3, v9, v3
	s_mov_b32 s0, -1
	s_mov_b32 s22, -1
                                        ; implicit-def: $sgpr21
	s_and_saveexec_b32 s20, s19
	s_cbranch_execz .LBB72_431
; %bb.428:                              ;   in Loop: Header=BB72_419 Depth=1
	v_and_b32_e32 v10, vcc_lo, v27
	s_mov_b32 s19, 0
	s_mov_b32 s21, exec_lo
	s_waitcnt lgkmcnt(0)
	s_delay_alu instid0(VALU_DEP_1) | instskip(NEXT) | instid1(VALU_DEP_1)
	v_bcnt_u32_b32 v10, v10, v3
	v_cmpx_gt_u32_e64 s37, v10
	s_cbranch_execz .LBB72_430
; %bb.429:                              ;   in Loop: Header=BB72_419 Depth=1
	v_mul_lo_u32 v16, v10, s12
	v_mov_b32_e32 v17, v9
	v_mul_lo_u32 v18, v10, s1
	v_mov_b32_e32 v19, v9
	s_mov_b32 s19, exec_lo
	s_delay_alu instid0(VALU_DEP_3) | instskip(SKIP_1) | instid1(VALU_DEP_3)
	v_lshlrev_b64 v[20:21], 3, v[16:17]
	v_mov_b32_e32 v16, v9
	v_lshlrev_b64 v[17:18], 3, v[18:19]
	s_delay_alu instid0(VALU_DEP_3) | instskip(NEXT) | instid1(VALU_DEP_4)
	v_add_co_u32 v19, vcc_lo, s6, v20
	v_add_co_ci_u32_e32 v20, vcc_lo, s13, v21, vcc_lo
	s_delay_alu instid0(VALU_DEP_3) | instskip(NEXT) | instid1(VALU_DEP_4)
	v_add_co_u32 v17, vcc_lo, s14, v17
	v_add_co_ci_u32_e32 v18, vcc_lo, s15, v18, vcc_lo
	s_waitcnt vmcnt(0)
	global_store_b64 v[19:20], v[6:7], off
	global_store_b64 v[17:18], v[15:16], off
.LBB72_430:                             ;   in Loop: Header=BB72_419 Depth=1
	s_or_b32 exec_lo, exec_lo, s21
	s_mov_b32 s21, -1
	s_or_not1_b32 s22, s19, exec_lo
.LBB72_431:                             ;   in Loop: Header=BB72_419 Depth=1
	s_or_b32 exec_lo, exec_lo, s20
	s_and_saveexec_b32 s19, s22
	s_cbranch_execz .LBB72_418
; %bb.432:                              ;   in Loop: Header=BB72_419 Depth=1
	v_cmp_le_u32_e32 vcc_lo, s5, v1
	v_add_nc_u32_e32 v8, s48, v8
	s_and_not1_b32 s21, s21, exec_lo
	s_or_not1_b32 s0, vcc_lo, exec_lo
	s_branch .LBB72_418
.LBB72_433:
	s_or_b32 exec_lo, exec_lo, s16
	s_delay_alu instid0(SALU_CYCLE_1)
	s_mov_b32 s16, exec_lo
	s_or_not1_b32 s18, s18, exec_lo
.LBB72_434:
	s_or_b32 exec_lo, exec_lo, s17
	s_and_saveexec_b32 s3, s18
	s_cbranch_execz .LBB72_459
; %bb.435:
	s_waitcnt vmcnt(0)
	v_mov_b32_e32 v6, 0
	v_mov_b32_e32 v7, 0
	s_waitcnt lgkmcnt(0)
	s_waitcnt_vscnt null, 0x0
	s_barrier
	buffer_gl0_inv
	s_and_saveexec_b32 s0, s4
	s_cbranch_execz .LBB72_437
; %bb.436:
	global_load_b64 v[6:7], v[11:12], off
.LBB72_437:
	s_or_b32 exec_lo, exec_lo, s0
	v_mov_b32_e32 v3, 0
	s_mov_b32 s7, 0
                                        ; implicit-def: $sgpr4
                                        ; implicit-def: $sgpr17
                                        ; implicit-def: $sgpr18
                                        ; implicit-def: $vgpr12
	s_branch .LBB72_440
.LBB72_438:                             ;   in Loop: Header=BB72_440 Depth=1
	s_or_b32 exec_lo, exec_lo, s21
	v_mov_b32_e32 v6, v10
	v_dual_mov_b32 v0, v13 :: v_dual_mov_b32 v7, v11
	s_and_not1_b32 s18, s18, exec_lo
	s_and_b32 s20, s23, exec_lo
	s_and_not1_b32 s17, s17, exec_lo
	s_and_b32 s0, s0, exec_lo
	s_or_b32 s18, s18, s20
	s_or_b32 s17, s17, s0
.LBB72_439:                             ;   in Loop: Header=BB72_440 Depth=1
	s_or_b32 exec_lo, exec_lo, s19
	s_xor_b32 s0, s18, -1
	s_and_b32 s19, exec_lo, s17
	s_delay_alu instid0(SALU_CYCLE_1) | instskip(SKIP_2) | instid1(SALU_CYCLE_1)
	s_or_b32 s7, s19, s7
	s_and_not1_b32 s4, s4, exec_lo
	s_and_b32 s0, s0, exec_lo
	s_or_b32 s4, s4, s0
	s_and_not1_b32 exec_lo, exec_lo, s7
	s_cbranch_execz .LBB72_457
.LBB72_440:                             ; =>This Inner Loop Header: Depth=1
	s_or_b32 s18, s18, exec_lo
	s_or_b32 s17, s17, exec_lo
	s_mov_b32 s19, exec_lo
	v_cmpx_gt_u32_e64 s5, v0
	s_cbranch_execz .LBB72_439
; %bb.441:                              ;   in Loop: Header=BB72_440 Depth=1
	v_dual_mov_b32 v8, 0 :: v_dual_add_nc_u32 v13, s46, v0
	v_mov_b32_e32 v9, 0
	s_mov_b32 s0, exec_lo
	s_delay_alu instid0(VALU_DEP_2)
	v_cmpx_gt_u32_e64 s36, v13
	s_cbranch_execz .LBB72_443
; %bb.442:                              ;   in Loop: Header=BB72_440 Depth=1
	v_lshlrev_b64 v[8:9], 3, v[2:3]
	s_delay_alu instid0(VALU_DEP_1) | instskip(NEXT) | instid1(VALU_DEP_2)
	v_add_co_u32 v8, vcc_lo, s33, v8
	v_add_co_ci_u32_e32 v9, vcc_lo, s35, v9, vcc_lo
	global_load_b64 v[8:9], v[8:9], off
.LBB72_443:                             ;   in Loop: Header=BB72_440 Depth=1
	s_or_b32 exec_lo, exec_lo, s0
	s_mov_b32 s21, 0
	s_mov_b32 s0, exec_lo
	v_cmpx_gt_u32_e64 s36, v0
	s_cbranch_execz .LBB72_445
; %bb.444:                              ;   in Loop: Header=BB72_440 Depth=1
	s_waitcnt vmcnt(0)
	v_cmp_o_f64_e32 vcc_lo, v[6:7], v[6:7]
	v_ashrrev_i32_e32 v1, 31, v7
	s_delay_alu instid0(VALU_DEP_1) | instskip(SKIP_1) | instid1(VALU_DEP_2)
	v_or_b32_e32 v10, 0x80000000, v1
	v_xor_b32_e32 v1, v1, v6
	v_xor_b32_e32 v10, v10, v7
	s_delay_alu instid0(VALU_DEP_1) | instskip(NEXT) | instid1(VALU_DEP_1)
	v_dual_cndmask_b32 v11, -1, v10 :: v_dual_cndmask_b32 v10, -1, v1
	v_cmp_eq_u64_e32 vcc_lo, v[10:11], v[4:5]
	s_and_b32 s21, vcc_lo, exec_lo
.LBB72_445:                             ;   in Loop: Header=BB72_440 Depth=1
	s_or_b32 exec_lo, exec_lo, s0
	v_cndmask_b32_e64 v1, 0, 1, s21
	s_delay_alu instid0(VALU_DEP_1) | instskip(SKIP_2) | instid1(SALU_CYCLE_1)
	v_cmp_ne_u32_e32 vcc_lo, 0, v1
	s_cmp_lg_u32 vcc_lo, 0
	s_cselect_b32 s0, -1, 0
	s_and_b32 s0, s2, s0
	s_delay_alu instid0(SALU_CYCLE_1)
	s_and_saveexec_b32 s20, s0
	s_cbranch_execz .LBB72_449
; %bb.446:                              ;   in Loop: Header=BB72_440 Depth=1
	s_mov_b32 s24, exec_lo
	s_bcnt1_i32_b32 s22, vcc_lo
	v_mbcnt_lo_u32_b32 v1, s24, 0
	s_mov_b32 s23, exec_lo
                                        ; implicit-def: $vgpr10
	s_delay_alu instid0(VALU_DEP_1)
	v_cmpx_eq_u32_e32 0, v1
	s_cbranch_execz .LBB72_448
; %bb.447:                              ;   in Loop: Header=BB72_440 Depth=1
	s_bcnt1_i32_b32 s0, s24
	s_delay_alu instid0(SALU_CYCLE_1) | instskip(NEXT) | instid1(SALU_CYCLE_1)
	s_mul_i32 s0, s22, s0
	v_mov_b32_e32 v10, s0
	ds_add_rtn_u32 v10, v3, v10 offset:4108
.LBB72_448:                             ;   in Loop: Header=BB72_440 Depth=1
	s_or_b32 exec_lo, exec_lo, s23
	s_waitcnt lgkmcnt(0)
	v_readfirstlane_b32 s0, v10
	s_delay_alu instid0(VALU_DEP_1)
	v_mad_u32_u24 v12, s22, v1, s0
.LBB72_449:                             ;   in Loop: Header=BB72_440 Depth=1
	s_or_b32 exec_lo, exec_lo, s20
	ds_bpermute_b32 v12, v3, v12
	s_cmp_eq_u32 vcc_lo, 0
	s_mov_b32 s22, -1
	s_cselect_b32 s20, -1, 0
	s_mov_b32 s23, -1
	s_waitcnt lgkmcnt(0)
	v_cmp_gt_u32_e64 s0, s37, v12
	s_delay_alu instid0(VALU_DEP_1)
	s_or_b32 s20, s20, s0
	s_mov_b32 s0, -1
	s_waitcnt vmcnt(0)
	v_cndmask_b32_e64 v11, v7, v9, s20
	v_cndmask_b32_e64 v10, v6, v8, s20
	s_and_b32 s24, s21, s20
	s_delay_alu instid0(SALU_CYCLE_1)
	s_and_saveexec_b32 s21, s24
	s_cbranch_execz .LBB72_455
; %bb.450:                              ;   in Loop: Header=BB72_440 Depth=1
	v_and_b32_e32 v1, vcc_lo, v27
	v_sub_nc_u32_e32 v10, s37, v12
	s_mov_b32 s24, -1
	s_mov_b32 s23, exec_lo
	s_delay_alu instid0(VALU_DEP_2) | instskip(NEXT) | instid1(VALU_DEP_1)
	v_bcnt_u32_b32 v1, v1, 0
	v_cmp_le_u32_e64 s22, v10, v1
	v_cmpx_gt_u32_e64 v10, v1
	s_cbranch_execz .LBB72_454
; %bb.451:                              ;   in Loop: Header=BB72_440 Depth=1
	v_add_nc_u32_e32 v1, v12, v1
	s_delay_alu instid0(VALU_DEP_3) | instskip(SKIP_1) | instid1(VALU_DEP_1)
	s_mov_b32 s25, s22
	s_mov_b32 s24, exec_lo
	v_cmpx_gt_u32_e64 s37, v1
	s_cbranch_execz .LBB72_453
; %bb.452:                              ;   in Loop: Header=BB72_440 Depth=1
	v_mul_lo_u32 v10, v1, s12
	v_mov_b32_e32 v11, v3
	v_mul_lo_u32 v14, v1, s1
	v_mov_b32_e32 v15, v3
	v_mov_b32_e32 v1, v3
	s_or_b32 s25, s22, exec_lo
	v_lshlrev_b64 v[10:11], 3, v[10:11]
	s_delay_alu instid0(VALU_DEP_3) | instskip(NEXT) | instid1(VALU_DEP_2)
	v_lshlrev_b64 v[14:15], 3, v[14:15]
	v_add_co_u32 v10, vcc_lo, s6, v10
	s_delay_alu instid0(VALU_DEP_3) | instskip(NEXT) | instid1(VALU_DEP_3)
	v_add_co_ci_u32_e32 v11, vcc_lo, s13, v11, vcc_lo
	v_add_co_u32 v14, vcc_lo, s14, v14
	s_delay_alu instid0(VALU_DEP_4)
	v_add_co_ci_u32_e32 v15, vcc_lo, s15, v15, vcc_lo
	global_store_b64 v[10:11], v[6:7], off
	global_store_b64 v[14:15], v[0:1], off
.LBB72_453:                             ;   in Loop: Header=BB72_440 Depth=1
	s_or_b32 exec_lo, exec_lo, s24
	s_delay_alu instid0(SALU_CYCLE_1)
	s_and_not1_b32 s22, s22, exec_lo
	s_and_b32 s25, s25, exec_lo
	s_xor_b32 s24, exec_lo, -1
	s_or_b32 s22, s22, s25
.LBB72_454:                             ;   in Loop: Header=BB72_440 Depth=1
	s_or_b32 exec_lo, exec_lo, s23
	v_dual_mov_b32 v11, v9 :: v_dual_mov_b32 v10, v8
	s_or_not1_b32 s23, s24, exec_lo
	s_or_b32 s20, s20, exec_lo
	s_or_not1_b32 s22, s22, exec_lo
.LBB72_455:                             ;   in Loop: Header=BB72_440 Depth=1
	s_or_b32 exec_lo, exec_lo, s21
	s_and_saveexec_b32 s21, s22
	s_cbranch_execz .LBB72_438
; %bb.456:                              ;   in Loop: Header=BB72_440 Depth=1
	v_add_nc_u32_e32 v2, s48, v2
	s_xor_b32 s0, s20, -1
	s_or_b32 s23, s23, exec_lo
	s_or_not1_b32 s0, s0, exec_lo
	s_branch .LBB72_438
.LBB72_457:
	s_or_b32 exec_lo, exec_lo, s7
	s_mov_b32 s0, 0
	s_and_saveexec_b32 s1, s4
	s_delay_alu instid0(SALU_CYCLE_1)
	s_xor_b32 s1, exec_lo, s1
	s_cbranch_execnz .LBB72_489
.LBB72_458:
	s_or_b32 exec_lo, exec_lo, s1
	s_delay_alu instid0(SALU_CYCLE_1)
	s_and_b32 s7, s0, exec_lo
	s_and_not1_b32 s16, s16, exec_lo
.LBB72_459:
	s_or_b32 exec_lo, exec_lo, s3
	s_and_saveexec_b32 s0, s16
	s_delay_alu instid0(SALU_CYCLE_1)
	s_xor_b32 s0, exec_lo, s0
	s_cbranch_execnz .LBB72_485
.LBB72_460:
	s_or_b32 exec_lo, exec_lo, s0
	s_waitcnt lgkmcnt(0)
	s_and_b32 s12, s7, exec_lo
.LBB72_461:
	s_and_not1_saveexec_b32 s0, s11
	s_cbranch_execnz .LBB72_481
.LBB72_462:
	s_or_b32 exec_lo, exec_lo, s0
	s_delay_alu instid0(SALU_CYCLE_1)
	s_and_b32 s11, s12, exec_lo
.LBB72_463:
	s_and_not1_saveexec_b32 s0, s10
	s_cbranch_execnz .LBB72_477
.LBB72_464:
	s_or_b32 exec_lo, exec_lo, s0
	s_delay_alu instid0(SALU_CYCLE_1)
	s_and_b32 s10, s11, exec_lo
.LBB72_465:
	s_and_not1_saveexec_b32 s0, s9
	s_cbranch_execnz .LBB72_473
.LBB72_466:
	s_or_b32 exec_lo, exec_lo, s0
	s_delay_alu instid0(SALU_CYCLE_1)
	s_and_b32 s9, s10, exec_lo
.LBB72_467:
	s_and_not1_saveexec_b32 s0, s8
	s_cbranch_execnz .LBB72_471
; %bb.468:
	s_or_b32 exec_lo, exec_lo, s0
	s_and_saveexec_b32 s0, s9
.LBB72_469:
	; divergent unreachable
.LBB72_470:
	s_nop 0
	s_sendmsg sendmsg(MSG_DEALLOC_VGPRS)
	s_endpgm
.LBB72_471:
	s_cbranch_execnz .LBB72_475
; %bb.472:
	s_or_b32 s9, s9, exec_lo
	s_or_b32 exec_lo, exec_lo, s0
	s_and_saveexec_b32 s0, s9
	s_cbranch_execnz .LBB72_469
	s_branch .LBB72_470
.LBB72_473:
	s_cbranch_execnz .LBB72_479
; %bb.474:
	s_or_b32 s10, s10, exec_lo
	s_branch .LBB72_466
.LBB72_475:
	s_trap 2
	s_sendmsg_rtn_b32 s0, sendmsg(MSG_RTN_GET_DOORBELL)
	s_mov_b32 ttmp2, m0
	s_waitcnt lgkmcnt(0)
	s_and_b32 s0, s0, 0x3ff
	s_delay_alu instid0(SALU_CYCLE_1) | instskip(NEXT) | instid1(SALU_CYCLE_1)
	s_bitset1_b32 s0, 10
	s_mov_b32 m0, s0
	s_sendmsg sendmsg(MSG_INTERRUPT)
	s_mov_b32 m0, ttmp2
.LBB72_476:                             ; =>This Inner Loop Header: Depth=1
	s_sethalt 5
	s_branch .LBB72_476
.LBB72_477:
	s_cbranch_execnz .LBB72_483
; %bb.478:
	s_or_b32 s11, s11, exec_lo
	s_branch .LBB72_464
.LBB72_479:
	s_trap 2
	s_sendmsg_rtn_b32 s0, sendmsg(MSG_RTN_GET_DOORBELL)
	s_mov_b32 ttmp2, m0
	s_waitcnt lgkmcnt(0)
	s_and_b32 s0, s0, 0x3ff
	s_delay_alu instid0(SALU_CYCLE_1) | instskip(NEXT) | instid1(SALU_CYCLE_1)
	s_bitset1_b32 s0, 10
	s_mov_b32 m0, s0
	s_sendmsg sendmsg(MSG_INTERRUPT)
	s_mov_b32 m0, ttmp2
.LBB72_480:                             ; =>This Inner Loop Header: Depth=1
	s_sethalt 5
	s_branch .LBB72_480
.LBB72_481:
	s_cbranch_execnz .LBB72_487
; %bb.482:
	s_or_b32 s12, s12, exec_lo
	s_branch .LBB72_462
.LBB72_483:
	s_trap 2
	s_sendmsg_rtn_b32 s0, sendmsg(MSG_RTN_GET_DOORBELL)
	s_mov_b32 ttmp2, m0
	s_waitcnt lgkmcnt(0)
	s_and_b32 s0, s0, 0x3ff
	s_delay_alu instid0(SALU_CYCLE_1) | instskip(NEXT) | instid1(SALU_CYCLE_1)
	s_bitset1_b32 s0, 10
	s_mov_b32 m0, s0
	s_sendmsg sendmsg(MSG_INTERRUPT)
	s_mov_b32 m0, ttmp2
.LBB72_484:                             ; =>This Inner Loop Header: Depth=1
	s_sethalt 5
	s_branch .LBB72_484
.LBB72_485:
	s_cbranch_execnz .LBB72_491
; %bb.486:
	s_or_b32 s7, s7, exec_lo
	s_branch .LBB72_460
.LBB72_487:
	s_trap 2
	s_sendmsg_rtn_b32 s0, sendmsg(MSG_RTN_GET_DOORBELL)
	s_mov_b32 ttmp2, m0
	s_waitcnt lgkmcnt(0)
	s_and_b32 s0, s0, 0x3ff
	s_delay_alu instid0(SALU_CYCLE_1) | instskip(NEXT) | instid1(SALU_CYCLE_1)
	s_bitset1_b32 s0, 10
	s_mov_b32 m0, s0
	s_sendmsg sendmsg(MSG_INTERRUPT)
	s_mov_b32 m0, ttmp2
.LBB72_488:                             ; =>This Inner Loop Header: Depth=1
	s_sethalt 5
	s_branch .LBB72_488
.LBB72_489:
	s_cbranch_execnz .LBB72_493
; %bb.490:
	s_mov_b32 s0, exec_lo
	s_branch .LBB72_458
.LBB72_491:
	s_trap 2
	s_sendmsg_rtn_b32 s0, sendmsg(MSG_RTN_GET_DOORBELL)
	s_mov_b32 ttmp2, m0
	s_waitcnt lgkmcnt(0)
	s_and_b32 s0, s0, 0x3ff
	s_delay_alu instid0(SALU_CYCLE_1) | instskip(NEXT) | instid1(SALU_CYCLE_1)
	s_bitset1_b32 s0, 10
	s_mov_b32 m0, s0
	s_sendmsg sendmsg(MSG_INTERRUPT)
	s_mov_b32 m0, ttmp2
.LBB72_492:                             ; =>This Inner Loop Header: Depth=1
	s_sethalt 5
	s_branch .LBB72_492
.LBB72_493:
	s_trap 2
	s_sendmsg_rtn_b32 s0, sendmsg(MSG_RTN_GET_DOORBELL)
	s_mov_b32 ttmp2, m0
	s_waitcnt lgkmcnt(0)
	s_and_b32 s0, s0, 0x3ff
	s_delay_alu instid0(SALU_CYCLE_1) | instskip(NEXT) | instid1(SALU_CYCLE_1)
	s_bitset1_b32 s0, 10
	s_mov_b32 m0, s0
	s_sendmsg sendmsg(MSG_INTERRUPT)
	s_mov_b32 m0, ttmp2
.LBB72_494:                             ; =>This Inner Loop Header: Depth=1
	s_sethalt 5
	s_branch .LBB72_494
	.section	.rodata,"a",@progbits
	.p2align	6, 0x0
	.amdhsa_kernel _ZN2at6native6sbtopk10gatherTopKIdjLi2ELb0EEEvNS_4cuda6detail10TensorInfoIKT_T0_EES8_S8_bS8_S8_NS5_IS6_S8_EES8_NS5_IlS8_EES8_PS6_
		.amdhsa_group_segment_fixed_size 4112
		.amdhsa_private_segment_fixed_size 0
		.amdhsa_kernarg_size 952
		.amdhsa_user_sgpr_count 13
		.amdhsa_user_sgpr_dispatch_ptr 0
		.amdhsa_user_sgpr_queue_ptr 0
		.amdhsa_user_sgpr_kernarg_segment_ptr 1
		.amdhsa_user_sgpr_dispatch_id 0
		.amdhsa_user_sgpr_private_segment_size 0
		.amdhsa_wavefront_size32 1
		.amdhsa_uses_dynamic_stack 0
		.amdhsa_enable_private_segment 0
		.amdhsa_system_sgpr_workgroup_id_x 1
		.amdhsa_system_sgpr_workgroup_id_y 1
		.amdhsa_system_sgpr_workgroup_id_z 1
		.amdhsa_system_sgpr_workgroup_info 0
		.amdhsa_system_vgpr_workitem_id 0
		.amdhsa_next_free_vgpr 55
		.amdhsa_next_free_sgpr 97
		.amdhsa_reserve_vcc 1
		.amdhsa_float_round_mode_32 0
		.amdhsa_float_round_mode_16_64 0
		.amdhsa_float_denorm_mode_32 3
		.amdhsa_float_denorm_mode_16_64 3
		.amdhsa_dx10_clamp 1
		.amdhsa_ieee_mode 1
		.amdhsa_fp16_overflow 0
		.amdhsa_workgroup_processor_mode 1
		.amdhsa_memory_ordered 1
		.amdhsa_forward_progress 0
		.amdhsa_shared_vgpr_count 0
		.amdhsa_exception_fp_ieee_invalid_op 0
		.amdhsa_exception_fp_denorm_src 0
		.amdhsa_exception_fp_ieee_div_zero 0
		.amdhsa_exception_fp_ieee_overflow 0
		.amdhsa_exception_fp_ieee_underflow 0
		.amdhsa_exception_fp_ieee_inexact 0
		.amdhsa_exception_int_div_zero 0
	.end_amdhsa_kernel
	.section	.text._ZN2at6native6sbtopk10gatherTopKIdjLi2ELb0EEEvNS_4cuda6detail10TensorInfoIKT_T0_EES8_S8_bS8_S8_NS5_IS6_S8_EES8_NS5_IlS8_EES8_PS6_,"axG",@progbits,_ZN2at6native6sbtopk10gatherTopKIdjLi2ELb0EEEvNS_4cuda6detail10TensorInfoIKT_T0_EES8_S8_bS8_S8_NS5_IS6_S8_EES8_NS5_IlS8_EES8_PS6_,comdat
.Lfunc_end72:
	.size	_ZN2at6native6sbtopk10gatherTopKIdjLi2ELb0EEEvNS_4cuda6detail10TensorInfoIKT_T0_EES8_S8_bS8_S8_NS5_IS6_S8_EES8_NS5_IlS8_EES8_PS6_, .Lfunc_end72-_ZN2at6native6sbtopk10gatherTopKIdjLi2ELb0EEEvNS_4cuda6detail10TensorInfoIKT_T0_EES8_S8_bS8_S8_NS5_IS6_S8_EES8_NS5_IlS8_EES8_PS6_
                                        ; -- End function
	.section	.AMDGPU.csdata,"",@progbits
; Kernel info:
; codeLenInByte = 17108
; NumSgprs: 99
; NumVgprs: 55
; ScratchSize: 0
; MemoryBound: 0
; FloatMode: 240
; IeeeMode: 1
; LDSByteSize: 4112 bytes/workgroup (compile time only)
; SGPRBlocks: 12
; VGPRBlocks: 6
; NumSGPRsForWavesPerEU: 99
; NumVGPRsForWavesPerEU: 55
; Occupancy: 16
; WaveLimiterHint : 1
; COMPUTE_PGM_RSRC2:SCRATCH_EN: 0
; COMPUTE_PGM_RSRC2:USER_SGPR: 13
; COMPUTE_PGM_RSRC2:TRAP_HANDLER: 0
; COMPUTE_PGM_RSRC2:TGID_X_EN: 1
; COMPUTE_PGM_RSRC2:TGID_Y_EN: 1
; COMPUTE_PGM_RSRC2:TGID_Z_EN: 1
; COMPUTE_PGM_RSRC2:TIDIG_COMP_CNT: 0
	.section	.text._ZN2at6native6mbtopk23computeBlockDigitCountsIdjmLi3EEEvNS_4cuda6detail10TensorInfoIKT_T0_EEjPjjS8_iijT1_PSB_Ps,"axG",@progbits,_ZN2at6native6mbtopk23computeBlockDigitCountsIdjmLi3EEEvNS_4cuda6detail10TensorInfoIKT_T0_EEjPjjS8_iijT1_PSB_Ps,comdat
	.protected	_ZN2at6native6mbtopk23computeBlockDigitCountsIdjmLi3EEEvNS_4cuda6detail10TensorInfoIKT_T0_EEjPjjS8_iijT1_PSB_Ps ; -- Begin function _ZN2at6native6mbtopk23computeBlockDigitCountsIdjmLi3EEEvNS_4cuda6detail10TensorInfoIKT_T0_EEjPjjS8_iijT1_PSB_Ps
	.globl	_ZN2at6native6mbtopk23computeBlockDigitCountsIdjmLi3EEEvNS_4cuda6detail10TensorInfoIKT_T0_EEjPjjS8_iijT1_PSB_Ps
	.p2align	8
	.type	_ZN2at6native6mbtopk23computeBlockDigitCountsIdjmLi3EEEvNS_4cuda6detail10TensorInfoIKT_T0_EEjPjjS8_iijT1_PSB_Ps,@function
_ZN2at6native6mbtopk23computeBlockDigitCountsIdjmLi3EEEvNS_4cuda6detail10TensorInfoIKT_T0_EEjPjjS8_iijT1_PSB_Ps: ; @_ZN2at6native6mbtopk23computeBlockDigitCountsIdjmLi3EEEvNS_4cuda6detail10TensorInfoIKT_T0_EEjPjjS8_iijT1_PSB_Ps
; %bb.0:
	s_clause 0x2
	s_load_b32 s17, s[0:1], 0xf8
	s_load_b128 s[4:7], s[0:1], 0xe8
	s_load_b64 s[2:3], s[0:1], 0x118
	s_waitcnt lgkmcnt(0)
	v_cvt_f32_u32_e32 v1, s17
	s_sub_i32 s9, 0, s17
	s_mul_i32 s3, s3, s15
	s_mov_b32 s15, 0
	s_add_i32 s3, s3, s14
	v_rcp_iflag_f32_e32 v1, v1
	s_mul_i32 s16, s3, s2
	s_delay_alu instid0(SALU_CYCLE_1) | instskip(SKIP_2) | instid1(VALU_DEP_1)
	s_add_i32 s16, s16, s13
	s_waitcnt_depctr 0xfff
	v_mul_f32_e32 v1, 0x4f7ffffe, v1
	v_cvt_u32_f32_e32 v1, v1
	s_delay_alu instid0(VALU_DEP_1) | instskip(NEXT) | instid1(VALU_DEP_1)
	v_readfirstlane_b32 s8, v1
	s_mul_i32 s9, s9, s8
	s_delay_alu instid0(SALU_CYCLE_1) | instskip(NEXT) | instid1(SALU_CYCLE_1)
	s_mul_hi_u32 s2, s8, s9
	s_add_i32 s8, s8, s2
	s_delay_alu instid0(SALU_CYCLE_1) | instskip(NEXT) | instid1(SALU_CYCLE_1)
	s_mul_hi_u32 s2, s16, s8
	s_mul_i32 s3, s2, s17
	s_add_i32 s8, s2, 1
	s_sub_i32 s3, s16, s3
	s_delay_alu instid0(SALU_CYCLE_1)
	s_sub_i32 s9, s3, s17
	s_cmp_ge_u32 s3, s17
	s_cselect_b32 s2, s8, s2
	s_cselect_b32 s3, s9, s3
	s_add_i32 s8, s2, 1
	s_cmp_ge_u32 s3, s17
	s_cselect_b32 s14, s8, s2
	s_delay_alu instid0(SALU_CYCLE_1)
	s_cmp_ge_u32 s14, s4
	s_cbranch_scc1 .LBB73_23
; %bb.1:
	s_clause 0x1
	s_load_b64 s[12:13], s[0:1], 0xc
	s_load_b128 s[8:11], s[0:1], 0x100
	s_lshl_b64 s[2:3], s[14:15], 3
	v_cmp_gt_u32_e32 vcc_lo, 0x100, v0
	v_lshlrev_b32_e32 v5, 2, v0
	s_waitcnt lgkmcnt(0)
	v_cvt_f32_u32_e32 v1, s13
	v_cvt_f32_u32_e32 v2, s12
	s_add_u32 s10, s10, s2
	s_addc_u32 s11, s11, s3
	s_sub_i32 s2, 0, s13
	v_rcp_iflag_f32_e32 v1, v1
	v_rcp_iflag_f32_e32 v2, v2
	s_waitcnt_depctr 0xfff
	v_mul_f32_e32 v1, 0x4f7ffffe, v1
	s_delay_alu instid0(VALU_DEP_1) | instskip(NEXT) | instid1(VALU_DEP_1)
	v_cvt_u32_f32_e32 v1, v1
	v_readfirstlane_b32 s4, v1
	v_mul_f32_e32 v1, 0x4f7ffffe, v2
	s_delay_alu instid0(VALU_DEP_2) | instskip(SKIP_2) | instid1(VALU_DEP_1)
	s_mul_i32 s15, s2, s4
	s_load_b64 s[2:3], s[0:1], 0x110
	s_mul_hi_u32 s15, s4, s15
	v_cvt_u32_f32_e32 v1, v1
	s_add_i32 s4, s4, s15
	s_delay_alu instid0(SALU_CYCLE_1) | instskip(NEXT) | instid1(VALU_DEP_1)
	s_mul_hi_u32 s4, s14, s4
	v_readfirstlane_b32 s20, v1
	s_mul_i32 s15, s4, s13
	s_add_i32 s18, s4, 1
	s_sub_i32 s15, s14, s15
	s_delay_alu instid0(SALU_CYCLE_1)
	s_sub_i32 s19, s15, s13
	s_cmp_ge_u32 s15, s13
	s_cselect_b32 s4, s18, s4
	s_cselect_b32 s15, s19, s15
	s_add_i32 s18, s4, 1
	s_cmp_ge_u32 s15, s13
	s_cselect_b32 s18, s18, s4
	s_and_saveexec_b32 s4, vcc_lo
	s_cbranch_execz .LBB73_3
; %bb.2:
	v_mov_b32_e32 v1, 0
	ds_store_b32 v5, v1
.LBB73_3:
	s_or_b32 exec_lo, exec_lo, s4
	s_load_b32 s4, s[0:1], 0xd8
	s_mul_i32 s15, s14, s17
	s_waitcnt lgkmcnt(0)
	s_sub_i32 s15, s16, s15
	s_barrier
	s_mul_i32 s19, s7, s15
	s_add_i32 s15, s15, 1
	s_lshl_b32 s19, s19, 8
	buffer_gl0_inv
	s_sub_i32 s21, s4, s19
	s_delay_alu instid0(SALU_CYCLE_1) | instskip(SKIP_4) | instid1(VALU_DEP_1)
	s_add_u32 s21, s21, 0xff
	s_addc_u32 s22, 0, 0
	s_cmp_lt_u32 s15, s17
	v_alignbit_b32 v1, s22, s21, 8
	s_mov_b32 s15, 0
	v_readfirstlane_b32 s21, v1
	s_delay_alu instid0(VALU_DEP_1) | instskip(NEXT) | instid1(SALU_CYCLE_1)
	s_cselect_b32 s7, s7, s21
	s_cmp_lt_i32 s7, 1
	s_cbranch_scc1 .LBB73_19
; %bb.4:
	s_sub_i32 s17, 0, s12
	s_mul_i32 s13, s18, s13
	s_mul_i32 s17, s17, s20
	s_sub_i32 s13, s14, s13
	s_mul_hi_u32 s17, s20, s17
	s_load_b64 s[10:11], s[10:11], 0x0
	s_add_i32 s17, s20, s17
	s_load_b128 s[20:23], s[0:1], 0x6c
	s_mul_hi_u32 s17, s18, s17
	s_load_b64 s[0:1], s[0:1], 0x0
	s_waitcnt lgkmcnt(0)
	s_mul_i32 s23, s17, s12
	v_add_nc_u32_e32 v6, s19, v0
	s_sub_i32 s14, s18, s23
	s_add_i32 s23, s17, 1
	s_sub_i32 s24, s14, s12
	s_cmp_ge_u32 s14, s12
	s_cselect_b32 s17, s23, s17
	s_cselect_b32 s14, s24, s14
	s_add_i32 s23, s17, 1
	s_cmp_ge_u32 s14, s12
	s_cselect_b32 s14, s23, s17
	s_delay_alu instid0(SALU_CYCLE_1) | instskip(NEXT) | instid1(SALU_CYCLE_1)
	s_mul_i32 s12, s14, s12
	s_sub_i32 s12, s18, s12
	s_mul_i32 s13, s13, s22
	s_mul_i32 s12, s12, s21
	;; [unrolled: 1-line block ×3, first 2 shown]
	s_add_i32 s12, s12, s13
	s_delay_alu instid0(SALU_CYCLE_1) | instskip(NEXT) | instid1(SALU_CYCLE_1)
	s_add_i32 s14, s12, s14
	s_lshl_b64 s[12:13], s[14:15], 3
	s_delay_alu instid0(SALU_CYCLE_1)
	s_add_u32 s12, s0, s12
	s_addc_u32 s13, s1, s13
	s_and_b32 s1, s6, 0xff
	s_cmp_eq_u32 s7, 1
	s_cbranch_scc1 .LBB73_14
; %bb.5:
	v_dual_mov_b32 v2, 0 :: v_dual_add_nc_u32 v1, 0x100, v6
	v_mul_lo_u32 v8, s5, v6
	v_dual_mov_b32 v9, 1 :: v_dual_mov_b32 v10, v6
	s_delay_alu instid0(VALU_DEP_3)
	v_mul_lo_u32 v7, s5, v1
	s_and_b32 s6, s7, 0x7ffffffe
	s_lshl_b32 s14, s5, 9
	s_mov_b32 s17, 0
	s_branch .LBB73_7
.LBB73_6:                               ;   in Loop: Header=BB73_7 Depth=1
	s_or_b32 exec_lo, exec_lo, s18
	v_add_nc_u32_e32 v10, 0x200, v10
	s_add_i32 s17, s17, 2
	s_add_i32 s15, s15, s14
	s_cmp_eq_u32 s6, s17
	s_cbranch_scc1 .LBB73_13
.LBB73_7:                               ; =>This Inner Loop Header: Depth=1
	s_mov_b32 s18, exec_lo
	v_cmpx_gt_u32_e64 s4, v10
	s_cbranch_execz .LBB73_10
; %bb.8:                                ;   in Loop: Header=BB73_7 Depth=1
	v_add_nc_u32_e32 v1, s15, v8
	s_delay_alu instid0(VALU_DEP_1) | instskip(NEXT) | instid1(VALU_DEP_1)
	v_lshlrev_b64 v[3:4], 3, v[1:2]
	v_add_co_u32 v3, s0, s12, v3
	s_delay_alu instid0(VALU_DEP_1) | instskip(SKIP_4) | instid1(VALU_DEP_1)
	v_add_co_ci_u32_e64 v4, s0, s13, v4, s0
	global_load_b64 v[3:4], v[3:4], off
	s_waitcnt vmcnt(0)
	v_cmp_o_f64_e64 s0, v[3:4], v[3:4]
	v_ashrrev_i32_e32 v1, 31, v4
	v_or_b32_e32 v11, 0x80000000, v1
	v_xor_b32_e32 v1, v1, v3
	s_delay_alu instid0(VALU_DEP_2) | instskip(NEXT) | instid1(VALU_DEP_1)
	v_xor_b32_e32 v11, v11, v4
	v_cndmask_b32_e64 v4, -1, v11, s0
	s_delay_alu instid0(VALU_DEP_3) | instskip(NEXT) | instid1(VALU_DEP_2)
	v_cndmask_b32_e64 v3, -1, v1, s0
	v_xor_b32_e32 v1, s11, v4
	s_delay_alu instid0(VALU_DEP_2) | instskip(NEXT) | instid1(VALU_DEP_2)
	v_xor_b32_e32 v11, s10, v3
	v_and_b32_e32 v12, s9, v1
	s_delay_alu instid0(VALU_DEP_2) | instskip(NEXT) | instid1(VALU_DEP_1)
	v_and_b32_e32 v11, s8, v11
	v_cmp_eq_u64_e64 s0, 0, v[11:12]
	s_delay_alu instid0(VALU_DEP_1)
	s_and_b32 exec_lo, exec_lo, s0
	s_cbranch_execz .LBB73_10
; %bb.9:                                ;   in Loop: Header=BB73_7 Depth=1
	v_lshrrev_b64 v[3:4], s1, v[3:4]
	s_delay_alu instid0(VALU_DEP_1) | instskip(NEXT) | instid1(VALU_DEP_1)
	v_and_b32_e32 v1, 0xff, v3
	v_lshlrev_b32_e32 v1, 2, v1
	ds_add_u32 v1, v9
.LBB73_10:                              ;   in Loop: Header=BB73_7 Depth=1
	s_or_b32 exec_lo, exec_lo, s18
	v_add_nc_u32_e32 v1, 0x100, v10
	s_mov_b32 s18, exec_lo
	s_delay_alu instid0(VALU_DEP_1)
	v_cmpx_gt_u32_e64 s4, v1
	s_cbranch_execz .LBB73_6
; %bb.11:                               ;   in Loop: Header=BB73_7 Depth=1
	v_add_nc_u32_e32 v1, s15, v7
	s_delay_alu instid0(VALU_DEP_1) | instskip(NEXT) | instid1(VALU_DEP_1)
	v_lshlrev_b64 v[3:4], 3, v[1:2]
	v_add_co_u32 v3, s0, s12, v3
	s_delay_alu instid0(VALU_DEP_1) | instskip(SKIP_4) | instid1(VALU_DEP_1)
	v_add_co_ci_u32_e64 v4, s0, s13, v4, s0
	global_load_b64 v[3:4], v[3:4], off
	s_waitcnt vmcnt(0)
	v_cmp_o_f64_e64 s0, v[3:4], v[3:4]
	v_ashrrev_i32_e32 v1, 31, v4
	v_or_b32_e32 v11, 0x80000000, v1
	v_xor_b32_e32 v1, v1, v3
	s_delay_alu instid0(VALU_DEP_2) | instskip(NEXT) | instid1(VALU_DEP_1)
	v_xor_b32_e32 v11, v11, v4
	v_cndmask_b32_e64 v4, -1, v11, s0
	s_delay_alu instid0(VALU_DEP_3) | instskip(NEXT) | instid1(VALU_DEP_2)
	v_cndmask_b32_e64 v3, -1, v1, s0
	v_xor_b32_e32 v1, s11, v4
	s_delay_alu instid0(VALU_DEP_2) | instskip(NEXT) | instid1(VALU_DEP_2)
	v_xor_b32_e32 v11, s10, v3
	v_and_b32_e32 v12, s9, v1
	s_delay_alu instid0(VALU_DEP_2) | instskip(NEXT) | instid1(VALU_DEP_1)
	v_and_b32_e32 v11, s8, v11
	v_cmp_eq_u64_e64 s0, 0, v[11:12]
	s_delay_alu instid0(VALU_DEP_1)
	s_and_b32 exec_lo, exec_lo, s0
	s_cbranch_execz .LBB73_6
; %bb.12:                               ;   in Loop: Header=BB73_7 Depth=1
	v_lshrrev_b64 v[3:4], s1, v[3:4]
	s_delay_alu instid0(VALU_DEP_1) | instskip(NEXT) | instid1(VALU_DEP_1)
	v_and_b32_e32 v1, 0xff, v3
	v_lshlrev_b32_e32 v1, 2, v1
	ds_add_u32 v1, v9
	s_branch .LBB73_6
.LBB73_13:
	s_lshl_b32 s15, s6, 8
.LBB73_14:
	s_bitcmp0_b32 s7, 0
	s_cbranch_scc1 .LBB73_19
; %bb.15:
	v_add_nc_u32_e32 v1, s15, v6
	s_delay_alu instid0(VALU_DEP_1) | instskip(NEXT) | instid1(VALU_DEP_1)
	v_cmp_gt_u32_e64 s0, s4, v1
	s_and_saveexec_b32 s4, s0
	s_cbranch_execz .LBB73_18
; %bb.16:
	v_mul_lo_u32 v1, v1, s5
	v_mov_b32_e32 v2, 0
	s_delay_alu instid0(VALU_DEP_1) | instskip(NEXT) | instid1(VALU_DEP_1)
	v_lshlrev_b64 v[1:2], 3, v[1:2]
	v_add_co_u32 v1, s0, s12, v1
	s_delay_alu instid0(VALU_DEP_1) | instskip(SKIP_4) | instid1(VALU_DEP_1)
	v_add_co_ci_u32_e64 v2, s0, s13, v2, s0
	global_load_b64 v[1:2], v[1:2], off
	s_waitcnt vmcnt(0)
	v_cmp_o_f64_e64 s0, v[1:2], v[1:2]
	v_ashrrev_i32_e32 v3, 31, v2
	v_or_b32_e32 v4, 0x80000000, v3
	v_xor_b32_e32 v1, v3, v1
	s_delay_alu instid0(VALU_DEP_2) | instskip(NEXT) | instid1(VALU_DEP_1)
	v_xor_b32_e32 v4, v4, v2
	v_cndmask_b32_e64 v2, -1, v4, s0
	s_delay_alu instid0(VALU_DEP_3) | instskip(NEXT) | instid1(VALU_DEP_2)
	v_cndmask_b32_e64 v1, -1, v1, s0
	v_xor_b32_e32 v3, s11, v2
	s_delay_alu instid0(VALU_DEP_2) | instskip(NEXT) | instid1(VALU_DEP_2)
	v_xor_b32_e32 v6, s10, v1
	v_and_b32_e32 v4, s9, v3
	s_delay_alu instid0(VALU_DEP_2) | instskip(NEXT) | instid1(VALU_DEP_1)
	v_and_b32_e32 v3, s8, v6
	v_cmp_eq_u64_e64 s0, 0, v[3:4]
	s_delay_alu instid0(VALU_DEP_1)
	s_and_b32 exec_lo, exec_lo, s0
	s_cbranch_execz .LBB73_18
; %bb.17:
	v_lshrrev_b64 v[1:2], s1, v[1:2]
	s_delay_alu instid0(VALU_DEP_1) | instskip(NEXT) | instid1(VALU_DEP_1)
	v_dual_mov_b32 v2, 1 :: v_dual_and_b32 v1, 0xff, v1
	v_lshlrev_b32_e32 v1, 2, v1
	ds_add_u32 v1, v2
.LBB73_18:
	s_or_b32 exec_lo, exec_lo, s4
.LBB73_19:
	v_mov_b32_e32 v1, 0
	s_waitcnt lgkmcnt(0)
	s_barrier
	buffer_gl0_inv
	s_and_saveexec_b32 s0, vcc_lo
	s_cbranch_execz .LBB73_21
; %bb.20:
	ds_load_b32 v1, v5
.LBB73_21:
	s_or_b32 exec_lo, exec_lo, s0
	s_and_saveexec_b32 s0, vcc_lo
	s_cbranch_execz .LBB73_23
; %bb.22:
	v_lshl_or_b32 v2, s16, 8, v0
	v_mov_b32_e32 v3, 0
	s_delay_alu instid0(VALU_DEP_1) | instskip(NEXT) | instid1(VALU_DEP_1)
	v_lshlrev_b64 v[2:3], 1, v[2:3]
	v_add_co_u32 v2, vcc_lo, s2, v2
	s_delay_alu instid0(VALU_DEP_2)
	v_add_co_ci_u32_e32 v3, vcc_lo, s3, v3, vcc_lo
	s_waitcnt lgkmcnt(0)
	global_store_b16 v[2:3], v1, off
.LBB73_23:
	s_nop 0
	s_sendmsg sendmsg(MSG_DEALLOC_VGPRS)
	s_endpgm
	.section	.rodata,"a",@progbits
	.p2align	6, 0x0
	.amdhsa_kernel _ZN2at6native6mbtopk23computeBlockDigitCountsIdjmLi3EEEvNS_4cuda6detail10TensorInfoIKT_T0_EEjPjjS8_iijT1_PSB_Ps
		.amdhsa_group_segment_fixed_size 1024
		.amdhsa_private_segment_fixed_size 0
		.amdhsa_kernarg_size 536
		.amdhsa_user_sgpr_count 13
		.amdhsa_user_sgpr_dispatch_ptr 0
		.amdhsa_user_sgpr_queue_ptr 0
		.amdhsa_user_sgpr_kernarg_segment_ptr 1
		.amdhsa_user_sgpr_dispatch_id 0
		.amdhsa_user_sgpr_private_segment_size 0
		.amdhsa_wavefront_size32 1
		.amdhsa_uses_dynamic_stack 0
		.amdhsa_enable_private_segment 0
		.amdhsa_system_sgpr_workgroup_id_x 1
		.amdhsa_system_sgpr_workgroup_id_y 1
		.amdhsa_system_sgpr_workgroup_id_z 1
		.amdhsa_system_sgpr_workgroup_info 0
		.amdhsa_system_vgpr_workitem_id 0
		.amdhsa_next_free_vgpr 13
		.amdhsa_next_free_sgpr 25
		.amdhsa_reserve_vcc 1
		.amdhsa_float_round_mode_32 0
		.amdhsa_float_round_mode_16_64 0
		.amdhsa_float_denorm_mode_32 3
		.amdhsa_float_denorm_mode_16_64 3
		.amdhsa_dx10_clamp 1
		.amdhsa_ieee_mode 1
		.amdhsa_fp16_overflow 0
		.amdhsa_workgroup_processor_mode 1
		.amdhsa_memory_ordered 1
		.amdhsa_forward_progress 0
		.amdhsa_shared_vgpr_count 0
		.amdhsa_exception_fp_ieee_invalid_op 0
		.amdhsa_exception_fp_denorm_src 0
		.amdhsa_exception_fp_ieee_div_zero 0
		.amdhsa_exception_fp_ieee_overflow 0
		.amdhsa_exception_fp_ieee_underflow 0
		.amdhsa_exception_fp_ieee_inexact 0
		.amdhsa_exception_int_div_zero 0
	.end_amdhsa_kernel
	.section	.text._ZN2at6native6mbtopk23computeBlockDigitCountsIdjmLi3EEEvNS_4cuda6detail10TensorInfoIKT_T0_EEjPjjS8_iijT1_PSB_Ps,"axG",@progbits,_ZN2at6native6mbtopk23computeBlockDigitCountsIdjmLi3EEEvNS_4cuda6detail10TensorInfoIKT_T0_EEjPjjS8_iijT1_PSB_Ps,comdat
.Lfunc_end73:
	.size	_ZN2at6native6mbtopk23computeBlockDigitCountsIdjmLi3EEEvNS_4cuda6detail10TensorInfoIKT_T0_EEjPjjS8_iijT1_PSB_Ps, .Lfunc_end73-_ZN2at6native6mbtopk23computeBlockDigitCountsIdjmLi3EEEvNS_4cuda6detail10TensorInfoIKT_T0_EEjPjjS8_iijT1_PSB_Ps
                                        ; -- End function
	.section	.AMDGPU.csdata,"",@progbits
; Kernel info:
; codeLenInByte = 1480
; NumSgprs: 27
; NumVgprs: 13
; ScratchSize: 0
; MemoryBound: 0
; FloatMode: 240
; IeeeMode: 1
; LDSByteSize: 1024 bytes/workgroup (compile time only)
; SGPRBlocks: 3
; VGPRBlocks: 1
; NumSGPRsForWavesPerEU: 27
; NumVGPRsForWavesPerEU: 13
; Occupancy: 16
; WaveLimiterHint : 1
; COMPUTE_PGM_RSRC2:SCRATCH_EN: 0
; COMPUTE_PGM_RSRC2:USER_SGPR: 13
; COMPUTE_PGM_RSRC2:TRAP_HANDLER: 0
; COMPUTE_PGM_RSRC2:TGID_X_EN: 1
; COMPUTE_PGM_RSRC2:TGID_Y_EN: 1
; COMPUTE_PGM_RSRC2:TGID_Z_EN: 1
; COMPUTE_PGM_RSRC2:TIDIG_COMP_CNT: 0
	.section	.text._ZN2at6native6mbtopk10gatherTopKIdjLi3EEEvNS_4cuda6detail10TensorInfoIKT_T0_EES8_S8_bjS8_NS5_IS6_S8_EES8_NS5_IlS8_EES8_jjPS6_PjSD_j,"axG",@progbits,_ZN2at6native6mbtopk10gatherTopKIdjLi3EEEvNS_4cuda6detail10TensorInfoIKT_T0_EES8_S8_bjS8_NS5_IS6_S8_EES8_NS5_IlS8_EES8_jjPS6_PjSD_j,comdat
	.protected	_ZN2at6native6mbtopk10gatherTopKIdjLi3EEEvNS_4cuda6detail10TensorInfoIKT_T0_EES8_S8_bjS8_NS5_IS6_S8_EES8_NS5_IlS8_EES8_jjPS6_PjSD_j ; -- Begin function _ZN2at6native6mbtopk10gatherTopKIdjLi3EEEvNS_4cuda6detail10TensorInfoIKT_T0_EES8_S8_bjS8_NS5_IS6_S8_EES8_NS5_IlS8_EES8_jjPS6_PjSD_j
	.globl	_ZN2at6native6mbtopk10gatherTopKIdjLi3EEEvNS_4cuda6detail10TensorInfoIKT_T0_EES8_S8_bjS8_NS5_IS6_S8_EES8_NS5_IlS8_EES8_jjPS6_PjSD_j
	.p2align	8
	.type	_ZN2at6native6mbtopk10gatherTopKIdjLi3EEEvNS_4cuda6detail10TensorInfoIKT_T0_EES8_S8_bjS8_NS5_IS6_S8_EES8_NS5_IlS8_EES8_jjPS6_PjSD_j,@function
_ZN2at6native6mbtopk10gatherTopKIdjLi3EEEvNS_4cuda6detail10TensorInfoIKT_T0_EES8_S8_bjS8_NS5_IS6_S8_EES8_NS5_IlS8_EES8_jjPS6_PjSD_j: ; @_ZN2at6native6mbtopk10gatherTopKIdjLi3EEEvNS_4cuda6detail10TensorInfoIKT_T0_EES8_S8_bjS8_NS5_IS6_S8_EES8_NS5_IlS8_EES8_jjPS6_PjSD_j
; %bb.0:
	s_clause 0x1
	s_load_b64 s[2:3], s[0:1], 0x2d8
	s_load_b32 s4, s[0:1], 0x2d0
	s_waitcnt lgkmcnt(0)
	s_mul_i32 s3, s3, s15
	s_delay_alu instid0(SALU_CYCLE_1) | instskip(NEXT) | instid1(SALU_CYCLE_1)
	s_add_i32 s3, s3, s14
	s_mul_i32 s2, s3, s2
	s_delay_alu instid0(SALU_CYCLE_1) | instskip(NEXT) | instid1(SALU_CYCLE_1)
	s_add_i32 s2, s2, s13
	s_cmp_ge_u32 s2, s4
	s_cbranch_scc1 .LBB74_40
; %bb.1:
	s_clause 0x6
	s_load_b256 s[4:11], s[0:1], 0x2a8
	s_load_b64 s[38:39], s[0:1], 0xc
	s_load_b64 s[36:37], s[0:1], 0xfc
	;; [unrolled: 1-line block ×4, first 2 shown]
	s_load_b128 s[16:19], s[0:1], 0x15c
	s_load_b64 s[28:29], s[0:1], 0x1d0
	s_mov_b32 s41, 0
	s_waitcnt lgkmcnt(0)
	v_cvt_f32_u32_e32 v1, s6
	v_cvt_f32_u32_e32 v2, s39
	s_sub_i32 s3, 0, s6
	v_cvt_f32_u32_e32 v3, s38
	v_cvt_f32_u32_e32 v4, s37
	v_rcp_iflag_f32_e32 v1, v1
	v_rcp_iflag_f32_e32 v2, v2
	v_cvt_f32_u32_e32 v5, s36
	v_rcp_iflag_f32_e32 v3, v3
	v_rcp_iflag_f32_e32 v4, v4
	v_cvt_f32_u32_e32 v6, s35
	s_delay_alu instid0(VALU_DEP_2) | instskip(NEXT) | instid1(VALU_DEP_1)
	v_rcp_iflag_f32_e32 v5, v5
	v_rcp_iflag_f32_e32 v6, v6
	v_dual_mul_f32 v1, 0x4f7ffffe, v1 :: v_dual_mul_f32 v2, 0x4f7ffffe, v2
	v_mul_f32_e32 v3, 0x4f7ffffe, v3
	s_delay_alu instid0(VALU_DEP_2) | instskip(NEXT) | instid1(VALU_DEP_3)
	v_cvt_u32_f32_e32 v1, v1
	v_cvt_u32_f32_e32 v2, v2
	s_delay_alu instid0(VALU_DEP_2) | instskip(NEXT) | instid1(VALU_DEP_2)
	v_readfirstlane_b32 s7, v1
	v_readfirstlane_b32 s14, v2
	v_mul_f32_e32 v2, 0x4f7ffffe, v4
	v_cvt_u32_f32_e32 v3, v3
	s_delay_alu instid0(TRANS32_DEP_1) | instskip(SKIP_1) | instid1(VALU_DEP_3)
	v_dual_mul_f32 v4, 0x4f7ffffe, v5 :: v_dual_mul_f32 v5, 0x4f7ffffe, v6
	s_mul_i32 s3, s3, s7
	v_cvt_u32_f32_e32 v2, v2
	s_mul_hi_u32 s3, s7, s3
	v_cvt_f32_u32_e32 v1, s34
	s_add_i32 s7, s7, s3
	s_delay_alu instid0(SALU_CYCLE_1) | instskip(NEXT) | instid1(SALU_CYCLE_1)
	s_mul_hi_u32 s3, s2, s7
	s_mul_i32 s7, s3, s6
	s_add_i32 s12, s3, 1
	s_sub_i32 s7, s2, s7
	v_rcp_iflag_f32_e32 v1, v1
	s_sub_i32 s13, s7, s6
	s_cmp_ge_u32 s7, s6
	s_cselect_b32 s3, s12, s3
	s_cselect_b32 s7, s13, s7
	s_add_i32 s12, s3, 1
	s_cmp_ge_u32 s7, s6
	s_cselect_b32 s40, s12, s3
	s_sub_i32 s3, 0, s39
	s_mul_i32 s24, s40, s6
	s_mul_i32 s3, s3, s14
	s_sub_i32 s7, s2, s24
	s_mul_hi_u32 s3, s14, s3
	s_waitcnt_depctr 0xfff
	v_mul_f32_e32 v1, 0x4f7ffffe, v1
	s_add_i32 s14, s14, s3
	s_delay_alu instid0(SALU_CYCLE_1)
	s_mul_hi_u32 s3, s40, s14
	v_readfirstlane_b32 s14, v2
	s_mul_i32 s12, s3, s39
	v_cvt_u32_f32_e32 v2, v4
	s_sub_i32 s2, s40, s12
	s_add_i32 s12, s3, 1
	s_sub_i32 s13, s2, s39
	s_cmp_ge_u32 s2, s39
	v_cvt_u32_f32_e32 v1, v1
	s_cselect_b32 s3, s12, s3
	s_cselect_b32 s2, s13, s2
	s_add_i32 s12, s3, 1
	s_cmp_ge_u32 s2, s39
	v_readfirstlane_b32 s20, v1
	s_cselect_b32 s50, s12, s3
	s_sub_i32 s2, 0, s37
	v_readfirstlane_b32 s3, v3
	s_mul_i32 s2, s2, s14
	s_sub_i32 s12, 0, s38
	s_mul_hi_u32 s2, s14, s2
	v_cvt_u32_f32_e32 v3, v5
	s_add_i32 s14, s14, s2
	s_mul_i32 s12, s12, s3
	s_mul_hi_u32 s2, s40, s14
	s_mul_hi_u32 s12, s3, s12
	s_mul_i32 s13, s2, s37
	s_add_i32 s25, s3, s12
	s_sub_i32 s3, s40, s13
	s_add_i32 s12, s2, 1
	s_sub_i32 s13, s3, s37
	s_cmp_ge_u32 s3, s37
	v_readfirstlane_b32 s14, v3
	s_cselect_b32 s2, s12, s2
	s_cselect_b32 s3, s13, s3
	s_add_i32 s12, s2, 1
	s_cmp_ge_u32 s3, s37
	v_readfirstlane_b32 s3, v2
	s_cselect_b32 s33, s12, s2
	s_sub_i32 s2, 0, s35
	s_sub_i32 s12, 0, s36
	s_mul_i32 s2, s2, s14
	s_mul_i32 s12, s12, s3
	s_mul_hi_u32 s2, s14, s2
	s_mul_hi_u32 s12, s3, s12
	s_add_i32 s14, s14, s2
	s_add_i32 s26, s3, s12
	s_mul_hi_u32 s2, s40, s14
	s_mul_hi_u32 s51, s50, s25
	s_mul_i32 s13, s2, s35
	s_add_i32 s12, s2, 1
	s_sub_i32 s3, s40, s13
	s_delay_alu instid0(SALU_CYCLE_1)
	s_sub_i32 s13, s3, s35
	s_cmp_ge_u32 s3, s35
	s_cselect_b32 s2, s12, s2
	s_cselect_b32 s3, s13, s3
	s_add_i32 s12, s2, 1
	s_cmp_ge_u32 s3, s35
	s_cselect_b32 s19, s12, s2
	s_sub_i32 s2, 0, s34
	s_load_b128 s[12:15], s[0:1], 0x23c
	s_mul_i32 s2, s2, s20
	s_waitcnt lgkmcnt(0)
	s_mul_hi_u32 s15, s20, s2
	s_lshl_b64 s[2:3], s[40:41], 3
	s_add_i32 s15, s20, s15
	s_add_u32 s2, s8, s2
	s_addc_u32 s3, s9, s3
	s_clause 0x1
	s_load_b64 s[44:45], s[0:1], 0xf0
	s_load_b128 s[20:23], s[0:1], 0x6c
	s_load_b64 s[42:43], s[2:3], 0x0
	v_cmp_ne_u32_e64 s2, 0, v0
	v_cmp_eq_u32_e64 s3, 0, v0
	s_waitcnt lgkmcnt(0)
	s_mul_hi_u32 s23, s33, s26
	s_mul_hi_u32 s15, s19, s15
	s_delay_alu instid0(VALU_DEP_1)
	s_and_saveexec_b32 s52, s3
	s_cbranch_execz .LBB74_17
; %bb.2:
	s_load_b64 s[8:9], s[0:1], 0x2c8
	s_mov_b32 s25, s41
	s_delay_alu instid0(SALU_CYCLE_1) | instskip(NEXT) | instid1(SALU_CYCLE_1)
	s_lshl_b64 s[46:47], s[24:25], 2
	s_add_u32 s24, s10, s46
	s_addc_u32 s25, s11, s47
	s_waitcnt lgkmcnt(0)
	s_add_u32 s26, s8, s46
	s_addc_u32 s27, s9, s47
	s_cmp_lt_u32 s6, 4
	s_cbranch_scc1 .LBB74_14
; %bb.3:
	s_mov_b32 s53, s41
	s_mov_b32 s54, s41
	;; [unrolled: 1-line block ×3, first 2 shown]
.LBB74_4:                               ; =>This Inner Loop Header: Depth=1
	s_add_u32 s24, s10, s46
	s_addc_u32 s25, s11, s47
	s_add_u32 s48, s8, s46
	s_load_b128 s[24:27], s[24:25], 0x0
	s_addc_u32 s49, s9, s47
	s_cmp_ge_u32 s55, s7
	s_cbranch_scc0 .LBB74_11
; %bb.5:                                ;   in Loop: Header=BB74_4 Depth=1
	s_add_i32 s56, s55, 1
	s_delay_alu instid0(SALU_CYCLE_1)
	s_cmp_ge_u32 s56, s7
	s_cbranch_scc0 .LBB74_12
.LBB74_6:                               ;   in Loop: Header=BB74_4 Depth=1
	s_add_i32 s56, s56, 1
	s_delay_alu instid0(SALU_CYCLE_1)
	s_cmp_ge_u32 s56, s7
	s_cbranch_scc0 .LBB74_13
.LBB74_7:                               ;   in Loop: Header=BB74_4 Depth=1
	s_add_i32 s56, s56, 1
	s_delay_alu instid0(SALU_CYCLE_1)
	s_cmp_ge_u32 s56, s7
	s_cbranch_scc1 .LBB74_9
.LBB74_8:                               ;   in Loop: Header=BB74_4 Depth=1
	s_load_b32 s48, s[48:49], 0xc
	s_waitcnt lgkmcnt(0)
	s_add_i32 s41, s41, s27
	s_add_i32 s53, s48, s53
.LBB74_9:                               ;   in Loop: Header=BB74_4 Depth=1
	s_waitcnt lgkmcnt(0)
	s_add_i32 s24, s24, s54
	s_delay_alu instid0(SALU_CYCLE_1) | instskip(NEXT) | instid1(SALU_CYCLE_1)
	s_add_i32 s24, s24, s25
	s_add_i32 s24, s24, s26
	s_delay_alu instid0(SALU_CYCLE_1)
	s_add_i32 s54, s24, s27
	s_add_u32 s10, s10, 16
	s_addc_u32 s11, s11, 0
	s_add_u32 s8, s8, 16
	s_addc_u32 s9, s9, 0
	s_add_i32 s49, s56, 4
	s_add_u32 s26, s8, s46
	s_addc_u32 s27, s9, s47
	s_add_u32 s24, s10, s46
	s_addc_u32 s25, s11, s47
	s_add_i32 s48, s56, 1
	s_cmp_ge_u32 s49, s6
	s_cbranch_scc1 .LBB74_15
; %bb.10:                               ;   in Loop: Header=BB74_4 Depth=1
	s_mov_b32 s55, s48
	s_branch .LBB74_4
.LBB74_11:                              ;   in Loop: Header=BB74_4 Depth=1
	s_load_b32 s56, s[48:49], 0x0
	s_waitcnt lgkmcnt(0)
	s_add_i32 s41, s24, s41
	s_add_i32 s53, s56, s53
	;; [unrolled: 1-line block ×3, first 2 shown]
	s_delay_alu instid0(SALU_CYCLE_1)
	s_cmp_ge_u32 s56, s7
	s_cbranch_scc1 .LBB74_6
.LBB74_12:                              ;   in Loop: Header=BB74_4 Depth=1
	s_load_b32 s57, s[48:49], 0x4
	s_waitcnt lgkmcnt(0)
	s_add_i32 s41, s41, s25
	s_add_i32 s53, s57, s53
	;; [unrolled: 1-line block ×3, first 2 shown]
	s_delay_alu instid0(SALU_CYCLE_1)
	s_cmp_ge_u32 s56, s7
	s_cbranch_scc1 .LBB74_7
.LBB74_13:                              ;   in Loop: Header=BB74_4 Depth=1
	s_load_b32 s57, s[48:49], 0x8
	s_waitcnt lgkmcnt(0)
	s_add_i32 s41, s41, s26
	s_add_i32 s53, s57, s53
	;; [unrolled: 1-line block ×3, first 2 shown]
	s_delay_alu instid0(SALU_CYCLE_1)
	s_cmp_ge_u32 s56, s7
	s_cbranch_scc0 .LBB74_8
	s_branch .LBB74_9
.LBB74_14:
	s_mov_b32 s53, 0
	s_mov_b32 s54, 0
	;; [unrolled: 1-line block ×3, first 2 shown]
	s_delay_alu instid0(SALU_CYCLE_1)
	s_cmp_ge_u32 s8, s6
	s_cbranch_scc0 .LBB74_38
	s_branch .LBB74_16
.LBB74_15:
	s_add_i32 s8, s55, 4
	s_delay_alu instid0(SALU_CYCLE_1)
	s_cmp_ge_u32 s8, s6
	s_cbranch_scc0 .LBB74_38
.LBB74_16:
	v_dual_mov_b32 v1, s53 :: v_dual_mov_b32 v2, s54
	v_dual_mov_b32 v3, s41 :: v_dual_mov_b32 v4, 0
	ds_store_b96 v4, v[1:3] offset:1056
.LBB74_17:
	s_or_b32 exec_lo, exec_lo, s52
	s_load_b128 s[8:11], s[0:1], 0xd8
	s_waitcnt lgkmcnt(0)
	s_mul_i32 s11, s5, s7
	s_add_i32 s7, s7, 1
	s_lshl_b32 s24, s11, 8
	s_barrier
	buffer_gl0_inv
	s_sub_i32 s11, s8, s24
	s_delay_alu instid0(SALU_CYCLE_1) | instskip(SKIP_4) | instid1(VALU_DEP_1)
	s_add_u32 s11, s11, 0xff
	s_addc_u32 s25, 0, 0
	s_cmp_lt_u32 s7, s6
	v_alignbit_b32 v1, s25, s11, 8
	s_mov_b32 s7, 0
	v_readfirstlane_b32 s11, v1
	s_delay_alu instid0(VALU_DEP_1) | instskip(NEXT) | instid1(SALU_CYCLE_1)
	s_cselect_b32 s5, s5, s11
	s_cmp_eq_u32 s5, 0
	s_cbranch_scc1 .LBB74_40
; %bb.18:
	s_mul_i32 s11, s51, s38
	s_mul_i32 s6, s50, s39
	s_sub_i32 s11, s50, s11
	s_sub_i32 s6, s40, s6
	s_add_i32 s25, s51, 1
	s_sub_i32 s26, s11, s38
	s_cmp_ge_u32 s11, s38
	s_mul_i32 s6, s6, s22
	s_cselect_b32 s25, s25, s51
	s_cselect_b32 s11, s26, s11
	s_add_i32 s26, s25, 1
	s_cmp_ge_u32 s11, s38
	s_mul_i32 s11, s33, s37
	s_cselect_b32 s25, s26, s25
	s_mul_i32 s26, s23, s36
	s_mul_i32 s27, s25, s38
	;; [unrolled: 1-line block ×3, first 2 shown]
	s_sub_i32 s22, s50, s27
	s_sub_i32 s20, s33, s26
	s_mul_i32 s21, s22, s21
	s_sub_i32 s11, s40, s11
	s_add_i32 s6, s21, s6
	s_add_i32 s21, s23, 1
	;; [unrolled: 1-line block ×3, first 2 shown]
	s_sub_i32 s22, s20, s36
	s_cmp_ge_u32 s20, s36
	s_mul_i32 s11, s11, s18
	s_cselect_b32 s21, s21, s23
	s_cselect_b32 s20, s22, s20
	s_add_i32 s22, s21, 1
	s_cmp_ge_u32 s20, s36
	s_mul_i32 s23, s15, s34
	s_cselect_b32 s20, s22, s21
	s_mul_i32 s21, s19, s35
	s_mul_i32 s22, s20, s36
	s_mul_i32 s20, s20, s16
	s_sub_i32 s22, s33, s22
	s_add_i32 s18, s15, 1
	s_mul_i32 s17, s22, s17
	v_dual_mov_b32 v5, 0 :: v_dual_add_nc_u32 v6, -1, v0
	s_add_i32 s11, s17, s11
	s_sub_i32 s17, s40, s21
	v_cmp_o_f64_e64 s21, s[42:43], s[42:43]
	s_add_i32 s16, s11, s20
	s_sub_i32 s11, s19, s23
	s_mul_i32 s17, s17, s14
	s_sub_i32 s20, s11, s34
	s_cmp_ge_u32 s11, s34
	ds_load_b96 v[1:3], v5 offset:1056
	s_cselect_b32 s15, s18, s15
	s_cselect_b32 s11, s20, s11
	s_add_i32 s18, s15, 1
	s_cmp_ge_u32 s11, s34
	v_lshrrev_b32_e32 v4, 5, v0
	s_cselect_b32 s11, s18, s15
	v_lshrrev_b32_e32 v7, 5, v6
	s_mul_i32 s15, s11, s34
	s_mul_i32 s11, s11, s12
	s_sub_i32 s15, s19, s15
	v_add_lshl_u32 v9, v4, v0, 2
	s_mul_i32 s13, s15, s13
	v_lshrrev_b32_e32 v4, 2, v0
	s_add_i32 s14, s13, s17
	s_lshl_b64 s[12:13], s[6:7], 3
	s_add_i32 s6, s14, s11
	s_mov_b32 s17, s7
	s_add_u32 s11, s30, s12
	s_addc_u32 s12, s31, s13
	s_lshl_b64 s[14:15], s[16:17], 3
	s_load_b32 s17, s[0:1], 0xe8
	s_add_u32 s13, s44, s14
	s_addc_u32 s14, s45, s15
	s_lshl_b64 s[6:7], s[6:7], 3
	s_waitcnt lgkmcnt(0)
	v_add_nc_u32_e32 v8, v1, v2
	s_add_u32 s15, s28, s6
	s_addc_u32 s16, s29, s7
	s_ashr_i32 s6, s43, 31
	v_lshlrev_b32_e32 v2, 3, v0
	s_or_b32 s7, s6, 0x80000000
	v_add_nc_u32_e32 v1, s24, v0
	s_xor_b64 s[6:7], s[6:7], s[42:43]
	s_and_b32 s18, s21, exec_lo
	s_cselect_b32 s7, s7, -1
	s_cselect_b32 s6, s6, -1
	s_bitcmp1_b32 s10, 0
	s_load_b32 s10, s[0:1], 0x1c8
	v_mbcnt_lo_u32_b32 v10, -1, 0
	v_cmp_gt_u32_e64 s0, 32, v0
	v_add_lshl_u32 v0, v4, v2, 2
	v_mul_lo_u32 v4, s17, v1
	v_add_lshl_u32 v11, v7, v6, 2
	v_and_b32_e32 v12, 15, v10
	v_bfe_i32 v13, v10, 4, 1
	v_add_nc_u32_e32 v14, -1, v10
	s_cselect_b32 s1, -1, 0
	s_lshl_b32 s17, s17, 8
                                        ; implicit-def: $vgpr6_vgpr7
	s_branch .LBB74_21
.LBB74_19:                              ;   in Loop: Header=BB74_21 Depth=1
	s_or_b32 exec_lo, exec_lo, s18
	v_add_nc_u32_e32 v8, v17, v8
.LBB74_20:                              ;   in Loop: Header=BB74_21 Depth=1
	v_add_nc_u32_e32 v3, v16, v3
	v_add_nc_u32_e32 v4, s17, v4
	;; [unrolled: 1-line block ×3, first 2 shown]
	s_add_i32 s5, s5, -1
	s_delay_alu instid0(SALU_CYCLE_1)
	s_cmp_lg_u32 s5, 0
	s_cbranch_scc0 .LBB74_40
.LBB74_21:                              ; =>This Inner Loop Header: Depth=1
	v_dual_mov_b32 v2, 0 :: v_dual_mov_b32 v15, 0
	s_mov_b32 s18, exec_lo
	v_cmpx_gt_u32_e64 s8, v1
	s_cbranch_execz .LBB74_23
; %bb.22:                               ;   in Loop: Header=BB74_21 Depth=1
	v_lshlrev_b64 v[6:7], 3, v[4:5]
	s_delay_alu instid0(VALU_DEP_1) | instskip(NEXT) | instid1(VALU_DEP_2)
	v_add_co_u32 v6, vcc_lo, s11, v6
	v_add_co_ci_u32_e32 v7, vcc_lo, s12, v7, vcc_lo
	global_load_b64 v[6:7], v[6:7], off
	s_waitcnt vmcnt(0)
	v_cmp_o_f64_e32 vcc_lo, v[6:7], v[6:7]
	v_ashrrev_i32_e32 v2, 31, v7
	s_delay_alu instid0(VALU_DEP_1) | instskip(SKIP_1) | instid1(VALU_DEP_2)
	v_or_b32_e32 v15, 0x80000000, v2
	v_xor_b32_e32 v2, v2, v6
	v_xor_b32_e32 v15, v15, v7
	s_delay_alu instid0(VALU_DEP_1) | instskip(NEXT) | instid1(VALU_DEP_1)
	v_dual_cndmask_b32 v16, -1, v15 :: v_dual_cndmask_b32 v15, -1, v2
	v_cmp_lt_u64_e32 vcc_lo, s[6:7], v[15:16]
	v_cndmask_b32_e64 v2, 0, 1, vcc_lo
	v_cmp_gt_u64_e32 vcc_lo, s[6:7], v[15:16]
	v_cndmask_b32_e64 v17, 0, 1, vcc_lo
	v_cmp_eq_u64_e32 vcc_lo, s[6:7], v[15:16]
	s_delay_alu instid0(VALU_DEP_2) | instskip(SKIP_1) | instid1(VALU_DEP_2)
	v_cndmask_b32_e64 v2, v17, v2, s1
	v_cndmask_b32_e64 v15, 0, 1, vcc_lo
	v_and_b32_e32 v2, 1, v2
.LBB74_23:                              ;   in Loop: Header=BB74_21 Depth=1
	s_or_b32 exec_lo, exec_lo, s18
	ds_store_b32 v9, v2
	s_waitcnt lgkmcnt(0)
	s_waitcnt_vscnt null, 0x0
	s_barrier
	buffer_gl0_inv
	s_and_saveexec_b32 s18, s0
	s_cbranch_execz .LBB74_25
; %bb.24:                               ;   in Loop: Header=BB74_21 Depth=1
	ds_load_2addr_b32 v[16:17], v0 offset1:1
	ds_load_2addr_b32 v[18:19], v0 offset0:2 offset1:3
	ds_load_2addr_b32 v[20:21], v0 offset0:4 offset1:5
	;; [unrolled: 1-line block ×3, first 2 shown]
	v_cmp_ne_u32_e32 vcc_lo, 0, v12
	; wave barrier
	s_waitcnt lgkmcnt(3)
	v_add_nc_u32_e32 v17, v17, v16
	s_waitcnt lgkmcnt(2)
	s_delay_alu instid0(VALU_DEP_1) | instskip(SKIP_1) | instid1(VALU_DEP_1)
	v_add3_u32 v17, v17, v18, v19
	s_waitcnt lgkmcnt(1)
	v_add3_u32 v17, v17, v20, v21
	s_waitcnt lgkmcnt(0)
	s_delay_alu instid0(VALU_DEP_1) | instskip(NEXT) | instid1(VALU_DEP_1)
	v_add3_u32 v17, v17, v22, v23
	v_mov_b32_dpp v18, v17 row_shr:1 row_mask:0xf bank_mask:0xf
	s_delay_alu instid0(VALU_DEP_1) | instskip(SKIP_1) | instid1(VALU_DEP_2)
	v_cndmask_b32_e32 v18, 0, v18, vcc_lo
	v_cmp_lt_u32_e32 vcc_lo, 1, v12
	v_add_nc_u32_e32 v17, v18, v17
	s_delay_alu instid0(VALU_DEP_1) | instskip(NEXT) | instid1(VALU_DEP_1)
	v_mov_b32_dpp v18, v17 row_shr:2 row_mask:0xf bank_mask:0xf
	v_cndmask_b32_e32 v18, 0, v18, vcc_lo
	v_cmp_lt_u32_e32 vcc_lo, 3, v12
	s_delay_alu instid0(VALU_DEP_2) | instskip(NEXT) | instid1(VALU_DEP_1)
	v_add_nc_u32_e32 v17, v17, v18
	v_mov_b32_dpp v18, v17 row_shr:4 row_mask:0xf bank_mask:0xf
	s_delay_alu instid0(VALU_DEP_1) | instskip(SKIP_1) | instid1(VALU_DEP_2)
	v_cndmask_b32_e32 v18, 0, v18, vcc_lo
	v_cmp_lt_u32_e32 vcc_lo, 7, v12
	v_add_nc_u32_e32 v17, v17, v18
	s_delay_alu instid0(VALU_DEP_1) | instskip(NEXT) | instid1(VALU_DEP_1)
	v_mov_b32_dpp v18, v17 row_shr:8 row_mask:0xf bank_mask:0xf
	v_cndmask_b32_e32 v18, 0, v18, vcc_lo
	v_cmp_gt_i32_e32 vcc_lo, 0, v14
	s_delay_alu instid0(VALU_DEP_2)
	v_add_nc_u32_e32 v17, v17, v18
	v_cndmask_b32_e32 v19, v14, v10, vcc_lo
	ds_swizzle_b32 v18, v17 offset:swizzle(BROADCAST,32,15)
	v_lshlrev_b32_e32 v19, 2, v19
	s_waitcnt lgkmcnt(0)
	v_and_b32_e32 v18, v13, v18
	s_delay_alu instid0(VALU_DEP_1) | instskip(SKIP_3) | instid1(VALU_DEP_1)
	v_add_nc_u32_e32 v17, v17, v18
	ds_bpermute_b32 v17, v19, v17
	s_waitcnt lgkmcnt(0)
	v_add_nc_u32_e32 v16, v17, v16
	v_cndmask_b32_e64 v22, v16, v2, s3
	ds_store_b32 v0, v22
	; wave barrier
	ds_load_2addr_b32 v[16:17], v0 offset0:1 offset1:2
	ds_load_2addr_b32 v[18:19], v0 offset0:3 offset1:4
	;; [unrolled: 1-line block ×3, first 2 shown]
	ds_load_b32 v23, v0 offset:28
	s_waitcnt lgkmcnt(3)
	v_add_nc_u32_e32 v16, v16, v22
	s_delay_alu instid0(VALU_DEP_1) | instskip(SKIP_1) | instid1(VALU_DEP_1)
	v_add_nc_u32_e32 v17, v17, v16
	s_waitcnt lgkmcnt(2)
	v_add_nc_u32_e32 v18, v18, v17
	s_delay_alu instid0(VALU_DEP_1) | instskip(SKIP_1) | instid1(VALU_DEP_1)
	v_add_nc_u32_e32 v19, v19, v18
	;; [unrolled: 4-line block ×3, first 2 shown]
	s_waitcnt lgkmcnt(0)
	v_add_nc_u32_e32 v22, v23, v21
	ds_store_2addr_b32 v0, v16, v17 offset0:1 offset1:2
	ds_store_2addr_b32 v0, v18, v19 offset0:3 offset1:4
	;; [unrolled: 1-line block ×3, first 2 shown]
	ds_store_b32 v0, v22 offset:28
.LBB74_25:                              ;   in Loop: Header=BB74_21 Depth=1
	s_or_b32 exec_lo, exec_lo, s18
	v_mov_b32_e32 v17, 0
	s_waitcnt lgkmcnt(0)
	s_barrier
	buffer_gl0_inv
	s_and_saveexec_b32 s18, s2
	s_cbranch_execz .LBB74_27
; %bb.26:                               ;   in Loop: Header=BB74_21 Depth=1
	ds_load_b32 v17, v11
.LBB74_27:                              ;   in Loop: Header=BB74_21 Depth=1
	s_or_b32 exec_lo, exec_lo, s18
	ds_load_b32 v16, v5 offset:1048
	s_mov_b32 s18, exec_lo
	s_waitcnt lgkmcnt(0)
	s_barrier
	buffer_gl0_inv
	v_cmpx_ne_u32_e32 0, v2
	s_cbranch_execz .LBB74_29
; %bb.28:                               ;   in Loop: Header=BB74_21 Depth=1
	v_add_nc_u32_e32 v2, v17, v3
	v_mov_b32_e32 v18, v5
	v_mov_b32_e32 v20, v5
	s_delay_alu instid0(VALU_DEP_3) | instskip(SKIP_2) | instid1(VALU_DEP_3)
	v_mul_lo_u32 v17, v2, s10
	v_mul_lo_u32 v19, v2, s4
	v_mov_b32_e32 v2, v5
	v_lshlrev_b64 v[17:18], 3, v[17:18]
	s_delay_alu instid0(VALU_DEP_3) | instskip(NEXT) | instid1(VALU_DEP_2)
	v_lshlrev_b64 v[19:20], 3, v[19:20]
	v_add_co_u32 v17, vcc_lo, s13, v17
	s_delay_alu instid0(VALU_DEP_3) | instskip(NEXT) | instid1(VALU_DEP_3)
	v_add_co_ci_u32_e32 v18, vcc_lo, s14, v18, vcc_lo
	v_add_co_u32 v19, vcc_lo, s15, v19
	s_delay_alu instid0(VALU_DEP_4)
	v_add_co_ci_u32_e32 v20, vcc_lo, s16, v20, vcc_lo
	global_store_b64 v[17:18], v[6:7], off
	global_store_b64 v[19:20], v[1:2], off
.LBB74_29:                              ;   in Loop: Header=BB74_21 Depth=1
	s_or_b32 exec_lo, exec_lo, s18
	v_cmp_le_u32_e32 vcc_lo, s9, v8
	s_cbranch_vccnz .LBB74_20
; %bb.30:                               ;   in Loop: Header=BB74_21 Depth=1
	ds_store_b32 v9, v15
	s_waitcnt lgkmcnt(0)
	s_waitcnt_vscnt null, 0x0
	s_barrier
	buffer_gl0_inv
	s_and_saveexec_b32 s18, s0
	s_cbranch_execz .LBB74_32
; %bb.31:                               ;   in Loop: Header=BB74_21 Depth=1
	ds_load_2addr_b32 v[17:18], v0 offset1:1
	ds_load_2addr_b32 v[19:20], v0 offset0:2 offset1:3
	ds_load_2addr_b32 v[21:22], v0 offset0:4 offset1:5
	;; [unrolled: 1-line block ×3, first 2 shown]
	v_cmp_ne_u32_e32 vcc_lo, 0, v12
	; wave barrier
	s_waitcnt lgkmcnt(3)
	v_add_nc_u32_e32 v2, v18, v17
	s_waitcnt lgkmcnt(2)
	s_delay_alu instid0(VALU_DEP_1) | instskip(SKIP_1) | instid1(VALU_DEP_1)
	v_add3_u32 v2, v2, v19, v20
	s_waitcnt lgkmcnt(1)
	v_add3_u32 v2, v2, v21, v22
	s_waitcnt lgkmcnt(0)
	s_delay_alu instid0(VALU_DEP_1) | instskip(NEXT) | instid1(VALU_DEP_1)
	v_add3_u32 v2, v2, v23, v24
	v_mov_b32_dpp v18, v2 row_shr:1 row_mask:0xf bank_mask:0xf
	s_delay_alu instid0(VALU_DEP_1) | instskip(SKIP_1) | instid1(VALU_DEP_2)
	v_cndmask_b32_e32 v18, 0, v18, vcc_lo
	v_cmp_lt_u32_e32 vcc_lo, 1, v12
	v_add_nc_u32_e32 v2, v18, v2
	s_delay_alu instid0(VALU_DEP_1) | instskip(NEXT) | instid1(VALU_DEP_1)
	v_mov_b32_dpp v18, v2 row_shr:2 row_mask:0xf bank_mask:0xf
	v_cndmask_b32_e32 v18, 0, v18, vcc_lo
	v_cmp_lt_u32_e32 vcc_lo, 3, v12
	s_delay_alu instid0(VALU_DEP_2) | instskip(NEXT) | instid1(VALU_DEP_1)
	v_add_nc_u32_e32 v2, v2, v18
	v_mov_b32_dpp v18, v2 row_shr:4 row_mask:0xf bank_mask:0xf
	s_delay_alu instid0(VALU_DEP_1) | instskip(SKIP_1) | instid1(VALU_DEP_2)
	v_cndmask_b32_e32 v18, 0, v18, vcc_lo
	v_cmp_lt_u32_e32 vcc_lo, 7, v12
	v_add_nc_u32_e32 v2, v2, v18
	s_delay_alu instid0(VALU_DEP_1) | instskip(NEXT) | instid1(VALU_DEP_1)
	v_mov_b32_dpp v18, v2 row_shr:8 row_mask:0xf bank_mask:0xf
	v_cndmask_b32_e32 v18, 0, v18, vcc_lo
	v_cmp_gt_i32_e32 vcc_lo, 0, v14
	s_delay_alu instid0(VALU_DEP_2)
	v_add_nc_u32_e32 v2, v2, v18
	v_cndmask_b32_e32 v19, v14, v10, vcc_lo
	ds_swizzle_b32 v18, v2 offset:swizzle(BROADCAST,32,15)
	v_lshlrev_b32_e32 v19, 2, v19
	s_waitcnt lgkmcnt(0)
	v_and_b32_e32 v18, v13, v18
	s_delay_alu instid0(VALU_DEP_1) | instskip(SKIP_3) | instid1(VALU_DEP_1)
	v_add_nc_u32_e32 v2, v2, v18
	ds_bpermute_b32 v2, v19, v2
	s_waitcnt lgkmcnt(0)
	v_add_nc_u32_e32 v2, v2, v17
	v_cndmask_b32_e64 v2, v2, v15, s3
	ds_store_b32 v0, v2
	; wave barrier
	ds_load_2addr_b32 v[17:18], v0 offset0:1 offset1:2
	ds_load_2addr_b32 v[19:20], v0 offset0:3 offset1:4
	;; [unrolled: 1-line block ×3, first 2 shown]
	ds_load_b32 v23, v0 offset:28
	s_waitcnt lgkmcnt(3)
	v_add_nc_u32_e32 v2, v17, v2
	s_delay_alu instid0(VALU_DEP_1) | instskip(SKIP_1) | instid1(VALU_DEP_1)
	v_add_nc_u32_e32 v17, v18, v2
	s_waitcnt lgkmcnt(2)
	v_add_nc_u32_e32 v18, v19, v17
	s_delay_alu instid0(VALU_DEP_1) | instskip(SKIP_1) | instid1(VALU_DEP_1)
	v_add_nc_u32_e32 v19, v20, v18
	;; [unrolled: 4-line block ×3, first 2 shown]
	s_waitcnt lgkmcnt(0)
	v_add_nc_u32_e32 v22, v23, v21
	ds_store_2addr_b32 v0, v2, v17 offset0:1 offset1:2
	ds_store_2addr_b32 v0, v18, v19 offset0:3 offset1:4
	;; [unrolled: 1-line block ×3, first 2 shown]
	ds_store_b32 v0, v22 offset:28
.LBB74_32:                              ;   in Loop: Header=BB74_21 Depth=1
	s_or_b32 exec_lo, exec_lo, s18
	v_mov_b32_e32 v2, 0
	s_waitcnt lgkmcnt(0)
	s_barrier
	buffer_gl0_inv
	s_and_saveexec_b32 s18, s2
	s_cbranch_execz .LBB74_34
; %bb.33:                               ;   in Loop: Header=BB74_21 Depth=1
	ds_load_b32 v2, v11
.LBB74_34:                              ;   in Loop: Header=BB74_21 Depth=1
	s_or_b32 exec_lo, exec_lo, s18
	ds_load_b32 v17, v5 offset:1048
	s_mov_b32 s18, exec_lo
	s_waitcnt lgkmcnt(0)
	s_barrier
	buffer_gl0_inv
	v_cmpx_ne_u32_e32 0, v15
	s_cbranch_execz .LBB74_19
; %bb.35:                               ;   in Loop: Header=BB74_21 Depth=1
	v_add_nc_u32_e32 v2, v2, v8
	s_delay_alu instid0(VALU_DEP_1)
	v_cmp_gt_u32_e32 vcc_lo, s9, v2
	s_and_b32 exec_lo, exec_lo, vcc_lo
	s_cbranch_execz .LBB74_19
; %bb.36:                               ;   in Loop: Header=BB74_21 Depth=1
	v_mul_lo_u32 v18, v2, s10
	v_mov_b32_e32 v19, v5
	v_mul_lo_u32 v20, v2, s4
	v_mov_b32_e32 v21, v5
	v_mov_b32_e32 v2, v5
	s_delay_alu instid0(VALU_DEP_4) | instskip(NEXT) | instid1(VALU_DEP_3)
	v_lshlrev_b64 v[18:19], 3, v[18:19]
	v_lshlrev_b64 v[20:21], 3, v[20:21]
	s_delay_alu instid0(VALU_DEP_2) | instskip(NEXT) | instid1(VALU_DEP_3)
	v_add_co_u32 v18, vcc_lo, s13, v18
	v_add_co_ci_u32_e32 v19, vcc_lo, s14, v19, vcc_lo
	s_delay_alu instid0(VALU_DEP_3) | instskip(NEXT) | instid1(VALU_DEP_4)
	v_add_co_u32 v20, vcc_lo, s15, v20
	v_add_co_ci_u32_e32 v21, vcc_lo, s16, v21, vcc_lo
	global_store_b64 v[18:19], v[6:7], off
	global_store_b64 v[20:21], v[1:2], off
	s_branch .LBB74_19
	.p2align	6
.LBB74_37:                              ;   in Loop: Header=BB74_38 Depth=1
	s_add_u32 s24, s24, 4
	s_addc_u32 s25, s25, 0
	s_waitcnt lgkmcnt(0)
	s_add_i32 s54, s9, s54
	s_add_u32 s26, s26, 4
	s_addc_u32 s27, s27, 0
	s_add_i32 s8, s8, 1
	s_delay_alu instid0(SALU_CYCLE_1)
	s_cmp_lt_u32 s8, s6
	s_cbranch_scc0 .LBB74_16
.LBB74_38:                              ; =>This Inner Loop Header: Depth=1
	s_load_b32 s9, s[24:25], 0x0
	s_cmp_ge_u32 s8, s7
	s_cbranch_scc1 .LBB74_37
; %bb.39:                               ;   in Loop: Header=BB74_38 Depth=1
	s_load_b32 s10, s[26:27], 0x0
	s_waitcnt lgkmcnt(0)
	s_add_i32 s41, s9, s41
	s_add_i32 s53, s10, s53
	s_branch .LBB74_37
.LBB74_40:
	s_nop 0
	s_sendmsg sendmsg(MSG_DEALLOC_VGPRS)
	s_endpgm
	.section	.rodata,"a",@progbits
	.p2align	6, 0x0
	.amdhsa_kernel _ZN2at6native6mbtopk10gatherTopKIdjLi3EEEvNS_4cuda6detail10TensorInfoIKT_T0_EES8_S8_bjS8_NS5_IS6_S8_EES8_NS5_IlS8_EES8_jjPS6_PjSD_j
		.amdhsa_group_segment_fixed_size 1068
		.amdhsa_private_segment_fixed_size 0
		.amdhsa_kernarg_size 984
		.amdhsa_user_sgpr_count 13
		.amdhsa_user_sgpr_dispatch_ptr 0
		.amdhsa_user_sgpr_queue_ptr 0
		.amdhsa_user_sgpr_kernarg_segment_ptr 1
		.amdhsa_user_sgpr_dispatch_id 0
		.amdhsa_user_sgpr_private_segment_size 0
		.amdhsa_wavefront_size32 1
		.amdhsa_uses_dynamic_stack 0
		.amdhsa_enable_private_segment 0
		.amdhsa_system_sgpr_workgroup_id_x 1
		.amdhsa_system_sgpr_workgroup_id_y 1
		.amdhsa_system_sgpr_workgroup_id_z 1
		.amdhsa_system_sgpr_workgroup_info 0
		.amdhsa_system_vgpr_workitem_id 0
		.amdhsa_next_free_vgpr 25
		.amdhsa_next_free_sgpr 58
		.amdhsa_reserve_vcc 1
		.amdhsa_float_round_mode_32 0
		.amdhsa_float_round_mode_16_64 0
		.amdhsa_float_denorm_mode_32 3
		.amdhsa_float_denorm_mode_16_64 3
		.amdhsa_dx10_clamp 1
		.amdhsa_ieee_mode 1
		.amdhsa_fp16_overflow 0
		.amdhsa_workgroup_processor_mode 1
		.amdhsa_memory_ordered 1
		.amdhsa_forward_progress 0
		.amdhsa_shared_vgpr_count 0
		.amdhsa_exception_fp_ieee_invalid_op 0
		.amdhsa_exception_fp_denorm_src 0
		.amdhsa_exception_fp_ieee_div_zero 0
		.amdhsa_exception_fp_ieee_overflow 0
		.amdhsa_exception_fp_ieee_underflow 0
		.amdhsa_exception_fp_ieee_inexact 0
		.amdhsa_exception_int_div_zero 0
	.end_amdhsa_kernel
	.section	.text._ZN2at6native6mbtopk10gatherTopKIdjLi3EEEvNS_4cuda6detail10TensorInfoIKT_T0_EES8_S8_bjS8_NS5_IS6_S8_EES8_NS5_IlS8_EES8_jjPS6_PjSD_j,"axG",@progbits,_ZN2at6native6mbtopk10gatherTopKIdjLi3EEEvNS_4cuda6detail10TensorInfoIKT_T0_EES8_S8_bjS8_NS5_IS6_S8_EES8_NS5_IlS8_EES8_jjPS6_PjSD_j,comdat
.Lfunc_end74:
	.size	_ZN2at6native6mbtopk10gatherTopKIdjLi3EEEvNS_4cuda6detail10TensorInfoIKT_T0_EES8_S8_bjS8_NS5_IS6_S8_EES8_NS5_IlS8_EES8_jjPS6_PjSD_j, .Lfunc_end74-_ZN2at6native6mbtopk10gatherTopKIdjLi3EEEvNS_4cuda6detail10TensorInfoIKT_T0_EES8_S8_bjS8_NS5_IS6_S8_EES8_NS5_IlS8_EES8_jjPS6_PjSD_j
                                        ; -- End function
	.section	.AMDGPU.csdata,"",@progbits
; Kernel info:
; codeLenInByte = 3180
; NumSgprs: 60
; NumVgprs: 25
; ScratchSize: 0
; MemoryBound: 0
; FloatMode: 240
; IeeeMode: 1
; LDSByteSize: 1068 bytes/workgroup (compile time only)
; SGPRBlocks: 7
; VGPRBlocks: 3
; NumSGPRsForWavesPerEU: 60
; NumVGPRsForWavesPerEU: 25
; Occupancy: 16
; WaveLimiterHint : 1
; COMPUTE_PGM_RSRC2:SCRATCH_EN: 0
; COMPUTE_PGM_RSRC2:USER_SGPR: 13
; COMPUTE_PGM_RSRC2:TRAP_HANDLER: 0
; COMPUTE_PGM_RSRC2:TGID_X_EN: 1
; COMPUTE_PGM_RSRC2:TGID_Y_EN: 1
; COMPUTE_PGM_RSRC2:TGID_Z_EN: 1
; COMPUTE_PGM_RSRC2:TIDIG_COMP_CNT: 0
	.section	.text._ZN2at6native6sbtopk10gatherTopKIdjLi3ELb0EEEvNS_4cuda6detail10TensorInfoIKT_T0_EES8_S8_bS8_S8_NS5_IS6_S8_EES8_NS5_IlS8_EES8_PS6_,"axG",@progbits,_ZN2at6native6sbtopk10gatherTopKIdjLi3ELb0EEEvNS_4cuda6detail10TensorInfoIKT_T0_EES8_S8_bS8_S8_NS5_IS6_S8_EES8_NS5_IlS8_EES8_PS6_,comdat
	.protected	_ZN2at6native6sbtopk10gatherTopKIdjLi3ELb0EEEvNS_4cuda6detail10TensorInfoIKT_T0_EES8_S8_bS8_S8_NS5_IS6_S8_EES8_NS5_IlS8_EES8_PS6_ ; -- Begin function _ZN2at6native6sbtopk10gatherTopKIdjLi3ELb0EEEvNS_4cuda6detail10TensorInfoIKT_T0_EES8_S8_bS8_S8_NS5_IS6_S8_EES8_NS5_IlS8_EES8_PS6_
	.globl	_ZN2at6native6sbtopk10gatherTopKIdjLi3ELb0EEEvNS_4cuda6detail10TensorInfoIKT_T0_EES8_S8_bS8_S8_NS5_IS6_S8_EES8_NS5_IlS8_EES8_PS6_
	.p2align	8
	.type	_ZN2at6native6sbtopk10gatherTopKIdjLi3ELb0EEEvNS_4cuda6detail10TensorInfoIKT_T0_EES8_S8_bS8_S8_NS5_IS6_S8_EES8_NS5_IlS8_EES8_PS6_,@function
_ZN2at6native6sbtopk10gatherTopKIdjLi3ELb0EEEvNS_4cuda6detail10TensorInfoIKT_T0_EES8_S8_bS8_S8_NS5_IS6_S8_EES8_NS5_IlS8_EES8_PS6_: ; @_ZN2at6native6sbtopk10gatherTopKIdjLi3ELb0EEEvNS_4cuda6detail10TensorInfoIKT_T0_EES8_S8_bS8_S8_NS5_IS6_S8_EES8_NS5_IlS8_EES8_PS6_
; %bb.0:
	s_clause 0x1
	s_load_b64 s[4:5], s[0:1], 0x2b8
	s_load_b128 s[36:39], s[0:1], 0xd8
	s_add_u32 s6, s0, 0x2b8
	s_addc_u32 s7, s1, 0
	s_waitcnt lgkmcnt(0)
	s_mul_i32 s2, s5, s15
	s_delay_alu instid0(SALU_CYCLE_1) | instskip(NEXT) | instid1(SALU_CYCLE_1)
	s_add_i32 s2, s2, s14
	s_mul_i32 s56, s2, s4
	s_delay_alu instid0(SALU_CYCLE_1) | instskip(NEXT) | instid1(SALU_CYCLE_1)
	s_add_i32 s56, s56, s13
	s_cmp_ge_u32 s56, s39
	s_cbranch_scc1 .LBB75_470
; %bb.1:
	s_clause 0x9
	s_load_b64 s[14:15], s[0:1], 0xc
	s_load_b64 s[50:51], s[0:1], 0xfc
	;; [unrolled: 1-line block ×4, first 2 shown]
	s_load_b128 s[40:43], s[0:1], 0x23c
	s_load_b64 s[30:31], s[0:1], 0x1d0
	s_load_b128 s[44:47], s[0:1], 0x15c
	s_load_b64 s[34:35], s[0:1], 0xf0
	s_load_b32 s52, s[0:1], 0xe8
	s_load_b128 s[8:11], s[0:1], 0x6c
	s_mov_b32 s55, 0
	s_waitcnt lgkmcnt(0)
	v_cvt_f32_u32_e32 v1, s15
	v_cvt_f32_u32_e32 v2, s14
	;; [unrolled: 1-line block ×4, first 2 shown]
	s_sub_i32 s11, 0, s15
	v_rcp_iflag_f32_e32 v1, v1
	v_rcp_iflag_f32_e32 v2, v2
	;; [unrolled: 1-line block ×4, first 2 shown]
	v_cvt_f32_u32_e32 v5, s49
	v_cvt_f32_u32_e32 v6, s48
	s_delay_alu instid0(VALU_DEP_2)
	v_rcp_iflag_f32_e32 v5, v5
	v_dual_mul_f32 v1, 0x4f7ffffe, v1 :: v_dual_mul_f32 v2, 0x4f7ffffe, v2
	s_waitcnt_depctr 0xfff
	v_dual_mul_f32 v3, 0x4f7ffffe, v3 :: v_dual_mul_f32 v4, 0x4f7ffffe, v4
	v_cvt_u32_f32_e32 v1, v1
	v_cvt_u32_f32_e32 v2, v2
	s_delay_alu instid0(VALU_DEP_3) | instskip(SKIP_1) | instid1(VALU_DEP_4)
	v_cvt_u32_f32_e32 v3, v3
	v_mul_f32_e32 v5, 0x4f7ffffe, v5
	v_readfirstlane_b32 s5, v1
	v_rcp_iflag_f32_e32 v1, v6
	s_delay_alu instid0(VALU_DEP_3) | instskip(SKIP_1) | instid1(VALU_DEP_3)
	v_readfirstlane_b32 s17, v3
	v_cvt_u32_f32_e32 v3, v4
	s_mul_i32 s11, s11, s5
	s_delay_alu instid0(SALU_CYCLE_1) | instskip(NEXT) | instid1(SALU_CYCLE_1)
	s_mul_hi_u32 s11, s5, s11
	s_add_i32 s5, s5, s11
	s_waitcnt_depctr 0xfff
	v_mul_f32_e32 v1, 0x4f7ffffe, v1
	s_mul_hi_u32 s5, s56, s5
	s_delay_alu instid0(SALU_CYCLE_1)
	s_mul_i32 s11, s5, s15
	s_add_i32 s12, s5, 1
	s_sub_i32 s11, s56, s11
	v_cvt_u32_f32_e32 v1, v1
	s_sub_i32 s16, s11, s15
	s_cmp_ge_u32 s11, s15
	s_cselect_b32 s5, s12, s5
	s_cselect_b32 s11, s16, s11
	s_add_i32 s12, s5, 1
	s_cmp_ge_u32 s11, s15
	v_readfirstlane_b32 s20, v1
	s_cselect_b32 s11, s12, s5
	s_sub_i32 s5, 0, s51
	v_readfirstlane_b32 s12, v2
	s_mul_i32 s5, s5, s17
	s_sub_i32 s16, 0, s14
	s_mul_hi_u32 s5, s17, s5
	v_cvt_u32_f32_e32 v2, v5
	s_add_i32 s17, s17, s5
	s_mul_i32 s16, s16, s12
	s_mul_hi_u32 s5, s56, s17
	s_mul_hi_u32 s16, s12, s16
	s_mul_i32 s17, s5, s51
	s_add_i32 s12, s12, s16
	s_sub_i32 s16, s56, s17
	s_add_i32 s17, s5, 1
	s_sub_i32 s18, s16, s51
	s_cmp_ge_u32 s16, s51
	v_readfirstlane_b32 s19, v2
	s_cselect_b32 s5, s17, s5
	s_cselect_b32 s16, s18, s16
	s_add_i32 s17, s5, 1
	s_cmp_ge_u32 s16, s51
	v_readfirstlane_b32 s16, v3
	s_cselect_b32 s58, s17, s5
	s_sub_i32 s5, 0, s49
	s_sub_i32 s17, 0, s50
	s_mul_i32 s5, s5, s19
	s_mul_i32 s17, s17, s16
	s_mul_hi_u32 s5, s19, s5
	s_mul_hi_u32 s17, s16, s17
	s_add_i32 s19, s19, s5
	s_add_i32 s16, s16, s17
	s_mul_hi_u32 s5, s56, s19
	s_mul_hi_u32 s12, s11, s12
	s_mul_i32 s18, s5, s49
	s_mul_hi_u32 s60, s58, s16
	s_sub_i32 s17, s56, s18
	s_add_i32 s18, s5, 1
	s_sub_i32 s19, s17, s49
	s_cmp_ge_u32 s17, s49
	s_cselect_b32 s5, s18, s5
	s_cselect_b32 s17, s19, s17
	s_add_i32 s18, s5, 1
	s_cmp_ge_u32 s17, s49
	s_cselect_b32 s57, s18, s5
	s_sub_i32 s5, 0, s48
	s_delay_alu instid0(SALU_CYCLE_1) | instskip(NEXT) | instid1(SALU_CYCLE_1)
	s_mul_i32 s5, s5, s20
	s_mul_hi_u32 s17, s20, s5
	v_cmp_eq_u32_e64 s5, 0, v0
	s_add_i32 s20, s20, s17
	s_delay_alu instid0(SALU_CYCLE_1) | instskip(NEXT) | instid1(VALU_DEP_1)
	s_mul_hi_u32 s59, s57, s20
	s_and_saveexec_b32 s16, s5
	s_cbranch_execz .LBB75_3
; %bb.2:
	v_dual_mov_b32 v1, 0 :: v_dual_mov_b32 v2, s36
	s_delay_alu instid0(VALU_DEP_1)
	v_mov_b32_e32 v3, v1
	ds_store_b96 v1, v[1:3] offset:4096
.LBB75_3:
	s_or_b32 exec_lo, exec_lo, s16
	s_mul_i32 s16, s12, s14
	s_mul_i32 s15, s11, s15
	s_sub_i32 s16, s11, s16
	s_sub_i32 s15, s56, s15
	s_add_i32 s17, s12, 1
	s_sub_i32 s18, s16, s14
	s_cmp_ge_u32 s16, s14
	s_waitcnt lgkmcnt(0)
	s_cselect_b32 s12, s17, s12
	s_cselect_b32 s16, s18, s16
	s_add_i32 s17, s12, 1
	s_cmp_ge_u32 s16, s14
	s_barrier
	buffer_gl0_inv
	s_load_b32 s16, s[6:7], 0xc
	s_cselect_b32 s12, s17, s12
	s_mul_i32 s15, s15, s10
	s_mul_i32 s14, s12, s14
	;; [unrolled: 1-line block ×3, first 2 shown]
	s_sub_i32 s11, s11, s14
	v_mbcnt_lo_u32_b32 v28, -1, 0
	s_mul_i32 s9, s11, s9
	v_cmp_gt_u32_e32 vcc_lo, 32, v0
	s_add_i32 s8, s9, s15
	v_dual_mov_b32 v14, 0 :: v_dual_lshlrev_b32 v29, 2, v0
	s_add_i32 s54, s8, s12
	v_mul_lo_u32 v15, v0, s52
	s_lshl_b64 s[8:9], s[54:55], 3
	v_lshrrev_b32_e32 v3, 3, v0
	s_add_u32 s33, s2, s8
	s_addc_u32 s43, s3, s9
	s_bitcmp1_b32 s38, 0
	v_cmp_gt_i32_e64 s2, 4, v28
	s_cselect_b32 s3, -1, 0
	s_waitcnt lgkmcnt(0)
	s_and_b32 s47, s16, 0xffff
	s_xor_b32 s54, s3, -1
	s_lshl_b32 s61, s47, 2
	s_bfe_u32 s8, s16, 0xb0005
	v_cvt_f32_u32_e32 v1, s61
	s_and_b32 s62, vcc_lo, s2
	s_cmpk_gt_u32 s36, 0x180
	v_cvt_f32_u32_e32 v2, s47
	s_cselect_b32 s63, -1, 0
	v_rcp_iflag_f32_e32 v1, v1
	s_cmp_gt_u32 s47, 31
	v_dual_mov_b32 v5, 0 :: v_dual_lshlrev_b32 v32, 3, v0
	s_cselect_b32 s64, -1, 0
	s_add_i32 s65, s47, -1
	v_mov_b32_e32 v16, v14
	s_add_i32 s9, s65, s36
	s_cmp_lt_u32 s13, s4
	v_dual_mov_b32 v21, 0 :: v_dual_and_b32 v30, 0x7c, v3
	s_waitcnt_depctr 0xfff
	v_mul_f32_e32 v1, 0x4f7ffffe, v1
	s_cselect_b32 s2, 12, 18
	v_or_b32_e32 v3, 3, v29
	s_add_u32 s38, s6, s2
	s_addc_u32 s39, s7, 0
	v_cvt_u32_f32_e32 v1, v1
	s_add_i32 s2, s8, -1
	s_bfe_u32 s66, s47, 0x30005
	s_cmp_gt_u32 s2, 6
	v_dual_mov_b32 v22, 0 :: v_dual_add_nc_u32 v33, 0xc00, v32
	s_cselect_b32 s67, -1, 0
	s_and_b32 s68, s8, 0x7f8
	v_readfirstlane_b32 s2, v1
	s_cmp_lg_u32 s66, 0
	v_rcp_iflag_f32_e32 v1, v2
	s_cselect_b32 s69, -1, 0
	s_sub_i32 s6, 0, s61
	v_mad_u64_u32 v[18:19], null, s52, v29, s[52:53]
	s_mul_i32 s6, s6, s2
	v_mul_lo_u32 v35, s52, v3
	s_mul_hi_u32 s6, s2, s6
	v_dual_mov_b32 v19, v21 :: v_dual_lshlrev_b32 v36, 2, v15
	s_add_i32 s70, s2, s6
	v_cmp_gt_u32_e64 s4, s36, v0
	s_mul_hi_u32 s6, s36, s70
	v_cmp_eq_u32_e64 s2, 0, v28
	s_mul_i32 s6, s6, s61
	v_lshlrev_b32_e32 v38, 5, v0
	s_sub_i32 s6, s36, s6
	v_lshl_or_b32 v39, v28, 2, 0xc00
	s_sub_i32 s7, s6, s61
	s_cmp_ge_u32 s6, s61
	v_mov_b32_e32 v6, 0
	s_cselect_b32 s6, s7, s6
	v_mov_b32_e32 v40, s37
	s_sub_i32 s7, s6, s61
	s_cmp_ge_u32 s6, s61
	v_mov_b32_e32 v20, v22
	s_cselect_b32 s10, s7, s6
	s_sub_i32 s6, 0, s47
	s_sub_i32 s71, s36, s10
	s_delay_alu instid0(SALU_CYCLE_1) | instskip(SKIP_3) | instid1(VALU_DEP_2)
	v_dual_mul_f32 v4, 0x4f7ffffe, v1 :: v_dual_add_nc_u32 v31, s71, v0
	v_lshlrev_b64 v[1:2], 3, v[15:16]
	s_mul_i32 s53, s52, s47
	s_mov_b32 s83, 62
	v_cvt_u32_f32_e32 v4, v4
	v_mul_lo_u32 v13, v31, s52
	s_mov_b32 s78, 0
	v_add_co_u32 v11, vcc_lo, s33, v1
	s_delay_alu instid0(VALU_DEP_3) | instskip(SKIP_2) | instid1(VALU_DEP_3)
	v_readfirstlane_b32 s8, v4
	v_add_co_ci_u32_e32 v12, vcc_lo, s43, v2, vcc_lo
	v_lshlrev_b64 v[1:2], v28, -1
                                        ; implicit-def: $sgpr77
                                        ; implicit-def: $sgpr81
                                        ; implicit-def: $sgpr80
                                        ; implicit-def: $sgpr82
                                        ; implicit-def: $sgpr79
                                        ; implicit-def: $sgpr84
                                        ; implicit-def: $sgpr86
                                        ; implicit-def: $sgpr85
                                        ; implicit-def: $sgpr87
                                        ; implicit-def: $sgpr88
	s_mul_i32 s6, s6, s8
	s_delay_alu instid0(SALU_CYCLE_1) | instskip(NEXT) | instid1(SALU_CYCLE_1)
	s_mul_hi_u32 s6, s8, s6
	s_add_i32 s72, s8, s6
	s_delay_alu instid0(VALU_DEP_1) | instskip(SKIP_2) | instid1(SALU_CYCLE_1)
	v_not_b32_e32 v27, v1
	v_lshlrev_b64 v[1:2], 3, v[13:14]
	s_mul_hi_u32 s6, s9, s72
	s_mul_i32 s7, s6, s47
	v_cmp_gt_u32_e64 s6, 2, v0
	s_sub_i32 s7, s9, s7
	s_delay_alu instid0(VALU_DEP_2)
	v_add_co_u32 v16, vcc_lo, s33, v1
	v_add3_u32 v1, s47, s36, v0
	s_sub_i32 s8, s7, s47
	s_cmp_ge_u32 s7, s47
	v_add_co_ci_u32_e32 v17, vcc_lo, s43, v2, vcc_lo
	s_cselect_b32 s8, s8, s7
	v_or_b32_e32 v2, 2, v29
	v_subrev_nc_u32_e32 v1, s10, v1
	s_sub_i32 s11, s8, s47
	s_cmp_ge_u32 s8, s47
	v_cmp_gt_u32_e64 s7, s71, v29
	s_cselect_b32 s11, s11, s8
	v_mul_lo_u32 v34, s52, v2
	v_mul_lo_u32 v37, s52, v1
	s_sub_i32 s73, s9, s11
	v_cmp_gt_u32_e64 s8, s36, v31
	v_cmp_gt_u32_e64 s9, s73, v0
	v_mov_b32_e32 v2, 0x3ff00000
	s_lshl_b32 s74, s53, 2
	s_lshl_b32 s75, s47, 5
	;; [unrolled: 1-line block ×3, first 2 shown]
	s_branch .LBB75_6
.LBB75_4:                               ;   in Loop: Header=BB75_6 Depth=1
	s_or_b32 exec_lo, exec_lo, s13
	v_dual_mov_b32 v19, v25 :: v_dual_mov_b32 v20, v26
	v_dual_mov_b32 v21, v23 :: v_dual_mov_b32 v22, v24
	v_mov_b32_e32 v40, v41
	v_dual_mov_b32 v5, v9 :: v_dual_mov_b32 v6, v10
	s_and_not1_b32 s13, s88, exec_lo
	s_and_b32 s12, s12, exec_lo
	s_and_not1_b32 s87, s87, exec_lo
	s_or_b32 s88, s13, s12
	s_and_not1_b32 s85, s85, exec_lo
	s_and_not1_b32 s86, s86, exec_lo
	;; [unrolled: 1-line block ×3, first 2 shown]
	s_or_not1_b32 s12, s11, exec_lo
.LBB75_5:                               ;   in Loop: Header=BB75_6 Depth=1
	s_or_b32 exec_lo, exec_lo, s10
	s_delay_alu instid0(SALU_CYCLE_1) | instskip(NEXT) | instid1(SALU_CYCLE_1)
	s_and_b32 s10, exec_lo, s12
	s_or_b32 s55, s10, s55
	s_and_not1_b32 s10, s79, exec_lo
	s_and_b32 s11, s88, exec_lo
	s_and_not1_b32 s12, s82, exec_lo
	s_or_b32 s79, s10, s11
	s_and_b32 s10, s87, exec_lo
	s_and_not1_b32 s11, s80, exec_lo
	s_and_b32 s13, s85, exec_lo
	s_or_b32 s82, s12, s10
	s_or_b32 s80, s11, s13
	s_and_not1_b32 s10, s81, exec_lo
	s_and_b32 s11, s86, exec_lo
	s_and_not1_b32 s12, s77, exec_lo
	s_and_b32 s13, s84, exec_lo
	s_or_b32 s81, s10, s11
	s_or_b32 s77, s12, s13
	s_and_not1_b32 exec_lo, exec_lo, s55
	s_cbranch_execz .LBB75_406
.LBB75_6:                               ; =>This Loop Header: Depth=1
                                        ;     Child Loop BB75_14 Depth 2
                                        ;     Child Loop BB75_29 Depth 2
	;; [unrolled: 1-line block ×24, first 2 shown]
	ds_load_b64 v[3:4], v14 offset:4096
	s_waitcnt lgkmcnt(0)
	v_readfirstlane_b32 s89, v3
	s_delay_alu instid0(VALU_DEP_1)
	s_cmp_lg_u32 s89, 0
	s_cbranch_scc1 .LBB75_36
; %bb.7:                                ;   in Loop: Header=BB75_6 Depth=1
	s_and_b32 vcc_lo, exec_lo, s63
	s_cbranch_vccz .LBB75_22
; %bb.8:                                ;   in Loop: Header=BB75_6 Depth=1
	v_cmp_gt_u32_e32 vcc_lo, 0x181, v4
	s_mov_b32 s89, 0
	s_mov_b32 s10, 0
	s_cbranch_vccz .LBB75_23
; %bb.9:                                ;   in Loop: Header=BB75_6 Depth=1
	v_mov_b32_e32 v3, 0
	v_mov_b32_e32 v4, 0
	s_and_saveexec_b32 s10, s4
	s_cbranch_execz .LBB75_11
; %bb.10:                               ;   in Loop: Header=BB75_6 Depth=1
	global_load_b64 v[3:4], v[11:12], off
.LBB75_11:                              ;   in Loop: Header=BB75_6 Depth=1
	s_or_b32 exec_lo, exec_lo, s10
	s_and_saveexec_b32 s12, s4
	s_cbranch_execz .LBB75_87
; %bb.12:                               ;   in Loop: Header=BB75_6 Depth=1
	global_load_u16 v1, v14, s[38:39]
	v_mov_b32_e32 v10, v0
	s_mov_b32 s13, 0
	s_waitcnt vmcnt(0)
	v_add_nc_u32_e32 v7, v0, v1
	v_mul_lo_u32 v9, s52, v1
	s_delay_alu instid0(VALU_DEP_2)
	v_mul_lo_u32 v13, s52, v7
	s_branch .LBB75_14
.LBB75_13:                              ;   in Loop: Header=BB75_14 Depth=2
	s_or_b32 exec_lo, exec_lo, s11
	s_waitcnt vmcnt(0)
	v_mov_b32_e32 v3, v7
	v_dual_mov_b32 v4, v8 :: v_dual_add_nc_u32 v13, v13, v9
	s_and_not1_b32 exec_lo, exec_lo, s13
	s_cbranch_execz .LBB75_87
.LBB75_14:                              ;   Parent Loop BB75_6 Depth=1
                                        ; =>  This Inner Loop Header: Depth=2
	v_dual_mov_b32 v7, 0 :: v_dual_add_nc_u32 v10, v10, v1
	v_mov_b32_e32 v8, 0
	s_mov_b32 s11, exec_lo
	s_delay_alu instid0(VALU_DEP_2)
	v_cmp_le_u32_e32 vcc_lo, s36, v10
	v_cmpx_gt_u32_e64 s36, v10
	s_cbranch_execz .LBB75_16
; %bb.15:                               ;   in Loop: Header=BB75_14 Depth=2
	v_lshlrev_b64 v[7:8], 3, v[13:14]
	s_delay_alu instid0(VALU_DEP_1) | instskip(NEXT) | instid1(VALU_DEP_1)
	v_add_co_u32 v7, s10, s33, v7
	v_add_co_ci_u32_e64 v8, s10, s43, v8, s10
	global_load_b64 v[7:8], v[7:8], off
.LBB75_16:                              ;   in Loop: Header=BB75_14 Depth=2
	s_or_b32 exec_lo, exec_lo, s11
	v_cmp_o_f64_e64 s10, v[3:4], v[3:4]
	s_waitcnt lgkmcnt(0)
	v_ashrrev_i32_e32 v23, 31, v4
	s_delay_alu instid0(VALU_DEP_1) | instskip(SKIP_1) | instid1(VALU_DEP_2)
	v_or_b32_e32 v24, 0x80000000, v23
	v_xor_b32_e32 v23, v23, v3
	v_xor_b32_e32 v24, v24, v4
	s_delay_alu instid0(VALU_DEP_1) | instskip(NEXT) | instid1(VALU_DEP_3)
	v_cndmask_b32_e64 v24, -1, v24, s10
	v_cndmask_b32_e64 v23, -1, v23, s10
	s_delay_alu instid0(VALU_DEP_2) | instskip(NEXT) | instid1(VALU_DEP_2)
	v_and_b32_e32 v24, v24, v20
	v_and_b32_e32 v23, v23, v19
	s_delay_alu instid0(VALU_DEP_1) | instskip(SKIP_1) | instid1(VALU_DEP_2)
	v_cmp_eq_u64_e64 s10, v[23:24], v[21:22]
	v_mov_b32_e32 v23, 0
	s_cmp_lg_u32 s10, 0
	s_cselect_b32 s11, -1, 0
	s_delay_alu instid0(SALU_CYCLE_1) | instskip(NEXT) | instid1(SALU_CYCLE_1)
	s_and_b32 s11, s2, s11
	s_and_saveexec_b32 s14, s11
	s_cbranch_execz .LBB75_20
; %bb.17:                               ;   in Loop: Header=BB75_14 Depth=2
	s_mov_b32 s17, exec_lo
	s_bcnt1_i32_b32 s15, s10
	v_mbcnt_lo_u32_b32 v23, s17, 0
	s_mov_b32 s16, exec_lo
                                        ; implicit-def: $vgpr24
	s_delay_alu instid0(VALU_DEP_1)
	v_cmpx_eq_u32_e32 0, v23
	s_cbranch_execz .LBB75_19
; %bb.18:                               ;   in Loop: Header=BB75_14 Depth=2
	s_bcnt1_i32_b32 s11, s17
	s_delay_alu instid0(SALU_CYCLE_1) | instskip(NEXT) | instid1(SALU_CYCLE_1)
	s_mul_i32 s11, s15, s11
	v_mov_b32_e32 v24, s11
	ds_add_rtn_u32 v24, v14, v24 offset:4104
.LBB75_19:                              ;   in Loop: Header=BB75_14 Depth=2
	s_or_b32 exec_lo, exec_lo, s16
	s_waitcnt lgkmcnt(0)
	v_readfirstlane_b32 s11, v24
	s_delay_alu instid0(VALU_DEP_1)
	v_mad_u32_u24 v23, s15, v23, s11
.LBB75_20:                              ;   in Loop: Header=BB75_14 Depth=2
	s_or_b32 exec_lo, exec_lo, s14
	ds_bpermute_b32 v23, v14, v23
	s_and_b32 s11, exec_lo, vcc_lo
	s_delay_alu instid0(SALU_CYCLE_1)
	s_or_b32 s13, s11, s13
	s_and_saveexec_b32 s11, s10
	s_cbranch_execz .LBB75_13
; %bb.21:                               ;   in Loop: Header=BB75_14 Depth=2
	v_and_b32_e32 v24, s10, v27
	s_delay_alu instid0(VALU_DEP_1) | instskip(NEXT) | instid1(VALU_DEP_1)
	v_bcnt_u32_b32 v24, v24, 0
	v_lshlrev_b32_e32 v24, 3, v24
	s_waitcnt lgkmcnt(0)
	s_delay_alu instid0(VALU_DEP_1)
	v_lshl_add_u32 v23, v23, 3, v24
	ds_store_b64 v23, v[3:4]
	s_branch .LBB75_13
.LBB75_22:                              ;   in Loop: Header=BB75_6 Depth=1
	s_mov_b32 s89, -1
	s_mov_b32 s10, 0
.LBB75_23:                              ;   in Loop: Header=BB75_6 Depth=1
	s_and_b32 vcc_lo, exec_lo, s89
	s_cbranch_vccz .LBB75_34
.LBB75_24:                              ;   in Loop: Header=BB75_6 Depth=1
	v_mov_b32_e32 v3, 0
	v_mov_b32_e32 v4, 0
	s_and_saveexec_b32 s10, s4
	s_cbranch_execz .LBB75_26
; %bb.25:                               ;   in Loop: Header=BB75_6 Depth=1
	global_load_b64 v[3:4], v[11:12], off
.LBB75_26:                              ;   in Loop: Header=BB75_6 Depth=1
	s_or_b32 exec_lo, exec_lo, s10
	s_and_saveexec_b32 s11, s4
	s_cbranch_execz .LBB75_31
; %bb.27:                               ;   in Loop: Header=BB75_6 Depth=1
	global_load_u16 v1, v14, s[38:39]
	v_mov_b32_e32 v24, v0
	s_mov_b32 s12, 0
	v_mov_b32_e32 v23, v32
	s_waitcnt vmcnt(0)
	v_add_nc_u32_e32 v7, v0, v1
	v_mul_lo_u32 v9, s52, v1
	v_lshlrev_b32_e32 v10, 3, v1
	s_delay_alu instid0(VALU_DEP_3)
	v_mul_lo_u32 v13, s52, v7
	s_set_inst_prefetch_distance 0x1
	s_branch .LBB75_29
	.p2align	6
.LBB75_28:                              ;   in Loop: Header=BB75_29 Depth=2
	s_or_b32 exec_lo, exec_lo, s13
	ds_store_b64 v23, v[3:4]
	s_waitcnt vmcnt(0)
	v_mov_b32_e32 v3, v7
	v_dual_mov_b32 v4, v8 :: v_dual_add_nc_u32 v23, v23, v10
	v_add_nc_u32_e32 v13, v13, v9
	s_and_b32 s10, exec_lo, vcc_lo
	s_delay_alu instid0(SALU_CYCLE_1) | instskip(NEXT) | instid1(SALU_CYCLE_1)
	s_or_b32 s12, s10, s12
	s_and_not1_b32 exec_lo, exec_lo, s12
	s_cbranch_execz .LBB75_31
.LBB75_29:                              ;   Parent Loop BB75_6 Depth=1
                                        ; =>  This Inner Loop Header: Depth=2
	v_dual_mov_b32 v7, 0 :: v_dual_add_nc_u32 v24, v24, v1
	v_mov_b32_e32 v8, 0
	s_mov_b32 s13, exec_lo
	s_delay_alu instid0(VALU_DEP_2)
	v_cmp_le_u32_e32 vcc_lo, s36, v24
	v_cmpx_gt_u32_e64 s36, v24
	s_cbranch_execz .LBB75_28
; %bb.30:                               ;   in Loop: Header=BB75_29 Depth=2
	v_lshlrev_b64 v[7:8], 3, v[13:14]
	s_delay_alu instid0(VALU_DEP_1) | instskip(NEXT) | instid1(VALU_DEP_1)
	v_add_co_u32 v7, s10, s33, v7
	v_add_co_ci_u32_e64 v8, s10, s43, v8, s10
	global_load_b64 v[7:8], v[7:8], off
	s_branch .LBB75_28
.LBB75_31:                              ;   in Loop: Header=BB75_6 Depth=1
	s_set_inst_prefetch_distance 0x2
	s_or_b32 exec_lo, exec_lo, s11
	s_waitcnt vmcnt(0) lgkmcnt(0)
	s_barrier
	buffer_gl0_inv
	s_and_saveexec_b32 s10, s5
	s_cbranch_execz .LBB75_33
; %bb.32:                               ;   in Loop: Header=BB75_6 Depth=1
	v_mov_b32_e32 v1, s36
	ds_store_b32 v14, v1 offset:4096
.LBB75_33:                              ;   in Loop: Header=BB75_6 Depth=1
	s_or_b32 exec_lo, exec_lo, s10
	s_mov_b32 s10, -1
	s_waitcnt lgkmcnt(0)
	s_barrier
                                        ; implicit-def: $sgpr89
.LBB75_34:                              ;   in Loop: Header=BB75_6 Depth=1
	s_and_b32 vcc_lo, exec_lo, s10
	s_cbranch_vccz .LBB75_36
; %bb.35:                               ;   in Loop: Header=BB75_6 Depth=1
	buffer_gl0_inv
	ds_load_b32 v1, v14 offset:4096
	s_waitcnt lgkmcnt(0)
	v_readfirstlane_b32 s89, v1
.LBB75_36:                              ;   in Loop: Header=BB75_6 Depth=1
	s_delay_alu instid0(VALU_DEP_1)
	s_cmp_lt_i32 s89, 1
	s_cbranch_scc0 .LBB75_48
; %bb.37:                               ;   in Loop: Header=BB75_6 Depth=1
	v_dual_mov_b32 v7, 0 :: v_dual_mov_b32 v8, 0
	v_dual_mov_b32 v9, 0 :: v_dual_mov_b32 v10, 0
	s_mov_b32 s25, 0
	s_and_saveexec_b32 s24, s7
	s_cbranch_execz .LBB75_41
; %bb.38:                               ;   in Loop: Header=BB75_6 Depth=1
	v_mov_b32_e32 v1, v29
	s_and_b32 s26, s83, 0xfe
	s_mov_b32 s27, 0
	s_mov_b32 s28, 0
	;; [unrolled: 1-line block ×5, first 2 shown]
.LBB75_39:                              ;   Parent Loop BB75_6 Depth=1
                                        ; =>  This Inner Loop Header: Depth=2
	v_dual_mov_b32 v42, v14 :: v_dual_add_nc_u32 v13, s27, v36
	v_dual_mov_b32 v26, v14 :: v_dual_add_nc_u32 v1, s61, v1
	s_delay_alu instid0(VALU_DEP_2) | instskip(SKIP_1) | instid1(VALU_DEP_1)
	v_lshlrev_b64 v[3:4], 3, v[13:14]
	v_add_nc_u32_e32 v13, s27, v18
	v_lshlrev_b64 v[7:8], 3, v[13:14]
	v_add_nc_u32_e32 v13, s27, v34
	s_delay_alu instid0(VALU_DEP_4) | instskip(SKIP_1) | instid1(VALU_DEP_3)
	v_add_co_u32 v3, vcc_lo, s33, v3
	v_add_co_ci_u32_e32 v4, vcc_lo, s43, v4, vcc_lo
	v_lshlrev_b64 v[9:10], 3, v[13:14]
	v_add_nc_u32_e32 v13, s27, v35
	v_add_co_u32 v7, vcc_lo, s33, v7
	global_load_b64 v[3:4], v[3:4], off
	v_add_co_ci_u32_e32 v8, vcc_lo, s43, v8, vcc_lo
	v_lshlrev_b64 v[23:24], 3, v[13:14]
	v_add_co_u32 v9, vcc_lo, s33, v9
	v_add_co_ci_u32_e32 v10, vcc_lo, s43, v10, vcc_lo
	s_clause 0x1
	global_load_b64 v[7:8], v[7:8], off
	global_load_b64 v[9:10], v[9:10], off
	v_add_co_u32 v23, vcc_lo, s33, v23
	v_add_co_ci_u32_e32 v24, vcc_lo, s43, v24, vcc_lo
	v_cmp_le_u32_e32 vcc_lo, s71, v1
	s_add_i32 s27, s27, s74
	global_load_b64 v[23:24], v[23:24], off
	s_waitcnt vmcnt(3)
	v_cmp_o_f64_e64 s10, v[3:4], v[3:4]
	v_ashrrev_i32_e32 v13, 31, v4
	s_delay_alu instid0(VALU_DEP_1)
	v_or_b32_e32 v41, 0x80000000, v13
	v_xor_b32_e32 v13, v13, v3
	s_waitcnt vmcnt(2)
	v_cmp_o_f64_e64 s11, v[7:8], v[7:8]
	s_waitcnt vmcnt(1)
	v_cmp_o_f64_e64 s12, v[9:10], v[9:10]
	v_xor_b32_e32 v41, v41, v4
	v_ashrrev_i32_e32 v44, 31, v10
	v_ashrrev_i32_e32 v43, 31, v8
	s_delay_alu instid0(VALU_DEP_2) | instskip(SKIP_2) | instid1(VALU_DEP_3)
	v_or_b32_e32 v3, 0x80000000, v44
	s_waitcnt vmcnt(0)
	v_cmp_o_f64_e64 s13, v[23:24], v[23:24]
	v_or_b32_e32 v45, 0x80000000, v43
	v_xor_b32_e32 v43, v43, v7
	v_xor_b32_e32 v47, v44, v9
	;; [unrolled: 1-line block ×3, first 2 shown]
	s_delay_alu instid0(VALU_DEP_4) | instskip(SKIP_2) | instid1(VALU_DEP_2)
	v_xor_b32_e32 v45, v45, v8
	v_cndmask_b32_e64 v4, -1, v41, s10
	v_ashrrev_i32_e32 v41, 31, v24
	v_dual_mov_b32 v25, v14 :: v_dual_and_b32 v10, v4, v20
	s_delay_alu instid0(VALU_DEP_2) | instskip(SKIP_3) | instid1(VALU_DEP_4)
	v_or_b32_e32 v7, 0x80000000, v41
	v_xor_b32_e32 v41, v41, v23
	v_cndmask_b32_e64 v8, -1, v45, s11
	v_cndmask_b32_e64 v23, -1, v47, s12
	v_xor_b32_e32 v7, v7, v24
	v_cndmask_b32_e64 v24, -1, v3, s12
	v_cndmask_b32_e64 v3, -1, v13, s10
	v_and_b32_e32 v44, v8, v20
	v_and_b32_e32 v47, v23, v19
	s_delay_alu instid0(VALU_DEP_4) | instskip(NEXT) | instid1(VALU_DEP_4)
	v_and_b32_e32 v48, v24, v20
	v_and_b32_e32 v9, v3, v19
	v_lshrrev_b64 v[3:4], s26, v[3:4]
	v_cndmask_b32_e64 v46, -1, v7, s13
	v_cndmask_b32_e64 v7, -1, v43, s11
	;; [unrolled: 1-line block ×3, first 2 shown]
	v_cmp_eq_u64_e64 s10, v[9:10], v[21:22]
	v_cmp_eq_u64_e64 s16, v[47:48], v[21:22]
	v_and_b32_e32 v13, 3, v3
	v_and_b32_e32 v43, v7, v19
	v_lshrrev_b64 v[7:8], s26, v[7:8]
	v_lshrrev_b64 v[3:4], s26, v[23:24]
	v_and_b32_e32 v49, v46, v20
	v_cmp_eq_u64_e64 s12, 0, v[13:14]
	v_cmp_eq_u64_e64 s13, 1, v[13:14]
	;; [unrolled: 1-line block ×3, first 2 shown]
	v_and_b32_e32 v24, 3, v7
	v_cmp_eq_u64_e64 s15, 3, v[13:14]
	v_cmp_eq_u64_e64 s11, v[43:44], v[21:22]
	s_and_b32 s12, s10, s12
	v_and_b32_e32 v41, 3, v3
	v_cmp_eq_u64_e64 s17, 0, v[24:25]
	v_cmp_eq_u64_e64 s18, 1, v[24:25]
	;; [unrolled: 1-line block ×3, first 2 shown]
	v_lshrrev_b64 v[7:8], s26, v[45:46]
	v_cndmask_b32_e64 v3, 0, 1, s12
	s_and_b32 s12, s10, s13
	v_cmp_eq_u64_e64 s20, 3, v[24:25]
	v_cndmask_b32_e64 v4, 0, 1, s12
	s_and_b32 s12, s10, s14
	s_and_b32 s10, s10, s15
	v_cndmask_b32_e64 v8, 0, 1, s12
	v_cmp_eq_u64_e64 s12, 0, v[41:42]
	v_cmp_eq_u64_e64 s13, 1, v[41:42]
	v_cndmask_b32_e64 v9, 0, 1, s10
	s_and_b32 s17, s11, s17
	s_and_b32 s18, s11, s18
	;; [unrolled: 1-line block ×3, first 2 shown]
	v_and_b32_e32 v48, v45, v19
	v_and_b32_e32 v25, 3, v7
	v_cmp_eq_u64_e64 s14, 2, v[41:42]
	v_cmp_eq_u64_e64 s15, 3, v[41:42]
	v_cmp_ne_u32_e64 s21, 0, v3
	v_cndmask_b32_e64 v3, 0, 1, s17
	v_cmp_ne_u32_e64 s17, 0, v4
	v_cndmask_b32_e64 v4, 0, 1, s18
	v_cndmask_b32_e64 v7, 0, 1, s19
	s_and_b32 s11, s11, s20
	v_cmp_ne_u32_e64 s18, 0, v8
	v_cndmask_b32_e64 v8, 0, 1, s11
	v_cmp_ne_u32_e64 s19, 0, v9
	s_and_b32 s12, s16, s12
	s_and_b32 s13, s16, s13
	v_cmp_eq_u64_e64 s10, v[48:49], v[21:22]
	v_cmp_eq_u64_e64 s11, 0, v[25:26]
	;; [unrolled: 1-line block ×5, first 2 shown]
	s_bcnt1_i32_b32 s92, s21
	v_cmp_ne_u32_e64 s21, 0, v3
	v_cndmask_b32_e64 v3, 0, 1, s12
	v_cmp_ne_u32_e64 s12, 0, v4
	v_cndmask_b32_e64 v4, 0, 1, s13
	v_cmp_ne_u32_e64 s13, 0, v7
	s_and_b32 s14, s16, s14
	s_and_b32 s15, s16, s15
	v_cndmask_b32_e64 v7, 0, 1, s14
	v_cmp_ne_u32_e64 s14, 0, v8
	v_cndmask_b32_e64 v8, 0, 1, s15
	s_bcnt1_i32_b32 s19, s19
	s_and_b32 s11, s10, s11
	s_add_i32 s19, s19, s28
	s_bcnt1_i32_b32 s28, s12
	s_and_b32 s12, s10, s20
	s_bcnt1_i32_b32 s20, s13
	s_and_b32 s13, s10, s22
	s_and_b32 s10, s10, s23
	v_cmp_ne_u32_e64 s15, 0, v3
	v_cndmask_b32_e64 v3, 0, 1, s11
	v_cmp_ne_u32_e64 s11, 0, v4
	v_cndmask_b32_e64 v4, 0, 1, s12
	;; [unrolled: 2-line block ×4, first 2 shown]
	s_bcnt1_i32_b32 s18, s18
	s_add_i32 s16, s92, s91
	s_add_i32 s18, s18, s29
	s_bcnt1_i32_b32 s21, s21
	s_bcnt1_i32_b32 s14, s14
	;; [unrolled: 1-line block ×3, first 2 shown]
	s_add_i32 s16, s16, s21
	s_add_i32 s18, s18, s20
	;; [unrolled: 1-line block ×3, first 2 shown]
	v_cmp_ne_u32_e64 s10, 0, v3
	s_bcnt1_i32_b32 s19, s11
	v_cmp_ne_u32_e64 s11, 0, v4
	s_bcnt1_i32_b32 s20, s12
	;; [unrolled: 2-line block ×3, first 2 shown]
	v_cmp_ne_u32_e64 s13, 0, v8
	s_add_i32 s17, s17, s90
	s_bcnt1_i32_b32 s15, s15
	s_add_i32 s17, s17, s28
	s_add_i32 s15, s16, s15
	;; [unrolled: 1-line block ×5, first 2 shown]
	s_bcnt1_i32_b32 s10, s10
	s_bcnt1_i32_b32 s11, s11
	;; [unrolled: 1-line block ×4, first 2 shown]
	s_add_i32 s91, s15, s10
	s_add_i32 s90, s16, s11
	;; [unrolled: 1-line block ×4, first 2 shown]
	v_mov_b32_e32 v9, s29
	v_dual_mov_b32 v7, s91 :: v_dual_mov_b32 v8, s90
	v_mov_b32_e32 v10, s28
	s_or_b32 s25, vcc_lo, s25
	s_delay_alu instid0(SALU_CYCLE_1)
	s_and_not1_b32 exec_lo, exec_lo, s25
	s_cbranch_execnz .LBB75_39
; %bb.40:                               ;   in Loop: Header=BB75_6 Depth=1
	s_or_b32 exec_lo, exec_lo, s25
.LBB75_41:                              ;   in Loop: Header=BB75_6 Depth=1
	s_delay_alu instid0(SALU_CYCLE_1)
	s_or_b32 exec_lo, exec_lo, s24
	v_mov_b32_e32 v25, 0
	v_mov_b32_e32 v26, 0
	s_and_saveexec_b32 s10, s8
	s_cbranch_execz .LBB75_43
; %bb.42:                               ;   in Loop: Header=BB75_6 Depth=1
	global_load_b64 v[25:26], v[16:17], off
.LBB75_43:                              ;   in Loop: Header=BB75_6 Depth=1
	s_or_b32 exec_lo, exec_lo, s10
	s_and_saveexec_b32 s14, s8
	s_cbranch_execz .LBB75_50
; %bb.44:                               ;   in Loop: Header=BB75_6 Depth=1
	v_mov_b32_e32 v3, v37
	v_mov_b32_e32 v1, v31
	s_and_b32 s16, s83, 0xfe
	s_mov_b32 s15, 0
	s_branch .LBB75_46
.LBB75_45:                              ;   in Loop: Header=BB75_46 Depth=2
	s_or_b32 exec_lo, exec_lo, s11
	s_waitcnt vmcnt(0)
	v_cmp_o_f64_e64 s10, v[25:26], v[25:26]
	v_ashrrev_i32_e32 v4, 31, v26
	s_and_b32 s12, exec_lo, vcc_lo
	v_add_nc_u32_e32 v3, s53, v3
	s_or_b32 s15, s12, s15
	s_delay_alu instid0(VALU_DEP_2) | instskip(SKIP_1) | instid1(VALU_DEP_2)
	v_or_b32_e32 v13, 0x80000000, v4
	v_xor_b32_e32 v4, v4, v25
	v_xor_b32_e32 v13, v13, v26
	s_delay_alu instid0(VALU_DEP_1) | instskip(NEXT) | instid1(VALU_DEP_3)
	v_cndmask_b32_e64 v26, -1, v13, s10
	v_cndmask_b32_e64 v25, -1, v4, s10
	s_delay_alu instid0(VALU_DEP_1) | instskip(SKIP_2) | instid1(VALU_DEP_3)
	v_lshrrev_b64 v[41:42], s16, v[25:26]
	v_and_b32_e32 v26, v26, v20
	v_and_b32_e32 v25, v25, v19
	;; [unrolled: 1-line block ×3, first 2 shown]
	s_delay_alu instid0(VALU_DEP_2) | instskip(NEXT) | instid1(VALU_DEP_2)
	v_cmp_eq_u64_e64 s10, v[25:26], v[21:22]
	v_cmp_eq_u64_e64 s11, 0, v[13:14]
	v_cmp_eq_u64_e32 vcc_lo, 1, v[13:14]
	v_cmp_eq_u64_e64 s12, 2, v[13:14]
	v_cmp_eq_u64_e64 s13, 3, v[13:14]
	s_delay_alu instid0(VALU_DEP_4) | instskip(NEXT) | instid1(SALU_CYCLE_1)
	s_and_b32 s11, s10, s11
	v_cndmask_b32_e64 v4, 0, 1, s11
	s_and_b32 s11, s10, vcc_lo
	s_delay_alu instid0(SALU_CYCLE_1)
	v_cndmask_b32_e64 v13, 0, 1, s11
	s_and_b32 s11, s10, s12
	s_and_b32 s10, s10, s13
	v_cndmask_b32_e64 v25, 0, 1, s11
	v_cndmask_b32_e64 v26, 0, 1, s10
	v_cmp_ne_u32_e32 vcc_lo, 0, v4
	v_cmp_ne_u32_e64 s10, 0, v13
	s_delay_alu instid0(VALU_DEP_4) | instskip(NEXT) | instid1(VALU_DEP_4)
	v_cmp_ne_u32_e64 s11, 0, v25
	v_cmp_ne_u32_e64 s12, 0, v26
	v_mov_b32_e32 v26, v24
	s_bcnt1_i32_b32 s13, vcc_lo
	s_bcnt1_i32_b32 s10, s10
	s_bcnt1_i32_b32 s11, s11
	;; [unrolled: 1-line block ×3, first 2 shown]
	v_add_nc_u32_e32 v7, s13, v7
	v_add_nc_u32_e32 v8, s10, v8
	;; [unrolled: 1-line block ×3, first 2 shown]
	v_dual_mov_b32 v25, v23 :: v_dual_add_nc_u32 v10, s12, v10
	s_and_not1_b32 exec_lo, exec_lo, s15
	s_cbranch_execz .LBB75_49
.LBB75_46:                              ;   Parent Loop BB75_6 Depth=1
                                        ; =>  This Inner Loop Header: Depth=2
	s_delay_alu instid0(VALU_DEP_1) | instskip(SKIP_3) | instid1(VALU_DEP_3)
	v_add_nc_u32_e32 v1, s47, v1
	v_mov_b32_e32 v23, 0
	v_mov_b32_e32 v24, 0
	s_mov_b32 s11, exec_lo
	v_cmp_le_u32_e32 vcc_lo, s36, v1
	v_cmpx_gt_u32_e64 s36, v1
	s_cbranch_execz .LBB75_45
; %bb.47:                               ;   in Loop: Header=BB75_46 Depth=2
	v_mov_b32_e32 v4, v14
	s_delay_alu instid0(VALU_DEP_1) | instskip(NEXT) | instid1(VALU_DEP_1)
	v_lshlrev_b64 v[23:24], 3, v[3:4]
	v_add_co_u32 v23, s10, s33, v23
	s_delay_alu instid0(VALU_DEP_1)
	v_add_co_ci_u32_e64 v24, s10, s43, v24, s10
	global_load_b64 v[23:24], v[23:24], off
	s_branch .LBB75_45
.LBB75_48:                              ;   in Loop: Header=BB75_6 Depth=1
                                        ; implicit-def: $vgpr10
	s_cbranch_execnz .LBB75_51
	s_branch .LBB75_60
.LBB75_49:                              ;   in Loop: Header=BB75_6 Depth=1
	s_or_b32 exec_lo, exec_lo, s15
.LBB75_50:                              ;   in Loop: Header=BB75_6 Depth=1
	s_delay_alu instid0(SALU_CYCLE_1)
	s_or_b32 exec_lo, exec_lo, s14
	s_branch .LBB75_60
.LBB75_51:                              ;   in Loop: Header=BB75_6 Depth=1
	s_mul_hi_u32 s10, s89, s70
	v_dual_mov_b32 v7, 0 :: v_dual_mov_b32 v8, 0
	s_mul_i32 s10, s10, s61
	v_dual_mov_b32 v9, 0 :: v_dual_mov_b32 v10, 0
	s_sub_i32 s10, s89, s10
	s_mov_b32 s92, 0
	s_sub_i32 s11, s10, s61
	s_cmp_ge_u32 s10, s61
	s_mov_b32 s91, exec_lo
	s_cselect_b32 s10, s11, s10
	s_delay_alu instid0(SALU_CYCLE_1) | instskip(SKIP_2) | instid1(SALU_CYCLE_1)
	s_sub_i32 s11, s10, s61
	s_cmp_ge_u32 s10, s61
	s_cselect_b32 s10, s11, s10
	s_sub_i32 s90, s89, s10
	s_delay_alu instid0(SALU_CYCLE_1)
	v_cmpx_gt_u32_e64 s90, v29
	s_cbranch_execz .LBB75_55
; %bb.52:                               ;   in Loop: Header=BB75_6 Depth=1
	v_mov_b32_e32 v1, v38
	v_mov_b32_e32 v3, v29
	s_and_b32 s93, s83, 0xfe
	s_mov_b32 s94, 0
	s_mov_b32 s95, 0
	;; [unrolled: 1-line block ×4, first 2 shown]
.LBB75_53:                              ;   Parent Loop BB75_6 Depth=1
                                        ; =>  This Inner Loop Header: Depth=2
	ds_load_b128 v[7:10], v1
	s_waitcnt vmcnt(0)
	ds_load_b128 v[23:26], v1 offset:16
	v_dual_mov_b32 v42, v14 :: v_dual_add_nc_u32 v3, s61, v3
	v_dual_mov_b32 v44, v14 :: v_dual_add_nc_u32 v1, s75, v1
	s_delay_alu instid0(VALU_DEP_2)
	v_cmp_le_u32_e32 vcc_lo, s90, v3
	s_waitcnt lgkmcnt(1)
	v_cmp_o_f64_e64 s11, v[7:8], v[7:8]
	s_waitcnt lgkmcnt(0)
	v_cmp_o_f64_e64 s13, v[25:26], v[25:26]
	v_cmp_o_f64_e64 s10, v[9:10], v[9:10]
	;; [unrolled: 1-line block ×3, first 2 shown]
	v_ashrrev_i32_e32 v4, 31, v8
	v_ashrrev_i32_e32 v43, 31, v26
	;; [unrolled: 1-line block ×4, first 2 shown]
	s_delay_alu instid0(VALU_DEP_4) | instskip(NEXT) | instid1(VALU_DEP_4)
	v_or_b32_e32 v45, 0x80000000, v4
	v_or_b32_e32 v49, 0x80000000, v43
	s_delay_alu instid0(VALU_DEP_4) | instskip(NEXT) | instid1(VALU_DEP_4)
	v_or_b32_e32 v47, 0x80000000, v13
	v_or_b32_e32 v48, 0x80000000, v41
	v_xor_b32_e32 v4, v4, v7
	v_xor_b32_e32 v45, v45, v8
	;; [unrolled: 1-line block ×8, first 2 shown]
	v_cndmask_b32_e64 v8, -1, v45, s11
	v_cndmask_b32_e64 v26, -1, v7, s13
	;; [unrolled: 1-line block ×7, first 2 shown]
	v_dual_mov_b32 v46, v14 :: v_dual_and_b32 v47, v7, v19
	v_and_b32_e32 v48, v8, v20
	v_lshrrev_b64 v[7:8], s93, v[7:8]
	v_cndmask_b32_e64 v25, -1, v43, s13
	v_and_b32_e32 v49, v9, v19
	v_lshrrev_b64 v[8:9], s93, v[9:10]
	v_and_b32_e32 v50, v10, v20
	v_lshrrev_b64 v[9:10], s93, v[23:24]
	v_and_b32_e32 v52, v24, v20
	v_and_b32_e32 v51, v23, v19
	v_lshrrev_b64 v[23:24], s93, v[25:26]
	v_and_b32_e32 v13, 3, v7
	v_and_b32_e32 v41, 3, v8
	;; [unrolled: 1-line block ×3, first 2 shown]
	v_cmp_eq_u64_e64 s10, v[47:48], v[21:22]
	v_and_b32_e32 v54, v26, v20
	v_cmp_eq_u64_e64 s14, 0, v[13:14]
	v_and_b32_e32 v53, v25, v19
	v_and_b32_e32 v45, 3, v23
	v_cmp_eq_u64_e64 s11, v[49:50], v[21:22]
	v_cmp_eq_u64_e64 s15, 0, v[41:42]
	;; [unrolled: 1-line block ×6, first 2 shown]
	s_and_b32 s14, s10, s14
	v_cmp_eq_u64_e64 s18, 1, v[13:14]
	v_cndmask_b32_e64 v4, 0, 1, s14
	s_and_b32 s14, s11, s15
	v_cmp_eq_u64_e64 s19, 1, v[41:42]
	v_cndmask_b32_e64 v7, 0, 1, s14
	;; [unrolled: 3-line block ×4, first 2 shown]
	s_and_b32 s14, s10, s18
	v_cmp_eq_u64_e64 s22, 2, v[13:14]
	v_cmp_eq_u64_e64 s26, 3, v[13:14]
	v_cndmask_b32_e64 v10, 0, 1, s14
	s_and_b32 s14, s11, s19
	v_cmp_eq_u64_e64 s23, 2, v[41:42]
	v_cmp_eq_u64_e64 s27, 3, v[41:42]
	v_cndmask_b32_e64 v13, 0, 1, s14
	;; [unrolled: 4-line block ×4, first 2 shown]
	s_and_b32 s14, s10, s22
	s_and_b32 s10, s10, s26
	v_cndmask_b32_e64 v25, 0, 1, s14
	s_and_b32 s14, s11, s23
	v_cndmask_b32_e64 v43, 0, 1, s10
	;; [unrolled: 2-line block ×7, first 2 shown]
	v_cndmask_b32_e64 v46, 0, 1, s10
	v_cmp_ne_u32_e64 s10, 0, v4
	v_cmp_ne_u32_e64 s14, 0, v10
	;; [unrolled: 1-line block ×12, first 2 shown]
	s_bcnt1_i32_b32 s10, s10
	s_bcnt1_i32_b32 s14, s14
	;; [unrolled: 1-line block ×4, first 2 shown]
	v_cmp_ne_u32_e64 s13, 0, v9
	v_cmp_ne_u32_e64 s17, 0, v24
	;; [unrolled: 1-line block ×4, first 2 shown]
	s_bcnt1_i32_b32 s11, s11
	s_bcnt1_i32_b32 s15, s15
	s_bcnt1_i32_b32 s19, s19
	s_bcnt1_i32_b32 s23, s23
	s_add_i32 s10, s10, s97
	s_add_i32 s14, s14, s96
	s_add_i32 s18, s18, s95
	s_add_i32 s22, s22, s94
	s_bcnt1_i32_b32 s12, s12
	s_bcnt1_i32_b32 s16, s16
	s_bcnt1_i32_b32 s20, s20
	s_bcnt1_i32_b32 s24, s24
	s_add_i32 s10, s10, s11
	s_add_i32 s11, s14, s15
	s_add_i32 s14, s18, s19
	s_add_i32 s15, s22, s23
	;; [unrolled: 8-line block ×3, first 2 shown]
	s_add_i32 s97, s10, s13
	s_add_i32 s96, s11, s17
	;; [unrolled: 1-line block ×4, first 2 shown]
	s_delay_alu instid0(SALU_CYCLE_1) | instskip(SKIP_2) | instid1(SALU_CYCLE_1)
	v_dual_mov_b32 v7, s97 :: v_dual_mov_b32 v10, s94
	v_dual_mov_b32 v8, s96 :: v_dual_mov_b32 v9, s95
	s_or_b32 s92, vcc_lo, s92
	s_and_not1_b32 exec_lo, exec_lo, s92
	s_cbranch_execnz .LBB75_53
; %bb.54:                               ;   in Loop: Header=BB75_6 Depth=1
	s_or_b32 exec_lo, exec_lo, s92
.LBB75_55:                              ;   in Loop: Header=BB75_6 Depth=1
	s_delay_alu instid0(SALU_CYCLE_1) | instskip(SKIP_2) | instid1(VALU_DEP_1)
	s_or_b32 exec_lo, exec_lo, s91
	v_add_nc_u32_e32 v1, s90, v0
	s_mov_b32 s15, exec_lo
	v_cmpx_gt_u32_e64 s89, v1
	s_cbranch_execz .LBB75_59
; %bb.56:                               ;   in Loop: Header=BB75_6 Depth=1
	v_lshlrev_b32_e32 v3, 3, v1
	s_and_b32 s17, s83, 0xfe
	s_mov_b32 s16, 0
.LBB75_57:                              ;   Parent Loop BB75_6 Depth=1
                                        ; =>  This Inner Loop Header: Depth=2
	ds_load_b64 v[23:24], v3
	v_add_nc_u32_e32 v1, s47, v1
	s_delay_alu instid0(VALU_DEP_1) | instskip(SKIP_3) | instid1(VALU_DEP_1)
	v_cmp_le_u32_e64 s10, s89, v1
	s_waitcnt lgkmcnt(0)
	v_cmp_o_f64_e32 vcc_lo, v[23:24], v[23:24]
	v_ashrrev_i32_e32 v4, 31, v24
	v_or_b32_e32 v13, 0x80000000, v4
	v_xor_b32_e32 v4, v4, v23
	s_delay_alu instid0(VALU_DEP_2) | instskip(NEXT) | instid1(VALU_DEP_1)
	v_xor_b32_e32 v13, v13, v24
	v_dual_cndmask_b32 v24, -1, v13 :: v_dual_add_nc_u32 v3, s76, v3
	s_delay_alu instid0(VALU_DEP_3) | instskip(SKIP_1) | instid1(VALU_DEP_2)
	v_cndmask_b32_e32 v23, -1, v4, vcc_lo
	s_waitcnt vmcnt(0)
	v_and_b32_e32 v26, v24, v20
	s_delay_alu instid0(VALU_DEP_2) | instskip(SKIP_1) | instid1(VALU_DEP_2)
	v_and_b32_e32 v25, v23, v19
	v_lshrrev_b64 v[23:24], s17, v[23:24]
	v_cmp_eq_u64_e32 vcc_lo, v[25:26], v[21:22]
	s_delay_alu instid0(VALU_DEP_2) | instskip(NEXT) | instid1(VALU_DEP_1)
	v_and_b32_e32 v13, 3, v23
	v_cmp_eq_u64_e64 s11, 0, v[13:14]
	v_cmp_eq_u64_e64 s12, 1, v[13:14]
	;; [unrolled: 1-line block ×4, first 2 shown]
	s_delay_alu instid0(VALU_DEP_4) | instskip(NEXT) | instid1(SALU_CYCLE_1)
	s_and_b32 s11, vcc_lo, s11
	v_cndmask_b32_e64 v4, 0, 1, s11
	s_delay_alu instid0(VALU_DEP_4) | instskip(NEXT) | instid1(SALU_CYCLE_1)
	s_and_b32 s11, vcc_lo, s12
	v_cndmask_b32_e64 v13, 0, 1, s11
	s_and_b32 s11, vcc_lo, s13
	s_delay_alu instid0(SALU_CYCLE_1)
	v_cndmask_b32_e64 v23, 0, 1, s11
	s_and_b32 s11, vcc_lo, s14
	v_cmp_ne_u32_e32 vcc_lo, 0, v4
	v_cndmask_b32_e64 v24, 0, 1, s11
	v_cmp_ne_u32_e64 s11, 0, v13
	v_cmp_ne_u32_e64 s12, 0, v23
	s_bcnt1_i32_b32 s14, vcc_lo
	s_delay_alu instid0(VALU_DEP_3) | instskip(NEXT) | instid1(VALU_DEP_3)
	v_cmp_ne_u32_e64 s13, 0, v24
	s_bcnt1_i32_b32 s11, s11
	s_delay_alu instid0(VALU_DEP_2)
	s_bcnt1_i32_b32 s12, s12
	v_add_nc_u32_e32 v7, s14, v7
	v_add_nc_u32_e32 v8, s11, v8
	s_bcnt1_i32_b32 s13, s13
	v_add_nc_u32_e32 v9, s12, v9
	v_add_nc_u32_e32 v10, s13, v10
	s_or_b32 s16, s10, s16
	s_delay_alu instid0(SALU_CYCLE_1)
	s_and_not1_b32 exec_lo, exec_lo, s16
	s_cbranch_execnz .LBB75_57
; %bb.58:                               ;   in Loop: Header=BB75_6 Depth=1
	s_or_b32 exec_lo, exec_lo, s16
.LBB75_59:                              ;   in Loop: Header=BB75_6 Depth=1
	s_delay_alu instid0(SALU_CYCLE_1)
	s_or_b32 exec_lo, exec_lo, s15
.LBB75_60:                              ;   in Loop: Header=BB75_6 Depth=1
	s_lshl_b32 s10, s78, 7
	s_and_saveexec_b32 s11, s2
	s_cbranch_execz .LBB75_62
; %bb.61:                               ;   in Loop: Header=BB75_6 Depth=1
	v_or_b32_e32 v1, s10, v30
	s_delay_alu instid0(VALU_DEP_1)
	v_lshlrev_b32_e32 v1, 2, v1
	ds_store_b128 v1, v[7:10] offset:3072
.LBB75_62:                              ;   in Loop: Header=BB75_6 Depth=1
	s_or_b32 exec_lo, exec_lo, s11
	s_waitcnt vmcnt(0) lgkmcnt(0)
	s_barrier
	buffer_gl0_inv
	s_and_saveexec_b32 s11, s62
	s_cbranch_execz .LBB75_72
; %bb.63:                               ;   in Loop: Header=BB75_6 Depth=1
	v_mov_b32_e32 v1, 0
	s_and_not1_b32 vcc_lo, exec_lo, s64
	s_cbranch_vccnz .LBB75_71
; %bb.64:                               ;   in Loop: Header=BB75_6 Depth=1
	v_mov_b32_e32 v1, 0
	s_and_not1_b32 vcc_lo, exec_lo, s67
	s_mov_b32 s12, 0
	s_cbranch_vccnz .LBB75_68
; %bb.65:                               ;   in Loop: Header=BB75_6 Depth=1
	v_lshl_add_u32 v3, s78, 9, v39
	v_mov_b32_e32 v1, 0
	.p2align	6
.LBB75_66:                              ;   Parent Loop BB75_6 Depth=1
                                        ; =>  This Inner Loop Header: Depth=2
	ds_load_2addr_b32 v[7:8], v3 offset1:4
	ds_load_2addr_b32 v[9:10], v3 offset0:8 offset1:12
	ds_load_2addr_b32 v[23:24], v3 offset0:16 offset1:20
	;; [unrolled: 1-line block ×3, first 2 shown]
	v_add_nc_u32_e32 v3, 0x80, v3
	s_add_i32 s12, s12, 8
	s_delay_alu instid0(SALU_CYCLE_1) | instskip(SKIP_3) | instid1(VALU_DEP_1)
	s_cmp_eq_u32 s68, s12
	s_waitcnt lgkmcnt(3)
	v_add3_u32 v1, v7, v1, v8
	s_waitcnt lgkmcnt(2)
	v_add3_u32 v1, v9, v1, v10
	s_waitcnt lgkmcnt(1)
	s_delay_alu instid0(VALU_DEP_1) | instskip(SKIP_1) | instid1(VALU_DEP_1)
	v_add3_u32 v1, v23, v1, v24
	s_waitcnt lgkmcnt(0)
	v_add3_u32 v1, v25, v1, v26
	s_cbranch_scc0 .LBB75_66
; %bb.67:                               ;   in Loop: Header=BB75_6 Depth=1
	s_mov_b32 s12, s68
.LBB75_68:                              ;   in Loop: Header=BB75_6 Depth=1
	s_and_not1_b32 vcc_lo, exec_lo, s69
	s_cbranch_vccnz .LBB75_71
; %bb.69:                               ;   in Loop: Header=BB75_6 Depth=1
	s_lshl_b32 s13, s78, 9
	s_lshl_b32 s12, s12, 4
	s_delay_alu instid0(SALU_CYCLE_1)
	v_add3_u32 v3, s13, s12, v39
	s_mov_b32 s12, s66
.LBB75_70:                              ;   Parent Loop BB75_6 Depth=1
                                        ; =>  This Inner Loop Header: Depth=2
	ds_load_b32 v4, v3
	v_add_nc_u32_e32 v3, 16, v3
	s_add_i32 s12, s12, -1
	s_delay_alu instid0(SALU_CYCLE_1)
	s_cmp_lg_u32 s12, 0
	s_waitcnt lgkmcnt(0)
	v_add_nc_u32_e32 v1, v4, v1
	s_cbranch_scc1 .LBB75_70
.LBB75_71:                              ;   in Loop: Header=BB75_6 Depth=1
	v_add_lshl_u32 v3, s10, v28, 2
	ds_store_b32 v3, v1 offset:3072
.LBB75_72:                              ;   in Loop: Header=BB75_6 Depth=1
	s_or_b32 exec_lo, exec_lo, s11
	s_lshl_b32 s10, s10, 2
	s_waitcnt lgkmcnt(0)
	v_mov_b32_e32 v1, s10
	s_barrier
	buffer_gl0_inv
	s_and_b32 s19, s83, 0xfe
	v_cmp_eq_u32_e64 s10, 1, v40
	ds_load_b128 v[7:10], v1 offset:3072
	s_lshl_b64 s[12:13], 3, s19
	s_mov_b32 s22, 0
	s_and_not1_b32 vcc_lo, exec_lo, s54
	s_not_b64 s[14:15], s[12:13]
	s_waitcnt lgkmcnt(0)
	v_readfirstlane_b32 s16, v7
	v_readfirstlane_b32 s18, v8
	v_readfirstlane_b32 s20, v9
	v_readfirstlane_b32 s21, v10
	s_cbranch_vccnz .LBB75_85
; %bb.73:                               ;   in Loop: Header=BB75_6 Depth=1
	s_cmp_eq_u32 s16, 1
	v_dual_mov_b32 v24, v22 :: v_dual_mov_b32 v23, v21
	v_dual_mov_b32 v26, v20 :: v_dual_mov_b32 v25, v19
	;; [unrolled: 1-line block ×3, first 2 shown]
	s_cselect_b32 s11, -1, 0
	s_mov_b32 s28, -1
	s_and_b32 s27, s11, s10
                                        ; implicit-def: $sgpr17
                                        ; implicit-def: $sgpr24
                                        ; implicit-def: $sgpr23
	s_delay_alu instid0(SALU_CYCLE_1)
	s_and_saveexec_b32 s22, s27
	s_cbranch_execz .LBB75_104
; %bb.74:                               ;   in Loop: Header=BB75_6 Depth=1
	ds_load_b32 v1, v14 offset:4096
	s_waitcnt lgkmcnt(0)
	s_barrier
	buffer_gl0_inv
	v_readfirstlane_b32 s17, v1
	s_and_saveexec_b32 s11, s6
	s_cbranch_execz .LBB75_76
; %bb.75:                               ;   in Loop: Header=BB75_6 Depth=1
	v_mov_b32_e32 v13, v14
	ds_store_b64 v33, v[13:14]
.LBB75_76:                              ;   in Loop: Header=BB75_6 Depth=1
	s_or_b32 exec_lo, exec_lo, s11
	v_and_b32_e32 v24, s15, v22
	v_and_b32_e32 v23, s14, v21
	v_or_b32_e32 v26, s13, v20
	v_or_b32_e32 v25, s12, v19
	s_cmp_eq_u32 s17, 0
	s_waitcnt lgkmcnt(0)
	s_barrier
	buffer_gl0_inv
	s_cbranch_scc1 .LBB75_90
; %bb.77:                               ;   in Loop: Header=BB75_6 Depth=1
	s_add_i32 s11, s17, s65
                                        ; implicit-def: $vgpr9_vgpr10
	s_delay_alu instid0(SALU_CYCLE_1) | instskip(NEXT) | instid1(SALU_CYCLE_1)
	s_mul_hi_u32 s23, s11, s72
	s_mul_i32 s23, s23, s47
	s_delay_alu instid0(SALU_CYCLE_1) | instskip(NEXT) | instid1(SALU_CYCLE_1)
	s_sub_i32 s23, s11, s23
	s_sub_i32 s24, s23, s47
	s_cmp_ge_u32 s23, s47
	s_cselect_b32 s23, s24, s23
	s_delay_alu instid0(SALU_CYCLE_1) | instskip(SKIP_2) | instid1(SALU_CYCLE_1)
	s_sub_i32 s24, s23, s47
	s_cmp_ge_u32 s23, s47
	s_cselect_b32 s23, s24, s23
	s_sub_i32 s24, s11, s23
	s_mov_b32 s11, 0
	s_mov_b32 s23, exec_lo
	v_cmpx_gt_u32_e64 s24, v0
	s_cbranch_execz .LBB75_92
; %bb.78:                               ;   in Loop: Header=BB75_6 Depth=1
	v_mov_b32_e32 v13, v32
	v_mov_b32_e32 v41, v0
	s_mov_b32 s26, 0
                                        ; implicit-def: $sgpr25
	s_set_inst_prefetch_distance 0x1
	s_branch .LBB75_80
	.p2align	6
.LBB75_79:                              ;   in Loop: Header=BB75_80 Depth=2
	s_or_b32 exec_lo, exec_lo, s11
	s_waitcnt lgkmcnt(0)
	s_barrier
	buffer_gl0_inv
	ds_load_b128 v[7:10], v14 offset:3072
	v_add_nc_u32_e32 v41, s47, v41
	v_add_nc_u32_e32 v13, s76, v13
	s_waitcnt lgkmcnt(0)
	s_barrier
	buffer_gl0_inv
	v_cmp_le_u32_e64 s11, s24, v41
	v_cmp_neq_f64_e32 vcc_lo, 0, v[7:8]
	s_delay_alu instid0(VALU_DEP_2) | instskip(NEXT) | instid1(SALU_CYCLE_1)
	s_or_b32 s11, s11, vcc_lo
	s_and_b32 s11, exec_lo, s11
	s_delay_alu instid0(SALU_CYCLE_1) | instskip(SKIP_2) | instid1(SALU_CYCLE_1)
	s_or_b32 s26, s11, s26
	s_and_not1_b32 s11, s25, exec_lo
	s_and_b32 s25, vcc_lo, exec_lo
	s_or_b32 s25, s11, s25
	s_and_not1_b32 exec_lo, exec_lo, s26
	s_cbranch_execz .LBB75_91
.LBB75_80:                              ;   Parent Loop BB75_6 Depth=1
                                        ; =>  This Inner Loop Header: Depth=2
	v_mov_b32_e32 v3, 0
	v_mov_b32_e32 v4, 0
	v_cmp_gt_u32_e32 vcc_lo, s17, v41
	s_and_saveexec_b32 s11, vcc_lo
	s_cbranch_execz .LBB75_82
; %bb.81:                               ;   in Loop: Header=BB75_80 Depth=2
	ds_load_b64 v[3:4], v13
.LBB75_82:                              ;   in Loop: Header=BB75_80 Depth=2
	s_or_b32 exec_lo, exec_lo, s11
	s_and_saveexec_b32 s11, vcc_lo
	s_cbranch_execz .LBB75_79
; %bb.83:                               ;   in Loop: Header=BB75_80 Depth=2
	s_waitcnt lgkmcnt(0)
	v_cmp_o_f64_e32 vcc_lo, v[3:4], v[3:4]
	v_ashrrev_i32_e32 v1, 31, v4
	s_delay_alu instid0(VALU_DEP_1) | instskip(SKIP_1) | instid1(VALU_DEP_2)
	v_or_b32_e32 v7, 0x80000000, v1
	v_xor_b32_e32 v1, v1, v3
	v_xor_b32_e32 v7, v7, v4
	s_delay_alu instid0(VALU_DEP_1) | instskip(NEXT) | instid1(VALU_DEP_1)
	v_cndmask_b32_e32 v7, -1, v7, vcc_lo
	v_dual_cndmask_b32 v1, -1, v1 :: v_dual_and_b32 v8, v7, v26
	s_delay_alu instid0(VALU_DEP_1) | instskip(NEXT) | instid1(VALU_DEP_1)
	v_and_b32_e32 v7, v1, v25
	v_cmp_eq_u64_e32 vcc_lo, v[7:8], v[23:24]
	s_and_b32 exec_lo, exec_lo, vcc_lo
	s_cbranch_execz .LBB75_79
; %bb.84:                               ;   in Loop: Header=BB75_80 Depth=2
	v_mov_b32_e32 v1, v14
	ds_store_b128 v14, v[1:4] offset:3072
	s_branch .LBB75_79
.LBB75_85:                              ;   in Loop: Header=BB75_6 Depth=1
	s_mov_b32 s11, 0
                                        ; implicit-def: $sgpr23
                                        ; implicit-def: $sgpr24
                                        ; implicit-def: $sgpr17
                                        ; implicit-def: $vgpr1
                                        ; implicit-def: $vgpr41
                                        ; implicit-def: $vgpr23_vgpr24
                                        ; implicit-def: $vgpr25_vgpr26
                                        ; implicit-def: $vgpr9_vgpr10
	s_cbranch_execnz .LBB75_240
.LBB75_86:                              ;   in Loop: Header=BB75_6 Depth=1
	s_mov_b32 s25, s17
	s_mov_b32 s26, s17
	s_and_saveexec_b32 s10, s22
	s_cbranch_execnz .LBB75_402
	s_branch .LBB75_403
.LBB75_87:                              ;   in Loop: Header=BB75_6 Depth=1
	s_or_b32 exec_lo, exec_lo, s12
	s_waitcnt vmcnt(0) lgkmcnt(0)
	s_barrier
	buffer_gl0_inv
	s_and_saveexec_b32 s10, s5
	s_cbranch_execz .LBB75_89
; %bb.88:                               ;   in Loop: Header=BB75_6 Depth=1
	ds_load_b32 v1, v14 offset:4104
	s_waitcnt lgkmcnt(0)
	ds_store_b32 v14, v1 offset:4096
.LBB75_89:                              ;   in Loop: Header=BB75_6 Depth=1
	s_or_b32 exec_lo, exec_lo, s10
	s_waitcnt lgkmcnt(0)
	s_mov_b32 s10, -1
	s_barrier
	s_and_b32 vcc_lo, exec_lo, s89
	s_cbranch_vccnz .LBB75_24
	s_branch .LBB75_34
.LBB75_90:                              ;   in Loop: Header=BB75_6 Depth=1
	s_mov_b32 s17, -1
	s_mov_b32 s11, 0
                                        ; implicit-def: $sgpr23
                                        ; implicit-def: $vgpr9_vgpr10
	s_mov_b32 s24, s17
	s_cbranch_execnz .LBB75_93
	s_branch .LBB75_103
.LBB75_91:                              ;   in Loop: Header=BB75_6 Depth=1
	s_set_inst_prefetch_distance 0x2
	s_or_b32 exec_lo, exec_lo, s26
	s_delay_alu instid0(SALU_CYCLE_1)
	s_and_b32 s11, s25, exec_lo
.LBB75_92:                              ;   in Loop: Header=BB75_6 Depth=1
	s_or_b32 exec_lo, exec_lo, s23
	s_mov_b32 s23, -1
	s_mov_b32 s17, 0
	s_delay_alu instid0(SALU_CYCLE_1)
	s_mov_b32 s24, s17
	s_branch .LBB75_103
.LBB75_93:                              ;   in Loop: Header=BB75_6 Depth=1
	s_mov_b32 s11, 0
                                        ; implicit-def: $vgpr9_vgpr10
	s_and_saveexec_b32 s17, s9
	s_cbranch_execz .LBB75_102
; %bb.94:                               ;   in Loop: Header=BB75_6 Depth=1
	v_mov_b32_e32 v13, v15
	v_mov_b32_e32 v41, v0
	s_mov_b32 s24, 0
                                        ; implicit-def: $sgpr23
	s_branch .LBB75_96
.LBB75_95:                              ;   in Loop: Header=BB75_96 Depth=2
	s_or_b32 exec_lo, exec_lo, s11
	s_waitcnt vmcnt(0) lgkmcnt(0)
	s_barrier
	buffer_gl0_inv
	ds_load_b128 v[7:10], v14 offset:3072
	v_add_nc_u32_e32 v41, s47, v41
	v_add_nc_u32_e32 v13, s53, v13
	s_waitcnt lgkmcnt(0)
	s_barrier
	buffer_gl0_inv
	v_cmp_le_u32_e64 s11, s73, v41
	v_cmp_neq_f64_e32 vcc_lo, 0, v[7:8]
	s_delay_alu instid0(VALU_DEP_2) | instskip(NEXT) | instid1(SALU_CYCLE_1)
	s_or_b32 s11, s11, vcc_lo
	s_and_b32 s11, exec_lo, s11
	s_delay_alu instid0(SALU_CYCLE_1) | instskip(SKIP_2) | instid1(SALU_CYCLE_1)
	s_or_b32 s24, s11, s24
	s_and_not1_b32 s11, s23, exec_lo
	s_and_b32 s23, vcc_lo, exec_lo
	s_or_b32 s23, s11, s23
	s_and_not1_b32 exec_lo, exec_lo, s24
	s_cbranch_execz .LBB75_101
.LBB75_96:                              ;   Parent Loop BB75_6 Depth=1
                                        ; =>  This Inner Loop Header: Depth=2
	v_mov_b32_e32 v3, 0
	v_mov_b32_e32 v4, 0
	v_cmp_gt_u32_e32 vcc_lo, s36, v41
	s_and_saveexec_b32 s25, vcc_lo
	s_cbranch_execz .LBB75_98
; %bb.97:                               ;   in Loop: Header=BB75_96 Depth=2
	v_lshlrev_b64 v[3:4], 3, v[13:14]
	s_delay_alu instid0(VALU_DEP_1) | instskip(NEXT) | instid1(VALU_DEP_1)
	v_add_co_u32 v3, s11, s33, v3
	v_add_co_ci_u32_e64 v4, s11, s43, v4, s11
	global_load_b64 v[3:4], v[3:4], off
.LBB75_98:                              ;   in Loop: Header=BB75_96 Depth=2
	s_or_b32 exec_lo, exec_lo, s25
	s_and_saveexec_b32 s11, vcc_lo
	s_cbranch_execz .LBB75_95
; %bb.99:                               ;   in Loop: Header=BB75_96 Depth=2
	s_waitcnt vmcnt(0)
	v_cmp_o_f64_e32 vcc_lo, v[3:4], v[3:4]
	v_ashrrev_i32_e32 v1, 31, v4
	s_delay_alu instid0(VALU_DEP_1) | instskip(SKIP_1) | instid1(VALU_DEP_2)
	v_or_b32_e32 v7, 0x80000000, v1
	v_xor_b32_e32 v1, v1, v3
	v_xor_b32_e32 v7, v7, v4
	s_delay_alu instid0(VALU_DEP_1) | instskip(NEXT) | instid1(VALU_DEP_1)
	v_cndmask_b32_e32 v7, -1, v7, vcc_lo
	v_dual_cndmask_b32 v1, -1, v1 :: v_dual_and_b32 v8, v7, v26
	s_delay_alu instid0(VALU_DEP_1) | instskip(NEXT) | instid1(VALU_DEP_1)
	v_and_b32_e32 v7, v1, v25
	v_cmp_eq_u64_e32 vcc_lo, v[7:8], v[23:24]
	s_and_b32 exec_lo, exec_lo, vcc_lo
	s_cbranch_execz .LBB75_95
; %bb.100:                              ;   in Loop: Header=BB75_96 Depth=2
	v_mov_b32_e32 v1, v14
	ds_store_b128 v14, v[1:4] offset:3072
	s_branch .LBB75_95
.LBB75_101:                             ;   in Loop: Header=BB75_6 Depth=1
	s_or_b32 exec_lo, exec_lo, s24
	s_delay_alu instid0(SALU_CYCLE_1)
	s_and_b32 s11, s23, exec_lo
.LBB75_102:                             ;   in Loop: Header=BB75_6 Depth=1
	s_or_b32 exec_lo, exec_lo, s17
	s_mov_b32 s24, -1
	s_mov_b32 s17, 0
	s_mov_b32 s23, 0
.LBB75_103:                             ;   in Loop: Header=BB75_6 Depth=1
	s_or_not1_b32 s28, s11, exec_lo
.LBB75_104:                             ;   in Loop: Header=BB75_6 Depth=1
	s_or_b32 exec_lo, exec_lo, s22
	s_mov_b32 s25, 0
	s_mov_b32 s22, 0
	;; [unrolled: 1-line block ×3, first 2 shown]
                                        ; implicit-def: $vgpr1
                                        ; implicit-def: $vgpr41
	s_and_saveexec_b32 s26, s28
	s_cbranch_execz .LBB75_239
; %bb.105:                              ;   in Loop: Header=BB75_6 Depth=1
	v_mov_b32_e32 v41, 1
	v_mov_b32_e32 v1, 1
	s_xor_b32 s27, s27, -1
	s_delay_alu instid0(SALU_CYCLE_1)
	s_and_saveexec_b32 s11, s27
	s_cbranch_execz .LBB75_115
; %bb.106:                              ;   in Loop: Header=BB75_6 Depth=1
	s_mov_b32 s27, exec_lo
                                        ; implicit-def: $sgpr28
                                        ; implicit-def: $sgpr22
	v_cmpx_ge_u32_e64 s16, v40
	s_xor_b32 s27, exec_lo, s27
	s_cbranch_execz .LBB75_112
; %bb.107:                              ;   in Loop: Header=BB75_6 Depth=1
	ds_load_b32 v1, v14 offset:4096
	s_waitcnt lgkmcnt(0)
	v_cmp_ne_u32_e32 vcc_lo, 0, v1
	s_cbranch_vccnz .LBB75_111
; %bb.108:                              ;   in Loop: Header=BB75_6 Depth=1
	s_and_saveexec_b32 s22, s5
	s_cbranch_execz .LBB75_110
; %bb.109:                              ;   in Loop: Header=BB75_6 Depth=1
	v_mov_b32_e32 v1, s16
	ds_store_b32 v14, v1 offset:4100
.LBB75_110:                             ;   in Loop: Header=BB75_6 Depth=1
	s_or_b32 exec_lo, exec_lo, s22
	s_waitcnt lgkmcnt(0)
	s_barrier
	buffer_gl0_inv
.LBB75_111:                             ;   in Loop: Header=BB75_6 Depth=1
	v_and_b32_e32 v24, s15, v24
	v_and_b32_e32 v23, s14, v23
	v_or_b32_e32 v26, s13, v26
	v_or_b32_e32 v25, s12, v25
	s_mov_b32 s22, 0
	s_mov_b32 s28, 8
.LBB75_112:                             ;   in Loop: Header=BB75_6 Depth=1
	s_or_saveexec_b32 s27, s27
	v_mov_b32_e32 v1, s28
	v_mov_b32_e32 v41, v40
	s_xor_b32 exec_lo, exec_lo, s27
; %bb.113:                              ;   in Loop: Header=BB75_6 Depth=1
	v_subrev_nc_u32_e32 v41, s16, v40
	v_mov_b32_e32 v1, 0
	s_or_b32 s22, s22, exec_lo
; %bb.114:                              ;   in Loop: Header=BB75_6 Depth=1
	s_or_b32 exec_lo, exec_lo, s27
	s_delay_alu instid0(SALU_CYCLE_1)
	s_and_b32 s22, s22, exec_lo
.LBB75_115:                             ;   in Loop: Header=BB75_6 Depth=1
	s_or_b32 exec_lo, exec_lo, s11
	s_mov_b32 s11, -1
                                        ; implicit-def: $sgpr27
                                        ; implicit-def: $sgpr29
                                        ; implicit-def: $sgpr89
	s_and_saveexec_b32 s28, s22
	s_delay_alu instid0(SALU_CYCLE_1)
	s_xor_b32 s22, exec_lo, s28
	s_cbranch_execz .LBB75_236
; %bb.116:                              ;   in Loop: Header=BB75_6 Depth=1
	v_cmp_eq_u32_e32 vcc_lo, 1, v41
	s_cmp_eq_u32 s18, 1
                                        ; implicit-def: $sgpr27
                                        ; implicit-def: $sgpr29
                                        ; implicit-def: $sgpr28
	s_cselect_b32 s11, -1, 0
	s_delay_alu instid0(SALU_CYCLE_1)
	s_and_b32 s90, s11, vcc_lo
	s_mov_b32 s11, -1
	s_and_saveexec_b32 s89, s90
	s_cbranch_execz .LBB75_142
; %bb.117:                              ;   in Loop: Header=BB75_6 Depth=1
	ds_load_b32 v1, v14 offset:4096
	s_waitcnt lgkmcnt(0)
	s_barrier
	buffer_gl0_inv
	v_readfirstlane_b32 s27, v1
	s_and_saveexec_b32 s11, s6
	s_cbranch_execz .LBB75_119
; %bb.118:                              ;   in Loop: Header=BB75_6 Depth=1
	v_mov_b32_e32 v13, v14
	ds_store_b64 v33, v[13:14]
.LBB75_119:                             ;   in Loop: Header=BB75_6 Depth=1
	s_or_b32 exec_lo, exec_lo, s11
	v_and_b32_e32 v1, s15, v24
	v_and_b32_e32 v3, s14, v23
	s_lshl_b64 s[28:29], 1, s19
	v_or_b32_e32 v26, s13, v26
	v_or_b32_e32 v25, s12, v25
	;; [unrolled: 1-line block ×4, first 2 shown]
	s_cmp_eq_u32 s27, 0
	s_waitcnt lgkmcnt(0)
	s_barrier
	buffer_gl0_inv
	s_cbranch_scc1 .LBB75_128
; %bb.120:                              ;   in Loop: Header=BB75_6 Depth=1
	s_add_i32 s11, s27, s65
                                        ; implicit-def: $vgpr9_vgpr10
	s_delay_alu instid0(SALU_CYCLE_1) | instskip(NEXT) | instid1(SALU_CYCLE_1)
	s_mul_hi_u32 s28, s11, s72
	s_mul_i32 s28, s28, s47
	s_delay_alu instid0(SALU_CYCLE_1) | instskip(NEXT) | instid1(SALU_CYCLE_1)
	s_sub_i32 s28, s11, s28
	s_sub_i32 s29, s28, s47
	s_cmp_ge_u32 s28, s47
	s_cselect_b32 s28, s29, s28
	s_delay_alu instid0(SALU_CYCLE_1) | instskip(SKIP_2) | instid1(SALU_CYCLE_1)
	s_sub_i32 s29, s28, s47
	s_cmp_ge_u32 s28, s47
	s_cselect_b32 s28, s29, s28
	s_sub_i32 s29, s11, s28
	s_mov_b32 s11, 0
	s_mov_b32 s28, exec_lo
	v_cmpx_gt_u32_e64 s29, v0
	s_cbranch_execz .LBB75_130
; %bb.121:                              ;   in Loop: Header=BB75_6 Depth=1
	v_mov_b32_e32 v13, v32
	v_mov_b32_e32 v42, v0
	s_mov_b32 s92, 0
                                        ; implicit-def: $sgpr91
	s_set_inst_prefetch_distance 0x1
	s_branch .LBB75_123
	.p2align	6
.LBB75_122:                             ;   in Loop: Header=BB75_123 Depth=2
	s_or_b32 exec_lo, exec_lo, s11
	s_waitcnt lgkmcnt(0)
	s_barrier
	buffer_gl0_inv
	ds_load_b128 v[7:10], v14 offset:3072
	v_add_nc_u32_e32 v42, s47, v42
	v_add_nc_u32_e32 v13, s76, v13
	s_waitcnt lgkmcnt(0)
	s_barrier
	buffer_gl0_inv
	v_cmp_le_u32_e64 s11, s29, v42
	v_cmp_neq_f64_e32 vcc_lo, 0, v[7:8]
	s_delay_alu instid0(VALU_DEP_2) | instskip(NEXT) | instid1(SALU_CYCLE_1)
	s_or_b32 s11, s11, vcc_lo
	s_and_b32 s11, exec_lo, s11
	s_delay_alu instid0(SALU_CYCLE_1) | instskip(SKIP_2) | instid1(SALU_CYCLE_1)
	s_or_b32 s92, s11, s92
	s_and_not1_b32 s11, s91, exec_lo
	s_and_b32 s91, vcc_lo, exec_lo
	s_or_b32 s91, s11, s91
	s_and_not1_b32 exec_lo, exec_lo, s92
	s_cbranch_execz .LBB75_129
.LBB75_123:                             ;   Parent Loop BB75_6 Depth=1
                                        ; =>  This Inner Loop Header: Depth=2
	v_mov_b32_e32 v3, 0
	v_mov_b32_e32 v4, 0
	v_cmp_gt_u32_e32 vcc_lo, s27, v42
	s_and_saveexec_b32 s11, vcc_lo
	s_cbranch_execz .LBB75_125
; %bb.124:                              ;   in Loop: Header=BB75_123 Depth=2
	ds_load_b64 v[3:4], v13
.LBB75_125:                             ;   in Loop: Header=BB75_123 Depth=2
	s_or_b32 exec_lo, exec_lo, s11
	s_and_saveexec_b32 s11, vcc_lo
	s_cbranch_execz .LBB75_122
; %bb.126:                              ;   in Loop: Header=BB75_123 Depth=2
	s_waitcnt lgkmcnt(0)
	v_cmp_o_f64_e32 vcc_lo, v[3:4], v[3:4]
	v_ashrrev_i32_e32 v1, 31, v4
	s_delay_alu instid0(VALU_DEP_1) | instskip(SKIP_1) | instid1(VALU_DEP_2)
	v_or_b32_e32 v7, 0x80000000, v1
	v_xor_b32_e32 v1, v1, v3
	v_xor_b32_e32 v7, v7, v4
	s_delay_alu instid0(VALU_DEP_1) | instskip(NEXT) | instid1(VALU_DEP_1)
	v_cndmask_b32_e32 v7, -1, v7, vcc_lo
	v_dual_cndmask_b32 v1, -1, v1 :: v_dual_and_b32 v8, v7, v26
	s_delay_alu instid0(VALU_DEP_1) | instskip(NEXT) | instid1(VALU_DEP_1)
	v_and_b32_e32 v7, v1, v25
	v_cmp_eq_u64_e32 vcc_lo, v[7:8], v[23:24]
	s_and_b32 exec_lo, exec_lo, vcc_lo
	s_cbranch_execz .LBB75_122
; %bb.127:                              ;   in Loop: Header=BB75_123 Depth=2
	v_mov_b32_e32 v1, v14
	ds_store_b128 v14, v[1:4] offset:3072
	s_branch .LBB75_122
.LBB75_128:                             ;   in Loop: Header=BB75_6 Depth=1
	s_mov_b32 s27, -1
	s_mov_b32 s11, 0
                                        ; implicit-def: $sgpr28
                                        ; implicit-def: $vgpr9_vgpr10
	s_mov_b32 s29, s27
	s_cbranch_execnz .LBB75_131
	s_branch .LBB75_141
.LBB75_129:                             ;   in Loop: Header=BB75_6 Depth=1
	s_set_inst_prefetch_distance 0x2
	s_or_b32 exec_lo, exec_lo, s92
	s_delay_alu instid0(SALU_CYCLE_1)
	s_and_b32 s11, s91, exec_lo
.LBB75_130:                             ;   in Loop: Header=BB75_6 Depth=1
	s_or_b32 exec_lo, exec_lo, s28
	s_mov_b32 s28, -1
	s_mov_b32 s27, 0
	s_delay_alu instid0(SALU_CYCLE_1)
	s_mov_b32 s29, s27
	s_branch .LBB75_141
.LBB75_131:                             ;   in Loop: Header=BB75_6 Depth=1
	s_mov_b32 s11, 0
                                        ; implicit-def: $vgpr9_vgpr10
	s_and_saveexec_b32 s27, s9
	s_cbranch_execz .LBB75_140
; %bb.132:                              ;   in Loop: Header=BB75_6 Depth=1
	v_dual_mov_b32 v13, v15 :: v_dual_mov_b32 v42, v0
	s_mov_b32 s29, 0
                                        ; implicit-def: $sgpr28
	s_branch .LBB75_134
.LBB75_133:                             ;   in Loop: Header=BB75_134 Depth=2
	s_or_b32 exec_lo, exec_lo, s11
	s_waitcnt vmcnt(0) lgkmcnt(0)
	s_barrier
	buffer_gl0_inv
	ds_load_b128 v[7:10], v14 offset:3072
	v_add_nc_u32_e32 v42, s47, v42
	v_add_nc_u32_e32 v13, s53, v13
	s_waitcnt lgkmcnt(0)
	s_barrier
	buffer_gl0_inv
	v_cmp_le_u32_e64 s11, s73, v42
	v_cmp_neq_f64_e32 vcc_lo, 0, v[7:8]
	s_delay_alu instid0(VALU_DEP_2) | instskip(NEXT) | instid1(SALU_CYCLE_1)
	s_or_b32 s11, s11, vcc_lo
	s_and_b32 s11, exec_lo, s11
	s_delay_alu instid0(SALU_CYCLE_1) | instskip(SKIP_2) | instid1(SALU_CYCLE_1)
	s_or_b32 s29, s11, s29
	s_and_not1_b32 s11, s28, exec_lo
	s_and_b32 s28, vcc_lo, exec_lo
	s_or_b32 s28, s11, s28
	s_and_not1_b32 exec_lo, exec_lo, s29
	s_cbranch_execz .LBB75_139
.LBB75_134:                             ;   Parent Loop BB75_6 Depth=1
                                        ; =>  This Inner Loop Header: Depth=2
	v_mov_b32_e32 v3, 0
	v_mov_b32_e32 v4, 0
	v_cmp_gt_u32_e32 vcc_lo, s36, v42
	s_and_saveexec_b32 s91, vcc_lo
	s_cbranch_execz .LBB75_136
; %bb.135:                              ;   in Loop: Header=BB75_134 Depth=2
	v_lshlrev_b64 v[3:4], 3, v[13:14]
	s_delay_alu instid0(VALU_DEP_1) | instskip(NEXT) | instid1(VALU_DEP_1)
	v_add_co_u32 v3, s11, s33, v3
	v_add_co_ci_u32_e64 v4, s11, s43, v4, s11
	global_load_b64 v[3:4], v[3:4], off
.LBB75_136:                             ;   in Loop: Header=BB75_134 Depth=2
	s_or_b32 exec_lo, exec_lo, s91
	s_and_saveexec_b32 s11, vcc_lo
	s_cbranch_execz .LBB75_133
; %bb.137:                              ;   in Loop: Header=BB75_134 Depth=2
	s_waitcnt vmcnt(0)
	v_cmp_o_f64_e32 vcc_lo, v[3:4], v[3:4]
	v_ashrrev_i32_e32 v1, 31, v4
	s_delay_alu instid0(VALU_DEP_1) | instskip(SKIP_1) | instid1(VALU_DEP_2)
	v_or_b32_e32 v7, 0x80000000, v1
	v_xor_b32_e32 v1, v1, v3
	v_xor_b32_e32 v7, v7, v4
	s_delay_alu instid0(VALU_DEP_1) | instskip(NEXT) | instid1(VALU_DEP_1)
	v_cndmask_b32_e32 v7, -1, v7, vcc_lo
	v_dual_cndmask_b32 v1, -1, v1 :: v_dual_and_b32 v8, v7, v26
	s_delay_alu instid0(VALU_DEP_1) | instskip(NEXT) | instid1(VALU_DEP_1)
	v_and_b32_e32 v7, v1, v25
	v_cmp_eq_u64_e32 vcc_lo, v[7:8], v[23:24]
	s_and_b32 exec_lo, exec_lo, vcc_lo
	s_cbranch_execz .LBB75_133
; %bb.138:                              ;   in Loop: Header=BB75_134 Depth=2
	v_mov_b32_e32 v1, v14
	ds_store_b128 v14, v[1:4] offset:3072
	s_branch .LBB75_133
.LBB75_139:                             ;   in Loop: Header=BB75_6 Depth=1
	s_or_b32 exec_lo, exec_lo, s29
	s_delay_alu instid0(SALU_CYCLE_1)
	s_and_b32 s11, s28, exec_lo
.LBB75_140:                             ;   in Loop: Header=BB75_6 Depth=1
	s_or_b32 exec_lo, exec_lo, s27
	s_mov_b32 s29, -1
	s_mov_b32 s27, 0
	s_mov_b32 s28, 0
.LBB75_141:                             ;   in Loop: Header=BB75_6 Depth=1
	s_or_not1_b32 s11, s11, exec_lo
.LBB75_142:                             ;   in Loop: Header=BB75_6 Depth=1
	s_or_b32 exec_lo, exec_lo, s89
	s_mov_b32 s91, 0
                                        ; implicit-def: $vgpr1
	s_and_saveexec_b32 s89, s11
	s_cbranch_execz .LBB75_235
; %bb.143:                              ;   in Loop: Header=BB75_6 Depth=1
	v_dual_mov_b32 v42, 1 :: v_dual_mov_b32 v1, 1
	s_xor_b32 s90, s90, -1
	s_mov_b32 s92, 0
	s_and_saveexec_b32 s11, s90
	s_cbranch_execz .LBB75_153
; %bb.144:                              ;   in Loop: Header=BB75_6 Depth=1
	s_mov_b32 s91, exec_lo
                                        ; implicit-def: $sgpr92
                                        ; implicit-def: $sgpr90
	v_cmpx_ge_u32_e64 s18, v41
	s_xor_b32 s91, exec_lo, s91
	s_cbranch_execz .LBB75_150
; %bb.145:                              ;   in Loop: Header=BB75_6 Depth=1
	ds_load_b32 v1, v14 offset:4096
	s_waitcnt lgkmcnt(0)
	v_cmp_ne_u32_e32 vcc_lo, 0, v1
	s_cbranch_vccnz .LBB75_149
; %bb.146:                              ;   in Loop: Header=BB75_6 Depth=1
	s_and_saveexec_b32 s90, s5
	s_cbranch_execz .LBB75_148
; %bb.147:                              ;   in Loop: Header=BB75_6 Depth=1
	v_mov_b32_e32 v1, s18
	ds_store_b32 v14, v1 offset:4100
.LBB75_148:                             ;   in Loop: Header=BB75_6 Depth=1
	s_or_b32 exec_lo, exec_lo, s90
	s_waitcnt lgkmcnt(0)
	s_barrier
	buffer_gl0_inv
.LBB75_149:                             ;   in Loop: Header=BB75_6 Depth=1
	v_and_b32_e32 v1, s15, v24
	v_and_b32_e32 v3, s14, v23
	s_lshl_b64 s[92:93], 1, s19
	v_or_b32_e32 v26, s13, v26
	v_or_b32_e32 v25, s12, v25
	;; [unrolled: 1-line block ×4, first 2 shown]
	s_mov_b32 s90, 0
	s_mov_b32 s92, 8
.LBB75_150:                             ;   in Loop: Header=BB75_6 Depth=1
	s_or_saveexec_b32 s91, s91
	v_mov_b32_e32 v1, s92
	s_xor_b32 exec_lo, exec_lo, s91
; %bb.151:                              ;   in Loop: Header=BB75_6 Depth=1
	v_subrev_nc_u32_e32 v41, s18, v41
	v_mov_b32_e32 v1, 0
	s_or_b32 s90, s90, exec_lo
; %bb.152:                              ;   in Loop: Header=BB75_6 Depth=1
	s_or_b32 exec_lo, exec_lo, s91
	s_delay_alu instid0(VALU_DEP_2)
	v_mov_b32_e32 v42, v41
	s_and_b32 s92, s90, exec_lo
.LBB75_153:                             ;   in Loop: Header=BB75_6 Depth=1
	s_or_b32 exec_lo, exec_lo, s11
	s_mov_b32 s11, -1
                                        ; implicit-def: $sgpr91
                                        ; implicit-def: $sgpr93
                                        ; implicit-def: $sgpr94
	s_and_saveexec_b32 s90, s92
	s_cbranch_execz .LBB75_234
; %bb.154:                              ;   in Loop: Header=BB75_6 Depth=1
	v_cmp_eq_u32_e32 vcc_lo, 1, v42
	s_cmp_eq_u32 s20, 1
                                        ; implicit-def: $sgpr91
                                        ; implicit-def: $sgpr93
                                        ; implicit-def: $sgpr92
	s_cselect_b32 s11, -1, 0
	s_delay_alu instid0(SALU_CYCLE_1)
	s_and_b32 s95, s11, vcc_lo
	s_mov_b32 s11, -1
	s_and_saveexec_b32 s94, s95
	s_cbranch_execz .LBB75_180
; %bb.155:                              ;   in Loop: Header=BB75_6 Depth=1
	ds_load_b32 v1, v14 offset:4096
	s_waitcnt lgkmcnt(0)
	s_barrier
	buffer_gl0_inv
	v_readfirstlane_b32 s91, v1
	s_and_saveexec_b32 s11, s6
	s_cbranch_execz .LBB75_157
; %bb.156:                              ;   in Loop: Header=BB75_6 Depth=1
	v_mov_b32_e32 v13, v14
	ds_store_b64 v33, v[13:14]
.LBB75_157:                             ;   in Loop: Header=BB75_6 Depth=1
	s_or_b32 exec_lo, exec_lo, s11
	v_and_b32_e32 v1, s15, v24
	v_and_b32_e32 v3, s14, v23
	s_lshl_b64 s[92:93], 2, s19
	v_or_b32_e32 v26, s13, v26
	v_or_b32_e32 v25, s12, v25
	;; [unrolled: 1-line block ×4, first 2 shown]
	s_cmp_eq_u32 s91, 0
	s_waitcnt lgkmcnt(0)
	s_barrier
	buffer_gl0_inv
	s_cbranch_scc1 .LBB75_166
; %bb.158:                              ;   in Loop: Header=BB75_6 Depth=1
	s_add_i32 s11, s91, s65
                                        ; implicit-def: $vgpr9_vgpr10
	s_delay_alu instid0(SALU_CYCLE_1) | instskip(NEXT) | instid1(SALU_CYCLE_1)
	s_mul_hi_u32 s92, s11, s72
	s_mul_i32 s92, s92, s47
	s_delay_alu instid0(SALU_CYCLE_1) | instskip(NEXT) | instid1(SALU_CYCLE_1)
	s_sub_i32 s92, s11, s92
	s_sub_i32 s93, s92, s47
	s_cmp_ge_u32 s92, s47
	s_cselect_b32 s92, s93, s92
	s_delay_alu instid0(SALU_CYCLE_1) | instskip(SKIP_2) | instid1(SALU_CYCLE_1)
	s_sub_i32 s93, s92, s47
	s_cmp_ge_u32 s92, s47
	s_cselect_b32 s92, s93, s92
	s_sub_i32 s93, s11, s92
	s_mov_b32 s11, 0
	s_mov_b32 s92, exec_lo
	v_cmpx_gt_u32_e64 s93, v0
	s_cbranch_execz .LBB75_168
; %bb.159:                              ;   in Loop: Header=BB75_6 Depth=1
	v_mov_b32_e32 v13, v32
	v_mov_b32_e32 v41, v0
	s_mov_b32 s97, 0
                                        ; implicit-def: $sgpr96
	s_set_inst_prefetch_distance 0x1
	s_branch .LBB75_161
	.p2align	6
.LBB75_160:                             ;   in Loop: Header=BB75_161 Depth=2
	s_or_b32 exec_lo, exec_lo, s11
	s_waitcnt lgkmcnt(0)
	s_barrier
	buffer_gl0_inv
	ds_load_b128 v[7:10], v14 offset:3072
	v_add_nc_u32_e32 v41, s47, v41
	v_add_nc_u32_e32 v13, s76, v13
	s_waitcnt lgkmcnt(0)
	s_barrier
	buffer_gl0_inv
	v_cmp_le_u32_e64 s11, s93, v41
	v_cmp_neq_f64_e32 vcc_lo, 0, v[7:8]
	s_delay_alu instid0(VALU_DEP_2) | instskip(NEXT) | instid1(SALU_CYCLE_1)
	s_or_b32 s11, s11, vcc_lo
	s_and_b32 s11, exec_lo, s11
	s_delay_alu instid0(SALU_CYCLE_1) | instskip(SKIP_2) | instid1(SALU_CYCLE_1)
	s_or_b32 s97, s11, s97
	s_and_not1_b32 s11, s96, exec_lo
	s_and_b32 s96, vcc_lo, exec_lo
	s_or_b32 s96, s11, s96
	s_and_not1_b32 exec_lo, exec_lo, s97
	s_cbranch_execz .LBB75_167
.LBB75_161:                             ;   Parent Loop BB75_6 Depth=1
                                        ; =>  This Inner Loop Header: Depth=2
	v_mov_b32_e32 v3, 0
	v_mov_b32_e32 v4, 0
	v_cmp_gt_u32_e32 vcc_lo, s91, v41
	s_and_saveexec_b32 s11, vcc_lo
	s_cbranch_execz .LBB75_163
; %bb.162:                              ;   in Loop: Header=BB75_161 Depth=2
	ds_load_b64 v[3:4], v13
.LBB75_163:                             ;   in Loop: Header=BB75_161 Depth=2
	s_or_b32 exec_lo, exec_lo, s11
	s_and_saveexec_b32 s11, vcc_lo
	s_cbranch_execz .LBB75_160
; %bb.164:                              ;   in Loop: Header=BB75_161 Depth=2
	s_waitcnt lgkmcnt(0)
	v_cmp_o_f64_e32 vcc_lo, v[3:4], v[3:4]
	v_ashrrev_i32_e32 v1, 31, v4
	s_delay_alu instid0(VALU_DEP_1) | instskip(SKIP_1) | instid1(VALU_DEP_2)
	v_or_b32_e32 v7, 0x80000000, v1
	v_xor_b32_e32 v1, v1, v3
	v_xor_b32_e32 v7, v7, v4
	s_delay_alu instid0(VALU_DEP_1) | instskip(NEXT) | instid1(VALU_DEP_1)
	v_cndmask_b32_e32 v7, -1, v7, vcc_lo
	v_dual_cndmask_b32 v1, -1, v1 :: v_dual_and_b32 v8, v7, v26
	s_delay_alu instid0(VALU_DEP_1) | instskip(NEXT) | instid1(VALU_DEP_1)
	v_and_b32_e32 v7, v1, v25
	v_cmp_eq_u64_e32 vcc_lo, v[7:8], v[23:24]
	s_and_b32 exec_lo, exec_lo, vcc_lo
	s_cbranch_execz .LBB75_160
; %bb.165:                              ;   in Loop: Header=BB75_161 Depth=2
	v_mov_b32_e32 v1, v14
	ds_store_b128 v14, v[1:4] offset:3072
	s_branch .LBB75_160
.LBB75_166:                             ;   in Loop: Header=BB75_6 Depth=1
	s_mov_b32 s91, -1
	s_mov_b32 s11, 0
                                        ; implicit-def: $sgpr92
                                        ; implicit-def: $vgpr9_vgpr10
	s_mov_b32 s93, s91
	s_cbranch_execnz .LBB75_169
	s_branch .LBB75_179
.LBB75_167:                             ;   in Loop: Header=BB75_6 Depth=1
	s_set_inst_prefetch_distance 0x2
	s_or_b32 exec_lo, exec_lo, s97
	s_delay_alu instid0(SALU_CYCLE_1)
	s_and_b32 s11, s96, exec_lo
.LBB75_168:                             ;   in Loop: Header=BB75_6 Depth=1
	s_or_b32 exec_lo, exec_lo, s92
	s_mov_b32 s92, -1
	s_mov_b32 s91, 0
	s_delay_alu instid0(SALU_CYCLE_1)
	s_mov_b32 s93, s91
	s_branch .LBB75_179
.LBB75_169:                             ;   in Loop: Header=BB75_6 Depth=1
	s_mov_b32 s11, 0
                                        ; implicit-def: $vgpr9_vgpr10
	s_and_saveexec_b32 s91, s9
	s_cbranch_execz .LBB75_178
; %bb.170:                              ;   in Loop: Header=BB75_6 Depth=1
	v_mov_b32_e32 v13, v15
	v_mov_b32_e32 v41, v0
	s_mov_b32 s93, 0
                                        ; implicit-def: $sgpr92
	s_branch .LBB75_172
.LBB75_171:                             ;   in Loop: Header=BB75_172 Depth=2
	s_or_b32 exec_lo, exec_lo, s11
	s_waitcnt vmcnt(0) lgkmcnt(0)
	s_barrier
	buffer_gl0_inv
	ds_load_b128 v[7:10], v14 offset:3072
	v_add_nc_u32_e32 v41, s47, v41
	v_add_nc_u32_e32 v13, s53, v13
	s_waitcnt lgkmcnt(0)
	s_barrier
	buffer_gl0_inv
	v_cmp_le_u32_e64 s11, s73, v41
	v_cmp_neq_f64_e32 vcc_lo, 0, v[7:8]
	s_delay_alu instid0(VALU_DEP_2) | instskip(NEXT) | instid1(SALU_CYCLE_1)
	s_or_b32 s11, s11, vcc_lo
	s_and_b32 s11, exec_lo, s11
	s_delay_alu instid0(SALU_CYCLE_1) | instskip(SKIP_2) | instid1(SALU_CYCLE_1)
	s_or_b32 s93, s11, s93
	s_and_not1_b32 s11, s92, exec_lo
	s_and_b32 s92, vcc_lo, exec_lo
	s_or_b32 s92, s11, s92
	s_and_not1_b32 exec_lo, exec_lo, s93
	s_cbranch_execz .LBB75_177
.LBB75_172:                             ;   Parent Loop BB75_6 Depth=1
                                        ; =>  This Inner Loop Header: Depth=2
	v_mov_b32_e32 v3, 0
	v_mov_b32_e32 v4, 0
	v_cmp_gt_u32_e32 vcc_lo, s36, v41
	s_and_saveexec_b32 s96, vcc_lo
	s_cbranch_execz .LBB75_174
; %bb.173:                              ;   in Loop: Header=BB75_172 Depth=2
	v_lshlrev_b64 v[3:4], 3, v[13:14]
	s_delay_alu instid0(VALU_DEP_1) | instskip(NEXT) | instid1(VALU_DEP_1)
	v_add_co_u32 v3, s11, s33, v3
	v_add_co_ci_u32_e64 v4, s11, s43, v4, s11
	global_load_b64 v[3:4], v[3:4], off
.LBB75_174:                             ;   in Loop: Header=BB75_172 Depth=2
	s_or_b32 exec_lo, exec_lo, s96
	s_and_saveexec_b32 s11, vcc_lo
	s_cbranch_execz .LBB75_171
; %bb.175:                              ;   in Loop: Header=BB75_172 Depth=2
	s_waitcnt vmcnt(0)
	v_cmp_o_f64_e32 vcc_lo, v[3:4], v[3:4]
	v_ashrrev_i32_e32 v1, 31, v4
	s_delay_alu instid0(VALU_DEP_1) | instskip(SKIP_1) | instid1(VALU_DEP_2)
	v_or_b32_e32 v7, 0x80000000, v1
	v_xor_b32_e32 v1, v1, v3
	v_xor_b32_e32 v7, v7, v4
	s_delay_alu instid0(VALU_DEP_1) | instskip(NEXT) | instid1(VALU_DEP_1)
	v_cndmask_b32_e32 v7, -1, v7, vcc_lo
	v_dual_cndmask_b32 v1, -1, v1 :: v_dual_and_b32 v8, v7, v26
	s_delay_alu instid0(VALU_DEP_1) | instskip(NEXT) | instid1(VALU_DEP_1)
	v_and_b32_e32 v7, v1, v25
	v_cmp_eq_u64_e32 vcc_lo, v[7:8], v[23:24]
	s_and_b32 exec_lo, exec_lo, vcc_lo
	s_cbranch_execz .LBB75_171
; %bb.176:                              ;   in Loop: Header=BB75_172 Depth=2
	v_mov_b32_e32 v1, v14
	ds_store_b128 v14, v[1:4] offset:3072
	s_branch .LBB75_171
.LBB75_177:                             ;   in Loop: Header=BB75_6 Depth=1
	s_or_b32 exec_lo, exec_lo, s93
	s_delay_alu instid0(SALU_CYCLE_1)
	s_and_b32 s11, s92, exec_lo
.LBB75_178:                             ;   in Loop: Header=BB75_6 Depth=1
	s_or_b32 exec_lo, exec_lo, s91
	s_mov_b32 s93, -1
	s_mov_b32 s91, 0
	s_mov_b32 s92, 0
.LBB75_179:                             ;   in Loop: Header=BB75_6 Depth=1
	s_or_not1_b32 s11, s11, exec_lo
.LBB75_180:                             ;   in Loop: Header=BB75_6 Depth=1
	s_or_b32 exec_lo, exec_lo, s94
	s_mov_b32 s96, 0
                                        ; implicit-def: $vgpr1
	s_and_saveexec_b32 s94, s11
	s_cbranch_execz .LBB75_233
; %bb.181:                              ;   in Loop: Header=BB75_6 Depth=1
	v_mov_b32_e32 v41, 1
	v_mov_b32_e32 v1, 1
	s_xor_b32 s95, s95, -1
	s_mov_b32 s97, 0
	s_and_saveexec_b32 s11, s95
	s_cbranch_execz .LBB75_191
; %bb.182:                              ;   in Loop: Header=BB75_6 Depth=1
	s_mov_b32 s96, exec_lo
                                        ; implicit-def: $sgpr97
                                        ; implicit-def: $sgpr95
	v_cmpx_ge_u32_e64 s20, v42
	s_xor_b32 s96, exec_lo, s96
	s_cbranch_execz .LBB75_188
; %bb.183:                              ;   in Loop: Header=BB75_6 Depth=1
	ds_load_b32 v1, v14 offset:4096
	s_waitcnt lgkmcnt(0)
	v_cmp_ne_u32_e32 vcc_lo, 0, v1
	s_cbranch_vccnz .LBB75_187
; %bb.184:                              ;   in Loop: Header=BB75_6 Depth=1
	s_and_saveexec_b32 s95, s5
	s_cbranch_execz .LBB75_186
; %bb.185:                              ;   in Loop: Header=BB75_6 Depth=1
	v_mov_b32_e32 v1, s20
	ds_store_b32 v14, v1 offset:4100
.LBB75_186:                             ;   in Loop: Header=BB75_6 Depth=1
	s_or_b32 exec_lo, exec_lo, s95
	s_waitcnt lgkmcnt(0)
	s_barrier
	buffer_gl0_inv
.LBB75_187:                             ;   in Loop: Header=BB75_6 Depth=1
	v_and_b32_e32 v1, s15, v24
	v_and_b32_e32 v3, s14, v23
	s_lshl_b64 s[98:99], 2, s19
	v_or_b32_e32 v26, s13, v26
	v_or_b32_e32 v25, s12, v25
	;; [unrolled: 1-line block ×4, first 2 shown]
	s_mov_b32 s95, 0
	s_mov_b32 s97, 8
.LBB75_188:                             ;   in Loop: Header=BB75_6 Depth=1
	s_or_saveexec_b32 s96, s96
	v_mov_b32_e32 v1, s97
	s_xor_b32 exec_lo, exec_lo, s96
; %bb.189:                              ;   in Loop: Header=BB75_6 Depth=1
	v_subrev_nc_u32_e32 v42, s20, v42
	v_mov_b32_e32 v1, 0
	s_or_b32 s95, s95, exec_lo
; %bb.190:                              ;   in Loop: Header=BB75_6 Depth=1
	s_or_b32 exec_lo, exec_lo, s96
	s_delay_alu instid0(VALU_DEP_2)
	v_mov_b32_e32 v41, v42
	s_and_b32 s97, s95, exec_lo
.LBB75_191:                             ;   in Loop: Header=BB75_6 Depth=1
	s_or_b32 exec_lo, exec_lo, s11
	s_mov_b32 s96, -1
                                        ; implicit-def: $sgpr11
                                        ; implicit-def: $sgpr99
                                        ; implicit-def: $sgpr98
	s_and_saveexec_b32 s95, s97
	s_cbranch_execz .LBB75_232
; %bb.192:                              ;   in Loop: Header=BB75_6 Depth=1
	v_cmp_eq_u32_e32 vcc_lo, 1, v41
	s_cmp_eq_u32 s21, 1
	s_mov_b32 s100, -1
	s_cselect_b32 s11, -1, 0
                                        ; implicit-def: $sgpr99
                                        ; implicit-def: $sgpr98
	s_delay_alu instid0(SALU_CYCLE_1) | instskip(NEXT) | instid1(SALU_CYCLE_1)
	s_and_b32 s96, s11, vcc_lo
                                        ; implicit-def: $sgpr11
	s_and_saveexec_b32 s97, s96
	s_cbranch_execz .LBB75_219
; %bb.193:                              ;   in Loop: Header=BB75_6 Depth=1
	ds_load_b32 v1, v14 offset:4096
	s_waitcnt lgkmcnt(0)
	s_barrier
	buffer_gl0_inv
	v_readfirstlane_b32 s98, v1
	s_and_saveexec_b32 s11, s6
	s_cbranch_execz .LBB75_195
; %bb.194:                              ;   in Loop: Header=BB75_6 Depth=1
	v_mov_b32_e32 v13, v14
	ds_store_b64 v33, v[13:14]
.LBB75_195:                             ;   in Loop: Header=BB75_6 Depth=1
	s_or_b32 exec_lo, exec_lo, s11
	v_or_b32_e32 v24, s13, v24
	v_or_b32_e32 v23, s12, v23
	;; [unrolled: 1-line block ×4, first 2 shown]
	s_cmp_eq_u32 s98, 0
	s_waitcnt lgkmcnt(0)
	s_barrier
	buffer_gl0_inv
	s_cbranch_scc1 .LBB75_204
; %bb.196:                              ;   in Loop: Header=BB75_6 Depth=1
	s_add_i32 s11, s98, s65
	s_mov_b32 s101, 0
	s_mul_hi_u32 s99, s11, s72
                                        ; implicit-def: $vgpr9_vgpr10
	s_delay_alu instid0(SALU_CYCLE_1) | instskip(NEXT) | instid1(SALU_CYCLE_1)
	s_mul_i32 s99, s99, s47
	s_sub_i32 s99, s11, s99
	s_delay_alu instid0(SALU_CYCLE_1) | instskip(SKIP_2) | instid1(SALU_CYCLE_1)
	s_sub_i32 s100, s99, s47
	s_cmp_ge_u32 s99, s47
	s_cselect_b32 s99, s100, s99
	s_sub_i32 s100, s99, s47
	s_cmp_ge_u32 s99, s47
	s_cselect_b32 s99, s100, s99
	s_delay_alu instid0(SALU_CYCLE_1)
	s_sub_i32 s100, s11, s99
	s_mov_b32 s99, exec_lo
	v_cmpx_gt_u32_e64 s100, v0
	s_cbranch_execz .LBB75_206
; %bb.197:                              ;   in Loop: Header=BB75_6 Depth=1
	v_mov_b32_e32 v13, v32
	v_mov_b32_e32 v42, v0
	s_mov_b32 s102, 0
                                        ; implicit-def: $sgpr101
	s_set_inst_prefetch_distance 0x1
	s_branch .LBB75_199
	.p2align	6
.LBB75_198:                             ;   in Loop: Header=BB75_199 Depth=2
	s_or_b32 exec_lo, exec_lo, s11
	s_waitcnt lgkmcnt(0)
	s_barrier
	buffer_gl0_inv
	ds_load_b128 v[7:10], v14 offset:3072
	v_add_nc_u32_e32 v42, s47, v42
	v_add_nc_u32_e32 v13, s76, v13
	s_waitcnt lgkmcnt(0)
	s_barrier
	buffer_gl0_inv
	v_cmp_le_u32_e64 s11, s100, v42
	v_cmp_neq_f64_e32 vcc_lo, 0, v[7:8]
	s_delay_alu instid0(VALU_DEP_2) | instskip(NEXT) | instid1(SALU_CYCLE_1)
	s_or_b32 s11, s11, vcc_lo
	s_and_b32 s11, exec_lo, s11
	s_delay_alu instid0(SALU_CYCLE_1) | instskip(SKIP_2) | instid1(SALU_CYCLE_1)
	s_or_b32 s102, s11, s102
	s_and_not1_b32 s11, s101, exec_lo
	s_and_b32 s101, vcc_lo, exec_lo
	s_or_b32 s101, s11, s101
	s_and_not1_b32 exec_lo, exec_lo, s102
	s_cbranch_execz .LBB75_205
.LBB75_199:                             ;   Parent Loop BB75_6 Depth=1
                                        ; =>  This Inner Loop Header: Depth=2
	v_mov_b32_e32 v3, 0
	v_mov_b32_e32 v4, 0
	v_cmp_gt_u32_e32 vcc_lo, s98, v42
	s_and_saveexec_b32 s11, vcc_lo
	s_cbranch_execz .LBB75_201
; %bb.200:                              ;   in Loop: Header=BB75_199 Depth=2
	ds_load_b64 v[3:4], v13
.LBB75_201:                             ;   in Loop: Header=BB75_199 Depth=2
	s_or_b32 exec_lo, exec_lo, s11
	s_and_saveexec_b32 s11, vcc_lo
	s_cbranch_execz .LBB75_198
; %bb.202:                              ;   in Loop: Header=BB75_199 Depth=2
	s_waitcnt lgkmcnt(0)
	v_cmp_o_f64_e32 vcc_lo, v[3:4], v[3:4]
	v_ashrrev_i32_e32 v1, 31, v4
	s_delay_alu instid0(VALU_DEP_1) | instskip(SKIP_1) | instid1(VALU_DEP_2)
	v_or_b32_e32 v7, 0x80000000, v1
	v_xor_b32_e32 v1, v1, v3
	v_xor_b32_e32 v7, v7, v4
	s_delay_alu instid0(VALU_DEP_1) | instskip(NEXT) | instid1(VALU_DEP_1)
	v_cndmask_b32_e32 v7, -1, v7, vcc_lo
	v_dual_cndmask_b32 v1, -1, v1 :: v_dual_and_b32 v8, v7, v26
	s_delay_alu instid0(VALU_DEP_1) | instskip(NEXT) | instid1(VALU_DEP_1)
	v_and_b32_e32 v7, v1, v25
	v_cmp_eq_u64_e32 vcc_lo, v[7:8], v[23:24]
	s_and_b32 exec_lo, exec_lo, vcc_lo
	s_cbranch_execz .LBB75_198
; %bb.203:                              ;   in Loop: Header=BB75_199 Depth=2
	v_mov_b32_e32 v1, v14
	ds_store_b128 v14, v[1:4] offset:3072
	s_branch .LBB75_198
.LBB75_204:                             ;   in Loop: Header=BB75_6 Depth=1
	s_mov_b32 s11, -1
	s_mov_b32 s101, 0
                                        ; implicit-def: $sgpr98
                                        ; implicit-def: $vgpr9_vgpr10
	s_branch .LBB75_207
.LBB75_205:                             ;   in Loop: Header=BB75_6 Depth=1
	s_set_inst_prefetch_distance 0x2
	s_or_b32 exec_lo, exec_lo, s102
	s_delay_alu instid0(SALU_CYCLE_1)
	s_and_b32 s101, s101, exec_lo
.LBB75_206:                             ;   in Loop: Header=BB75_6 Depth=1
	s_or_b32 exec_lo, exec_lo, s99
	s_mov_b32 s98, -1
	s_mov_b32 s11, 0
.LBB75_207:                             ;   in Loop: Header=BB75_6 Depth=1
	s_delay_alu instid0(SALU_CYCLE_1)
	s_and_b32 vcc_lo, exec_lo, s11
	s_mov_b32 s99, s11
	s_cbranch_vccz .LBB75_218
; %bb.208:                              ;   in Loop: Header=BB75_6 Depth=1
	s_mov_b32 s101, 0
                                        ; implicit-def: $vgpr9_vgpr10
	s_and_saveexec_b32 s98, s9
	s_cbranch_execz .LBB75_217
; %bb.209:                              ;   in Loop: Header=BB75_6 Depth=1
	v_dual_mov_b32 v13, v15 :: v_dual_mov_b32 v42, v0
	s_mov_b32 s100, 0
                                        ; implicit-def: $sgpr99
	s_branch .LBB75_211
.LBB75_210:                             ;   in Loop: Header=BB75_211 Depth=2
	s_or_b32 exec_lo, exec_lo, s11
	s_waitcnt vmcnt(0) lgkmcnt(0)
	s_barrier
	buffer_gl0_inv
	ds_load_b128 v[7:10], v14 offset:3072
	v_add_nc_u32_e32 v42, s47, v42
	v_add_nc_u32_e32 v13, s53, v13
	s_waitcnt lgkmcnt(0)
	s_barrier
	buffer_gl0_inv
	v_cmp_le_u32_e64 s11, s73, v42
	v_cmp_neq_f64_e32 vcc_lo, 0, v[7:8]
	s_delay_alu instid0(VALU_DEP_2) | instskip(NEXT) | instid1(SALU_CYCLE_1)
	s_or_b32 s11, s11, vcc_lo
	s_and_b32 s11, exec_lo, s11
	s_delay_alu instid0(SALU_CYCLE_1) | instskip(SKIP_2) | instid1(SALU_CYCLE_1)
	s_or_b32 s100, s11, s100
	s_and_not1_b32 s11, s99, exec_lo
	s_and_b32 s99, vcc_lo, exec_lo
	s_or_b32 s99, s11, s99
	s_and_not1_b32 exec_lo, exec_lo, s100
	s_cbranch_execz .LBB75_216
.LBB75_211:                             ;   Parent Loop BB75_6 Depth=1
                                        ; =>  This Inner Loop Header: Depth=2
	v_mov_b32_e32 v3, 0
	v_mov_b32_e32 v4, 0
	v_cmp_gt_u32_e32 vcc_lo, s36, v42
	s_and_saveexec_b32 s101, vcc_lo
	s_cbranch_execz .LBB75_213
; %bb.212:                              ;   in Loop: Header=BB75_211 Depth=2
	v_lshlrev_b64 v[3:4], 3, v[13:14]
	s_delay_alu instid0(VALU_DEP_1) | instskip(NEXT) | instid1(VALU_DEP_1)
	v_add_co_u32 v3, s11, s33, v3
	v_add_co_ci_u32_e64 v4, s11, s43, v4, s11
	global_load_b64 v[3:4], v[3:4], off
.LBB75_213:                             ;   in Loop: Header=BB75_211 Depth=2
	s_or_b32 exec_lo, exec_lo, s101
	s_and_saveexec_b32 s11, vcc_lo
	s_cbranch_execz .LBB75_210
; %bb.214:                              ;   in Loop: Header=BB75_211 Depth=2
	s_waitcnt vmcnt(0)
	v_cmp_o_f64_e32 vcc_lo, v[3:4], v[3:4]
	v_ashrrev_i32_e32 v1, 31, v4
	s_delay_alu instid0(VALU_DEP_1) | instskip(SKIP_1) | instid1(VALU_DEP_2)
	v_or_b32_e32 v7, 0x80000000, v1
	v_xor_b32_e32 v1, v1, v3
	v_xor_b32_e32 v7, v7, v4
	s_delay_alu instid0(VALU_DEP_1) | instskip(NEXT) | instid1(VALU_DEP_1)
	v_cndmask_b32_e32 v7, -1, v7, vcc_lo
	v_dual_cndmask_b32 v1, -1, v1 :: v_dual_and_b32 v8, v7, v26
	s_delay_alu instid0(VALU_DEP_1) | instskip(NEXT) | instid1(VALU_DEP_1)
	v_and_b32_e32 v7, v1, v25
	v_cmp_eq_u64_e32 vcc_lo, v[7:8], v[23:24]
	s_and_b32 exec_lo, exec_lo, vcc_lo
	s_cbranch_execz .LBB75_210
; %bb.215:                              ;   in Loop: Header=BB75_211 Depth=2
	v_mov_b32_e32 v1, v14
	ds_store_b128 v14, v[1:4] offset:3072
	s_branch .LBB75_210
.LBB75_216:                             ;   in Loop: Header=BB75_6 Depth=1
	s_or_b32 exec_lo, exec_lo, s100
	s_delay_alu instid0(SALU_CYCLE_1)
	s_and_b32 s101, s99, exec_lo
.LBB75_217:                             ;   in Loop: Header=BB75_6 Depth=1
	s_or_b32 exec_lo, exec_lo, s98
	s_mov_b32 s99, -1
	s_mov_b32 s11, 0
	s_mov_b32 s98, 0
.LBB75_218:                             ;   in Loop: Header=BB75_6 Depth=1
	s_or_not1_b32 s100, s101, exec_lo
.LBB75_219:                             ;   in Loop: Header=BB75_6 Depth=1
	s_or_b32 exec_lo, exec_lo, s97
	s_mov_b32 s101, 0
                                        ; implicit-def: $vgpr1
                                        ; implicit-def: $vgpr3
	s_and_saveexec_b32 s97, s100
	s_cbranch_execz .LBB75_231
; %bb.220:                              ;   in Loop: Header=BB75_6 Depth=1
	v_mov_b32_e32 v1, 1
	v_mov_b32_e32 v3, 1
	s_xor_b32 s100, s96, -1
	s_delay_alu instid0(SALU_CYCLE_1)
	s_and_saveexec_b32 s96, s100
	s_cbranch_execz .LBB75_230
; %bb.221:                              ;   in Loop: Header=BB75_6 Depth=1
	s_mov_b32 s100, exec_lo
                                        ; implicit-def: $sgpr101
	v_cmpx_ge_u32_e64 s21, v41
	s_xor_b32 s100, exec_lo, s100
	s_cbranch_execz .LBB75_227
; %bb.222:                              ;   in Loop: Header=BB75_6 Depth=1
	ds_load_b32 v1, v14 offset:4096
	s_waitcnt lgkmcnt(0)
	v_cmp_ne_u32_e32 vcc_lo, 0, v1
	s_cbranch_vccnz .LBB75_226
; %bb.223:                              ;   in Loop: Header=BB75_6 Depth=1
	s_and_saveexec_b32 s101, s5
	s_cbranch_execz .LBB75_225
; %bb.224:                              ;   in Loop: Header=BB75_6 Depth=1
	v_mov_b32_e32 v1, s21
	ds_store_b32 v14, v1 offset:4100
.LBB75_225:                             ;   in Loop: Header=BB75_6 Depth=1
	s_or_b32 exec_lo, exec_lo, s101
	s_waitcnt lgkmcnt(0)
	s_barrier
	buffer_gl0_inv
.LBB75_226:                             ;   in Loop: Header=BB75_6 Depth=1
	v_or_b32_e32 v24, s13, v24
	v_or_b32_e32 v23, s12, v23
	;; [unrolled: 1-line block ×4, first 2 shown]
	s_mov_b32 s101, 8
.LBB75_227:                             ;   in Loop: Header=BB75_6 Depth=1
	s_or_saveexec_b32 s100, s100
	v_mov_b32_e32 v1, s101
	s_xor_b32 exec_lo, exec_lo, s100
; %bb.228:                              ;   in Loop: Header=BB75_6 Depth=1
	v_subrev_nc_u32_e32 v41, s21, v41
	v_mov_b32_e32 v1, 8
; %bb.229:                              ;   in Loop: Header=BB75_6 Depth=1
	s_or_b32 exec_lo, exec_lo, s100
	s_delay_alu instid0(VALU_DEP_2)
	v_mov_b32_e32 v3, v41
.LBB75_230:                             ;   in Loop: Header=BB75_6 Depth=1
	s_or_b32 exec_lo, exec_lo, s96
	s_delay_alu instid0(SALU_CYCLE_1)
	s_mov_b32 s101, exec_lo
.LBB75_231:                             ;   in Loop: Header=BB75_6 Depth=1
	s_or_b32 exec_lo, exec_lo, s97
	s_delay_alu instid0(VALU_DEP_1)
	v_mov_b32_e32 v41, v3
	s_or_not1_b32 s96, s101, exec_lo
.LBB75_232:                             ;   in Loop: Header=BB75_6 Depth=1
	s_or_b32 exec_lo, exec_lo, s95
	s_delay_alu instid0(SALU_CYCLE_1)
	s_and_not1_b32 s91, s91, exec_lo
	s_and_b32 s11, s11, exec_lo
	v_mov_b32_e32 v42, v41
	s_or_b32 s91, s91, s11
	s_and_not1_b32 s11, s93, exec_lo
	s_and_b32 s93, s99, exec_lo
	s_and_not1_b32 s92, s92, exec_lo
	s_and_b32 s95, s98, exec_lo
	s_or_b32 s93, s11, s93
	s_or_b32 s92, s92, s95
	s_and_b32 s96, s96, exec_lo
.LBB75_233:                             ;   in Loop: Header=BB75_6 Depth=1
	s_or_b32 exec_lo, exec_lo, s94
	s_delay_alu instid0(SALU_CYCLE_1)
	s_and_b32 s94, s91, exec_lo
	s_and_b32 s93, s93, exec_lo
	;; [unrolled: 1-line block ×3, first 2 shown]
	s_or_not1_b32 s11, s96, exec_lo
.LBB75_234:                             ;   in Loop: Header=BB75_6 Depth=1
	s_or_b32 exec_lo, exec_lo, s90
	s_delay_alu instid0(SALU_CYCLE_1)
	s_and_not1_b32 s27, s27, exec_lo
	s_and_b32 s90, s94, exec_lo
	v_mov_b32_e32 v41, v42
	s_or_b32 s27, s27, s90
	s_and_not1_b32 s29, s29, exec_lo
	s_and_b32 s90, s93, exec_lo
	s_and_not1_b32 s28, s28, exec_lo
	s_and_b32 s91, s91, exec_lo
	s_or_b32 s29, s29, s90
	s_or_b32 s28, s28, s91
	s_and_b32 s91, s11, exec_lo
.LBB75_235:                             ;   in Loop: Header=BB75_6 Depth=1
	s_or_b32 exec_lo, exec_lo, s89
	s_delay_alu instid0(SALU_CYCLE_1)
	s_and_b32 s89, s27, exec_lo
	s_and_b32 s29, s29, exec_lo
	s_and_b32 s27, s28, exec_lo
	s_or_not1_b32 s11, s91, exec_lo
.LBB75_236:                             ;   in Loop: Header=BB75_6 Depth=1
	s_or_b32 exec_lo, exec_lo, s22
	s_mov_b32 s22, 0
	s_mov_b32 s28, 0
	s_and_saveexec_b32 s90, s11
	s_delay_alu instid0(SALU_CYCLE_1)
	s_xor_b32 s90, exec_lo, s90
; %bb.237:                              ;   in Loop: Header=BB75_6 Depth=1
	v_cmp_ne_u32_e32 vcc_lo, 8, v1
	v_cmp_eq_u32_e64 s11, 8, v1
	s_and_not1_b32 s89, s89, exec_lo
	s_and_not1_b32 s29, s29, exec_lo
	s_and_not1_b32 s27, s27, exec_lo
	s_and_b32 s28, vcc_lo, exec_lo
	s_and_b32 s22, s11, exec_lo
; %bb.238:                              ;   in Loop: Header=BB75_6 Depth=1
	s_or_b32 exec_lo, exec_lo, s90
	s_delay_alu instid0(SALU_CYCLE_1)
	s_and_not1_b32 s11, s17, exec_lo
	s_and_b32 s17, s89, exec_lo
	s_and_not1_b32 s23, s23, exec_lo
	s_or_b32 s17, s11, s17
	s_and_not1_b32 s11, s24, exec_lo
	s_and_b32 s24, s29, exec_lo
	s_and_b32 s27, s27, exec_lo
	s_or_b32 s24, s11, s24
	s_or_b32 s23, s23, s27
	s_and_b32 s11, s28, exec_lo
	s_and_b32 s22, s22, exec_lo
.LBB75_239:                             ;   in Loop: Header=BB75_6 Depth=1
	s_or_b32 exec_lo, exec_lo, s26
	s_delay_alu instid0(SALU_CYCLE_1)
	s_and_b32 vcc_lo, exec_lo, s25
	s_cbranch_vccz .LBB75_86
.LBB75_240:                             ;   in Loop: Header=BB75_6 Depth=1
	s_delay_alu instid0(VALU_DEP_1) | instskip(SKIP_1) | instid1(SALU_CYCLE_1)
	s_cmp_eq_u32 s21, 1
                                        ; implicit-def: $sgpr25
                                        ; implicit-def: $sgpr26
	s_cselect_b32 s17, -1, 0
	s_and_b32 s24, s17, s10
	s_mov_b32 s10, -1
                                        ; implicit-def: $sgpr17
	s_and_saveexec_b32 s23, s24
	s_cbranch_execz .LBB75_266
; %bb.241:                              ;   in Loop: Header=BB75_6 Depth=1
	ds_load_b32 v1, v14 offset:4096
	s_waitcnt lgkmcnt(0)
	s_barrier
	buffer_gl0_inv
	v_readfirstlane_b32 s17, v1
	s_and_saveexec_b32 s10, s6
	s_cbranch_execz .LBB75_243
; %bb.242:                              ;   in Loop: Header=BB75_6 Depth=1
	v_mov_b32_e32 v13, v14
	ds_store_b64 v33, v[13:14]
.LBB75_243:                             ;   in Loop: Header=BB75_6 Depth=1
	s_or_b32 exec_lo, exec_lo, s10
	v_or_b32_e32 v22, s13, v22
	v_or_b32_e32 v21, s12, v21
	v_or_b32_e32 v20, s13, v20
	v_or_b32_e32 v19, s12, v19
	s_cmp_eq_u32 s17, 0
	s_waitcnt lgkmcnt(0)
	s_barrier
	buffer_gl0_inv
	s_cbranch_scc1 .LBB75_252
; %bb.244:                              ;   in Loop: Header=BB75_6 Depth=1
	s_add_i32 s10, s17, s65
                                        ; implicit-def: $vgpr5_vgpr6
	s_delay_alu instid0(SALU_CYCLE_1) | instskip(NEXT) | instid1(SALU_CYCLE_1)
	s_mul_hi_u32 s25, s10, s72
	s_mul_i32 s25, s25, s47
	s_delay_alu instid0(SALU_CYCLE_1) | instskip(NEXT) | instid1(SALU_CYCLE_1)
	s_sub_i32 s25, s10, s25
	s_sub_i32 s26, s25, s47
	s_cmp_ge_u32 s25, s47
	s_cselect_b32 s25, s26, s25
	s_delay_alu instid0(SALU_CYCLE_1) | instskip(SKIP_2) | instid1(SALU_CYCLE_1)
	s_sub_i32 s26, s25, s47
	s_cmp_ge_u32 s25, s47
	s_cselect_b32 s25, s26, s25
	s_sub_i32 s26, s10, s25
	s_mov_b32 s10, 0
	s_mov_b32 s25, exec_lo
	v_cmpx_gt_u32_e64 s26, v0
	s_cbranch_execz .LBB75_254
; %bb.245:                              ;   in Loop: Header=BB75_6 Depth=1
	v_mov_b32_e32 v7, v32
	v_mov_b32_e32 v8, v0
	s_mov_b32 s28, 0
                                        ; implicit-def: $sgpr27
	s_set_inst_prefetch_distance 0x1
	s_branch .LBB75_247
	.p2align	6
.LBB75_246:                             ;   in Loop: Header=BB75_247 Depth=2
	s_or_b32 exec_lo, exec_lo, s10
	s_waitcnt lgkmcnt(0)
	s_barrier
	buffer_gl0_inv
	ds_load_b128 v[3:6], v14 offset:3072
	v_add_nc_u32_e32 v8, s47, v8
	v_add_nc_u32_e32 v7, s76, v7
	s_waitcnt lgkmcnt(0)
	s_barrier
	buffer_gl0_inv
	v_cmp_le_u32_e64 s10, s26, v8
	v_cmp_neq_f64_e32 vcc_lo, 0, v[3:4]
	s_delay_alu instid0(VALU_DEP_2) | instskip(NEXT) | instid1(SALU_CYCLE_1)
	s_or_b32 s10, s10, vcc_lo
	s_and_b32 s10, exec_lo, s10
	s_delay_alu instid0(SALU_CYCLE_1) | instskip(SKIP_2) | instid1(SALU_CYCLE_1)
	s_or_b32 s28, s10, s28
	s_and_not1_b32 s10, s27, exec_lo
	s_and_b32 s27, vcc_lo, exec_lo
	s_or_b32 s27, s10, s27
	s_and_not1_b32 exec_lo, exec_lo, s28
	s_cbranch_execz .LBB75_253
.LBB75_247:                             ;   Parent Loop BB75_6 Depth=1
                                        ; =>  This Inner Loop Header: Depth=2
	v_mov_b32_e32 v3, 0
	v_mov_b32_e32 v4, 0
	v_cmp_gt_u32_e32 vcc_lo, s17, v8
	s_and_saveexec_b32 s10, vcc_lo
	s_cbranch_execz .LBB75_249
; %bb.248:                              ;   in Loop: Header=BB75_247 Depth=2
	ds_load_b64 v[3:4], v7
.LBB75_249:                             ;   in Loop: Header=BB75_247 Depth=2
	s_or_b32 exec_lo, exec_lo, s10
	s_and_saveexec_b32 s10, vcc_lo
	s_cbranch_execz .LBB75_246
; %bb.250:                              ;   in Loop: Header=BB75_247 Depth=2
	s_waitcnt lgkmcnt(0)
	v_cmp_o_f64_e32 vcc_lo, v[3:4], v[3:4]
	v_ashrrev_i32_e32 v1, 31, v4
	s_delay_alu instid0(VALU_DEP_1) | instskip(SKIP_1) | instid1(VALU_DEP_2)
	v_or_b32_e32 v5, 0x80000000, v1
	v_xor_b32_e32 v1, v1, v3
	v_xor_b32_e32 v5, v5, v4
	s_delay_alu instid0(VALU_DEP_1) | instskip(NEXT) | instid1(VALU_DEP_1)
	v_cndmask_b32_e32 v5, -1, v5, vcc_lo
	v_dual_cndmask_b32 v1, -1, v1 :: v_dual_and_b32 v6, v5, v20
	s_delay_alu instid0(VALU_DEP_1) | instskip(NEXT) | instid1(VALU_DEP_1)
	v_and_b32_e32 v5, v1, v19
	v_cmp_eq_u64_e32 vcc_lo, v[5:6], v[21:22]
	s_and_b32 exec_lo, exec_lo, vcc_lo
	s_cbranch_execz .LBB75_246
; %bb.251:                              ;   in Loop: Header=BB75_247 Depth=2
	v_mov_b32_e32 v1, v14
	ds_store_b128 v14, v[1:4] offset:3072
	s_branch .LBB75_246
.LBB75_252:                             ;   in Loop: Header=BB75_6 Depth=1
	s_mov_b32 s25, -1
	s_mov_b32 s10, 0
                                        ; implicit-def: $sgpr26
                                        ; implicit-def: $vgpr5_vgpr6
	s_mov_b32 s17, s25
	s_cbranch_execnz .LBB75_255
	s_branch .LBB75_265
.LBB75_253:                             ;   in Loop: Header=BB75_6 Depth=1
	s_set_inst_prefetch_distance 0x2
	s_or_b32 exec_lo, exec_lo, s28
	s_delay_alu instid0(SALU_CYCLE_1)
	s_and_b32 s10, s27, exec_lo
.LBB75_254:                             ;   in Loop: Header=BB75_6 Depth=1
	s_or_b32 exec_lo, exec_lo, s25
	s_mov_b32 s25, 0
	s_mov_b32 s26, -1
	s_mov_b32 s17, s25
	s_branch .LBB75_265
.LBB75_255:                             ;   in Loop: Header=BB75_6 Depth=1
	s_mov_b32 s10, 0
                                        ; implicit-def: $vgpr5_vgpr6
	s_and_saveexec_b32 s17, s9
	s_cbranch_execz .LBB75_264
; %bb.256:                              ;   in Loop: Header=BB75_6 Depth=1
	v_mov_b32_e32 v13, v15
	v_mov_b32_e32 v7, v0
	s_mov_b32 s26, 0
                                        ; implicit-def: $sgpr25
	s_branch .LBB75_258
.LBB75_257:                             ;   in Loop: Header=BB75_258 Depth=2
	s_or_b32 exec_lo, exec_lo, s10
	s_waitcnt vmcnt(0) lgkmcnt(0)
	s_barrier
	buffer_gl0_inv
	ds_load_b128 v[3:6], v14 offset:3072
	v_add_nc_u32_e32 v7, s47, v7
	v_add_nc_u32_e32 v13, s53, v13
	s_waitcnt lgkmcnt(0)
	s_barrier
	buffer_gl0_inv
	v_cmp_le_u32_e64 s10, s73, v7
	v_cmp_neq_f64_e32 vcc_lo, 0, v[3:4]
	s_delay_alu instid0(VALU_DEP_2) | instskip(NEXT) | instid1(SALU_CYCLE_1)
	s_or_b32 s10, s10, vcc_lo
	s_and_b32 s10, exec_lo, s10
	s_delay_alu instid0(SALU_CYCLE_1) | instskip(SKIP_2) | instid1(SALU_CYCLE_1)
	s_or_b32 s26, s10, s26
	s_and_not1_b32 s10, s25, exec_lo
	s_and_b32 s25, vcc_lo, exec_lo
	s_or_b32 s25, s10, s25
	s_and_not1_b32 exec_lo, exec_lo, s26
	s_cbranch_execz .LBB75_263
.LBB75_258:                             ;   Parent Loop BB75_6 Depth=1
                                        ; =>  This Inner Loop Header: Depth=2
	v_mov_b32_e32 v3, 0
	v_mov_b32_e32 v4, 0
	v_cmp_gt_u32_e32 vcc_lo, s36, v7
	s_and_saveexec_b32 s27, vcc_lo
	s_cbranch_execz .LBB75_260
; %bb.259:                              ;   in Loop: Header=BB75_258 Depth=2
	v_lshlrev_b64 v[3:4], 3, v[13:14]
	s_delay_alu instid0(VALU_DEP_1) | instskip(NEXT) | instid1(VALU_DEP_1)
	v_add_co_u32 v3, s10, s33, v3
	v_add_co_ci_u32_e64 v4, s10, s43, v4, s10
	global_load_b64 v[3:4], v[3:4], off
.LBB75_260:                             ;   in Loop: Header=BB75_258 Depth=2
	s_or_b32 exec_lo, exec_lo, s27
	s_and_saveexec_b32 s10, vcc_lo
	s_cbranch_execz .LBB75_257
; %bb.261:                              ;   in Loop: Header=BB75_258 Depth=2
	s_waitcnt vmcnt(0)
	v_cmp_o_f64_e32 vcc_lo, v[3:4], v[3:4]
	v_ashrrev_i32_e32 v1, 31, v4
	s_delay_alu instid0(VALU_DEP_1) | instskip(SKIP_1) | instid1(VALU_DEP_2)
	v_or_b32_e32 v5, 0x80000000, v1
	v_xor_b32_e32 v1, v1, v3
	v_xor_b32_e32 v5, v5, v4
	s_delay_alu instid0(VALU_DEP_1) | instskip(NEXT) | instid1(VALU_DEP_1)
	v_cndmask_b32_e32 v5, -1, v5, vcc_lo
	v_dual_cndmask_b32 v1, -1, v1 :: v_dual_and_b32 v6, v5, v20
	s_delay_alu instid0(VALU_DEP_1) | instskip(NEXT) | instid1(VALU_DEP_1)
	v_and_b32_e32 v5, v1, v19
	v_cmp_eq_u64_e32 vcc_lo, v[5:6], v[21:22]
	s_and_b32 exec_lo, exec_lo, vcc_lo
	s_cbranch_execz .LBB75_257
; %bb.262:                              ;   in Loop: Header=BB75_258 Depth=2
	v_mov_b32_e32 v1, v14
	ds_store_b128 v14, v[1:4] offset:3072
	s_branch .LBB75_257
.LBB75_263:                             ;   in Loop: Header=BB75_6 Depth=1
	s_or_b32 exec_lo, exec_lo, s26
	s_delay_alu instid0(SALU_CYCLE_1)
	s_and_b32 s10, s25, exec_lo
.LBB75_264:                             ;   in Loop: Header=BB75_6 Depth=1
	s_or_b32 exec_lo, exec_lo, s17
	s_mov_b32 s26, 0
	s_mov_b32 s25, -1
	s_mov_b32 s17, 0
.LBB75_265:                             ;   in Loop: Header=BB75_6 Depth=1
	s_or_not1_b32 s10, s10, exec_lo
.LBB75_266:                             ;   in Loop: Header=BB75_6 Depth=1
	s_or_b32 exec_lo, exec_lo, s23
                                        ; implicit-def: $vgpr1
                                        ; implicit-def: $vgpr41
                                        ; implicit-def: $vgpr23_vgpr24
                                        ; implicit-def: $vgpr25_vgpr26
                                        ; implicit-def: $vgpr9_vgpr10
	s_and_saveexec_b32 s23, s10
	s_cbranch_execz .LBB75_401
; %bb.267:                              ;   in Loop: Header=BB75_6 Depth=1
	v_mov_b32_e32 v41, 1
	v_mov_b32_e32 v1, 1
	s_xor_b32 s24, s24, -1
	s_mov_b32 s89, 0
	s_and_saveexec_b32 s10, s24
	s_cbranch_execz .LBB75_277
; %bb.268:                              ;   in Loop: Header=BB75_6 Depth=1
	s_mov_b32 s27, exec_lo
                                        ; implicit-def: $sgpr28
                                        ; implicit-def: $sgpr24
	v_cmpx_ge_u32_e64 s21, v40
	s_xor_b32 s27, exec_lo, s27
	s_cbranch_execz .LBB75_274
; %bb.269:                              ;   in Loop: Header=BB75_6 Depth=1
	ds_load_b32 v1, v14 offset:4096
	s_waitcnt lgkmcnt(0)
	v_cmp_ne_u32_e32 vcc_lo, 0, v1
	s_cbranch_vccnz .LBB75_273
; %bb.270:                              ;   in Loop: Header=BB75_6 Depth=1
	s_and_saveexec_b32 s24, s5
	s_cbranch_execz .LBB75_272
; %bb.271:                              ;   in Loop: Header=BB75_6 Depth=1
	v_mov_b32_e32 v1, s21
	ds_store_b32 v14, v1 offset:4100
.LBB75_272:                             ;   in Loop: Header=BB75_6 Depth=1
	s_or_b32 exec_lo, exec_lo, s24
	s_waitcnt lgkmcnt(0)
	s_barrier
	buffer_gl0_inv
.LBB75_273:                             ;   in Loop: Header=BB75_6 Depth=1
	v_or_b32_e32 v22, s13, v22
	v_or_b32_e32 v21, s12, v21
	;; [unrolled: 1-line block ×4, first 2 shown]
	s_mov_b32 s24, 0
	s_mov_b32 s28, 5
.LBB75_274:                             ;   in Loop: Header=BB75_6 Depth=1
	s_or_saveexec_b32 s27, s27
	v_mov_b32_e32 v1, s28
	s_xor_b32 exec_lo, exec_lo, s27
; %bb.275:                              ;   in Loop: Header=BB75_6 Depth=1
	v_subrev_nc_u32_e32 v40, s21, v40
	v_mov_b32_e32 v1, 0
	s_or_b32 s24, s24, exec_lo
; %bb.276:                              ;   in Loop: Header=BB75_6 Depth=1
	s_or_b32 exec_lo, exec_lo, s27
	s_delay_alu instid0(VALU_DEP_2)
	v_mov_b32_e32 v41, v40
	s_and_b32 s89, s24, exec_lo
.LBB75_277:                             ;   in Loop: Header=BB75_6 Depth=1
	s_or_b32 exec_lo, exec_lo, s10
	s_mov_b32 s28, -1
                                        ; implicit-def: $sgpr24
                                        ; implicit-def: $sgpr27
                                        ; implicit-def: $sgpr29
	s_and_saveexec_b32 s10, s89
	s_delay_alu instid0(SALU_CYCLE_1)
	s_xor_b32 s21, exec_lo, s10
	s_cbranch_execz .LBB75_398
; %bb.278:                              ;   in Loop: Header=BB75_6 Depth=1
	v_cmp_eq_u32_e32 vcc_lo, 1, v41
	s_cmp_eq_u32 s20, 1
                                        ; implicit-def: $sgpr24
                                        ; implicit-def: $sgpr27
                                        ; implicit-def: $sgpr28
	s_cselect_b32 s10, -1, 0
	s_delay_alu instid0(SALU_CYCLE_1)
	s_and_b32 s89, s10, vcc_lo
	s_mov_b32 s10, -1
	s_and_saveexec_b32 s29, s89
	s_cbranch_execz .LBB75_304
; %bb.279:                              ;   in Loop: Header=BB75_6 Depth=1
	ds_load_b32 v1, v14 offset:4096
	s_waitcnt lgkmcnt(0)
	s_barrier
	buffer_gl0_inv
	v_readfirstlane_b32 s24, v1
	s_and_saveexec_b32 s10, s6
	s_cbranch_execz .LBB75_281
; %bb.280:                              ;   in Loop: Header=BB75_6 Depth=1
	v_mov_b32_e32 v13, v14
	ds_store_b64 v33, v[13:14]
.LBB75_281:                             ;   in Loop: Header=BB75_6 Depth=1
	s_or_b32 exec_lo, exec_lo, s10
	v_and_b32_e32 v1, s15, v22
	v_and_b32_e32 v3, s14, v21
	s_lshl_b64 s[90:91], 2, s19
	v_or_b32_e32 v20, s13, v20
	v_or_b32_e32 v19, s12, v19
	;; [unrolled: 1-line block ×4, first 2 shown]
	s_cmp_eq_u32 s24, 0
	s_waitcnt lgkmcnt(0)
	s_barrier
	buffer_gl0_inv
	s_cbranch_scc1 .LBB75_290
; %bb.282:                              ;   in Loop: Header=BB75_6 Depth=1
	s_add_i32 s10, s24, s65
                                        ; implicit-def: $vgpr5_vgpr6
	s_delay_alu instid0(SALU_CYCLE_1) | instskip(NEXT) | instid1(SALU_CYCLE_1)
	s_mul_hi_u32 s27, s10, s72
	s_mul_i32 s27, s27, s47
	s_delay_alu instid0(SALU_CYCLE_1) | instskip(NEXT) | instid1(SALU_CYCLE_1)
	s_sub_i32 s27, s10, s27
	s_sub_i32 s28, s27, s47
	s_cmp_ge_u32 s27, s47
	s_cselect_b32 s27, s28, s27
	s_delay_alu instid0(SALU_CYCLE_1) | instskip(SKIP_2) | instid1(SALU_CYCLE_1)
	s_sub_i32 s28, s27, s47
	s_cmp_ge_u32 s27, s47
	s_cselect_b32 s27, s28, s27
	s_sub_i32 s28, s10, s27
	s_mov_b32 s10, 0
	s_mov_b32 s27, exec_lo
	v_cmpx_gt_u32_e64 s28, v0
	s_cbranch_execz .LBB75_292
; %bb.283:                              ;   in Loop: Header=BB75_6 Depth=1
	v_mov_b32_e32 v7, v32
	v_mov_b32_e32 v8, v0
	s_mov_b32 s91, 0
                                        ; implicit-def: $sgpr90
	s_set_inst_prefetch_distance 0x1
	s_branch .LBB75_285
	.p2align	6
.LBB75_284:                             ;   in Loop: Header=BB75_285 Depth=2
	s_or_b32 exec_lo, exec_lo, s10
	s_waitcnt lgkmcnt(0)
	s_barrier
	buffer_gl0_inv
	ds_load_b128 v[3:6], v14 offset:3072
	v_add_nc_u32_e32 v8, s47, v8
	v_add_nc_u32_e32 v7, s76, v7
	s_waitcnt lgkmcnt(0)
	s_barrier
	buffer_gl0_inv
	v_cmp_le_u32_e64 s10, s28, v8
	v_cmp_neq_f64_e32 vcc_lo, 0, v[3:4]
	s_delay_alu instid0(VALU_DEP_2) | instskip(NEXT) | instid1(SALU_CYCLE_1)
	s_or_b32 s10, s10, vcc_lo
	s_and_b32 s10, exec_lo, s10
	s_delay_alu instid0(SALU_CYCLE_1) | instskip(SKIP_2) | instid1(SALU_CYCLE_1)
	s_or_b32 s91, s10, s91
	s_and_not1_b32 s10, s90, exec_lo
	s_and_b32 s90, vcc_lo, exec_lo
	s_or_b32 s90, s10, s90
	s_and_not1_b32 exec_lo, exec_lo, s91
	s_cbranch_execz .LBB75_291
.LBB75_285:                             ;   Parent Loop BB75_6 Depth=1
                                        ; =>  This Inner Loop Header: Depth=2
	v_mov_b32_e32 v3, 0
	v_mov_b32_e32 v4, 0
	v_cmp_gt_u32_e32 vcc_lo, s24, v8
	s_and_saveexec_b32 s10, vcc_lo
	s_cbranch_execz .LBB75_287
; %bb.286:                              ;   in Loop: Header=BB75_285 Depth=2
	ds_load_b64 v[3:4], v7
.LBB75_287:                             ;   in Loop: Header=BB75_285 Depth=2
	s_or_b32 exec_lo, exec_lo, s10
	s_and_saveexec_b32 s10, vcc_lo
	s_cbranch_execz .LBB75_284
; %bb.288:                              ;   in Loop: Header=BB75_285 Depth=2
	s_waitcnt lgkmcnt(0)
	v_cmp_o_f64_e32 vcc_lo, v[3:4], v[3:4]
	v_ashrrev_i32_e32 v1, 31, v4
	s_delay_alu instid0(VALU_DEP_1) | instskip(SKIP_1) | instid1(VALU_DEP_2)
	v_or_b32_e32 v5, 0x80000000, v1
	v_xor_b32_e32 v1, v1, v3
	v_xor_b32_e32 v5, v5, v4
	s_delay_alu instid0(VALU_DEP_1) | instskip(NEXT) | instid1(VALU_DEP_1)
	v_cndmask_b32_e32 v5, -1, v5, vcc_lo
	v_dual_cndmask_b32 v1, -1, v1 :: v_dual_and_b32 v6, v5, v20
	s_delay_alu instid0(VALU_DEP_1) | instskip(NEXT) | instid1(VALU_DEP_1)
	v_and_b32_e32 v5, v1, v19
	v_cmp_eq_u64_e32 vcc_lo, v[5:6], v[21:22]
	s_and_b32 exec_lo, exec_lo, vcc_lo
	s_cbranch_execz .LBB75_284
; %bb.289:                              ;   in Loop: Header=BB75_285 Depth=2
	v_mov_b32_e32 v1, v14
	ds_store_b128 v14, v[1:4] offset:3072
	s_branch .LBB75_284
.LBB75_290:                             ;   in Loop: Header=BB75_6 Depth=1
	s_mov_b32 s24, -1
	s_mov_b32 s10, 0
                                        ; implicit-def: $sgpr27
                                        ; implicit-def: $vgpr5_vgpr6
	s_mov_b32 s28, s24
	s_cbranch_execnz .LBB75_293
	s_branch .LBB75_303
.LBB75_291:                             ;   in Loop: Header=BB75_6 Depth=1
	s_set_inst_prefetch_distance 0x2
	s_or_b32 exec_lo, exec_lo, s91
	s_delay_alu instid0(SALU_CYCLE_1)
	s_and_b32 s10, s90, exec_lo
.LBB75_292:                             ;   in Loop: Header=BB75_6 Depth=1
	s_or_b32 exec_lo, exec_lo, s27
	s_mov_b32 s24, 0
	s_mov_b32 s27, -1
	s_mov_b32 s28, s24
	s_branch .LBB75_303
.LBB75_293:                             ;   in Loop: Header=BB75_6 Depth=1
	s_mov_b32 s10, 0
                                        ; implicit-def: $vgpr5_vgpr6
	s_and_saveexec_b32 s24, s9
	s_cbranch_execz .LBB75_302
; %bb.294:                              ;   in Loop: Header=BB75_6 Depth=1
	v_mov_b32_e32 v13, v15
	v_mov_b32_e32 v7, v0
	s_mov_b32 s28, 0
                                        ; implicit-def: $sgpr27
	s_branch .LBB75_296
.LBB75_295:                             ;   in Loop: Header=BB75_296 Depth=2
	s_or_b32 exec_lo, exec_lo, s10
	s_waitcnt vmcnt(0) lgkmcnt(0)
	s_barrier
	buffer_gl0_inv
	ds_load_b128 v[3:6], v14 offset:3072
	v_add_nc_u32_e32 v7, s47, v7
	v_add_nc_u32_e32 v13, s53, v13
	s_waitcnt lgkmcnt(0)
	s_barrier
	buffer_gl0_inv
	v_cmp_le_u32_e64 s10, s73, v7
	v_cmp_neq_f64_e32 vcc_lo, 0, v[3:4]
	s_delay_alu instid0(VALU_DEP_2) | instskip(NEXT) | instid1(SALU_CYCLE_1)
	s_or_b32 s10, s10, vcc_lo
	s_and_b32 s10, exec_lo, s10
	s_delay_alu instid0(SALU_CYCLE_1) | instskip(SKIP_2) | instid1(SALU_CYCLE_1)
	s_or_b32 s28, s10, s28
	s_and_not1_b32 s10, s27, exec_lo
	s_and_b32 s27, vcc_lo, exec_lo
	s_or_b32 s27, s10, s27
	s_and_not1_b32 exec_lo, exec_lo, s28
	s_cbranch_execz .LBB75_301
.LBB75_296:                             ;   Parent Loop BB75_6 Depth=1
                                        ; =>  This Inner Loop Header: Depth=2
	v_mov_b32_e32 v3, 0
	v_mov_b32_e32 v4, 0
	v_cmp_gt_u32_e32 vcc_lo, s36, v7
	s_and_saveexec_b32 s90, vcc_lo
	s_cbranch_execz .LBB75_298
; %bb.297:                              ;   in Loop: Header=BB75_296 Depth=2
	v_lshlrev_b64 v[3:4], 3, v[13:14]
	s_delay_alu instid0(VALU_DEP_1) | instskip(NEXT) | instid1(VALU_DEP_1)
	v_add_co_u32 v3, s10, s33, v3
	v_add_co_ci_u32_e64 v4, s10, s43, v4, s10
	global_load_b64 v[3:4], v[3:4], off
.LBB75_298:                             ;   in Loop: Header=BB75_296 Depth=2
	s_or_b32 exec_lo, exec_lo, s90
	s_and_saveexec_b32 s10, vcc_lo
	s_cbranch_execz .LBB75_295
; %bb.299:                              ;   in Loop: Header=BB75_296 Depth=2
	s_waitcnt vmcnt(0)
	v_cmp_o_f64_e32 vcc_lo, v[3:4], v[3:4]
	v_ashrrev_i32_e32 v1, 31, v4
	s_delay_alu instid0(VALU_DEP_1) | instskip(SKIP_1) | instid1(VALU_DEP_2)
	v_or_b32_e32 v5, 0x80000000, v1
	v_xor_b32_e32 v1, v1, v3
	v_xor_b32_e32 v5, v5, v4
	s_delay_alu instid0(VALU_DEP_1) | instskip(NEXT) | instid1(VALU_DEP_1)
	v_cndmask_b32_e32 v5, -1, v5, vcc_lo
	v_dual_cndmask_b32 v1, -1, v1 :: v_dual_and_b32 v6, v5, v20
	s_delay_alu instid0(VALU_DEP_1) | instskip(NEXT) | instid1(VALU_DEP_1)
	v_and_b32_e32 v5, v1, v19
	v_cmp_eq_u64_e32 vcc_lo, v[5:6], v[21:22]
	s_and_b32 exec_lo, exec_lo, vcc_lo
	s_cbranch_execz .LBB75_295
; %bb.300:                              ;   in Loop: Header=BB75_296 Depth=2
	v_mov_b32_e32 v1, v14
	ds_store_b128 v14, v[1:4] offset:3072
	s_branch .LBB75_295
.LBB75_301:                             ;   in Loop: Header=BB75_6 Depth=1
	s_or_b32 exec_lo, exec_lo, s28
	s_delay_alu instid0(SALU_CYCLE_1)
	s_and_b32 s10, s27, exec_lo
.LBB75_302:                             ;   in Loop: Header=BB75_6 Depth=1
	s_or_b32 exec_lo, exec_lo, s24
	s_mov_b32 s27, 0
	s_mov_b32 s24, -1
	s_mov_b32 s28, 0
.LBB75_303:                             ;   in Loop: Header=BB75_6 Depth=1
	s_or_not1_b32 s10, s10, exec_lo
.LBB75_304:                             ;   in Loop: Header=BB75_6 Depth=1
	s_or_b32 exec_lo, exec_lo, s29
	s_mov_b32 s90, 0
                                        ; implicit-def: $vgpr1
	s_and_saveexec_b32 s29, s10
	s_cbranch_execz .LBB75_397
; %bb.305:                              ;   in Loop: Header=BB75_6 Depth=1
	v_mov_b32_e32 v7, 1
	v_mov_b32_e32 v1, 1
	s_xor_b32 s89, s89, -1
	s_mov_b32 s91, 0
	s_and_saveexec_b32 s10, s89
	s_cbranch_execz .LBB75_315
; %bb.306:                              ;   in Loop: Header=BB75_6 Depth=1
	s_mov_b32 s90, exec_lo
                                        ; implicit-def: $sgpr91
                                        ; implicit-def: $sgpr89
	v_cmpx_ge_u32_e64 s20, v41
	s_xor_b32 s90, exec_lo, s90
	s_cbranch_execz .LBB75_312
; %bb.307:                              ;   in Loop: Header=BB75_6 Depth=1
	ds_load_b32 v1, v14 offset:4096
	s_waitcnt lgkmcnt(0)
	v_cmp_ne_u32_e32 vcc_lo, 0, v1
	s_cbranch_vccnz .LBB75_311
; %bb.308:                              ;   in Loop: Header=BB75_6 Depth=1
	s_and_saveexec_b32 s89, s5
	s_cbranch_execz .LBB75_310
; %bb.309:                              ;   in Loop: Header=BB75_6 Depth=1
	v_mov_b32_e32 v1, s20
	ds_store_b32 v14, v1 offset:4100
.LBB75_310:                             ;   in Loop: Header=BB75_6 Depth=1
	s_or_b32 exec_lo, exec_lo, s89
	s_waitcnt lgkmcnt(0)
	s_barrier
	buffer_gl0_inv
.LBB75_311:                             ;   in Loop: Header=BB75_6 Depth=1
	v_and_b32_e32 v1, s15, v22
	v_and_b32_e32 v3, s14, v21
	s_lshl_b64 s[92:93], 2, s19
	v_or_b32_e32 v20, s13, v20
	v_or_b32_e32 v19, s12, v19
	;; [unrolled: 1-line block ×4, first 2 shown]
	s_mov_b32 s89, 0
	s_mov_b32 s91, 5
.LBB75_312:                             ;   in Loop: Header=BB75_6 Depth=1
	s_or_saveexec_b32 s90, s90
	v_mov_b32_e32 v1, s91
	s_xor_b32 exec_lo, exec_lo, s90
; %bb.313:                              ;   in Loop: Header=BB75_6 Depth=1
	v_subrev_nc_u32_e32 v41, s20, v41
	v_mov_b32_e32 v1, 0
	s_or_b32 s89, s89, exec_lo
; %bb.314:                              ;   in Loop: Header=BB75_6 Depth=1
	s_or_b32 exec_lo, exec_lo, s90
	s_delay_alu instid0(VALU_DEP_2)
	v_mov_b32_e32 v7, v41
	s_and_b32 s91, s89, exec_lo
.LBB75_315:                             ;   in Loop: Header=BB75_6 Depth=1
	s_or_b32 exec_lo, exec_lo, s10
	s_mov_b32 s10, -1
                                        ; implicit-def: $sgpr89
                                        ; implicit-def: $sgpr90
                                        ; implicit-def: $sgpr92
	s_and_saveexec_b32 s20, s91
	s_cbranch_execz .LBB75_396
; %bb.316:                              ;   in Loop: Header=BB75_6 Depth=1
	v_cmp_eq_u32_e32 vcc_lo, 1, v7
	s_cmp_eq_u32 s18, 1
                                        ; implicit-def: $sgpr89
                                        ; implicit-def: $sgpr90
                                        ; implicit-def: $sgpr91
	s_cselect_b32 s10, -1, 0
	s_delay_alu instid0(SALU_CYCLE_1)
	s_and_b32 s93, s10, vcc_lo
	s_mov_b32 s10, -1
	s_and_saveexec_b32 s92, s93
	s_cbranch_execz .LBB75_342
; %bb.317:                              ;   in Loop: Header=BB75_6 Depth=1
	ds_load_b32 v1, v14 offset:4096
	s_waitcnt lgkmcnt(0)
	s_barrier
	buffer_gl0_inv
	v_readfirstlane_b32 s89, v1
	s_and_saveexec_b32 s10, s6
	s_cbranch_execz .LBB75_319
; %bb.318:                              ;   in Loop: Header=BB75_6 Depth=1
	v_mov_b32_e32 v13, v14
	ds_store_b64 v33, v[13:14]
.LBB75_319:                             ;   in Loop: Header=BB75_6 Depth=1
	s_or_b32 exec_lo, exec_lo, s10
	v_and_b32_e32 v1, s15, v22
	v_and_b32_e32 v3, s14, v21
	s_lshl_b64 s[90:91], 1, s19
	v_or_b32_e32 v20, s13, v20
	v_or_b32_e32 v19, s12, v19
	;; [unrolled: 1-line block ×4, first 2 shown]
	s_cmp_eq_u32 s89, 0
	s_waitcnt lgkmcnt(0)
	s_barrier
	buffer_gl0_inv
	s_cbranch_scc1 .LBB75_328
; %bb.320:                              ;   in Loop: Header=BB75_6 Depth=1
	s_add_i32 s10, s89, s65
                                        ; implicit-def: $vgpr5_vgpr6
	s_delay_alu instid0(SALU_CYCLE_1) | instskip(NEXT) | instid1(SALU_CYCLE_1)
	s_mul_hi_u32 s90, s10, s72
	s_mul_i32 s90, s90, s47
	s_delay_alu instid0(SALU_CYCLE_1) | instskip(NEXT) | instid1(SALU_CYCLE_1)
	s_sub_i32 s90, s10, s90
	s_sub_i32 s91, s90, s47
	s_cmp_ge_u32 s90, s47
	s_cselect_b32 s90, s91, s90
	s_delay_alu instid0(SALU_CYCLE_1) | instskip(SKIP_2) | instid1(SALU_CYCLE_1)
	s_sub_i32 s91, s90, s47
	s_cmp_ge_u32 s90, s47
	s_cselect_b32 s90, s91, s90
	s_sub_i32 s91, s10, s90
	s_mov_b32 s10, 0
	s_mov_b32 s90, exec_lo
	v_cmpx_gt_u32_e64 s91, v0
	s_cbranch_execz .LBB75_330
; %bb.321:                              ;   in Loop: Header=BB75_6 Depth=1
	v_mov_b32_e32 v8, v32
	v_mov_b32_e32 v9, v0
	s_mov_b32 s95, 0
                                        ; implicit-def: $sgpr94
	s_set_inst_prefetch_distance 0x1
	s_branch .LBB75_323
	.p2align	6
.LBB75_322:                             ;   in Loop: Header=BB75_323 Depth=2
	s_or_b32 exec_lo, exec_lo, s10
	s_waitcnt lgkmcnt(0)
	s_barrier
	buffer_gl0_inv
	ds_load_b128 v[3:6], v14 offset:3072
	v_add_nc_u32_e32 v9, s47, v9
	v_add_nc_u32_e32 v8, s76, v8
	s_waitcnt lgkmcnt(0)
	s_barrier
	buffer_gl0_inv
	v_cmp_le_u32_e64 s10, s91, v9
	v_cmp_neq_f64_e32 vcc_lo, 0, v[3:4]
	s_delay_alu instid0(VALU_DEP_2) | instskip(NEXT) | instid1(SALU_CYCLE_1)
	s_or_b32 s10, s10, vcc_lo
	s_and_b32 s10, exec_lo, s10
	s_delay_alu instid0(SALU_CYCLE_1) | instskip(SKIP_2) | instid1(SALU_CYCLE_1)
	s_or_b32 s95, s10, s95
	s_and_not1_b32 s10, s94, exec_lo
	s_and_b32 s94, vcc_lo, exec_lo
	s_or_b32 s94, s10, s94
	s_and_not1_b32 exec_lo, exec_lo, s95
	s_cbranch_execz .LBB75_329
.LBB75_323:                             ;   Parent Loop BB75_6 Depth=1
                                        ; =>  This Inner Loop Header: Depth=2
	v_mov_b32_e32 v3, 0
	v_mov_b32_e32 v4, 0
	v_cmp_gt_u32_e32 vcc_lo, s89, v9
	s_and_saveexec_b32 s10, vcc_lo
	s_cbranch_execz .LBB75_325
; %bb.324:                              ;   in Loop: Header=BB75_323 Depth=2
	ds_load_b64 v[3:4], v8
.LBB75_325:                             ;   in Loop: Header=BB75_323 Depth=2
	s_or_b32 exec_lo, exec_lo, s10
	s_and_saveexec_b32 s10, vcc_lo
	s_cbranch_execz .LBB75_322
; %bb.326:                              ;   in Loop: Header=BB75_323 Depth=2
	s_waitcnt lgkmcnt(0)
	v_cmp_o_f64_e32 vcc_lo, v[3:4], v[3:4]
	v_ashrrev_i32_e32 v1, 31, v4
	s_delay_alu instid0(VALU_DEP_1) | instskip(SKIP_1) | instid1(VALU_DEP_2)
	v_or_b32_e32 v5, 0x80000000, v1
	v_xor_b32_e32 v1, v1, v3
	v_xor_b32_e32 v5, v5, v4
	s_delay_alu instid0(VALU_DEP_1) | instskip(NEXT) | instid1(VALU_DEP_1)
	v_cndmask_b32_e32 v5, -1, v5, vcc_lo
	v_dual_cndmask_b32 v1, -1, v1 :: v_dual_and_b32 v6, v5, v20
	s_delay_alu instid0(VALU_DEP_1) | instskip(NEXT) | instid1(VALU_DEP_1)
	v_and_b32_e32 v5, v1, v19
	v_cmp_eq_u64_e32 vcc_lo, v[5:6], v[21:22]
	s_and_b32 exec_lo, exec_lo, vcc_lo
	s_cbranch_execz .LBB75_322
; %bb.327:                              ;   in Loop: Header=BB75_323 Depth=2
	v_mov_b32_e32 v1, v14
	ds_store_b128 v14, v[1:4] offset:3072
	s_branch .LBB75_322
.LBB75_328:                             ;   in Loop: Header=BB75_6 Depth=1
	s_mov_b32 s89, -1
	s_mov_b32 s10, 0
                                        ; implicit-def: $sgpr90
                                        ; implicit-def: $vgpr5_vgpr6
	s_mov_b32 s91, s89
	s_cbranch_execnz .LBB75_331
	s_branch .LBB75_341
.LBB75_329:                             ;   in Loop: Header=BB75_6 Depth=1
	s_set_inst_prefetch_distance 0x2
	s_or_b32 exec_lo, exec_lo, s95
	s_delay_alu instid0(SALU_CYCLE_1)
	s_and_b32 s10, s94, exec_lo
.LBB75_330:                             ;   in Loop: Header=BB75_6 Depth=1
	s_or_b32 exec_lo, exec_lo, s90
	s_mov_b32 s89, 0
	s_mov_b32 s90, -1
	s_mov_b32 s91, s89
	s_branch .LBB75_341
.LBB75_331:                             ;   in Loop: Header=BB75_6 Depth=1
	s_mov_b32 s10, 0
                                        ; implicit-def: $vgpr5_vgpr6
	s_and_saveexec_b32 s89, s9
	s_cbranch_execz .LBB75_340
; %bb.332:                              ;   in Loop: Header=BB75_6 Depth=1
	v_dual_mov_b32 v13, v15 :: v_dual_mov_b32 v8, v0
	s_mov_b32 s91, 0
                                        ; implicit-def: $sgpr90
	s_branch .LBB75_334
.LBB75_333:                             ;   in Loop: Header=BB75_334 Depth=2
	s_or_b32 exec_lo, exec_lo, s10
	s_waitcnt vmcnt(0) lgkmcnt(0)
	s_barrier
	buffer_gl0_inv
	ds_load_b128 v[3:6], v14 offset:3072
	v_add_nc_u32_e32 v8, s47, v8
	v_add_nc_u32_e32 v13, s53, v13
	s_waitcnt lgkmcnt(0)
	s_barrier
	buffer_gl0_inv
	v_cmp_le_u32_e64 s10, s73, v8
	v_cmp_neq_f64_e32 vcc_lo, 0, v[3:4]
	s_delay_alu instid0(VALU_DEP_2) | instskip(NEXT) | instid1(SALU_CYCLE_1)
	s_or_b32 s10, s10, vcc_lo
	s_and_b32 s10, exec_lo, s10
	s_delay_alu instid0(SALU_CYCLE_1) | instskip(SKIP_2) | instid1(SALU_CYCLE_1)
	s_or_b32 s91, s10, s91
	s_and_not1_b32 s10, s90, exec_lo
	s_and_b32 s90, vcc_lo, exec_lo
	s_or_b32 s90, s10, s90
	s_and_not1_b32 exec_lo, exec_lo, s91
	s_cbranch_execz .LBB75_339
.LBB75_334:                             ;   Parent Loop BB75_6 Depth=1
                                        ; =>  This Inner Loop Header: Depth=2
	v_mov_b32_e32 v3, 0
	v_mov_b32_e32 v4, 0
	v_cmp_gt_u32_e32 vcc_lo, s36, v8
	s_and_saveexec_b32 s94, vcc_lo
	s_cbranch_execz .LBB75_336
; %bb.335:                              ;   in Loop: Header=BB75_334 Depth=2
	v_lshlrev_b64 v[3:4], 3, v[13:14]
	s_delay_alu instid0(VALU_DEP_1) | instskip(NEXT) | instid1(VALU_DEP_1)
	v_add_co_u32 v3, s10, s33, v3
	v_add_co_ci_u32_e64 v4, s10, s43, v4, s10
	global_load_b64 v[3:4], v[3:4], off
.LBB75_336:                             ;   in Loop: Header=BB75_334 Depth=2
	s_or_b32 exec_lo, exec_lo, s94
	s_and_saveexec_b32 s10, vcc_lo
	s_cbranch_execz .LBB75_333
; %bb.337:                              ;   in Loop: Header=BB75_334 Depth=2
	s_waitcnt vmcnt(0)
	v_cmp_o_f64_e32 vcc_lo, v[3:4], v[3:4]
	v_ashrrev_i32_e32 v1, 31, v4
	s_delay_alu instid0(VALU_DEP_1) | instskip(SKIP_1) | instid1(VALU_DEP_2)
	v_or_b32_e32 v5, 0x80000000, v1
	v_xor_b32_e32 v1, v1, v3
	v_xor_b32_e32 v5, v5, v4
	s_delay_alu instid0(VALU_DEP_1) | instskip(NEXT) | instid1(VALU_DEP_1)
	v_cndmask_b32_e32 v5, -1, v5, vcc_lo
	v_dual_cndmask_b32 v1, -1, v1 :: v_dual_and_b32 v6, v5, v20
	s_delay_alu instid0(VALU_DEP_1) | instskip(NEXT) | instid1(VALU_DEP_1)
	v_and_b32_e32 v5, v1, v19
	v_cmp_eq_u64_e32 vcc_lo, v[5:6], v[21:22]
	s_and_b32 exec_lo, exec_lo, vcc_lo
	s_cbranch_execz .LBB75_333
; %bb.338:                              ;   in Loop: Header=BB75_334 Depth=2
	v_mov_b32_e32 v1, v14
	ds_store_b128 v14, v[1:4] offset:3072
	s_branch .LBB75_333
.LBB75_339:                             ;   in Loop: Header=BB75_6 Depth=1
	s_or_b32 exec_lo, exec_lo, s91
	s_delay_alu instid0(SALU_CYCLE_1)
	s_and_b32 s10, s90, exec_lo
.LBB75_340:                             ;   in Loop: Header=BB75_6 Depth=1
	s_or_b32 exec_lo, exec_lo, s89
	s_mov_b32 s90, 0
	s_mov_b32 s89, -1
	s_mov_b32 s91, 0
.LBB75_341:                             ;   in Loop: Header=BB75_6 Depth=1
	s_or_not1_b32 s10, s10, exec_lo
.LBB75_342:                             ;   in Loop: Header=BB75_6 Depth=1
	s_or_b32 exec_lo, exec_lo, s92
	s_mov_b32 s94, 0
                                        ; implicit-def: $vgpr1
	s_and_saveexec_b32 s92, s10
	s_cbranch_execz .LBB75_395
; %bb.343:                              ;   in Loop: Header=BB75_6 Depth=1
	v_dual_mov_b32 v8, 1 :: v_dual_mov_b32 v1, 1
	s_xor_b32 s94, s93, -1
	s_mov_b32 s93, 0
	s_and_saveexec_b32 s10, s94
	s_cbranch_execz .LBB75_353
; %bb.344:                              ;   in Loop: Header=BB75_6 Depth=1
	s_mov_b32 s94, exec_lo
                                        ; implicit-def: $sgpr95
                                        ; implicit-def: $sgpr93
	v_cmpx_ge_u32_e64 s18, v7
	s_xor_b32 s94, exec_lo, s94
	s_cbranch_execz .LBB75_350
; %bb.345:                              ;   in Loop: Header=BB75_6 Depth=1
	ds_load_b32 v1, v14 offset:4096
	s_waitcnt lgkmcnt(0)
	v_cmp_ne_u32_e32 vcc_lo, 0, v1
	s_cbranch_vccnz .LBB75_349
; %bb.346:                              ;   in Loop: Header=BB75_6 Depth=1
	s_and_saveexec_b32 s93, s5
	s_cbranch_execz .LBB75_348
; %bb.347:                              ;   in Loop: Header=BB75_6 Depth=1
	v_mov_b32_e32 v1, s18
	ds_store_b32 v14, v1 offset:4100
.LBB75_348:                             ;   in Loop: Header=BB75_6 Depth=1
	s_or_b32 exec_lo, exec_lo, s93
	s_waitcnt lgkmcnt(0)
	s_barrier
	buffer_gl0_inv
.LBB75_349:                             ;   in Loop: Header=BB75_6 Depth=1
	v_and_b32_e32 v1, s15, v22
	v_and_b32_e32 v3, s14, v21
	s_lshl_b64 s[96:97], 1, s19
	v_or_b32_e32 v20, s13, v20
	v_or_b32_e32 v19, s12, v19
	;; [unrolled: 1-line block ×4, first 2 shown]
	s_mov_b32 s93, 0
	s_mov_b32 s95, 5
.LBB75_350:                             ;   in Loop: Header=BB75_6 Depth=1
	s_or_saveexec_b32 s19, s94
	v_mov_b32_e32 v1, s95
	s_xor_b32 exec_lo, exec_lo, s19
; %bb.351:                              ;   in Loop: Header=BB75_6 Depth=1
	v_subrev_nc_u32_e32 v7, s18, v7
	v_mov_b32_e32 v1, 0
	s_or_b32 s93, s93, exec_lo
; %bb.352:                              ;   in Loop: Header=BB75_6 Depth=1
	s_or_b32 exec_lo, exec_lo, s19
	s_delay_alu instid0(VALU_DEP_2)
	v_mov_b32_e32 v8, v7
	s_and_b32 s93, s93, exec_lo
.LBB75_353:                             ;   in Loop: Header=BB75_6 Depth=1
	s_or_b32 exec_lo, exec_lo, s10
	s_mov_b32 s19, -1
                                        ; implicit-def: $sgpr10
                                        ; implicit-def: $sgpr94
                                        ; implicit-def: $sgpr95
	s_and_saveexec_b32 s18, s93
	s_cbranch_execz .LBB75_394
; %bb.354:                              ;   in Loop: Header=BB75_6 Depth=1
	v_cmp_eq_u32_e32 vcc_lo, 1, v8
	s_cmp_eq_u32 s16, 1
	s_mov_b32 s96, -1
	s_cselect_b32 s10, -1, 0
                                        ; implicit-def: $sgpr94
                                        ; implicit-def: $sgpr95
	s_delay_alu instid0(SALU_CYCLE_1) | instskip(NEXT) | instid1(SALU_CYCLE_1)
	s_and_b32 s19, s10, vcc_lo
                                        ; implicit-def: $sgpr10
	s_and_saveexec_b32 s93, s19
	s_cbranch_execz .LBB75_381
; %bb.355:                              ;   in Loop: Header=BB75_6 Depth=1
	ds_load_b32 v1, v14 offset:4096
	s_waitcnt lgkmcnt(0)
	s_barrier
	buffer_gl0_inv
	v_readfirstlane_b32 s94, v1
	s_and_saveexec_b32 s10, s6
	s_cbranch_execz .LBB75_357
; %bb.356:                              ;   in Loop: Header=BB75_6 Depth=1
	v_mov_b32_e32 v13, v14
	ds_store_b64 v33, v[13:14]
.LBB75_357:                             ;   in Loop: Header=BB75_6 Depth=1
	s_or_b32 exec_lo, exec_lo, s10
	v_and_b32_e32 v22, s15, v22
	v_and_b32_e32 v21, s14, v21
	v_or_b32_e32 v20, s13, v20
	v_or_b32_e32 v19, s12, v19
	s_cmp_eq_u32 s94, 0
	s_waitcnt lgkmcnt(0)
	s_barrier
	buffer_gl0_inv
	s_cbranch_scc1 .LBB75_366
; %bb.358:                              ;   in Loop: Header=BB75_6 Depth=1
	s_add_i32 s10, s94, s65
	s_mov_b32 s97, 0
	s_mul_hi_u32 s95, s10, s72
                                        ; implicit-def: $vgpr5_vgpr6
	s_delay_alu instid0(SALU_CYCLE_1) | instskip(NEXT) | instid1(SALU_CYCLE_1)
	s_mul_i32 s95, s95, s47
	s_sub_i32 s95, s10, s95
	s_delay_alu instid0(SALU_CYCLE_1) | instskip(SKIP_2) | instid1(SALU_CYCLE_1)
	s_sub_i32 s96, s95, s47
	s_cmp_ge_u32 s95, s47
	s_cselect_b32 s95, s96, s95
	s_sub_i32 s96, s95, s47
	s_cmp_ge_u32 s95, s47
	s_cselect_b32 s95, s96, s95
	s_delay_alu instid0(SALU_CYCLE_1)
	s_sub_i32 s96, s10, s95
	s_mov_b32 s95, exec_lo
	v_cmpx_gt_u32_e64 s96, v0
	s_cbranch_execz .LBB75_368
; %bb.359:                              ;   in Loop: Header=BB75_6 Depth=1
	v_mov_b32_e32 v7, v32
	v_mov_b32_e32 v9, v0
	s_mov_b32 s98, 0
                                        ; implicit-def: $sgpr97
	s_set_inst_prefetch_distance 0x1
	s_branch .LBB75_361
	.p2align	6
.LBB75_360:                             ;   in Loop: Header=BB75_361 Depth=2
	s_or_b32 exec_lo, exec_lo, s10
	s_waitcnt lgkmcnt(0)
	s_barrier
	buffer_gl0_inv
	ds_load_b128 v[3:6], v14 offset:3072
	v_add_nc_u32_e32 v9, s47, v9
	v_add_nc_u32_e32 v7, s76, v7
	s_waitcnt lgkmcnt(0)
	s_barrier
	buffer_gl0_inv
	v_cmp_le_u32_e64 s10, s96, v9
	v_cmp_neq_f64_e32 vcc_lo, 0, v[3:4]
	s_delay_alu instid0(VALU_DEP_2) | instskip(NEXT) | instid1(SALU_CYCLE_1)
	s_or_b32 s10, s10, vcc_lo
	s_and_b32 s10, exec_lo, s10
	s_delay_alu instid0(SALU_CYCLE_1) | instskip(SKIP_2) | instid1(SALU_CYCLE_1)
	s_or_b32 s98, s10, s98
	s_and_not1_b32 s10, s97, exec_lo
	s_and_b32 s97, vcc_lo, exec_lo
	s_or_b32 s97, s10, s97
	s_and_not1_b32 exec_lo, exec_lo, s98
	s_cbranch_execz .LBB75_367
.LBB75_361:                             ;   Parent Loop BB75_6 Depth=1
                                        ; =>  This Inner Loop Header: Depth=2
	v_mov_b32_e32 v3, 0
	v_mov_b32_e32 v4, 0
	v_cmp_gt_u32_e32 vcc_lo, s94, v9
	s_and_saveexec_b32 s10, vcc_lo
	s_cbranch_execz .LBB75_363
; %bb.362:                              ;   in Loop: Header=BB75_361 Depth=2
	ds_load_b64 v[3:4], v7
.LBB75_363:                             ;   in Loop: Header=BB75_361 Depth=2
	s_or_b32 exec_lo, exec_lo, s10
	s_and_saveexec_b32 s10, vcc_lo
	s_cbranch_execz .LBB75_360
; %bb.364:                              ;   in Loop: Header=BB75_361 Depth=2
	s_waitcnt lgkmcnt(0)
	v_cmp_o_f64_e32 vcc_lo, v[3:4], v[3:4]
	v_ashrrev_i32_e32 v1, 31, v4
	s_delay_alu instid0(VALU_DEP_1) | instskip(SKIP_1) | instid1(VALU_DEP_2)
	v_or_b32_e32 v5, 0x80000000, v1
	v_xor_b32_e32 v1, v1, v3
	v_xor_b32_e32 v5, v5, v4
	s_delay_alu instid0(VALU_DEP_1) | instskip(NEXT) | instid1(VALU_DEP_1)
	v_cndmask_b32_e32 v5, -1, v5, vcc_lo
	v_dual_cndmask_b32 v1, -1, v1 :: v_dual_and_b32 v6, v5, v20
	s_delay_alu instid0(VALU_DEP_1) | instskip(NEXT) | instid1(VALU_DEP_1)
	v_and_b32_e32 v5, v1, v19
	v_cmp_eq_u64_e32 vcc_lo, v[5:6], v[21:22]
	s_and_b32 exec_lo, exec_lo, vcc_lo
	s_cbranch_execz .LBB75_360
; %bb.365:                              ;   in Loop: Header=BB75_361 Depth=2
	v_mov_b32_e32 v1, v14
	ds_store_b128 v14, v[1:4] offset:3072
	s_branch .LBB75_360
.LBB75_366:                             ;   in Loop: Header=BB75_6 Depth=1
	s_mov_b32 s10, -1
	s_mov_b32 s97, 0
                                        ; implicit-def: $sgpr94
                                        ; implicit-def: $vgpr5_vgpr6
	s_branch .LBB75_369
.LBB75_367:                             ;   in Loop: Header=BB75_6 Depth=1
	s_set_inst_prefetch_distance 0x2
	s_or_b32 exec_lo, exec_lo, s98
	s_delay_alu instid0(SALU_CYCLE_1)
	s_and_b32 s97, s97, exec_lo
.LBB75_368:                             ;   in Loop: Header=BB75_6 Depth=1
	s_or_b32 exec_lo, exec_lo, s95
	s_mov_b32 s10, 0
	s_mov_b32 s94, -1
.LBB75_369:                             ;   in Loop: Header=BB75_6 Depth=1
	s_and_b32 vcc_lo, exec_lo, s10
	s_mov_b32 s95, s10
	s_cbranch_vccz .LBB75_380
; %bb.370:                              ;   in Loop: Header=BB75_6 Depth=1
	s_mov_b32 s97, 0
                                        ; implicit-def: $vgpr5_vgpr6
	s_and_saveexec_b32 s94, s9
	s_cbranch_execz .LBB75_379
; %bb.371:                              ;   in Loop: Header=BB75_6 Depth=1
	v_mov_b32_e32 v13, v15
	v_mov_b32_e32 v7, v0
	s_mov_b32 s96, 0
                                        ; implicit-def: $sgpr95
	s_branch .LBB75_373
.LBB75_372:                             ;   in Loop: Header=BB75_373 Depth=2
	s_or_b32 exec_lo, exec_lo, s10
	s_waitcnt vmcnt(0) lgkmcnt(0)
	s_barrier
	buffer_gl0_inv
	ds_load_b128 v[3:6], v14 offset:3072
	v_add_nc_u32_e32 v7, s47, v7
	v_add_nc_u32_e32 v13, s53, v13
	s_waitcnt lgkmcnt(0)
	s_barrier
	buffer_gl0_inv
	v_cmp_le_u32_e64 s10, s73, v7
	v_cmp_neq_f64_e32 vcc_lo, 0, v[3:4]
	s_delay_alu instid0(VALU_DEP_2) | instskip(NEXT) | instid1(SALU_CYCLE_1)
	s_or_b32 s10, s10, vcc_lo
	s_and_b32 s10, exec_lo, s10
	s_delay_alu instid0(SALU_CYCLE_1) | instskip(SKIP_2) | instid1(SALU_CYCLE_1)
	s_or_b32 s96, s10, s96
	s_and_not1_b32 s10, s95, exec_lo
	s_and_b32 s95, vcc_lo, exec_lo
	s_or_b32 s95, s10, s95
	s_and_not1_b32 exec_lo, exec_lo, s96
	s_cbranch_execz .LBB75_378
.LBB75_373:                             ;   Parent Loop BB75_6 Depth=1
                                        ; =>  This Inner Loop Header: Depth=2
	v_mov_b32_e32 v3, 0
	v_mov_b32_e32 v4, 0
	v_cmp_gt_u32_e32 vcc_lo, s36, v7
	s_and_saveexec_b32 s97, vcc_lo
	s_cbranch_execz .LBB75_375
; %bb.374:                              ;   in Loop: Header=BB75_373 Depth=2
	v_lshlrev_b64 v[3:4], 3, v[13:14]
	s_delay_alu instid0(VALU_DEP_1) | instskip(NEXT) | instid1(VALU_DEP_1)
	v_add_co_u32 v3, s10, s33, v3
	v_add_co_ci_u32_e64 v4, s10, s43, v4, s10
	global_load_b64 v[3:4], v[3:4], off
.LBB75_375:                             ;   in Loop: Header=BB75_373 Depth=2
	s_or_b32 exec_lo, exec_lo, s97
	s_and_saveexec_b32 s10, vcc_lo
	s_cbranch_execz .LBB75_372
; %bb.376:                              ;   in Loop: Header=BB75_373 Depth=2
	s_waitcnt vmcnt(0)
	v_cmp_o_f64_e32 vcc_lo, v[3:4], v[3:4]
	v_ashrrev_i32_e32 v1, 31, v4
	s_delay_alu instid0(VALU_DEP_1) | instskip(SKIP_1) | instid1(VALU_DEP_2)
	v_or_b32_e32 v5, 0x80000000, v1
	v_xor_b32_e32 v1, v1, v3
	v_xor_b32_e32 v5, v5, v4
	s_delay_alu instid0(VALU_DEP_1) | instskip(NEXT) | instid1(VALU_DEP_1)
	v_cndmask_b32_e32 v5, -1, v5, vcc_lo
	v_dual_cndmask_b32 v1, -1, v1 :: v_dual_and_b32 v6, v5, v20
	s_delay_alu instid0(VALU_DEP_1) | instskip(NEXT) | instid1(VALU_DEP_1)
	v_and_b32_e32 v5, v1, v19
	v_cmp_eq_u64_e32 vcc_lo, v[5:6], v[21:22]
	s_and_b32 exec_lo, exec_lo, vcc_lo
	s_cbranch_execz .LBB75_372
; %bb.377:                              ;   in Loop: Header=BB75_373 Depth=2
	v_mov_b32_e32 v1, v14
	ds_store_b128 v14, v[1:4] offset:3072
	s_branch .LBB75_372
.LBB75_378:                             ;   in Loop: Header=BB75_6 Depth=1
	s_or_b32 exec_lo, exec_lo, s96
	s_delay_alu instid0(SALU_CYCLE_1)
	s_and_b32 s97, s95, exec_lo
.LBB75_379:                             ;   in Loop: Header=BB75_6 Depth=1
	s_or_b32 exec_lo, exec_lo, s94
	s_mov_b32 s94, 0
	s_mov_b32 s10, -1
	s_mov_b32 s95, 0
.LBB75_380:                             ;   in Loop: Header=BB75_6 Depth=1
	s_or_not1_b32 s96, s97, exec_lo
.LBB75_381:                             ;   in Loop: Header=BB75_6 Depth=1
	s_or_b32 exec_lo, exec_lo, s93
	s_mov_b32 s97, 0
                                        ; implicit-def: $vgpr1
                                        ; implicit-def: $vgpr3
	s_and_saveexec_b32 s93, s96
	s_cbranch_execz .LBB75_393
; %bb.382:                              ;   in Loop: Header=BB75_6 Depth=1
	v_mov_b32_e32 v1, 1
	v_mov_b32_e32 v3, 1
	s_xor_b32 s96, s19, -1
	s_delay_alu instid0(SALU_CYCLE_1)
	s_and_saveexec_b32 s19, s96
	s_cbranch_execz .LBB75_392
; %bb.383:                              ;   in Loop: Header=BB75_6 Depth=1
	s_mov_b32 s96, exec_lo
                                        ; implicit-def: $sgpr97
	v_cmpx_ge_u32_e64 s16, v8
	s_xor_b32 s96, exec_lo, s96
	s_cbranch_execz .LBB75_389
; %bb.384:                              ;   in Loop: Header=BB75_6 Depth=1
	ds_load_b32 v1, v14 offset:4096
	s_waitcnt lgkmcnt(0)
	v_cmp_ne_u32_e32 vcc_lo, 0, v1
	s_cbranch_vccnz .LBB75_388
; %bb.385:                              ;   in Loop: Header=BB75_6 Depth=1
	s_and_saveexec_b32 s97, s5
	s_cbranch_execz .LBB75_387
; %bb.386:                              ;   in Loop: Header=BB75_6 Depth=1
	v_mov_b32_e32 v1, s16
	ds_store_b32 v14, v1 offset:4100
.LBB75_387:                             ;   in Loop: Header=BB75_6 Depth=1
	s_or_b32 exec_lo, exec_lo, s97
	s_waitcnt lgkmcnt(0)
	s_barrier
	buffer_gl0_inv
.LBB75_388:                             ;   in Loop: Header=BB75_6 Depth=1
	v_and_b32_e32 v22, s15, v22
	v_and_b32_e32 v21, s14, v21
	v_or_b32_e32 v20, s13, v20
	v_or_b32_e32 v19, s12, v19
	s_mov_b32 s97, 5
.LBB75_389:                             ;   in Loop: Header=BB75_6 Depth=1
	s_or_saveexec_b32 s12, s96
	v_mov_b32_e32 v1, s97
	s_xor_b32 exec_lo, exec_lo, s12
; %bb.390:                              ;   in Loop: Header=BB75_6 Depth=1
	v_subrev_nc_u32_e32 v8, s16, v8
	v_mov_b32_e32 v1, 5
; %bb.391:                              ;   in Loop: Header=BB75_6 Depth=1
	s_or_b32 exec_lo, exec_lo, s12
	s_delay_alu instid0(VALU_DEP_2)
	v_mov_b32_e32 v3, v8
.LBB75_392:                             ;   in Loop: Header=BB75_6 Depth=1
	s_or_b32 exec_lo, exec_lo, s19
	s_delay_alu instid0(SALU_CYCLE_1)
	s_mov_b32 s97, exec_lo
.LBB75_393:                             ;   in Loop: Header=BB75_6 Depth=1
	s_or_b32 exec_lo, exec_lo, s93
	s_delay_alu instid0(VALU_DEP_1)
	v_mov_b32_e32 v8, v3
	s_or_not1_b32 s19, s97, exec_lo
.LBB75_394:                             ;   in Loop: Header=BB75_6 Depth=1
	s_or_b32 exec_lo, exec_lo, s18
	s_delay_alu instid0(SALU_CYCLE_1)
	s_and_not1_b32 s12, s89, exec_lo
	s_and_b32 s10, s10, exec_lo
	s_and_not1_b32 s13, s91, exec_lo
	s_or_b32 s89, s12, s10
	s_and_not1_b32 s10, s90, exec_lo
	s_and_b32 s12, s94, exec_lo
	s_and_b32 s14, s95, exec_lo
	v_mov_b32_e32 v7, v8
	s_or_b32 s90, s10, s12
	s_or_b32 s91, s13, s14
	s_and_b32 s94, s19, exec_lo
.LBB75_395:                             ;   in Loop: Header=BB75_6 Depth=1
	s_or_b32 exec_lo, exec_lo, s92
	s_delay_alu instid0(SALU_CYCLE_1)
	s_and_b32 s92, s89, exec_lo
	s_and_b32 s90, s90, exec_lo
	;; [unrolled: 1-line block ×3, first 2 shown]
	s_or_not1_b32 s10, s94, exec_lo
.LBB75_396:                             ;   in Loop: Header=BB75_6 Depth=1
	s_or_b32 exec_lo, exec_lo, s20
	s_delay_alu instid0(SALU_CYCLE_1)
	s_and_not1_b32 s12, s24, exec_lo
	s_and_b32 s13, s92, exec_lo
	s_and_not1_b32 s14, s28, exec_lo
	s_or_b32 s24, s12, s13
	s_and_not1_b32 s12, s27, exec_lo
	s_and_b32 s13, s90, exec_lo
	s_and_b32 s15, s89, exec_lo
	v_mov_b32_e32 v41, v7
	s_or_b32 s27, s12, s13
	s_or_b32 s28, s14, s15
	s_and_b32 s90, s10, exec_lo
.LBB75_397:                             ;   in Loop: Header=BB75_6 Depth=1
	s_or_b32 exec_lo, exec_lo, s29
	s_delay_alu instid0(SALU_CYCLE_1)
	s_and_b32 s29, s24, exec_lo
	s_and_b32 s27, s27, exec_lo
	;; [unrolled: 1-line block ×3, first 2 shown]
	s_or_not1_b32 s28, s90, exec_lo
.LBB75_398:                             ;   in Loop: Header=BB75_6 Depth=1
	s_or_b32 exec_lo, exec_lo, s21
	s_mov_b32 s10, s22
	s_mov_b32 s12, s11
	s_and_saveexec_b32 s13, s28
; %bb.399:                              ;   in Loop: Header=BB75_6 Depth=1
	v_cmp_eq_u32_e32 vcc_lo, 5, v1
	v_cmp_ne_u32_e64 s10, 5, v1
	s_and_not1_b32 s12, s11, exec_lo
	s_and_not1_b32 s14, s22, exec_lo
	;; [unrolled: 1-line block ×3, first 2 shown]
	s_and_b32 s15, vcc_lo, exec_lo
	s_and_b32 s10, s10, exec_lo
	s_and_not1_b32 s27, s27, exec_lo
	s_and_not1_b32 s24, s24, exec_lo
	s_or_b32 s12, s12, s10
	s_or_b32 s10, s14, s15
; %bb.400:                              ;   in Loop: Header=BB75_6 Depth=1
	s_or_b32 exec_lo, exec_lo, s13
	s_delay_alu instid0(SALU_CYCLE_1)
	s_and_not1_b32 s13, s25, exec_lo
	s_and_b32 s14, s29, exec_lo
	v_dual_mov_b32 v24, v22 :: v_dual_mov_b32 v23, v21
	s_or_b32 s25, s13, s14
	s_and_not1_b32 s13, s26, exec_lo
	s_and_b32 s14, s27, exec_lo
	v_dual_mov_b32 v26, v20 :: v_dual_mov_b32 v25, v19
	v_dual_mov_b32 v10, v6 :: v_dual_mov_b32 v9, v5
	s_and_not1_b32 s15, s17, exec_lo
	s_and_b32 s16, s24, exec_lo
	s_or_b32 s26, s13, s14
	s_and_not1_b32 s11, s11, exec_lo
	s_and_b32 s12, s12, exec_lo
	s_and_not1_b32 s13, s22, exec_lo
	s_and_b32 s10, s10, exec_lo
	s_or_b32 s17, s15, s16
	s_or_b32 s11, s11, s12
	;; [unrolled: 1-line block ×3, first 2 shown]
.LBB75_401:                             ;   in Loop: Header=BB75_6 Depth=1
	s_or_b32 exec_lo, exec_lo, s23
	s_mov_b32 s24, s17
	s_mov_b32 s23, s17
	s_and_saveexec_b32 s10, s22
.LBB75_402:                             ;   in Loop: Header=BB75_6 Depth=1
	v_mov_b32_e32 v1, 0
	s_and_not1_b32 s17, s17, exec_lo
	s_and_not1_b32 s25, s25, exec_lo
	s_and_not1_b32 s26, s26, exec_lo
	s_and_not1_b32 s24, s24, exec_lo
	s_and_not1_b32 s23, s23, exec_lo
	s_or_b32 s11, s11, exec_lo
.LBB75_403:                             ;   in Loop: Header=BB75_6 Depth=1
	s_or_b32 exec_lo, exec_lo, s10
	s_delay_alu instid0(SALU_CYCLE_1)
	s_and_not1_b32 s10, s88, exec_lo
	s_and_b32 s13, s17, exec_lo
	s_and_not1_b32 s14, s85, exec_lo
	s_or_b32 s88, s10, s13
	s_and_not1_b32 s10, s87, exec_lo
	s_and_b32 s13, s25, exec_lo
	s_and_b32 s15, s26, exec_lo
	s_or_b32 s87, s10, s13
	s_or_b32 s85, s14, s15
	s_and_not1_b32 s10, s86, exec_lo
	s_and_b32 s13, s24, exec_lo
	s_and_not1_b32 s14, s84, exec_lo
	s_and_b32 s15, s23, exec_lo
	s_mov_b32 s12, -1
	s_or_b32 s86, s10, s13
	s_or_b32 s84, s14, s15
                                        ; implicit-def: $vgpr19_vgpr20
                                        ; implicit-def: $vgpr21_vgpr22
                                        ; implicit-def: $vgpr40
                                        ; implicit-def: $vgpr5_vgpr6
	s_and_saveexec_b32 s10, s11
	s_delay_alu instid0(SALU_CYCLE_1)
	s_xor_b32 s10, exec_lo, s10
	s_cbranch_execz .LBB75_5
; %bb.404:                              ;   in Loop: Header=BB75_6 Depth=1
	s_mov_b32 s11, -1
	s_mov_b32 s13, exec_lo
	v_cmpx_eq_u32_e32 0, v1
	s_cbranch_execz .LBB75_4
; %bb.405:                              ;   in Loop: Header=BB75_6 Depth=1
	s_xor_b32 s78, s78, 1
	s_add_i32 s14, s83, -2
	s_cmp_eq_u32 s83, 0
	s_mov_b32 s83, s14
	s_cselect_b32 s11, -1, 0
	s_xor_b32 s12, exec_lo, -1
	s_or_not1_b32 s11, s11, exec_lo
	s_branch .LBB75_4
.LBB75_406:
	s_or_b32 exec_lo, exec_lo, s55
	s_xor_b32 s7, s82, -1
	s_xor_b32 s12, s80, -1
	;; [unrolled: 1-line block ×5, first 2 shown]
	s_mov_b32 s9, 0
	s_and_saveexec_b32 s10, s8
	s_delay_alu instid0(SALU_CYCLE_1)
	s_xor_b32 s8, exec_lo, s10
	s_cbranch_execz .LBB75_467
; %bb.407:
	s_mov_b32 s10, 0
	s_and_saveexec_b32 s9, s11
	s_delay_alu instid0(SALU_CYCLE_1)
	s_xor_b32 s9, exec_lo, s9
	s_cbranch_execz .LBB75_465
; %bb.408:
	;; [unrolled: 6-line block ×4, first 2 shown]
	s_and_saveexec_b32 s7, s6
	s_delay_alu instid0(SALU_CYCLE_1)
	s_xor_b32 s6, exec_lo, s7
; %bb.411:
	v_lshrrev_b32_e32 v1, 31, v24
	s_delay_alu instid0(VALU_DEP_1) | instskip(NEXT) | instid1(VALU_DEP_1)
	v_add_co_u32 v1, s7, v1, -1
	v_add_co_ci_u32_e64 v2, null, 0, -1, s7
	s_delay_alu instid0(VALU_DEP_2) | instskip(NEXT) | instid1(VALU_DEP_2)
	v_xor_b32_e32 v9, v1, v23
	v_or_b32_e32 v2, 0x80000000, v2
	s_delay_alu instid0(VALU_DEP_1)
	v_xor_b32_e32 v10, v2, v24
; %bb.412:
	s_or_b32 exec_lo, exec_lo, s6
	s_and_saveexec_b32 s6, s5
	s_cbranch_execz .LBB75_414
; %bb.413:
	v_mov_b32_e32 v1, 0
	ds_store_b32 v1, v1 offset:4108
.LBB75_414:
	s_or_b32 exec_lo, exec_lo, s6
	v_mov_b32_e32 v5, 0
	v_mov_b32_e32 v6, 0
	s_waitcnt lgkmcnt(0)
	s_barrier
	buffer_gl0_inv
	s_and_saveexec_b32 s5, s4
	s_cbranch_execz .LBB75_416
; %bb.415:
	global_load_b64 v[5:6], v[11:12], off
.LBB75_416:
	s_or_b32 exec_lo, exec_lo, s5
	v_cmp_o_f64_e32 vcc_lo, v[9:10], v[9:10]
	s_mul_i32 s7, s60, s50
	s_add_i32 s5, s36, 31
	s_mul_i32 s6, s58, s51
	s_sub_i32 s7, s58, s7
	s_add_i32 s12, s60, 1
	s_and_not1_b32 s5, s5, 31
	s_sub_i32 s6, s56, s6
	s_sub_i32 s14, s7, s50
	s_cmp_ge_u32 s7, s50
	s_mul_i32 s15, s59, s48
	s_cselect_b32 s12, s12, s60
	s_cselect_b32 s7, s14, s7
	s_add_i32 s14, s12, 1
	s_cmp_ge_u32 s7, s50
	s_mul_i32 s6, s6, s46
	s_cselect_b32 s7, s14, s12
	v_ashrrev_i32_e32 v1, 31, v10
	s_mul_i32 s12, s7, s50
	s_mul_i32 s13, s57, s49
	s_sub_i32 s12, s58, s12
	s_sub_i32 s14, s57, s15
	s_mul_i32 s12, s12, s45
	s_mul_i32 s7, s7, s44
	s_add_i32 s6, s12, s6
	s_sub_i32 s13, s56, s13
	s_add_i32 s15, s59, 1
	s_sub_i32 s12, s14, s48
	s_add_i32 s6, s6, s7
	s_cmp_ge_u32 s14, s48
	v_or_b32_e32 v2, 0x80000000, v1
	s_cselect_b32 s7, s15, s59
	s_cselect_b32 s12, s12, s14
	s_add_i32 s14, s7, 1
	s_cmp_ge_u32 s12, s48
	s_clause 0x1
	s_load_b32 s12, s[0:1], 0x1c8
	s_load_b32 s1, s[0:1], 0x2a8
	v_xor_b32_e32 v2, v2, v10
	s_cselect_b32 s0, s14, s7
	v_xor_b32_e32 v1, v1, v9
	s_mul_i32 s7, s0, s48
	s_mul_i32 s13, s13, s42
	s_sub_i32 s7, s57, s7
	s_delay_alu instid0(VALU_DEP_1)
	v_dual_cndmask_b32 v3, -1, v2 :: v_dual_cndmask_b32 v2, -1, v1
	v_add_nc_u32_e32 v1, s47, v0
	s_mul_i32 s7, s7, s41
	s_mul_i32 s0, s0, s40
	s_add_i32 s13, s7, s13
	s_mov_b32 s7, 0
	v_mul_lo_u32 v4, s52, v1
	s_lshl_b64 s[14:15], s[6:7], 3
	s_add_i32 s16, s13, s0
	s_mov_b32 s17, s7
	s_add_u32 s6, s34, s14
	s_addc_u32 s13, s35, s15
	s_lshl_b64 s[14:15], s[16:17], 3
	s_mov_b32 s18, -1
	s_add_u32 s14, s30, s14
	s_addc_u32 s15, s31, s15
	s_mov_b32 s16, 0
	s_mov_b32 s17, exec_lo
	v_cmpx_gt_u32_e64 s5, v0
	s_cbranch_execz .LBB75_434
; %bb.417:
	v_mul_lo_u32 v7, s52, v1
	v_dual_mov_b32 v8, 0 :: v_dual_mov_b32 v13, v0
                                        ; implicit-def: $sgpr18
                                        ; implicit-def: $vgpr15
	s_branch .LBB75_419
.LBB75_418:                             ;   in Loop: Header=BB75_419 Depth=1
	s_or_b32 exec_lo, exec_lo, s19
	s_xor_b32 s19, s21, -1
	s_and_b32 s0, exec_lo, s0
	s_waitcnt vmcnt(0)
	v_dual_mov_b32 v5, v9 :: v_dual_mov_b32 v6, v10
	s_or_b32 s16, s0, s16
	v_mov_b32_e32 v13, v1
	s_and_not1_b32 s0, s18, exec_lo
	s_and_b32 s18, s19, exec_lo
	s_delay_alu instid0(SALU_CYCLE_1)
	s_or_b32 s18, s0, s18
	s_and_not1_b32 exec_lo, exec_lo, s16
	s_cbranch_execz .LBB75_433
.LBB75_419:                             ; =>This Inner Loop Header: Depth=1
	v_mov_b32_e32 v9, 0
	s_delay_alu instid0(VALU_DEP_2) | instskip(SKIP_1) | instid1(VALU_DEP_1)
	v_dual_mov_b32 v10, 0 :: v_dual_add_nc_u32 v1, s47, v13
	s_mov_b32 s0, exec_lo
	v_cmpx_gt_u32_e64 s36, v1
	s_cbranch_execz .LBB75_421
; %bb.420:                              ;   in Loop: Header=BB75_419 Depth=1
	v_lshlrev_b64 v[9:10], 3, v[7:8]
	s_delay_alu instid0(VALU_DEP_1) | instskip(NEXT) | instid1(VALU_DEP_2)
	v_add_co_u32 v9, vcc_lo, s33, v9
	v_add_co_ci_u32_e32 v10, vcc_lo, s43, v10, vcc_lo
	global_load_b64 v[9:10], v[9:10], off
.LBB75_421:                             ;   in Loop: Header=BB75_419 Depth=1
	s_or_b32 exec_lo, exec_lo, s0
	s_mov_b32 s19, 0
	s_mov_b32 s0, exec_lo
	v_cmpx_gt_u32_e64 s36, v13
	s_cbranch_execz .LBB75_423
; %bb.422:                              ;   in Loop: Header=BB75_419 Depth=1
	s_waitcnt vmcnt(0)
	v_cmp_o_f64_e32 vcc_lo, v[5:6], v[5:6]
	v_ashrrev_i32_e32 v14, 31, v6
	s_delay_alu instid0(VALU_DEP_1) | instskip(SKIP_1) | instid1(VALU_DEP_2)
	v_or_b32_e32 v16, 0x80000000, v14
	v_xor_b32_e32 v14, v14, v5
	v_xor_b32_e32 v16, v16, v6
	s_delay_alu instid0(VALU_DEP_1) | instskip(NEXT) | instid1(VALU_DEP_1)
	v_dual_cndmask_b32 v17, -1, v16 :: v_dual_cndmask_b32 v16, -1, v14
	v_cmp_gt_u64_e32 vcc_lo, v[16:17], v[2:3]
	v_cndmask_b32_e64 v14, 0, 1, vcc_lo
	v_cmp_lt_u64_e32 vcc_lo, v[16:17], v[2:3]
	v_cndmask_b32_e64 v16, 0, 1, vcc_lo
	s_delay_alu instid0(VALU_DEP_1) | instskip(NEXT) | instid1(VALU_DEP_1)
	v_cndmask_b32_e64 v14, v16, v14, s3
	v_and_b32_e32 v14, 1, v14
	s_delay_alu instid0(VALU_DEP_1)
	v_cmp_eq_u32_e32 vcc_lo, 1, v14
	s_and_b32 s19, vcc_lo, exec_lo
.LBB75_423:                             ;   in Loop: Header=BB75_419 Depth=1
	s_or_b32 exec_lo, exec_lo, s0
	v_cndmask_b32_e64 v14, 0, 1, s19
	s_delay_alu instid0(VALU_DEP_1) | instskip(SKIP_2) | instid1(SALU_CYCLE_1)
	v_cmp_ne_u32_e32 vcc_lo, 0, v14
	s_cmp_lg_u32 vcc_lo, 0
	s_cselect_b32 s0, -1, 0
	s_and_b32 s0, s2, s0
	s_delay_alu instid0(SALU_CYCLE_1)
	s_and_saveexec_b32 s20, s0
	s_cbranch_execz .LBB75_427
; %bb.424:                              ;   in Loop: Header=BB75_419 Depth=1
	s_mov_b32 s23, exec_lo
	s_bcnt1_i32_b32 s21, vcc_lo
	v_mbcnt_lo_u32_b32 v14, s23, 0
	s_mov_b32 s22, exec_lo
                                        ; implicit-def: $vgpr15
	s_delay_alu instid0(VALU_DEP_1)
	v_cmpx_eq_u32_e32 0, v14
	s_cbranch_execz .LBB75_426
; %bb.425:                              ;   in Loop: Header=BB75_419 Depth=1
	s_bcnt1_i32_b32 s0, s23
	s_delay_alu instid0(SALU_CYCLE_1)
	s_mul_i32 s0, s21, s0
	s_waitcnt lgkmcnt(0)
	v_mov_b32_e32 v15, s0
	ds_add_rtn_u32 v15, v8, v15 offset:4108
.LBB75_426:                             ;   in Loop: Header=BB75_419 Depth=1
	s_or_b32 exec_lo, exec_lo, s22
	s_waitcnt lgkmcnt(0)
	v_readfirstlane_b32 s0, v15
	s_delay_alu instid0(VALU_DEP_1)
	v_mad_u32_u24 v15, s21, v14, s0
.LBB75_427:                             ;   in Loop: Header=BB75_419 Depth=1
	s_or_b32 exec_lo, exec_lo, s20
	s_waitcnt lgkmcnt(0)
	ds_bpermute_b32 v15, v8, v15
	s_mov_b32 s0, -1
	s_mov_b32 s22, -1
                                        ; implicit-def: $sgpr21
	s_and_saveexec_b32 s20, s19
	s_cbranch_execz .LBB75_431
; %bb.428:                              ;   in Loop: Header=BB75_419 Depth=1
	v_and_b32_e32 v14, vcc_lo, v27
	s_mov_b32 s19, 0
	s_mov_b32 s21, exec_lo
	s_waitcnt lgkmcnt(0)
	s_delay_alu instid0(VALU_DEP_1) | instskip(NEXT) | instid1(VALU_DEP_1)
	v_bcnt_u32_b32 v14, v14, v15
	v_cmpx_gt_u32_e64 s37, v14
	s_cbranch_execz .LBB75_430
; %bb.429:                              ;   in Loop: Header=BB75_419 Depth=1
	v_mul_lo_u32 v16, v14, s12
	v_mov_b32_e32 v17, v8
	v_mul_lo_u32 v18, v14, s1
	v_mov_b32_e32 v19, v8
	v_mov_b32_e32 v14, v8
	s_mov_b32 s19, exec_lo
	v_lshlrev_b64 v[16:17], 3, v[16:17]
	s_delay_alu instid0(VALU_DEP_3) | instskip(NEXT) | instid1(VALU_DEP_2)
	v_lshlrev_b64 v[18:19], 3, v[18:19]
	v_add_co_u32 v16, vcc_lo, s6, v16
	s_delay_alu instid0(VALU_DEP_3) | instskip(NEXT) | instid1(VALU_DEP_3)
	v_add_co_ci_u32_e32 v17, vcc_lo, s13, v17, vcc_lo
	v_add_co_u32 v18, vcc_lo, s14, v18
	s_delay_alu instid0(VALU_DEP_4)
	v_add_co_ci_u32_e32 v19, vcc_lo, s15, v19, vcc_lo
	s_waitcnt vmcnt(0)
	global_store_b64 v[16:17], v[5:6], off
	global_store_b64 v[18:19], v[13:14], off
.LBB75_430:                             ;   in Loop: Header=BB75_419 Depth=1
	s_or_b32 exec_lo, exec_lo, s21
	s_mov_b32 s21, -1
	s_or_not1_b32 s22, s19, exec_lo
.LBB75_431:                             ;   in Loop: Header=BB75_419 Depth=1
	s_or_b32 exec_lo, exec_lo, s20
	s_and_saveexec_b32 s19, s22
	s_cbranch_execz .LBB75_418
; %bb.432:                              ;   in Loop: Header=BB75_419 Depth=1
	v_cmp_le_u32_e32 vcc_lo, s5, v1
	v_add_nc_u32_e32 v7, s53, v7
	s_and_not1_b32 s21, s21, exec_lo
	s_or_not1_b32 s0, vcc_lo, exec_lo
	s_branch .LBB75_418
.LBB75_433:
	s_or_b32 exec_lo, exec_lo, s16
	s_delay_alu instid0(SALU_CYCLE_1)
	s_mov_b32 s16, exec_lo
	s_or_not1_b32 s18, s18, exec_lo
.LBB75_434:
	s_or_b32 exec_lo, exec_lo, s17
	s_and_saveexec_b32 s3, s18
	s_cbranch_execz .LBB75_459
; %bb.435:
	s_waitcnt vmcnt(0)
	v_mov_b32_e32 v6, 0
	v_mov_b32_e32 v7, 0
	s_waitcnt lgkmcnt(0)
	s_waitcnt_vscnt null, 0x0
	s_barrier
	buffer_gl0_inv
	s_and_saveexec_b32 s0, s4
	s_cbranch_execz .LBB75_437
; %bb.436:
	global_load_b64 v[6:7], v[11:12], off
.LBB75_437:
	s_or_b32 exec_lo, exec_lo, s0
	v_mov_b32_e32 v5, 0
	s_mov_b32 s7, 0
                                        ; implicit-def: $sgpr4
                                        ; implicit-def: $sgpr17
                                        ; implicit-def: $sgpr18
                                        ; implicit-def: $vgpr12
	s_branch .LBB75_440
.LBB75_438:                             ;   in Loop: Header=BB75_440 Depth=1
	s_or_b32 exec_lo, exec_lo, s21
	v_mov_b32_e32 v6, v10
	v_dual_mov_b32 v0, v13 :: v_dual_mov_b32 v7, v11
	s_and_not1_b32 s18, s18, exec_lo
	s_and_b32 s20, s23, exec_lo
	s_and_not1_b32 s17, s17, exec_lo
	s_and_b32 s0, s0, exec_lo
	s_or_b32 s18, s18, s20
	s_or_b32 s17, s17, s0
.LBB75_439:                             ;   in Loop: Header=BB75_440 Depth=1
	s_or_b32 exec_lo, exec_lo, s19
	s_xor_b32 s0, s18, -1
	s_and_b32 s19, exec_lo, s17
	s_delay_alu instid0(SALU_CYCLE_1) | instskip(SKIP_2) | instid1(SALU_CYCLE_1)
	s_or_b32 s7, s19, s7
	s_and_not1_b32 s4, s4, exec_lo
	s_and_b32 s0, s0, exec_lo
	s_or_b32 s4, s4, s0
	s_and_not1_b32 exec_lo, exec_lo, s7
	s_cbranch_execz .LBB75_457
.LBB75_440:                             ; =>This Inner Loop Header: Depth=1
	s_or_b32 s18, s18, exec_lo
	s_or_b32 s17, s17, exec_lo
	s_mov_b32 s19, exec_lo
	v_cmpx_gt_u32_e64 s5, v0
	s_cbranch_execz .LBB75_439
; %bb.441:                              ;   in Loop: Header=BB75_440 Depth=1
	v_dual_mov_b32 v8, 0 :: v_dual_add_nc_u32 v13, s47, v0
	v_mov_b32_e32 v9, 0
	s_mov_b32 s0, exec_lo
	s_delay_alu instid0(VALU_DEP_2)
	v_cmpx_gt_u32_e64 s36, v13
	s_cbranch_execz .LBB75_443
; %bb.442:                              ;   in Loop: Header=BB75_440 Depth=1
	v_lshlrev_b64 v[8:9], 3, v[4:5]
	s_delay_alu instid0(VALU_DEP_1) | instskip(NEXT) | instid1(VALU_DEP_2)
	v_add_co_u32 v8, vcc_lo, s33, v8
	v_add_co_ci_u32_e32 v9, vcc_lo, s43, v9, vcc_lo
	global_load_b64 v[8:9], v[8:9], off
.LBB75_443:                             ;   in Loop: Header=BB75_440 Depth=1
	s_or_b32 exec_lo, exec_lo, s0
	s_mov_b32 s21, 0
	s_mov_b32 s0, exec_lo
	v_cmpx_gt_u32_e64 s36, v0
	s_cbranch_execz .LBB75_445
; %bb.444:                              ;   in Loop: Header=BB75_440 Depth=1
	s_waitcnt vmcnt(0)
	v_cmp_o_f64_e32 vcc_lo, v[6:7], v[6:7]
	v_ashrrev_i32_e32 v1, 31, v7
	s_delay_alu instid0(VALU_DEP_1) | instskip(SKIP_1) | instid1(VALU_DEP_2)
	v_or_b32_e32 v10, 0x80000000, v1
	v_xor_b32_e32 v1, v1, v6
	v_xor_b32_e32 v10, v10, v7
	s_delay_alu instid0(VALU_DEP_1) | instskip(NEXT) | instid1(VALU_DEP_1)
	v_dual_cndmask_b32 v11, -1, v10 :: v_dual_cndmask_b32 v10, -1, v1
	v_cmp_eq_u64_e32 vcc_lo, v[10:11], v[2:3]
	s_and_b32 s21, vcc_lo, exec_lo
.LBB75_445:                             ;   in Loop: Header=BB75_440 Depth=1
	s_or_b32 exec_lo, exec_lo, s0
	v_cndmask_b32_e64 v1, 0, 1, s21
	s_delay_alu instid0(VALU_DEP_1) | instskip(SKIP_2) | instid1(SALU_CYCLE_1)
	v_cmp_ne_u32_e32 vcc_lo, 0, v1
	s_cmp_lg_u32 vcc_lo, 0
	s_cselect_b32 s0, -1, 0
	s_and_b32 s0, s2, s0
	s_delay_alu instid0(SALU_CYCLE_1)
	s_and_saveexec_b32 s20, s0
	s_cbranch_execz .LBB75_449
; %bb.446:                              ;   in Loop: Header=BB75_440 Depth=1
	s_mov_b32 s24, exec_lo
	s_bcnt1_i32_b32 s22, vcc_lo
	v_mbcnt_lo_u32_b32 v1, s24, 0
	s_mov_b32 s23, exec_lo
                                        ; implicit-def: $vgpr10
	s_delay_alu instid0(VALU_DEP_1)
	v_cmpx_eq_u32_e32 0, v1
	s_cbranch_execz .LBB75_448
; %bb.447:                              ;   in Loop: Header=BB75_440 Depth=1
	s_bcnt1_i32_b32 s0, s24
	s_delay_alu instid0(SALU_CYCLE_1) | instskip(NEXT) | instid1(SALU_CYCLE_1)
	s_mul_i32 s0, s22, s0
	v_mov_b32_e32 v10, s0
	ds_add_rtn_u32 v10, v5, v10 offset:4108
.LBB75_448:                             ;   in Loop: Header=BB75_440 Depth=1
	s_or_b32 exec_lo, exec_lo, s23
	s_waitcnt lgkmcnt(0)
	v_readfirstlane_b32 s0, v10
	s_delay_alu instid0(VALU_DEP_1)
	v_mad_u32_u24 v12, s22, v1, s0
.LBB75_449:                             ;   in Loop: Header=BB75_440 Depth=1
	s_or_b32 exec_lo, exec_lo, s20
	ds_bpermute_b32 v12, v5, v12
	s_cmp_eq_u32 vcc_lo, 0
	s_mov_b32 s22, -1
	s_cselect_b32 s20, -1, 0
	s_mov_b32 s23, -1
	s_waitcnt lgkmcnt(0)
	v_cmp_gt_u32_e64 s0, s37, v12
	s_delay_alu instid0(VALU_DEP_1)
	s_or_b32 s20, s20, s0
	s_mov_b32 s0, -1
	s_waitcnt vmcnt(0)
	v_cndmask_b32_e64 v11, v7, v9, s20
	v_cndmask_b32_e64 v10, v6, v8, s20
	s_and_b32 s24, s21, s20
	s_delay_alu instid0(SALU_CYCLE_1)
	s_and_saveexec_b32 s21, s24
	s_cbranch_execz .LBB75_455
; %bb.450:                              ;   in Loop: Header=BB75_440 Depth=1
	v_and_b32_e32 v1, vcc_lo, v27
	v_sub_nc_u32_e32 v10, s37, v12
	s_mov_b32 s24, -1
	s_mov_b32 s23, exec_lo
	s_delay_alu instid0(VALU_DEP_2) | instskip(NEXT) | instid1(VALU_DEP_1)
	v_bcnt_u32_b32 v1, v1, 0
	v_cmp_le_u32_e64 s22, v10, v1
	v_cmpx_gt_u32_e64 v10, v1
	s_cbranch_execz .LBB75_454
; %bb.451:                              ;   in Loop: Header=BB75_440 Depth=1
	v_add_nc_u32_e32 v1, v12, v1
	s_delay_alu instid0(VALU_DEP_3) | instskip(SKIP_1) | instid1(VALU_DEP_1)
	s_mov_b32 s25, s22
	s_mov_b32 s24, exec_lo
	v_cmpx_gt_u32_e64 s37, v1
	s_cbranch_execz .LBB75_453
; %bb.452:                              ;   in Loop: Header=BB75_440 Depth=1
	v_mul_lo_u32 v10, v1, s12
	v_mov_b32_e32 v11, v5
	v_mul_lo_u32 v14, v1, s1
	v_mov_b32_e32 v15, v5
	v_mov_b32_e32 v1, v5
	s_or_b32 s25, s22, exec_lo
	v_lshlrev_b64 v[10:11], 3, v[10:11]
	s_delay_alu instid0(VALU_DEP_3) | instskip(NEXT) | instid1(VALU_DEP_2)
	v_lshlrev_b64 v[14:15], 3, v[14:15]
	v_add_co_u32 v10, vcc_lo, s6, v10
	s_delay_alu instid0(VALU_DEP_3) | instskip(NEXT) | instid1(VALU_DEP_3)
	v_add_co_ci_u32_e32 v11, vcc_lo, s13, v11, vcc_lo
	v_add_co_u32 v14, vcc_lo, s14, v14
	s_delay_alu instid0(VALU_DEP_4)
	v_add_co_ci_u32_e32 v15, vcc_lo, s15, v15, vcc_lo
	global_store_b64 v[10:11], v[6:7], off
	global_store_b64 v[14:15], v[0:1], off
.LBB75_453:                             ;   in Loop: Header=BB75_440 Depth=1
	s_or_b32 exec_lo, exec_lo, s24
	s_delay_alu instid0(SALU_CYCLE_1)
	s_and_not1_b32 s22, s22, exec_lo
	s_and_b32 s25, s25, exec_lo
	s_xor_b32 s24, exec_lo, -1
	s_or_b32 s22, s22, s25
.LBB75_454:                             ;   in Loop: Header=BB75_440 Depth=1
	s_or_b32 exec_lo, exec_lo, s23
	v_dual_mov_b32 v11, v9 :: v_dual_mov_b32 v10, v8
	s_or_not1_b32 s23, s24, exec_lo
	s_or_b32 s20, s20, exec_lo
	s_or_not1_b32 s22, s22, exec_lo
.LBB75_455:                             ;   in Loop: Header=BB75_440 Depth=1
	s_or_b32 exec_lo, exec_lo, s21
	s_and_saveexec_b32 s21, s22
	s_cbranch_execz .LBB75_438
; %bb.456:                              ;   in Loop: Header=BB75_440 Depth=1
	v_add_nc_u32_e32 v4, s53, v4
	s_xor_b32 s0, s20, -1
	s_or_b32 s23, s23, exec_lo
	s_or_not1_b32 s0, s0, exec_lo
	s_branch .LBB75_438
.LBB75_457:
	s_or_b32 exec_lo, exec_lo, s7
	s_mov_b32 s0, 0
	s_and_saveexec_b32 s1, s4
	s_delay_alu instid0(SALU_CYCLE_1)
	s_xor_b32 s1, exec_lo, s1
	s_cbranch_execnz .LBB75_489
.LBB75_458:
	s_or_b32 exec_lo, exec_lo, s1
	s_delay_alu instid0(SALU_CYCLE_1)
	s_and_b32 s7, s0, exec_lo
	s_and_not1_b32 s16, s16, exec_lo
.LBB75_459:
	s_or_b32 exec_lo, exec_lo, s3
	s_and_saveexec_b32 s0, s16
	s_delay_alu instid0(SALU_CYCLE_1)
	s_xor_b32 s0, exec_lo, s0
	s_cbranch_execnz .LBB75_485
.LBB75_460:
	s_or_b32 exec_lo, exec_lo, s0
	s_waitcnt lgkmcnt(0)
	s_and_b32 s12, s7, exec_lo
.LBB75_461:
	s_and_not1_saveexec_b32 s0, s11
	s_cbranch_execnz .LBB75_481
.LBB75_462:
	s_or_b32 exec_lo, exec_lo, s0
	s_delay_alu instid0(SALU_CYCLE_1)
	s_and_b32 s11, s12, exec_lo
.LBB75_463:
	s_and_not1_saveexec_b32 s0, s10
	s_cbranch_execnz .LBB75_477
.LBB75_464:
	s_or_b32 exec_lo, exec_lo, s0
	s_delay_alu instid0(SALU_CYCLE_1)
	s_and_b32 s10, s11, exec_lo
.LBB75_465:
	s_and_not1_saveexec_b32 s0, s9
	s_cbranch_execnz .LBB75_473
.LBB75_466:
	s_or_b32 exec_lo, exec_lo, s0
	s_delay_alu instid0(SALU_CYCLE_1)
	s_and_b32 s9, s10, exec_lo
.LBB75_467:
	s_and_not1_saveexec_b32 s0, s8
	s_cbranch_execnz .LBB75_471
; %bb.468:
	s_or_b32 exec_lo, exec_lo, s0
	s_and_saveexec_b32 s0, s9
.LBB75_469:
	; divergent unreachable
.LBB75_470:
	s_nop 0
	s_sendmsg sendmsg(MSG_DEALLOC_VGPRS)
	s_endpgm
.LBB75_471:
	s_cbranch_execnz .LBB75_475
; %bb.472:
	s_or_b32 s9, s9, exec_lo
	s_or_b32 exec_lo, exec_lo, s0
	s_and_saveexec_b32 s0, s9
	s_cbranch_execnz .LBB75_469
	s_branch .LBB75_470
.LBB75_473:
	s_cbranch_execnz .LBB75_479
; %bb.474:
	s_or_b32 s10, s10, exec_lo
	s_branch .LBB75_466
.LBB75_475:
	s_trap 2
	s_sendmsg_rtn_b32 s0, sendmsg(MSG_RTN_GET_DOORBELL)
	s_mov_b32 ttmp2, m0
	s_waitcnt lgkmcnt(0)
	s_and_b32 s0, s0, 0x3ff
	s_delay_alu instid0(SALU_CYCLE_1) | instskip(NEXT) | instid1(SALU_CYCLE_1)
	s_bitset1_b32 s0, 10
	s_mov_b32 m0, s0
	s_sendmsg sendmsg(MSG_INTERRUPT)
	s_mov_b32 m0, ttmp2
.LBB75_476:                             ; =>This Inner Loop Header: Depth=1
	s_sethalt 5
	s_branch .LBB75_476
.LBB75_477:
	s_cbranch_execnz .LBB75_483
; %bb.478:
	s_or_b32 s11, s11, exec_lo
	s_branch .LBB75_464
.LBB75_479:
	s_trap 2
	s_sendmsg_rtn_b32 s0, sendmsg(MSG_RTN_GET_DOORBELL)
	s_mov_b32 ttmp2, m0
	s_waitcnt lgkmcnt(0)
	s_and_b32 s0, s0, 0x3ff
	s_delay_alu instid0(SALU_CYCLE_1) | instskip(NEXT) | instid1(SALU_CYCLE_1)
	s_bitset1_b32 s0, 10
	s_mov_b32 m0, s0
	s_sendmsg sendmsg(MSG_INTERRUPT)
	s_mov_b32 m0, ttmp2
.LBB75_480:                             ; =>This Inner Loop Header: Depth=1
	s_sethalt 5
	s_branch .LBB75_480
.LBB75_481:
	s_cbranch_execnz .LBB75_487
; %bb.482:
	s_or_b32 s12, s12, exec_lo
	s_branch .LBB75_462
.LBB75_483:
	s_trap 2
	s_sendmsg_rtn_b32 s0, sendmsg(MSG_RTN_GET_DOORBELL)
	s_mov_b32 ttmp2, m0
	s_waitcnt lgkmcnt(0)
	s_and_b32 s0, s0, 0x3ff
	s_delay_alu instid0(SALU_CYCLE_1) | instskip(NEXT) | instid1(SALU_CYCLE_1)
	s_bitset1_b32 s0, 10
	s_mov_b32 m0, s0
	s_sendmsg sendmsg(MSG_INTERRUPT)
	s_mov_b32 m0, ttmp2
.LBB75_484:                             ; =>This Inner Loop Header: Depth=1
	s_sethalt 5
	s_branch .LBB75_484
.LBB75_485:
	s_cbranch_execnz .LBB75_491
; %bb.486:
	s_or_b32 s7, s7, exec_lo
	s_branch .LBB75_460
.LBB75_487:
	s_trap 2
	s_sendmsg_rtn_b32 s0, sendmsg(MSG_RTN_GET_DOORBELL)
	s_mov_b32 ttmp2, m0
	s_waitcnt lgkmcnt(0)
	s_and_b32 s0, s0, 0x3ff
	s_delay_alu instid0(SALU_CYCLE_1) | instskip(NEXT) | instid1(SALU_CYCLE_1)
	s_bitset1_b32 s0, 10
	s_mov_b32 m0, s0
	s_sendmsg sendmsg(MSG_INTERRUPT)
	s_mov_b32 m0, ttmp2
.LBB75_488:                             ; =>This Inner Loop Header: Depth=1
	s_sethalt 5
	s_branch .LBB75_488
.LBB75_489:
	s_cbranch_execnz .LBB75_493
; %bb.490:
	s_mov_b32 s0, exec_lo
	s_branch .LBB75_458
.LBB75_491:
	s_trap 2
	s_sendmsg_rtn_b32 s0, sendmsg(MSG_RTN_GET_DOORBELL)
	s_mov_b32 ttmp2, m0
	s_waitcnt lgkmcnt(0)
	s_and_b32 s0, s0, 0x3ff
	s_delay_alu instid0(SALU_CYCLE_1) | instskip(NEXT) | instid1(SALU_CYCLE_1)
	s_bitset1_b32 s0, 10
	s_mov_b32 m0, s0
	s_sendmsg sendmsg(MSG_INTERRUPT)
	s_mov_b32 m0, ttmp2
.LBB75_492:                             ; =>This Inner Loop Header: Depth=1
	s_sethalt 5
	s_branch .LBB75_492
.LBB75_493:
	s_trap 2
	s_sendmsg_rtn_b32 s0, sendmsg(MSG_RTN_GET_DOORBELL)
	s_mov_b32 ttmp2, m0
	s_waitcnt lgkmcnt(0)
	s_and_b32 s0, s0, 0x3ff
	s_delay_alu instid0(SALU_CYCLE_1) | instskip(NEXT) | instid1(SALU_CYCLE_1)
	s_bitset1_b32 s0, 10
	s_mov_b32 m0, s0
	s_sendmsg sendmsg(MSG_INTERRUPT)
	s_mov_b32 m0, ttmp2
.LBB75_494:                             ; =>This Inner Loop Header: Depth=1
	s_sethalt 5
	s_branch .LBB75_494
	.section	.rodata,"a",@progbits
	.p2align	6, 0x0
	.amdhsa_kernel _ZN2at6native6sbtopk10gatherTopKIdjLi3ELb0EEEvNS_4cuda6detail10TensorInfoIKT_T0_EES8_S8_bS8_S8_NS5_IS6_S8_EES8_NS5_IlS8_EES8_PS6_
		.amdhsa_group_segment_fixed_size 4112
		.amdhsa_private_segment_fixed_size 0
		.amdhsa_kernarg_size 952
		.amdhsa_user_sgpr_count 13
		.amdhsa_user_sgpr_dispatch_ptr 0
		.amdhsa_user_sgpr_queue_ptr 0
		.amdhsa_user_sgpr_kernarg_segment_ptr 1
		.amdhsa_user_sgpr_dispatch_id 0
		.amdhsa_user_sgpr_private_segment_size 0
		.amdhsa_wavefront_size32 1
		.amdhsa_uses_dynamic_stack 0
		.amdhsa_enable_private_segment 0
		.amdhsa_system_sgpr_workgroup_id_x 1
		.amdhsa_system_sgpr_workgroup_id_y 1
		.amdhsa_system_sgpr_workgroup_id_z 1
		.amdhsa_system_sgpr_workgroup_info 0
		.amdhsa_system_vgpr_workitem_id 0
		.amdhsa_next_free_vgpr 55
		.amdhsa_next_free_sgpr 103
		.amdhsa_reserve_vcc 1
		.amdhsa_float_round_mode_32 0
		.amdhsa_float_round_mode_16_64 0
		.amdhsa_float_denorm_mode_32 3
		.amdhsa_float_denorm_mode_16_64 3
		.amdhsa_dx10_clamp 1
		.amdhsa_ieee_mode 1
		.amdhsa_fp16_overflow 0
		.amdhsa_workgroup_processor_mode 1
		.amdhsa_memory_ordered 1
		.amdhsa_forward_progress 0
		.amdhsa_shared_vgpr_count 0
		.amdhsa_exception_fp_ieee_invalid_op 0
		.amdhsa_exception_fp_denorm_src 0
		.amdhsa_exception_fp_ieee_div_zero 0
		.amdhsa_exception_fp_ieee_overflow 0
		.amdhsa_exception_fp_ieee_underflow 0
		.amdhsa_exception_fp_ieee_inexact 0
		.amdhsa_exception_int_div_zero 0
	.end_amdhsa_kernel
	.section	.text._ZN2at6native6sbtopk10gatherTopKIdjLi3ELb0EEEvNS_4cuda6detail10TensorInfoIKT_T0_EES8_S8_bS8_S8_NS5_IS6_S8_EES8_NS5_IlS8_EES8_PS6_,"axG",@progbits,_ZN2at6native6sbtopk10gatherTopKIdjLi3ELb0EEEvNS_4cuda6detail10TensorInfoIKT_T0_EES8_S8_bS8_S8_NS5_IS6_S8_EES8_NS5_IlS8_EES8_PS6_,comdat
.Lfunc_end75:
	.size	_ZN2at6native6sbtopk10gatherTopKIdjLi3ELb0EEEvNS_4cuda6detail10TensorInfoIKT_T0_EES8_S8_bS8_S8_NS5_IS6_S8_EES8_NS5_IlS8_EES8_PS6_, .Lfunc_end75-_ZN2at6native6sbtopk10gatherTopKIdjLi3ELb0EEEvNS_4cuda6detail10TensorInfoIKT_T0_EES8_S8_bS8_S8_NS5_IS6_S8_EES8_NS5_IlS8_EES8_PS6_
                                        ; -- End function
	.section	.AMDGPU.csdata,"",@progbits
; Kernel info:
; codeLenInByte = 17416
; NumSgprs: 105
; NumVgprs: 55
; ScratchSize: 0
; MemoryBound: 0
; FloatMode: 240
; IeeeMode: 1
; LDSByteSize: 4112 bytes/workgroup (compile time only)
; SGPRBlocks: 13
; VGPRBlocks: 6
; NumSGPRsForWavesPerEU: 105
; NumVGPRsForWavesPerEU: 55
; Occupancy: 16
; WaveLimiterHint : 1
; COMPUTE_PGM_RSRC2:SCRATCH_EN: 0
; COMPUTE_PGM_RSRC2:USER_SGPR: 13
; COMPUTE_PGM_RSRC2:TRAP_HANDLER: 0
; COMPUTE_PGM_RSRC2:TGID_X_EN: 1
; COMPUTE_PGM_RSRC2:TGID_Y_EN: 1
; COMPUTE_PGM_RSRC2:TGID_Z_EN: 1
; COMPUTE_PGM_RSRC2:TIDIG_COMP_CNT: 0
	.section	.text._ZN2at6native6mbtopk23computeBlockDigitCountsIdjmLin1EEEvNS_4cuda6detail10TensorInfoIKT_T0_EEjPjjS8_iijT1_PSB_Ps,"axG",@progbits,_ZN2at6native6mbtopk23computeBlockDigitCountsIdjmLin1EEEvNS_4cuda6detail10TensorInfoIKT_T0_EEjPjjS8_iijT1_PSB_Ps,comdat
	.protected	_ZN2at6native6mbtopk23computeBlockDigitCountsIdjmLin1EEEvNS_4cuda6detail10TensorInfoIKT_T0_EEjPjjS8_iijT1_PSB_Ps ; -- Begin function _ZN2at6native6mbtopk23computeBlockDigitCountsIdjmLin1EEEvNS_4cuda6detail10TensorInfoIKT_T0_EEjPjjS8_iijT1_PSB_Ps
	.globl	_ZN2at6native6mbtopk23computeBlockDigitCountsIdjmLin1EEEvNS_4cuda6detail10TensorInfoIKT_T0_EEjPjjS8_iijT1_PSB_Ps
	.p2align	8
	.type	_ZN2at6native6mbtopk23computeBlockDigitCountsIdjmLin1EEEvNS_4cuda6detail10TensorInfoIKT_T0_EEjPjjS8_iijT1_PSB_Ps,@function
_ZN2at6native6mbtopk23computeBlockDigitCountsIdjmLin1EEEvNS_4cuda6detail10TensorInfoIKT_T0_EEjPjjS8_iijT1_PSB_Ps: ; @_ZN2at6native6mbtopk23computeBlockDigitCountsIdjmLin1EEEvNS_4cuda6detail10TensorInfoIKT_T0_EEjPjjS8_iijT1_PSB_Ps
; %bb.0:
	s_clause 0x2
	s_load_b32 s17, s[0:1], 0xf8
	s_load_b128 s[4:7], s[0:1], 0xe8
	s_load_b64 s[2:3], s[0:1], 0x118
	s_waitcnt lgkmcnt(0)
	v_cvt_f32_u32_e32 v1, s17
	s_sub_i32 s9, 0, s17
	s_mul_i32 s3, s3, s15
	s_delay_alu instid0(SALU_CYCLE_1) | instskip(NEXT) | instid1(VALU_DEP_1)
	s_add_i32 s3, s3, s14
	v_rcp_iflag_f32_e32 v1, v1
	s_mul_i32 s16, s3, s2
	s_delay_alu instid0(SALU_CYCLE_1) | instskip(SKIP_3) | instid1(VALU_DEP_1)
	s_add_i32 s16, s16, s13
	s_mov_b32 s13, 0
	s_waitcnt_depctr 0xfff
	v_mul_f32_e32 v1, 0x4f7ffffe, v1
	v_cvt_u32_f32_e32 v1, v1
	s_delay_alu instid0(VALU_DEP_1) | instskip(NEXT) | instid1(VALU_DEP_1)
	v_readfirstlane_b32 s8, v1
	s_mul_i32 s9, s9, s8
	s_delay_alu instid0(SALU_CYCLE_1) | instskip(NEXT) | instid1(SALU_CYCLE_1)
	s_mul_hi_u32 s2, s8, s9
	s_add_i32 s8, s8, s2
	s_delay_alu instid0(SALU_CYCLE_1) | instskip(NEXT) | instid1(SALU_CYCLE_1)
	s_mul_hi_u32 s2, s16, s8
	s_mul_i32 s3, s2, s17
	s_add_i32 s8, s2, 1
	s_sub_i32 s3, s16, s3
	s_delay_alu instid0(SALU_CYCLE_1)
	s_sub_i32 s9, s3, s17
	s_cmp_ge_u32 s3, s17
	s_cselect_b32 s2, s8, s2
	s_cselect_b32 s3, s9, s3
	s_add_i32 s8, s2, 1
	s_cmp_ge_u32 s3, s17
	s_cselect_b32 s12, s8, s2
	s_delay_alu instid0(SALU_CYCLE_1)
	s_cmp_ge_u32 s12, s4
	s_cbranch_scc1 .LBB76_26
; %bb.1:
	s_clause 0x1
	s_load_b128 s[8:11], s[0:1], 0x100
	s_load_b32 s4, s[0:1], 0xd0
	s_lshl_b64 s[2:3], s[12:13], 3
	s_mov_b32 s18, s12
	s_waitcnt lgkmcnt(0)
	s_add_u32 s10, s10, s2
	s_addc_u32 s11, s11, s3
	s_load_b64 s[2:3], s[0:1], 0x110
	s_load_b64 s[10:11], s[10:11], 0x0
	s_cmp_lt_i32 s4, 2
	s_cbranch_scc1 .LBB76_4
; %bb.2:
	s_add_i32 s18, s4, -1
	s_mov_b32 s19, 0
	s_add_i32 s4, s4, 1
	s_lshl_b64 s[14:15], s[18:19], 2
	s_mov_b32 s18, s12
	s_add_u32 s13, s14, s0
	s_addc_u32 s15, s15, s1
	s_add_u32 s14, s13, 8
	s_addc_u32 s15, s15, 0
	s_mov_b32 s13, s19
	s_set_inst_prefetch_distance 0x1
	.p2align	6
.LBB76_3:                               ; =>This Inner Loop Header: Depth=1
	s_clause 0x1
	s_load_b32 s19, s[14:15], 0x0
	s_load_b32 s20, s[14:15], 0x64
	s_mov_b32 s23, s18
	s_waitcnt lgkmcnt(0)
	v_cvt_f32_u32_e32 v1, s19
	s_sub_i32 s22, 0, s19
	s_waitcnt_depctr 0xfff
	v_rcp_iflag_f32_e32 v1, v1
	s_waitcnt_depctr 0xfff
	v_mul_f32_e32 v1, 0x4f7ffffe, v1
	s_delay_alu instid0(VALU_DEP_1) | instskip(NEXT) | instid1(VALU_DEP_1)
	v_cvt_u32_f32_e32 v1, v1
	v_readfirstlane_b32 s21, v1
	s_delay_alu instid0(VALU_DEP_1) | instskip(NEXT) | instid1(SALU_CYCLE_1)
	s_mul_i32 s22, s22, s21
	s_mul_hi_u32 s22, s21, s22
	s_delay_alu instid0(SALU_CYCLE_1) | instskip(NEXT) | instid1(SALU_CYCLE_1)
	s_add_i32 s21, s21, s22
	s_mul_hi_u32 s18, s18, s21
	s_delay_alu instid0(SALU_CYCLE_1) | instskip(SKIP_2) | instid1(SALU_CYCLE_1)
	s_mul_i32 s21, s18, s19
	s_add_i32 s22, s18, 1
	s_sub_i32 s21, s23, s21
	s_sub_i32 s24, s21, s19
	s_cmp_ge_u32 s21, s19
	s_cselect_b32 s18, s22, s18
	s_cselect_b32 s21, s24, s21
	s_add_i32 s22, s18, 1
	s_cmp_ge_u32 s21, s19
	s_cselect_b32 s18, s22, s18
	s_add_i32 s4, s4, -1
	s_mul_i32 s19, s18, s19
	s_delay_alu instid0(SALU_CYCLE_1) | instskip(NEXT) | instid1(SALU_CYCLE_1)
	s_sub_i32 s19, s23, s19
	s_mul_i32 s19, s20, s19
	s_delay_alu instid0(SALU_CYCLE_1)
	s_add_i32 s13, s19, s13
	s_add_u32 s14, s14, -4
	s_addc_u32 s15, s15, -1
	s_cmp_gt_u32 s4, 2
	s_cbranch_scc1 .LBB76_3
.LBB76_4:
	s_set_inst_prefetch_distance 0x2
	v_cmp_gt_u32_e32 vcc_lo, 0x100, v0
	v_lshlrev_b32_e32 v5, 2, v0
	s_and_saveexec_b32 s4, vcc_lo
	s_cbranch_execz .LBB76_6
; %bb.5:
	v_mov_b32_e32 v1, 0
	ds_store_b32 v5, v1
.LBB76_6:
	s_or_b32 exec_lo, exec_lo, s4
	s_load_b32 s4, s[0:1], 0xd8
	s_mul_i32 s12, s12, s17
	s_waitcnt lgkmcnt(0)
	s_sub_i32 s14, s16, s12
	s_barrier
	s_mul_i32 s12, s7, s14
	s_add_i32 s14, s14, 1
	s_lshl_b32 s12, s12, 8
	buffer_gl0_inv
	s_sub_i32 s15, s4, s12
	s_delay_alu instid0(SALU_CYCLE_1) | instskip(SKIP_3) | instid1(VALU_DEP_1)
	s_add_u32 s15, s15, 0xff
	s_addc_u32 s19, 0, 0
	s_cmp_lt_u32 s14, s17
	v_alignbit_b32 v1, s19, s15, 8
	v_readfirstlane_b32 s15, v1
	s_delay_alu instid0(VALU_DEP_1)
	s_cselect_b32 s7, s7, s15
	s_mov_b32 s15, 0
	s_cmp_lt_i32 s7, 1
	s_cbranch_scc1 .LBB76_22
; %bb.7:
	s_clause 0x1
	s_load_b32 s14, s[0:1], 0x6c
	s_load_b64 s[0:1], s[0:1], 0x0
	v_add_nc_u32_e32 v6, s12, v0
	s_waitcnt lgkmcnt(0)
	s_mul_i32 s14, s14, s18
	s_delay_alu instid0(SALU_CYCLE_1) | instskip(NEXT) | instid1(SALU_CYCLE_1)
	s_add_i32 s14, s14, s13
	s_lshl_b64 s[18:19], s[14:15], 3
	s_delay_alu instid0(SALU_CYCLE_1)
	s_add_u32 s12, s0, s18
	s_addc_u32 s13, s1, s19
	s_and_b32 s1, s6, 0xff
	s_cmp_eq_u32 s7, 1
	s_cbranch_scc1 .LBB76_17
; %bb.8:
	v_dual_mov_b32 v2, 0 :: v_dual_add_nc_u32 v1, 0x100, v6
	v_mul_lo_u32 v8, s5, v6
	v_dual_mov_b32 v9, 1 :: v_dual_mov_b32 v10, v6
	s_delay_alu instid0(VALU_DEP_3)
	v_mul_lo_u32 v7, s5, v1
	s_and_b32 s6, s7, 0x7ffffffe
	s_lshl_b32 s14, s5, 9
	s_mov_b32 s17, 0
	s_branch .LBB76_10
.LBB76_9:                               ;   in Loop: Header=BB76_10 Depth=1
	s_or_b32 exec_lo, exec_lo, s18
	v_add_nc_u32_e32 v10, 0x200, v10
	s_add_i32 s17, s17, 2
	s_add_i32 s15, s15, s14
	s_cmp_eq_u32 s6, s17
	s_cbranch_scc1 .LBB76_16
.LBB76_10:                              ; =>This Inner Loop Header: Depth=1
	s_mov_b32 s18, exec_lo
	v_cmpx_gt_u32_e64 s4, v10
	s_cbranch_execz .LBB76_13
; %bb.11:                               ;   in Loop: Header=BB76_10 Depth=1
	v_add_nc_u32_e32 v1, s15, v8
	s_delay_alu instid0(VALU_DEP_1) | instskip(NEXT) | instid1(VALU_DEP_1)
	v_lshlrev_b64 v[3:4], 3, v[1:2]
	v_add_co_u32 v3, s0, s12, v3
	s_delay_alu instid0(VALU_DEP_1) | instskip(SKIP_4) | instid1(VALU_DEP_1)
	v_add_co_ci_u32_e64 v4, s0, s13, v4, s0
	global_load_b64 v[3:4], v[3:4], off
	s_waitcnt vmcnt(0)
	v_cmp_o_f64_e64 s0, v[3:4], v[3:4]
	v_ashrrev_i32_e32 v1, 31, v4
	v_or_b32_e32 v11, 0x80000000, v1
	v_xor_b32_e32 v1, v1, v3
	s_delay_alu instid0(VALU_DEP_2) | instskip(NEXT) | instid1(VALU_DEP_1)
	v_xor_b32_e32 v11, v11, v4
	v_cndmask_b32_e64 v4, -1, v11, s0
	s_delay_alu instid0(VALU_DEP_3) | instskip(NEXT) | instid1(VALU_DEP_2)
	v_cndmask_b32_e64 v3, -1, v1, s0
	v_xor_b32_e32 v1, s11, v4
	s_delay_alu instid0(VALU_DEP_2) | instskip(NEXT) | instid1(VALU_DEP_2)
	v_xor_b32_e32 v11, s10, v3
	v_and_b32_e32 v12, s9, v1
	s_delay_alu instid0(VALU_DEP_2) | instskip(NEXT) | instid1(VALU_DEP_1)
	v_and_b32_e32 v11, s8, v11
	v_cmp_eq_u64_e64 s0, 0, v[11:12]
	s_delay_alu instid0(VALU_DEP_1)
	s_and_b32 exec_lo, exec_lo, s0
	s_cbranch_execz .LBB76_13
; %bb.12:                               ;   in Loop: Header=BB76_10 Depth=1
	v_lshrrev_b64 v[3:4], s1, v[3:4]
	s_delay_alu instid0(VALU_DEP_1) | instskip(NEXT) | instid1(VALU_DEP_1)
	v_and_b32_e32 v1, 0xff, v3
	v_lshlrev_b32_e32 v1, 2, v1
	ds_add_u32 v1, v9
.LBB76_13:                              ;   in Loop: Header=BB76_10 Depth=1
	s_or_b32 exec_lo, exec_lo, s18
	v_add_nc_u32_e32 v1, 0x100, v10
	s_mov_b32 s18, exec_lo
	s_delay_alu instid0(VALU_DEP_1)
	v_cmpx_gt_u32_e64 s4, v1
	s_cbranch_execz .LBB76_9
; %bb.14:                               ;   in Loop: Header=BB76_10 Depth=1
	v_add_nc_u32_e32 v1, s15, v7
	s_delay_alu instid0(VALU_DEP_1) | instskip(NEXT) | instid1(VALU_DEP_1)
	v_lshlrev_b64 v[3:4], 3, v[1:2]
	v_add_co_u32 v3, s0, s12, v3
	s_delay_alu instid0(VALU_DEP_1) | instskip(SKIP_4) | instid1(VALU_DEP_1)
	v_add_co_ci_u32_e64 v4, s0, s13, v4, s0
	global_load_b64 v[3:4], v[3:4], off
	s_waitcnt vmcnt(0)
	v_cmp_o_f64_e64 s0, v[3:4], v[3:4]
	v_ashrrev_i32_e32 v1, 31, v4
	v_or_b32_e32 v11, 0x80000000, v1
	v_xor_b32_e32 v1, v1, v3
	s_delay_alu instid0(VALU_DEP_2) | instskip(NEXT) | instid1(VALU_DEP_1)
	v_xor_b32_e32 v11, v11, v4
	v_cndmask_b32_e64 v4, -1, v11, s0
	s_delay_alu instid0(VALU_DEP_3) | instskip(NEXT) | instid1(VALU_DEP_2)
	v_cndmask_b32_e64 v3, -1, v1, s0
	v_xor_b32_e32 v1, s11, v4
	s_delay_alu instid0(VALU_DEP_2) | instskip(NEXT) | instid1(VALU_DEP_2)
	v_xor_b32_e32 v11, s10, v3
	v_and_b32_e32 v12, s9, v1
	s_delay_alu instid0(VALU_DEP_2) | instskip(NEXT) | instid1(VALU_DEP_1)
	v_and_b32_e32 v11, s8, v11
	v_cmp_eq_u64_e64 s0, 0, v[11:12]
	s_delay_alu instid0(VALU_DEP_1)
	s_and_b32 exec_lo, exec_lo, s0
	s_cbranch_execz .LBB76_9
; %bb.15:                               ;   in Loop: Header=BB76_10 Depth=1
	v_lshrrev_b64 v[3:4], s1, v[3:4]
	s_delay_alu instid0(VALU_DEP_1) | instskip(NEXT) | instid1(VALU_DEP_1)
	v_and_b32_e32 v1, 0xff, v3
	v_lshlrev_b32_e32 v1, 2, v1
	ds_add_u32 v1, v9
	s_branch .LBB76_9
.LBB76_16:
	s_lshl_b32 s15, s6, 8
.LBB76_17:
	s_bitcmp0_b32 s7, 0
	s_cbranch_scc1 .LBB76_22
; %bb.18:
	v_add_nc_u32_e32 v1, s15, v6
	s_delay_alu instid0(VALU_DEP_1) | instskip(NEXT) | instid1(VALU_DEP_1)
	v_cmp_gt_u32_e64 s0, s4, v1
	s_and_saveexec_b32 s4, s0
	s_cbranch_execz .LBB76_21
; %bb.19:
	v_mul_lo_u32 v1, v1, s5
	v_mov_b32_e32 v2, 0
	s_delay_alu instid0(VALU_DEP_1) | instskip(NEXT) | instid1(VALU_DEP_1)
	v_lshlrev_b64 v[1:2], 3, v[1:2]
	v_add_co_u32 v1, s0, s12, v1
	s_delay_alu instid0(VALU_DEP_1) | instskip(SKIP_4) | instid1(VALU_DEP_1)
	v_add_co_ci_u32_e64 v2, s0, s13, v2, s0
	global_load_b64 v[1:2], v[1:2], off
	s_waitcnt vmcnt(0)
	v_cmp_o_f64_e64 s0, v[1:2], v[1:2]
	v_ashrrev_i32_e32 v3, 31, v2
	v_or_b32_e32 v4, 0x80000000, v3
	v_xor_b32_e32 v1, v3, v1
	s_delay_alu instid0(VALU_DEP_2) | instskip(NEXT) | instid1(VALU_DEP_1)
	v_xor_b32_e32 v4, v4, v2
	v_cndmask_b32_e64 v2, -1, v4, s0
	s_delay_alu instid0(VALU_DEP_3) | instskip(NEXT) | instid1(VALU_DEP_2)
	v_cndmask_b32_e64 v1, -1, v1, s0
	v_xor_b32_e32 v3, s11, v2
	s_delay_alu instid0(VALU_DEP_2) | instskip(NEXT) | instid1(VALU_DEP_2)
	v_xor_b32_e32 v6, s10, v1
	v_and_b32_e32 v4, s9, v3
	s_delay_alu instid0(VALU_DEP_2) | instskip(NEXT) | instid1(VALU_DEP_1)
	v_and_b32_e32 v3, s8, v6
	v_cmp_eq_u64_e64 s0, 0, v[3:4]
	s_delay_alu instid0(VALU_DEP_1)
	s_and_b32 exec_lo, exec_lo, s0
	s_cbranch_execz .LBB76_21
; %bb.20:
	v_lshrrev_b64 v[1:2], s1, v[1:2]
	s_delay_alu instid0(VALU_DEP_1) | instskip(NEXT) | instid1(VALU_DEP_1)
	v_dual_mov_b32 v2, 1 :: v_dual_and_b32 v1, 0xff, v1
	v_lshlrev_b32_e32 v1, 2, v1
	ds_add_u32 v1, v2
.LBB76_21:
	s_or_b32 exec_lo, exec_lo, s4
.LBB76_22:
	v_mov_b32_e32 v1, 0
	s_waitcnt lgkmcnt(0)
	s_barrier
	buffer_gl0_inv
	s_and_saveexec_b32 s0, vcc_lo
	s_cbranch_execz .LBB76_24
; %bb.23:
	ds_load_b32 v1, v5
.LBB76_24:
	s_or_b32 exec_lo, exec_lo, s0
	s_and_saveexec_b32 s0, vcc_lo
	s_cbranch_execz .LBB76_26
; %bb.25:
	v_lshl_or_b32 v2, s16, 8, v0
	v_mov_b32_e32 v3, 0
	s_delay_alu instid0(VALU_DEP_1) | instskip(NEXT) | instid1(VALU_DEP_1)
	v_lshlrev_b64 v[2:3], 1, v[2:3]
	v_add_co_u32 v2, vcc_lo, s2, v2
	s_delay_alu instid0(VALU_DEP_2)
	v_add_co_ci_u32_e32 v3, vcc_lo, s3, v3, vcc_lo
	s_waitcnt lgkmcnt(0)
	global_store_b16 v[2:3], v1, off
.LBB76_26:
	s_nop 0
	s_sendmsg sendmsg(MSG_DEALLOC_VGPRS)
	s_endpgm
	.section	.rodata,"a",@progbits
	.p2align	6, 0x0
	.amdhsa_kernel _ZN2at6native6mbtopk23computeBlockDigitCountsIdjmLin1EEEvNS_4cuda6detail10TensorInfoIKT_T0_EEjPjjS8_iijT1_PSB_Ps
		.amdhsa_group_segment_fixed_size 1024
		.amdhsa_private_segment_fixed_size 0
		.amdhsa_kernarg_size 536
		.amdhsa_user_sgpr_count 13
		.amdhsa_user_sgpr_dispatch_ptr 0
		.amdhsa_user_sgpr_queue_ptr 0
		.amdhsa_user_sgpr_kernarg_segment_ptr 1
		.amdhsa_user_sgpr_dispatch_id 0
		.amdhsa_user_sgpr_private_segment_size 0
		.amdhsa_wavefront_size32 1
		.amdhsa_uses_dynamic_stack 0
		.amdhsa_enable_private_segment 0
		.amdhsa_system_sgpr_workgroup_id_x 1
		.amdhsa_system_sgpr_workgroup_id_y 1
		.amdhsa_system_sgpr_workgroup_id_z 1
		.amdhsa_system_sgpr_workgroup_info 0
		.amdhsa_system_vgpr_workitem_id 0
		.amdhsa_next_free_vgpr 13
		.amdhsa_next_free_sgpr 25
		.amdhsa_reserve_vcc 1
		.amdhsa_float_round_mode_32 0
		.amdhsa_float_round_mode_16_64 0
		.amdhsa_float_denorm_mode_32 3
		.amdhsa_float_denorm_mode_16_64 3
		.amdhsa_dx10_clamp 1
		.amdhsa_ieee_mode 1
		.amdhsa_fp16_overflow 0
		.amdhsa_workgroup_processor_mode 1
		.amdhsa_memory_ordered 1
		.amdhsa_forward_progress 0
		.amdhsa_shared_vgpr_count 0
		.amdhsa_exception_fp_ieee_invalid_op 0
		.amdhsa_exception_fp_denorm_src 0
		.amdhsa_exception_fp_ieee_div_zero 0
		.amdhsa_exception_fp_ieee_overflow 0
		.amdhsa_exception_fp_ieee_underflow 0
		.amdhsa_exception_fp_ieee_inexact 0
		.amdhsa_exception_int_div_zero 0
	.end_amdhsa_kernel
	.section	.text._ZN2at6native6mbtopk23computeBlockDigitCountsIdjmLin1EEEvNS_4cuda6detail10TensorInfoIKT_T0_EEjPjjS8_iijT1_PSB_Ps,"axG",@progbits,_ZN2at6native6mbtopk23computeBlockDigitCountsIdjmLin1EEEvNS_4cuda6detail10TensorInfoIKT_T0_EEjPjjS8_iijT1_PSB_Ps,comdat
.Lfunc_end76:
	.size	_ZN2at6native6mbtopk23computeBlockDigitCountsIdjmLin1EEEvNS_4cuda6detail10TensorInfoIKT_T0_EEjPjjS8_iijT1_PSB_Ps, .Lfunc_end76-_ZN2at6native6mbtopk23computeBlockDigitCountsIdjmLin1EEEvNS_4cuda6detail10TensorInfoIKT_T0_EEjPjjS8_iijT1_PSB_Ps
                                        ; -- End function
	.section	.AMDGPU.csdata,"",@progbits
; Kernel info:
; codeLenInByte = 1508
; NumSgprs: 27
; NumVgprs: 13
; ScratchSize: 0
; MemoryBound: 0
; FloatMode: 240
; IeeeMode: 1
; LDSByteSize: 1024 bytes/workgroup (compile time only)
; SGPRBlocks: 3
; VGPRBlocks: 1
; NumSGPRsForWavesPerEU: 27
; NumVGPRsForWavesPerEU: 13
; Occupancy: 16
; WaveLimiterHint : 1
; COMPUTE_PGM_RSRC2:SCRATCH_EN: 0
; COMPUTE_PGM_RSRC2:USER_SGPR: 13
; COMPUTE_PGM_RSRC2:TRAP_HANDLER: 0
; COMPUTE_PGM_RSRC2:TGID_X_EN: 1
; COMPUTE_PGM_RSRC2:TGID_Y_EN: 1
; COMPUTE_PGM_RSRC2:TGID_Z_EN: 1
; COMPUTE_PGM_RSRC2:TIDIG_COMP_CNT: 0
	.section	.text._ZN2at6native6mbtopk10gatherTopKIdjLin1EEEvNS_4cuda6detail10TensorInfoIKT_T0_EES8_S8_bjS8_NS5_IS6_S8_EES8_NS5_IlS8_EES8_jjPS6_PjSD_j,"axG",@progbits,_ZN2at6native6mbtopk10gatherTopKIdjLin1EEEvNS_4cuda6detail10TensorInfoIKT_T0_EES8_S8_bjS8_NS5_IS6_S8_EES8_NS5_IlS8_EES8_jjPS6_PjSD_j,comdat
	.protected	_ZN2at6native6mbtopk10gatherTopKIdjLin1EEEvNS_4cuda6detail10TensorInfoIKT_T0_EES8_S8_bjS8_NS5_IS6_S8_EES8_NS5_IlS8_EES8_jjPS6_PjSD_j ; -- Begin function _ZN2at6native6mbtopk10gatherTopKIdjLin1EEEvNS_4cuda6detail10TensorInfoIKT_T0_EES8_S8_bjS8_NS5_IS6_S8_EES8_NS5_IlS8_EES8_jjPS6_PjSD_j
	.globl	_ZN2at6native6mbtopk10gatherTopKIdjLin1EEEvNS_4cuda6detail10TensorInfoIKT_T0_EES8_S8_bjS8_NS5_IS6_S8_EES8_NS5_IlS8_EES8_jjPS6_PjSD_j
	.p2align	8
	.type	_ZN2at6native6mbtopk10gatherTopKIdjLin1EEEvNS_4cuda6detail10TensorInfoIKT_T0_EES8_S8_bjS8_NS5_IS6_S8_EES8_NS5_IlS8_EES8_jjPS6_PjSD_j,@function
_ZN2at6native6mbtopk10gatherTopKIdjLin1EEEvNS_4cuda6detail10TensorInfoIKT_T0_EES8_S8_bjS8_NS5_IS6_S8_EES8_NS5_IlS8_EES8_jjPS6_PjSD_j: ; @_ZN2at6native6mbtopk10gatherTopKIdjLin1EEEvNS_4cuda6detail10TensorInfoIKT_T0_EES8_S8_bjS8_NS5_IS6_S8_EES8_NS5_IlS8_EES8_jjPS6_PjSD_j
; %bb.0:
	s_clause 0x1
	s_load_b64 s[2:3], s[0:1], 0x2d8
	s_load_b32 s4, s[0:1], 0x2d0
	s_waitcnt lgkmcnt(0)
	s_mul_i32 s3, s3, s15
	s_delay_alu instid0(SALU_CYCLE_1) | instskip(NEXT) | instid1(SALU_CYCLE_1)
	s_add_i32 s3, s3, s14
	s_mul_i32 s2, s3, s2
	s_delay_alu instid0(SALU_CYCLE_1) | instskip(NEXT) | instid1(SALU_CYCLE_1)
	s_add_i32 s13, s2, s13
	s_cmp_ge_u32 s13, s4
	s_cbranch_scc1 .LBB77_49
; %bb.1:
	s_clause 0x1
	s_load_b128 s[4:7], s[0:1], 0x2a8
	s_load_b32 s2, s[0:1], 0xd0
	s_mov_b32 s17, 0
	s_waitcnt lgkmcnt(0)
	v_cvt_f32_u32_e32 v1, s6
	s_sub_i32 s7, 0, s6
	s_delay_alu instid0(VALU_DEP_1) | instskip(SKIP_2) | instid1(VALU_DEP_1)
	v_rcp_iflag_f32_e32 v1, v1
	s_waitcnt_depctr 0xfff
	v_mul_f32_e32 v1, 0x4f7ffffe, v1
	v_cvt_u32_f32_e32 v1, v1
	s_delay_alu instid0(VALU_DEP_1) | instskip(NEXT) | instid1(VALU_DEP_1)
	v_readfirstlane_b32 s3, v1
	s_mul_i32 s7, s7, s3
	s_delay_alu instid0(SALU_CYCLE_1) | instskip(NEXT) | instid1(SALU_CYCLE_1)
	s_mul_hi_u32 s7, s3, s7
	s_add_i32 s3, s3, s7
	s_delay_alu instid0(SALU_CYCLE_1) | instskip(NEXT) | instid1(SALU_CYCLE_1)
	s_mul_hi_u32 s3, s13, s3
	s_mul_i32 s7, s3, s6
	s_add_i32 s8, s3, 1
	s_sub_i32 s7, s13, s7
	s_delay_alu instid0(SALU_CYCLE_1)
	s_sub_i32 s9, s7, s6
	s_cmp_ge_u32 s7, s6
	s_cselect_b32 s3, s8, s3
	s_cselect_b32 s7, s9, s7
	s_add_i32 s8, s3, 1
	s_cmp_ge_u32 s7, s6
	s_cselect_b32 s18, s8, s3
	s_cmp_lt_i32 s2, 2
	s_mov_b32 s16, s18
	s_cbranch_scc1 .LBB77_4
; %bb.2:
	s_add_i32 s16, s2, -1
	s_add_i32 s7, s2, 1
	s_lshl_b64 s[8:9], s[16:17], 2
	s_mov_b32 s16, s18
	s_add_u32 s2, s8, s0
	s_addc_u32 s3, s9, s1
	s_add_u32 s2, s2, 8
	s_addc_u32 s3, s3, 0
	s_set_inst_prefetch_distance 0x1
	.p2align	6
.LBB77_3:                               ; =>This Inner Loop Header: Depth=1
	s_clause 0x1
	s_load_b32 s8, s[2:3], 0x0
	s_load_b32 s9, s[2:3], 0x64
	s_mov_b32 s12, s16
	s_waitcnt lgkmcnt(0)
	v_cvt_f32_u32_e32 v1, s8
	s_sub_i32 s11, 0, s8
	s_waitcnt_depctr 0xfff
	v_rcp_iflag_f32_e32 v1, v1
	s_waitcnt_depctr 0xfff
	v_mul_f32_e32 v1, 0x4f7ffffe, v1
	s_delay_alu instid0(VALU_DEP_1) | instskip(NEXT) | instid1(VALU_DEP_1)
	v_cvt_u32_f32_e32 v1, v1
	v_readfirstlane_b32 s10, v1
	s_delay_alu instid0(VALU_DEP_1) | instskip(NEXT) | instid1(SALU_CYCLE_1)
	s_mul_i32 s11, s11, s10
	s_mul_hi_u32 s11, s10, s11
	s_delay_alu instid0(SALU_CYCLE_1) | instskip(NEXT) | instid1(SALU_CYCLE_1)
	s_add_i32 s10, s10, s11
	s_mul_hi_u32 s10, s16, s10
	s_delay_alu instid0(SALU_CYCLE_1) | instskip(SKIP_2) | instid1(SALU_CYCLE_1)
	s_mul_i32 s11, s10, s8
	s_add_i32 s14, s10, 1
	s_sub_i32 s11, s16, s11
	s_sub_i32 s15, s11, s8
	s_cmp_ge_u32 s11, s8
	s_cselect_b32 s10, s14, s10
	s_cselect_b32 s11, s15, s11
	s_add_i32 s14, s10, 1
	s_cmp_ge_u32 s11, s8
	s_cselect_b32 s16, s14, s10
	s_add_i32 s7, s7, -1
	s_mul_i32 s8, s16, s8
	s_delay_alu instid0(SALU_CYCLE_1) | instskip(NEXT) | instid1(SALU_CYCLE_1)
	s_sub_i32 s8, s12, s8
	s_mul_i32 s8, s9, s8
	s_delay_alu instid0(SALU_CYCLE_1)
	s_add_i32 s17, s8, s17
	s_add_u32 s2, s2, -4
	s_addc_u32 s3, s3, -1
	s_cmp_gt_u32 s7, 2
	s_cbranch_scc1 .LBB77_3
.LBB77_4:
	s_set_inst_prefetch_distance 0x2
	s_load_b32 s7, s[0:1], 0x1c0
	s_add_u32 s2, s0, 0xf0
	s_addc_u32 s3, s1, 0
	s_mov_b32 s21, 0
	s_mov_b32 s20, s18
	s_waitcnt lgkmcnt(0)
	s_cmp_lt_i32 s7, 2
	s_cbranch_scc1 .LBB77_7
; %bb.5:
	s_add_i32 s20, s7, -1
	s_add_i32 s7, s7, 1
	s_lshl_b64 s[8:9], s[20:21], 2
	s_mov_b32 s20, s18
	s_add_u32 s8, s8, s2
	s_addc_u32 s9, s9, s3
	s_add_u32 s8, s8, 8
	s_addc_u32 s9, s9, 0
	s_set_inst_prefetch_distance 0x1
	.p2align	6
.LBB77_6:                               ; =>This Inner Loop Header: Depth=1
	s_clause 0x1
	s_load_b32 s10, s[8:9], 0x0
	s_load_b32 s11, s[8:9], 0x64
	s_mov_b32 s15, s20
	s_waitcnt lgkmcnt(0)
	v_cvt_f32_u32_e32 v1, s10
	s_sub_i32 s14, 0, s10
	s_waitcnt_depctr 0xfff
	v_rcp_iflag_f32_e32 v1, v1
	s_waitcnt_depctr 0xfff
	v_mul_f32_e32 v1, 0x4f7ffffe, v1
	s_delay_alu instid0(VALU_DEP_1) | instskip(NEXT) | instid1(VALU_DEP_1)
	v_cvt_u32_f32_e32 v1, v1
	v_readfirstlane_b32 s12, v1
	s_delay_alu instid0(VALU_DEP_1) | instskip(NEXT) | instid1(SALU_CYCLE_1)
	s_mul_i32 s14, s14, s12
	s_mul_hi_u32 s14, s12, s14
	s_delay_alu instid0(SALU_CYCLE_1) | instskip(NEXT) | instid1(SALU_CYCLE_1)
	s_add_i32 s12, s12, s14
	s_mul_hi_u32 s12, s20, s12
	s_delay_alu instid0(SALU_CYCLE_1) | instskip(SKIP_2) | instid1(SALU_CYCLE_1)
	s_mul_i32 s14, s12, s10
	s_add_i32 s19, s12, 1
	s_sub_i32 s14, s20, s14
	s_sub_i32 s20, s14, s10
	s_cmp_ge_u32 s14, s10
	s_cselect_b32 s12, s19, s12
	s_cselect_b32 s14, s20, s14
	s_add_i32 s19, s12, 1
	s_cmp_ge_u32 s14, s10
	s_cselect_b32 s20, s19, s12
	s_add_i32 s7, s7, -1
	s_mul_i32 s10, s20, s10
	s_delay_alu instid0(SALU_CYCLE_1) | instskip(NEXT) | instid1(SALU_CYCLE_1)
	s_sub_i32 s10, s15, s10
	s_mul_i32 s10, s11, s10
	s_delay_alu instid0(SALU_CYCLE_1)
	s_add_i32 s21, s10, s21
	s_add_u32 s8, s8, -4
	s_addc_u32 s9, s9, -1
	s_cmp_gt_u32 s7, 2
	s_cbranch_scc1 .LBB77_6
.LBB77_7:
	s_set_inst_prefetch_distance 0x2
	s_clause 0x1
	s_load_b32 s33, s[0:1], 0x6c
	s_load_b32 s7, s[0:1], 0x2a0
	s_add_u32 s8, s0, 0x1d0
	s_addc_u32 s9, s1, 0
	s_mov_b32 s23, 0
	s_mov_b32 s22, s18
	s_waitcnt lgkmcnt(0)
	s_cmp_lt_i32 s7, 2
	s_cbranch_scc1 .LBB77_10
; %bb.8:
	s_add_i32 s22, s7, -1
	s_add_i32 s7, s7, 1
	s_lshl_b64 s[10:11], s[22:23], 2
	s_mov_b32 s22, s18
	s_add_u32 s8, s10, s8
	s_addc_u32 s9, s11, s9
	s_add_u32 s8, s8, 8
	s_addc_u32 s9, s9, 0
	s_set_inst_prefetch_distance 0x1
	.p2align	6
.LBB77_9:                               ; =>This Inner Loop Header: Depth=1
	s_clause 0x1
	s_load_b32 s10, s[8:9], 0x0
	s_load_b32 s11, s[8:9], 0x64
	s_mov_b32 s15, s22
	s_waitcnt lgkmcnt(0)
	v_cvt_f32_u32_e32 v1, s10
	s_sub_i32 s14, 0, s10
	s_waitcnt_depctr 0xfff
	v_rcp_iflag_f32_e32 v1, v1
	s_waitcnt_depctr 0xfff
	v_mul_f32_e32 v1, 0x4f7ffffe, v1
	s_delay_alu instid0(VALU_DEP_1) | instskip(NEXT) | instid1(VALU_DEP_1)
	v_cvt_u32_f32_e32 v1, v1
	v_readfirstlane_b32 s12, v1
	s_delay_alu instid0(VALU_DEP_1) | instskip(NEXT) | instid1(SALU_CYCLE_1)
	s_mul_i32 s14, s14, s12
	s_mul_hi_u32 s14, s12, s14
	s_delay_alu instid0(SALU_CYCLE_1) | instskip(NEXT) | instid1(SALU_CYCLE_1)
	s_add_i32 s12, s12, s14
	s_mul_hi_u32 s12, s22, s12
	s_delay_alu instid0(SALU_CYCLE_1) | instskip(SKIP_2) | instid1(SALU_CYCLE_1)
	s_mul_i32 s14, s12, s10
	s_add_i32 s19, s12, 1
	s_sub_i32 s14, s22, s14
	s_sub_i32 s22, s14, s10
	s_cmp_ge_u32 s14, s10
	s_cselect_b32 s12, s19, s12
	s_cselect_b32 s14, s22, s14
	s_add_i32 s19, s12, 1
	s_cmp_ge_u32 s14, s10
	s_cselect_b32 s22, s19, s12
	s_add_i32 s7, s7, -1
	s_mul_i32 s10, s22, s10
	s_delay_alu instid0(SALU_CYCLE_1) | instskip(NEXT) | instid1(SALU_CYCLE_1)
	s_sub_i32 s10, s15, s10
	s_mul_i32 s10, s11, s10
	s_delay_alu instid0(SALU_CYCLE_1)
	s_add_i32 s23, s10, s23
	s_add_u32 s8, s8, -4
	s_addc_u32 s9, s9, -1
	s_cmp_gt_u32 s7, 2
	s_cbranch_scc1 .LBB77_9
.LBB77_10:
	s_set_inst_prefetch_distance 0x2
	s_clause 0x1
	s_load_b32 s38, s[2:3], 0x6c
	s_load_b128 s[8:11], s[0:1], 0x2b8
	s_mov_b32 s19, 0
	s_mul_i32 s12, s18, s6
	s_lshl_b64 s[2:3], s[18:19], 3
	s_sub_i32 s7, s13, s12
	s_waitcnt lgkmcnt(0)
	s_add_u32 s2, s8, s2
	s_addc_u32 s3, s9, s3
	s_clause 0x2
	s_load_b64 s[30:31], s[0:1], 0x0
	s_load_b64 s[28:29], s[0:1], 0xf0
	;; [unrolled: 1-line block ×4, first 2 shown]
	v_cmp_ne_u32_e64 s2, 0, v0
	v_cmp_eq_u32_e64 s3, 0, v0
	s_delay_alu instid0(VALU_DEP_1)
	s_and_saveexec_b32 s18, s3
	s_cbranch_execz .LBB77_26
; %bb.11:
	s_load_b64 s[8:9], s[0:1], 0x2c8
	s_mov_b32 s13, s19
	s_mov_b32 s39, 0
	s_lshl_b64 s[34:35], s[12:13], 2
	s_mov_b32 s40, 0
	s_add_u32 s12, s10, s34
	s_addc_u32 s13, s11, s35
	s_waitcnt lgkmcnt(0)
	s_add_u32 s14, s8, s34
	s_addc_u32 s15, s9, s35
	s_cmp_lt_u32 s6, 4
	s_cbranch_scc1 .LBB77_23
; %bb.12:
	s_mov_b32 s41, 0
.LBB77_13:                              ; =>This Inner Loop Header: Depth=1
	s_add_u32 s12, s10, s34
	s_addc_u32 s13, s11, s35
	s_add_u32 s36, s8, s34
	s_load_b128 s[12:15], s[12:13], 0x0
	s_addc_u32 s37, s9, s35
	s_cmp_ge_u32 s41, s7
	s_cbranch_scc0 .LBB77_20
; %bb.14:                               ;   in Loop: Header=BB77_13 Depth=1
	s_add_i32 s42, s41, 1
	s_delay_alu instid0(SALU_CYCLE_1)
	s_cmp_ge_u32 s42, s7
	s_cbranch_scc0 .LBB77_21
.LBB77_15:                              ;   in Loop: Header=BB77_13 Depth=1
	s_add_i32 s42, s42, 1
	s_delay_alu instid0(SALU_CYCLE_1)
	s_cmp_ge_u32 s42, s7
	s_cbranch_scc0 .LBB77_22
.LBB77_16:                              ;   in Loop: Header=BB77_13 Depth=1
	s_add_i32 s42, s42, 1
	s_delay_alu instid0(SALU_CYCLE_1)
	s_cmp_ge_u32 s42, s7
	s_cbranch_scc1 .LBB77_18
.LBB77_17:                              ;   in Loop: Header=BB77_13 Depth=1
	s_load_b32 s36, s[36:37], 0xc
	s_waitcnt lgkmcnt(0)
	s_add_i32 s19, s19, s15
	s_add_i32 s39, s36, s39
.LBB77_18:                              ;   in Loop: Header=BB77_13 Depth=1
	s_waitcnt lgkmcnt(0)
	s_add_i32 s12, s12, s40
	s_delay_alu instid0(SALU_CYCLE_1) | instskip(NEXT) | instid1(SALU_CYCLE_1)
	s_add_i32 s12, s12, s13
	s_add_i32 s12, s12, s14
	s_delay_alu instid0(SALU_CYCLE_1)
	s_add_i32 s40, s12, s15
	s_add_u32 s10, s10, 16
	s_addc_u32 s11, s11, 0
	s_add_u32 s8, s8, 16
	s_addc_u32 s9, s9, 0
	s_add_i32 s37, s42, 4
	s_add_u32 s14, s8, s34
	s_addc_u32 s15, s9, s35
	s_add_u32 s12, s10, s34
	s_addc_u32 s13, s11, s35
	s_add_i32 s36, s42, 1
	s_cmp_ge_u32 s37, s6
	s_cbranch_scc1 .LBB77_24
; %bb.19:                               ;   in Loop: Header=BB77_13 Depth=1
	s_mov_b32 s41, s36
	s_branch .LBB77_13
.LBB77_20:                              ;   in Loop: Header=BB77_13 Depth=1
	s_load_b32 s42, s[36:37], 0x0
	s_waitcnt lgkmcnt(0)
	s_add_i32 s19, s12, s19
	s_add_i32 s39, s42, s39
	;; [unrolled: 1-line block ×3, first 2 shown]
	s_delay_alu instid0(SALU_CYCLE_1)
	s_cmp_ge_u32 s42, s7
	s_cbranch_scc1 .LBB77_15
.LBB77_21:                              ;   in Loop: Header=BB77_13 Depth=1
	s_load_b32 s43, s[36:37], 0x4
	s_waitcnt lgkmcnt(0)
	s_add_i32 s19, s19, s13
	s_add_i32 s39, s43, s39
	;; [unrolled: 1-line block ×3, first 2 shown]
	s_delay_alu instid0(SALU_CYCLE_1)
	s_cmp_ge_u32 s42, s7
	s_cbranch_scc1 .LBB77_16
.LBB77_22:                              ;   in Loop: Header=BB77_13 Depth=1
	s_load_b32 s43, s[36:37], 0x8
	s_waitcnt lgkmcnt(0)
	s_add_i32 s19, s19, s14
	s_add_i32 s39, s43, s39
	s_add_i32 s42, s42, 1
	s_delay_alu instid0(SALU_CYCLE_1)
	s_cmp_ge_u32 s42, s7
	s_cbranch_scc0 .LBB77_17
	s_branch .LBB77_18
.LBB77_23:
	s_mov_b32 s8, 0
	s_delay_alu instid0(SALU_CYCLE_1)
	s_cmp_ge_u32 s8, s6
	s_cbranch_scc0 .LBB77_47
	s_branch .LBB77_25
.LBB77_24:
	s_add_i32 s8, s41, 4
	s_delay_alu instid0(SALU_CYCLE_1)
	s_cmp_ge_u32 s8, s6
	s_cbranch_scc0 .LBB77_47
.LBB77_25:
	v_dual_mov_b32 v1, s39 :: v_dual_mov_b32 v2, s40
	v_dual_mov_b32 v3, s19 :: v_dual_mov_b32 v4, 0
	ds_store_b96 v4, v[1:3] offset:1056
.LBB77_26:
	s_or_b32 exec_lo, exec_lo, s18
	s_clause 0x1
	s_load_b32 s13, s[0:1], 0x23c
	s_load_b128 s[8:11], s[0:1], 0xd8
	s_waitcnt lgkmcnt(0)
	s_mul_i32 s11, s5, s7
	s_add_i32 s7, s7, 1
	s_lshl_b32 s12, s11, 8
	s_barrier
	buffer_gl0_inv
	s_sub_i32 s11, s8, s12
	s_delay_alu instid0(SALU_CYCLE_1) | instskip(SKIP_4) | instid1(VALU_DEP_1)
	s_add_u32 s11, s11, 0xff
	s_addc_u32 s14, 0, 0
	s_cmp_lt_u32 s7, s6
	v_alignbit_b32 v1, s14, s11, 8
	s_mov_b32 s7, 0
	v_readfirstlane_b32 s11, v1
	s_delay_alu instid0(VALU_DEP_1) | instskip(NEXT) | instid1(SALU_CYCLE_1)
	s_cselect_b32 s5, s5, s11
	s_cmp_eq_u32 s5, 0
	s_cbranch_scc1 .LBB77_49
; %bb.27:
	v_cmp_o_f64_e64 s34, s[24:25], s[24:25]
	v_dual_mov_b32 v5, 0 :: v_dual_add_nc_u32 v6, s12, v0
	s_mul_i32 s14, s38, s20
	s_clause 0x1
	s_load_b32 s20, s[0:1], 0xe8
	s_load_b32 s11, s[0:1], 0x1c8
	s_mul_i32 s6, s33, s16
	ds_load_b96 v[1:3], v5 offset:1056
	s_add_i32 s6, s6, s17
	s_mul_i32 s13, s13, s22
	s_mov_b32 s15, s7
	s_mov_b32 s19, s7
	s_lshl_b64 s[6:7], s[6:7], 3
	s_add_i32 s14, s14, s21
	s_add_i32 s18, s13, s23
	s_add_u32 s12, s30, s6
	s_addc_u32 s13, s31, s7
	s_lshl_b64 s[6:7], s[14:15], 3
	v_lshrrev_b32_e32 v4, 5, v0
	v_add_nc_u32_e32 v11, -1, v0
	s_add_u32 s14, s28, s6
	s_addc_u32 s15, s29, s7
	s_lshl_b64 s[6:7], s[18:19], 3
	v_cmp_gt_u32_e64 s0, 32, v0
	s_add_u32 s16, s26, s6
	v_lshlrev_b32_e32 v7, 3, v0
	v_lshrrev_b32_e32 v10, 2, v0
	v_mbcnt_lo_u32_b32 v8, -1, 0
	v_add_lshl_u32 v9, v4, v0, 2
	s_addc_u32 s17, s27, s7
	s_ashr_i32 s6, s25, 31
	v_lshrrev_b32_e32 v0, 5, v11
	s_or_b32 s7, s6, 0x80000000
	s_waitcnt lgkmcnt(0)
	v_mul_lo_u32 v4, s20, v6
	s_xor_b64 s[6:7], s[6:7], s[24:25]
	v_add_lshl_u32 v10, v10, v7, 2
	v_add_nc_u32_e32 v2, v1, v2
	v_add_lshl_u32 v11, v0, v11, 2
	v_and_b32_e32 v12, 15, v8
	s_and_b32 s1, s34, exec_lo
	v_bfe_i32 v13, v8, 4, 1
	v_add_nc_u32_e32 v14, -1, v8
	s_cselect_b32 s7, s7, -1
	s_cselect_b32 s6, s6, -1
	s_bitcmp1_b32 s10, 0
                                        ; implicit-def: $vgpr0_vgpr1
	s_cselect_b32 s1, -1, 0
	s_lshl_b32 s10, s20, 8
	s_branch .LBB77_30
.LBB77_28:                              ;   in Loop: Header=BB77_30 Depth=1
	s_or_b32 exec_lo, exec_lo, s18
	v_add_nc_u32_e32 v2, v17, v2
.LBB77_29:                              ;   in Loop: Header=BB77_30 Depth=1
	v_add_nc_u32_e32 v3, v16, v3
	v_add_nc_u32_e32 v4, s10, v4
	;; [unrolled: 1-line block ×3, first 2 shown]
	s_add_i32 s5, s5, -1
	s_delay_alu instid0(SALU_CYCLE_1)
	s_cmp_lg_u32 s5, 0
	s_cbranch_scc0 .LBB77_49
.LBB77_30:                              ; =>This Inner Loop Header: Depth=1
	v_mov_b32_e32 v7, 0
	v_mov_b32_e32 v15, 0
	s_mov_b32 s18, exec_lo
	v_cmpx_gt_u32_e64 s8, v6
	s_cbranch_execz .LBB77_32
; %bb.31:                               ;   in Loop: Header=BB77_30 Depth=1
	v_lshlrev_b64 v[0:1], 3, v[4:5]
	s_delay_alu instid0(VALU_DEP_1) | instskip(NEXT) | instid1(VALU_DEP_2)
	v_add_co_u32 v0, vcc_lo, s12, v0
	v_add_co_ci_u32_e32 v1, vcc_lo, s13, v1, vcc_lo
	global_load_b64 v[0:1], v[0:1], off
	s_waitcnt vmcnt(0)
	v_cmp_o_f64_e32 vcc_lo, v[0:1], v[0:1]
	v_ashrrev_i32_e32 v7, 31, v1
	s_delay_alu instid0(VALU_DEP_1) | instskip(SKIP_1) | instid1(VALU_DEP_2)
	v_or_b32_e32 v15, 0x80000000, v7
	v_xor_b32_e32 v7, v7, v0
	v_xor_b32_e32 v15, v15, v1
	s_delay_alu instid0(VALU_DEP_1) | instskip(NEXT) | instid1(VALU_DEP_3)
	v_cndmask_b32_e32 v16, -1, v15, vcc_lo
	v_cndmask_b32_e32 v15, -1, v7, vcc_lo
	s_delay_alu instid0(VALU_DEP_1) | instskip(SKIP_4) | instid1(VALU_DEP_2)
	v_cmp_lt_u64_e32 vcc_lo, s[6:7], v[15:16]
	v_cndmask_b32_e64 v7, 0, 1, vcc_lo
	v_cmp_gt_u64_e32 vcc_lo, s[6:7], v[15:16]
	v_cndmask_b32_e64 v17, 0, 1, vcc_lo
	v_cmp_eq_u64_e32 vcc_lo, s[6:7], v[15:16]
	v_cndmask_b32_e64 v7, v17, v7, s1
	v_cndmask_b32_e64 v15, 0, 1, vcc_lo
	s_delay_alu instid0(VALU_DEP_2)
	v_and_b32_e32 v7, 1, v7
.LBB77_32:                              ;   in Loop: Header=BB77_30 Depth=1
	s_or_b32 exec_lo, exec_lo, s18
	ds_store_b32 v9, v7
	s_waitcnt lgkmcnt(0)
	s_waitcnt_vscnt null, 0x0
	s_barrier
	buffer_gl0_inv
	s_and_saveexec_b32 s18, s0
	s_cbranch_execz .LBB77_34
; %bb.33:                               ;   in Loop: Header=BB77_30 Depth=1
	ds_load_2addr_b32 v[16:17], v10 offset1:1
	ds_load_2addr_b32 v[18:19], v10 offset0:2 offset1:3
	ds_load_2addr_b32 v[20:21], v10 offset0:4 offset1:5
	ds_load_2addr_b32 v[22:23], v10 offset0:6 offset1:7
	v_cmp_ne_u32_e32 vcc_lo, 0, v12
	; wave barrier
	s_waitcnt lgkmcnt(3)
	v_add_nc_u32_e32 v17, v17, v16
	s_waitcnt lgkmcnt(2)
	s_delay_alu instid0(VALU_DEP_1) | instskip(SKIP_1) | instid1(VALU_DEP_1)
	v_add3_u32 v17, v17, v18, v19
	s_waitcnt lgkmcnt(1)
	v_add3_u32 v17, v17, v20, v21
	s_waitcnt lgkmcnt(0)
	s_delay_alu instid0(VALU_DEP_1) | instskip(NEXT) | instid1(VALU_DEP_1)
	v_add3_u32 v17, v17, v22, v23
	v_mov_b32_dpp v18, v17 row_shr:1 row_mask:0xf bank_mask:0xf
	s_delay_alu instid0(VALU_DEP_1) | instskip(SKIP_1) | instid1(VALU_DEP_2)
	v_cndmask_b32_e32 v18, 0, v18, vcc_lo
	v_cmp_lt_u32_e32 vcc_lo, 1, v12
	v_add_nc_u32_e32 v17, v18, v17
	s_delay_alu instid0(VALU_DEP_1) | instskip(NEXT) | instid1(VALU_DEP_1)
	v_mov_b32_dpp v18, v17 row_shr:2 row_mask:0xf bank_mask:0xf
	v_cndmask_b32_e32 v18, 0, v18, vcc_lo
	v_cmp_lt_u32_e32 vcc_lo, 3, v12
	s_delay_alu instid0(VALU_DEP_2) | instskip(NEXT) | instid1(VALU_DEP_1)
	v_add_nc_u32_e32 v17, v17, v18
	v_mov_b32_dpp v18, v17 row_shr:4 row_mask:0xf bank_mask:0xf
	s_delay_alu instid0(VALU_DEP_1) | instskip(SKIP_1) | instid1(VALU_DEP_2)
	v_cndmask_b32_e32 v18, 0, v18, vcc_lo
	v_cmp_lt_u32_e32 vcc_lo, 7, v12
	v_add_nc_u32_e32 v17, v17, v18
	s_delay_alu instid0(VALU_DEP_1) | instskip(NEXT) | instid1(VALU_DEP_1)
	v_mov_b32_dpp v18, v17 row_shr:8 row_mask:0xf bank_mask:0xf
	v_cndmask_b32_e32 v18, 0, v18, vcc_lo
	v_cmp_gt_i32_e32 vcc_lo, 0, v14
	v_cndmask_b32_e32 v19, v14, v8, vcc_lo
	s_delay_alu instid0(VALU_DEP_1) | instskip(NEXT) | instid1(VALU_DEP_4)
	v_lshlrev_b32_e32 v19, 2, v19
	v_add_nc_u32_e32 v17, v17, v18
	ds_swizzle_b32 v18, v17 offset:swizzle(BROADCAST,32,15)
	s_waitcnt lgkmcnt(0)
	v_and_b32_e32 v18, v13, v18
	s_delay_alu instid0(VALU_DEP_1) | instskip(SKIP_3) | instid1(VALU_DEP_1)
	v_add_nc_u32_e32 v17, v17, v18
	ds_bpermute_b32 v17, v19, v17
	s_waitcnt lgkmcnt(0)
	v_add_nc_u32_e32 v16, v17, v16
	v_cndmask_b32_e64 v22, v16, v7, s3
	ds_store_b32 v10, v22
	; wave barrier
	ds_load_2addr_b32 v[16:17], v10 offset0:1 offset1:2
	ds_load_2addr_b32 v[18:19], v10 offset0:3 offset1:4
	;; [unrolled: 1-line block ×3, first 2 shown]
	ds_load_b32 v23, v10 offset:28
	s_waitcnt lgkmcnt(3)
	v_add_nc_u32_e32 v16, v16, v22
	s_delay_alu instid0(VALU_DEP_1) | instskip(SKIP_1) | instid1(VALU_DEP_1)
	v_add_nc_u32_e32 v17, v17, v16
	s_waitcnt lgkmcnt(2)
	v_add_nc_u32_e32 v18, v18, v17
	s_delay_alu instid0(VALU_DEP_1) | instskip(SKIP_1) | instid1(VALU_DEP_1)
	v_add_nc_u32_e32 v19, v19, v18
	;; [unrolled: 4-line block ×3, first 2 shown]
	s_waitcnt lgkmcnt(0)
	v_add_nc_u32_e32 v22, v23, v21
	ds_store_2addr_b32 v10, v16, v17 offset0:1 offset1:2
	ds_store_2addr_b32 v10, v18, v19 offset0:3 offset1:4
	;; [unrolled: 1-line block ×3, first 2 shown]
	ds_store_b32 v10, v22 offset:28
.LBB77_34:                              ;   in Loop: Header=BB77_30 Depth=1
	s_or_b32 exec_lo, exec_lo, s18
	v_mov_b32_e32 v17, 0
	s_waitcnt lgkmcnt(0)
	s_barrier
	buffer_gl0_inv
	s_and_saveexec_b32 s18, s2
	s_cbranch_execz .LBB77_36
; %bb.35:                               ;   in Loop: Header=BB77_30 Depth=1
	ds_load_b32 v17, v11
.LBB77_36:                              ;   in Loop: Header=BB77_30 Depth=1
	s_or_b32 exec_lo, exec_lo, s18
	ds_load_b32 v16, v5 offset:1048
	s_mov_b32 s18, exec_lo
	s_waitcnt lgkmcnt(0)
	s_barrier
	buffer_gl0_inv
	v_cmpx_ne_u32_e32 0, v7
	s_cbranch_execz .LBB77_38
; %bb.37:                               ;   in Loop: Header=BB77_30 Depth=1
	v_add_nc_u32_e32 v7, v17, v3
	v_mov_b32_e32 v18, v5
	v_mov_b32_e32 v20, v5
	s_delay_alu instid0(VALU_DEP_3) | instskip(SKIP_2) | instid1(VALU_DEP_3)
	v_mul_lo_u32 v17, v7, s11
	v_mul_lo_u32 v19, v7, s4
	v_mov_b32_e32 v7, v5
	v_lshlrev_b64 v[17:18], 3, v[17:18]
	s_delay_alu instid0(VALU_DEP_3) | instskip(NEXT) | instid1(VALU_DEP_2)
	v_lshlrev_b64 v[19:20], 3, v[19:20]
	v_add_co_u32 v17, vcc_lo, s14, v17
	s_delay_alu instid0(VALU_DEP_3) | instskip(NEXT) | instid1(VALU_DEP_3)
	v_add_co_ci_u32_e32 v18, vcc_lo, s15, v18, vcc_lo
	v_add_co_u32 v19, vcc_lo, s16, v19
	s_delay_alu instid0(VALU_DEP_4)
	v_add_co_ci_u32_e32 v20, vcc_lo, s17, v20, vcc_lo
	global_store_b64 v[17:18], v[0:1], off
	global_store_b64 v[19:20], v[6:7], off
.LBB77_38:                              ;   in Loop: Header=BB77_30 Depth=1
	s_or_b32 exec_lo, exec_lo, s18
	v_cmp_le_u32_e32 vcc_lo, s9, v2
	s_cbranch_vccnz .LBB77_29
; %bb.39:                               ;   in Loop: Header=BB77_30 Depth=1
	ds_store_b32 v9, v15
	s_waitcnt lgkmcnt(0)
	s_waitcnt_vscnt null, 0x0
	s_barrier
	buffer_gl0_inv
	s_and_saveexec_b32 s18, s0
	s_cbranch_execz .LBB77_41
; %bb.40:                               ;   in Loop: Header=BB77_30 Depth=1
	ds_load_2addr_b32 v[17:18], v10 offset1:1
	ds_load_2addr_b32 v[19:20], v10 offset0:2 offset1:3
	ds_load_2addr_b32 v[21:22], v10 offset0:4 offset1:5
	;; [unrolled: 1-line block ×3, first 2 shown]
	v_cmp_ne_u32_e32 vcc_lo, 0, v12
	; wave barrier
	s_waitcnt lgkmcnt(3)
	v_add_nc_u32_e32 v7, v18, v17
	s_waitcnt lgkmcnt(2)
	s_delay_alu instid0(VALU_DEP_1) | instskip(SKIP_1) | instid1(VALU_DEP_1)
	v_add3_u32 v7, v7, v19, v20
	s_waitcnt lgkmcnt(1)
	v_add3_u32 v7, v7, v21, v22
	s_waitcnt lgkmcnt(0)
	s_delay_alu instid0(VALU_DEP_1) | instskip(NEXT) | instid1(VALU_DEP_1)
	v_add3_u32 v7, v7, v23, v24
	v_mov_b32_dpp v18, v7 row_shr:1 row_mask:0xf bank_mask:0xf
	s_delay_alu instid0(VALU_DEP_1) | instskip(SKIP_1) | instid1(VALU_DEP_2)
	v_cndmask_b32_e32 v18, 0, v18, vcc_lo
	v_cmp_lt_u32_e32 vcc_lo, 1, v12
	v_add_nc_u32_e32 v7, v18, v7
	s_delay_alu instid0(VALU_DEP_1) | instskip(NEXT) | instid1(VALU_DEP_1)
	v_mov_b32_dpp v18, v7 row_shr:2 row_mask:0xf bank_mask:0xf
	v_cndmask_b32_e32 v18, 0, v18, vcc_lo
	v_cmp_lt_u32_e32 vcc_lo, 3, v12
	s_delay_alu instid0(VALU_DEP_2) | instskip(NEXT) | instid1(VALU_DEP_1)
	v_add_nc_u32_e32 v7, v7, v18
	v_mov_b32_dpp v18, v7 row_shr:4 row_mask:0xf bank_mask:0xf
	s_delay_alu instid0(VALU_DEP_1) | instskip(SKIP_1) | instid1(VALU_DEP_2)
	v_cndmask_b32_e32 v18, 0, v18, vcc_lo
	v_cmp_lt_u32_e32 vcc_lo, 7, v12
	v_add_nc_u32_e32 v7, v7, v18
	s_delay_alu instid0(VALU_DEP_1) | instskip(NEXT) | instid1(VALU_DEP_1)
	v_mov_b32_dpp v18, v7 row_shr:8 row_mask:0xf bank_mask:0xf
	v_cndmask_b32_e32 v18, 0, v18, vcc_lo
	v_cmp_gt_i32_e32 vcc_lo, 0, v14
	v_cndmask_b32_e32 v19, v14, v8, vcc_lo
	s_delay_alu instid0(VALU_DEP_1) | instskip(NEXT) | instid1(VALU_DEP_4)
	v_lshlrev_b32_e32 v19, 2, v19
	v_add_nc_u32_e32 v7, v7, v18
	ds_swizzle_b32 v18, v7 offset:swizzle(BROADCAST,32,15)
	s_waitcnt lgkmcnt(0)
	v_and_b32_e32 v18, v13, v18
	s_delay_alu instid0(VALU_DEP_1) | instskip(SKIP_3) | instid1(VALU_DEP_1)
	v_add_nc_u32_e32 v7, v7, v18
	ds_bpermute_b32 v7, v19, v7
	s_waitcnt lgkmcnt(0)
	v_add_nc_u32_e32 v7, v7, v17
	v_cndmask_b32_e64 v7, v7, v15, s3
	ds_store_b32 v10, v7
	; wave barrier
	ds_load_2addr_b32 v[17:18], v10 offset0:1 offset1:2
	ds_load_2addr_b32 v[19:20], v10 offset0:3 offset1:4
	;; [unrolled: 1-line block ×3, first 2 shown]
	ds_load_b32 v23, v10 offset:28
	s_waitcnt lgkmcnt(3)
	v_add_nc_u32_e32 v7, v17, v7
	s_delay_alu instid0(VALU_DEP_1) | instskip(SKIP_1) | instid1(VALU_DEP_1)
	v_add_nc_u32_e32 v17, v18, v7
	s_waitcnt lgkmcnt(2)
	v_add_nc_u32_e32 v18, v19, v17
	s_delay_alu instid0(VALU_DEP_1) | instskip(SKIP_1) | instid1(VALU_DEP_1)
	v_add_nc_u32_e32 v19, v20, v18
	s_waitcnt lgkmcnt(1)
	v_add_nc_u32_e32 v20, v21, v19
	s_delay_alu instid0(VALU_DEP_1) | instskip(SKIP_1) | instid1(VALU_DEP_1)
	v_add_nc_u32_e32 v21, v22, v20
	s_waitcnt lgkmcnt(0)
	v_add_nc_u32_e32 v22, v23, v21
	ds_store_2addr_b32 v10, v7, v17 offset0:1 offset1:2
	ds_store_2addr_b32 v10, v18, v19 offset0:3 offset1:4
	;; [unrolled: 1-line block ×3, first 2 shown]
	ds_store_b32 v10, v22 offset:28
.LBB77_41:                              ;   in Loop: Header=BB77_30 Depth=1
	s_or_b32 exec_lo, exec_lo, s18
	v_mov_b32_e32 v7, 0
	s_waitcnt lgkmcnt(0)
	s_barrier
	buffer_gl0_inv
	s_and_saveexec_b32 s18, s2
	s_cbranch_execz .LBB77_43
; %bb.42:                               ;   in Loop: Header=BB77_30 Depth=1
	ds_load_b32 v7, v11
.LBB77_43:                              ;   in Loop: Header=BB77_30 Depth=1
	s_or_b32 exec_lo, exec_lo, s18
	ds_load_b32 v17, v5 offset:1048
	s_mov_b32 s18, exec_lo
	s_waitcnt lgkmcnt(0)
	s_barrier
	buffer_gl0_inv
	v_cmpx_ne_u32_e32 0, v15
	s_cbranch_execz .LBB77_28
; %bb.44:                               ;   in Loop: Header=BB77_30 Depth=1
	v_add_nc_u32_e32 v7, v7, v2
	s_delay_alu instid0(VALU_DEP_1)
	v_cmp_gt_u32_e32 vcc_lo, s9, v7
	s_and_b32 exec_lo, exec_lo, vcc_lo
	s_cbranch_execz .LBB77_28
; %bb.45:                               ;   in Loop: Header=BB77_30 Depth=1
	v_mul_lo_u32 v18, v7, s11
	v_mov_b32_e32 v19, v5
	v_mul_lo_u32 v20, v7, s4
	v_mov_b32_e32 v21, v5
	v_mov_b32_e32 v7, v5
	s_delay_alu instid0(VALU_DEP_4) | instskip(NEXT) | instid1(VALU_DEP_3)
	v_lshlrev_b64 v[18:19], 3, v[18:19]
	v_lshlrev_b64 v[20:21], 3, v[20:21]
	s_delay_alu instid0(VALU_DEP_2) | instskip(NEXT) | instid1(VALU_DEP_3)
	v_add_co_u32 v18, vcc_lo, s14, v18
	v_add_co_ci_u32_e32 v19, vcc_lo, s15, v19, vcc_lo
	s_delay_alu instid0(VALU_DEP_3) | instskip(NEXT) | instid1(VALU_DEP_4)
	v_add_co_u32 v20, vcc_lo, s16, v20
	v_add_co_ci_u32_e32 v21, vcc_lo, s17, v21, vcc_lo
	global_store_b64 v[18:19], v[0:1], off
	global_store_b64 v[20:21], v[6:7], off
	s_branch .LBB77_28
	.p2align	6
.LBB77_46:                              ;   in Loop: Header=BB77_47 Depth=1
	s_add_u32 s12, s12, 4
	s_addc_u32 s13, s13, 0
	s_waitcnt lgkmcnt(0)
	s_add_i32 s40, s9, s40
	s_add_u32 s14, s14, 4
	s_addc_u32 s15, s15, 0
	s_add_i32 s8, s8, 1
	s_delay_alu instid0(SALU_CYCLE_1)
	s_cmp_lt_u32 s8, s6
	s_cbranch_scc0 .LBB77_25
.LBB77_47:                              ; =>This Inner Loop Header: Depth=1
	s_load_b32 s9, s[12:13], 0x0
	s_cmp_ge_u32 s8, s7
	s_cbranch_scc1 .LBB77_46
; %bb.48:                               ;   in Loop: Header=BB77_47 Depth=1
	s_load_b32 s10, s[14:15], 0x0
	s_waitcnt lgkmcnt(0)
	s_add_i32 s19, s9, s19
	s_add_i32 s39, s10, s39
	s_branch .LBB77_46
.LBB77_49:
	s_nop 0
	s_sendmsg sendmsg(MSG_DEALLOC_VGPRS)
	s_endpgm
	.section	.rodata,"a",@progbits
	.p2align	6, 0x0
	.amdhsa_kernel _ZN2at6native6mbtopk10gatherTopKIdjLin1EEEvNS_4cuda6detail10TensorInfoIKT_T0_EES8_S8_bjS8_NS5_IS6_S8_EES8_NS5_IlS8_EES8_jjPS6_PjSD_j
		.amdhsa_group_segment_fixed_size 1068
		.amdhsa_private_segment_fixed_size 0
		.amdhsa_kernarg_size 984
		.amdhsa_user_sgpr_count 13
		.amdhsa_user_sgpr_dispatch_ptr 0
		.amdhsa_user_sgpr_queue_ptr 0
		.amdhsa_user_sgpr_kernarg_segment_ptr 1
		.amdhsa_user_sgpr_dispatch_id 0
		.amdhsa_user_sgpr_private_segment_size 0
		.amdhsa_wavefront_size32 1
		.amdhsa_uses_dynamic_stack 0
		.amdhsa_enable_private_segment 0
		.amdhsa_system_sgpr_workgroup_id_x 1
		.amdhsa_system_sgpr_workgroup_id_y 1
		.amdhsa_system_sgpr_workgroup_id_z 1
		.amdhsa_system_sgpr_workgroup_info 0
		.amdhsa_system_vgpr_workitem_id 0
		.amdhsa_next_free_vgpr 25
		.amdhsa_next_free_sgpr 44
		.amdhsa_reserve_vcc 1
		.amdhsa_float_round_mode_32 0
		.amdhsa_float_round_mode_16_64 0
		.amdhsa_float_denorm_mode_32 3
		.amdhsa_float_denorm_mode_16_64 3
		.amdhsa_dx10_clamp 1
		.amdhsa_ieee_mode 1
		.amdhsa_fp16_overflow 0
		.amdhsa_workgroup_processor_mode 1
		.amdhsa_memory_ordered 1
		.amdhsa_forward_progress 0
		.amdhsa_shared_vgpr_count 0
		.amdhsa_exception_fp_ieee_invalid_op 0
		.amdhsa_exception_fp_denorm_src 0
		.amdhsa_exception_fp_ieee_div_zero 0
		.amdhsa_exception_fp_ieee_overflow 0
		.amdhsa_exception_fp_ieee_underflow 0
		.amdhsa_exception_fp_ieee_inexact 0
		.amdhsa_exception_int_div_zero 0
	.end_amdhsa_kernel
	.section	.text._ZN2at6native6mbtopk10gatherTopKIdjLin1EEEvNS_4cuda6detail10TensorInfoIKT_T0_EES8_S8_bjS8_NS5_IS6_S8_EES8_NS5_IlS8_EES8_jjPS6_PjSD_j,"axG",@progbits,_ZN2at6native6mbtopk10gatherTopKIdjLin1EEEvNS_4cuda6detail10TensorInfoIKT_T0_EES8_S8_bjS8_NS5_IS6_S8_EES8_NS5_IlS8_EES8_jjPS6_PjSD_j,comdat
.Lfunc_end77:
	.size	_ZN2at6native6mbtopk10gatherTopKIdjLin1EEEvNS_4cuda6detail10TensorInfoIKT_T0_EES8_S8_bjS8_NS5_IS6_S8_EES8_NS5_IlS8_EES8_jjPS6_PjSD_j, .Lfunc_end77-_ZN2at6native6mbtopk10gatherTopKIdjLin1EEEvNS_4cuda6detail10TensorInfoIKT_T0_EES8_S8_bjS8_NS5_IS6_S8_EES8_NS5_IlS8_EES8_jjPS6_PjSD_j
                                        ; -- End function
	.section	.AMDGPU.csdata,"",@progbits
; Kernel info:
; codeLenInByte = 3348
; NumSgprs: 46
; NumVgprs: 25
; ScratchSize: 0
; MemoryBound: 0
; FloatMode: 240
; IeeeMode: 1
; LDSByteSize: 1068 bytes/workgroup (compile time only)
; SGPRBlocks: 5
; VGPRBlocks: 3
; NumSGPRsForWavesPerEU: 46
; NumVGPRsForWavesPerEU: 25
; Occupancy: 16
; WaveLimiterHint : 1
; COMPUTE_PGM_RSRC2:SCRATCH_EN: 0
; COMPUTE_PGM_RSRC2:USER_SGPR: 13
; COMPUTE_PGM_RSRC2:TRAP_HANDLER: 0
; COMPUTE_PGM_RSRC2:TGID_X_EN: 1
; COMPUTE_PGM_RSRC2:TGID_Y_EN: 1
; COMPUTE_PGM_RSRC2:TGID_Z_EN: 1
; COMPUTE_PGM_RSRC2:TIDIG_COMP_CNT: 0
	.section	.text._ZN2at6native6sbtopk10gatherTopKIdjLin1ELb0EEEvNS_4cuda6detail10TensorInfoIKT_T0_EES8_S8_bS8_S8_NS5_IS6_S8_EES8_NS5_IlS8_EES8_PS6_,"axG",@progbits,_ZN2at6native6sbtopk10gatherTopKIdjLin1ELb0EEEvNS_4cuda6detail10TensorInfoIKT_T0_EES8_S8_bS8_S8_NS5_IS6_S8_EES8_NS5_IlS8_EES8_PS6_,comdat
	.protected	_ZN2at6native6sbtopk10gatherTopKIdjLin1ELb0EEEvNS_4cuda6detail10TensorInfoIKT_T0_EES8_S8_bS8_S8_NS5_IS6_S8_EES8_NS5_IlS8_EES8_PS6_ ; -- Begin function _ZN2at6native6sbtopk10gatherTopKIdjLin1ELb0EEEvNS_4cuda6detail10TensorInfoIKT_T0_EES8_S8_bS8_S8_NS5_IS6_S8_EES8_NS5_IlS8_EES8_PS6_
	.globl	_ZN2at6native6sbtopk10gatherTopKIdjLin1ELb0EEEvNS_4cuda6detail10TensorInfoIKT_T0_EES8_S8_bS8_S8_NS5_IS6_S8_EES8_NS5_IlS8_EES8_PS6_
	.p2align	8
	.type	_ZN2at6native6sbtopk10gatherTopKIdjLin1ELb0EEEvNS_4cuda6detail10TensorInfoIKT_T0_EES8_S8_bS8_S8_NS5_IS6_S8_EES8_NS5_IlS8_EES8_PS6_,@function
_ZN2at6native6sbtopk10gatherTopKIdjLin1ELb0EEEvNS_4cuda6detail10TensorInfoIKT_T0_EES8_S8_bS8_S8_NS5_IS6_S8_EES8_NS5_IlS8_EES8_PS6_: ; @_ZN2at6native6sbtopk10gatherTopKIdjLin1ELb0EEEvNS_4cuda6detail10TensorInfoIKT_T0_EES8_S8_bS8_S8_NS5_IS6_S8_EES8_NS5_IlS8_EES8_PS6_
; %bb.0:
	s_clause 0x1
	s_load_b64 s[4:5], s[0:1], 0x2b8
	s_load_b128 s[36:39], s[0:1], 0xd8
	s_add_u32 s6, s0, 0x2b8
	s_addc_u32 s7, s1, 0
	s_waitcnt lgkmcnt(0)
	s_mul_i32 s2, s5, s15
	s_delay_alu instid0(SALU_CYCLE_1) | instskip(NEXT) | instid1(SALU_CYCLE_1)
	s_add_i32 s2, s2, s14
	s_mul_i32 s2, s2, s4
	s_delay_alu instid0(SALU_CYCLE_1) | instskip(NEXT) | instid1(SALU_CYCLE_1)
	s_add_i32 s48, s2, s13
	s_cmp_ge_u32 s48, s39
	s_cbranch_scc1 .LBB78_479
; %bb.1:
	s_clause 0x1
	s_load_b32 s5, s[0:1], 0xd0
	s_load_b32 s30, s[0:1], 0xe8
	s_mov_b32 s3, 0
	s_mov_b32 s2, s48
	s_waitcnt lgkmcnt(0)
	s_cmp_lt_i32 s5, 2
	s_cbranch_scc1 .LBB78_4
; %bb.2:
	s_add_i32 s2, s5, -1
	s_add_i32 s5, s5, 1
	s_lshl_b64 s[8:9], s[2:3], 2
	s_delay_alu instid0(SALU_CYCLE_1)
	s_add_u32 s2, s8, s0
	s_addc_u32 s9, s9, s1
	s_add_u32 s8, s2, 8
	s_addc_u32 s9, s9, 0
	s_mov_b32 s2, s48
	s_set_inst_prefetch_distance 0x1
	.p2align	6
.LBB78_3:                               ; =>This Inner Loop Header: Depth=1
	s_clause 0x1
	s_load_b32 s10, s[8:9], 0x0
	s_load_b32 s11, s[8:9], 0x64
	s_mov_b32 s15, s2
	s_waitcnt lgkmcnt(0)
	v_cvt_f32_u32_e32 v1, s10
	s_sub_i32 s14, 0, s10
	s_waitcnt_depctr 0xfff
	v_rcp_iflag_f32_e32 v1, v1
	s_waitcnt_depctr 0xfff
	v_mul_f32_e32 v1, 0x4f7ffffe, v1
	s_delay_alu instid0(VALU_DEP_1) | instskip(NEXT) | instid1(VALU_DEP_1)
	v_cvt_u32_f32_e32 v1, v1
	v_readfirstlane_b32 s12, v1
	s_delay_alu instid0(VALU_DEP_1) | instskip(NEXT) | instid1(SALU_CYCLE_1)
	s_mul_i32 s14, s14, s12
	s_mul_hi_u32 s14, s12, s14
	s_delay_alu instid0(SALU_CYCLE_1) | instskip(NEXT) | instid1(SALU_CYCLE_1)
	s_add_i32 s12, s12, s14
	s_mul_hi_u32 s2, s2, s12
	s_delay_alu instid0(SALU_CYCLE_1) | instskip(SKIP_2) | instid1(SALU_CYCLE_1)
	s_mul_i32 s12, s2, s10
	s_add_i32 s14, s2, 1
	s_sub_i32 s12, s15, s12
	s_sub_i32 s16, s12, s10
	s_cmp_ge_u32 s12, s10
	s_cselect_b32 s2, s14, s2
	s_cselect_b32 s12, s16, s12
	s_add_i32 s14, s2, 1
	s_cmp_ge_u32 s12, s10
	s_cselect_b32 s2, s14, s2
	s_add_i32 s5, s5, -1
	s_mul_i32 s10, s2, s10
	s_delay_alu instid0(SALU_CYCLE_1) | instskip(NEXT) | instid1(SALU_CYCLE_1)
	s_sub_i32 s10, s15, s10
	s_mul_i32 s10, s11, s10
	s_delay_alu instid0(SALU_CYCLE_1)
	s_add_i32 s3, s10, s3
	s_add_u32 s8, s8, -4
	s_addc_u32 s9, s9, -1
	s_cmp_gt_u32 s5, 2
	s_cbranch_scc1 .LBB78_3
.LBB78_4:
	s_set_inst_prefetch_distance 0x2
	s_load_b32 s5, s[0:1], 0x1c0
	s_add_u32 s8, s0, 0xf0
	s_addc_u32 s9, s1, 0
	s_mov_b32 s35, 0
	s_mov_b32 s49, s48
	s_waitcnt lgkmcnt(0)
	s_cmp_lt_i32 s5, 2
	s_cbranch_scc1 .LBB78_7
; %bb.5:
	s_add_i32 s34, s5, -1
	s_add_i32 s5, s5, 1
	s_lshl_b64 s[10:11], s[34:35], 2
	s_mov_b32 s49, s48
	s_add_u32 s10, s10, s8
	s_addc_u32 s11, s11, s9
	s_add_u32 s10, s10, 8
	s_addc_u32 s11, s11, 0
	s_set_inst_prefetch_distance 0x1
	.p2align	6
.LBB78_6:                               ; =>This Inner Loop Header: Depth=1
	s_clause 0x1
	s_load_b32 s12, s[10:11], 0x0
	s_load_b32 s14, s[10:11], 0x64
	s_mov_b32 s17, s49
	s_waitcnt lgkmcnt(0)
	v_cvt_f32_u32_e32 v1, s12
	s_sub_i32 s16, 0, s12
	s_waitcnt_depctr 0xfff
	v_rcp_iflag_f32_e32 v1, v1
	s_waitcnt_depctr 0xfff
	v_mul_f32_e32 v1, 0x4f7ffffe, v1
	s_delay_alu instid0(VALU_DEP_1) | instskip(NEXT) | instid1(VALU_DEP_1)
	v_cvt_u32_f32_e32 v1, v1
	v_readfirstlane_b32 s15, v1
	s_delay_alu instid0(VALU_DEP_1) | instskip(NEXT) | instid1(SALU_CYCLE_1)
	s_mul_i32 s16, s16, s15
	s_mul_hi_u32 s16, s15, s16
	s_delay_alu instid0(SALU_CYCLE_1) | instskip(NEXT) | instid1(SALU_CYCLE_1)
	s_add_i32 s15, s15, s16
	s_mul_hi_u32 s15, s49, s15
	s_delay_alu instid0(SALU_CYCLE_1) | instskip(SKIP_2) | instid1(SALU_CYCLE_1)
	s_mul_i32 s16, s15, s12
	s_add_i32 s18, s15, 1
	s_sub_i32 s16, s49, s16
	s_sub_i32 s19, s16, s12
	s_cmp_ge_u32 s16, s12
	s_cselect_b32 s15, s18, s15
	s_cselect_b32 s16, s19, s16
	s_add_i32 s18, s15, 1
	s_cmp_ge_u32 s16, s12
	s_cselect_b32 s49, s18, s15
	s_add_i32 s5, s5, -1
	s_mul_i32 s12, s49, s12
	s_delay_alu instid0(SALU_CYCLE_1) | instskip(NEXT) | instid1(SALU_CYCLE_1)
	s_sub_i32 s12, s17, s12
	s_mul_i32 s12, s14, s12
	s_delay_alu instid0(SALU_CYCLE_1)
	s_add_i32 s35, s12, s35
	s_add_u32 s10, s10, -4
	s_addc_u32 s11, s11, -1
	s_cmp_gt_u32 s5, 2
	s_cbranch_scc1 .LBB78_6
.LBB78_7:
	s_set_inst_prefetch_distance 0x2
	s_clause 0x1
	s_load_b32 s12, s[0:1], 0x6c
	s_load_b32 s5, s[0:1], 0x2a0
	s_add_u32 s10, s0, 0x1d0
	s_addc_u32 s11, s1, 0
	s_mov_b32 s41, 0
	s_waitcnt lgkmcnt(0)
	s_cmp_lt_i32 s5, 2
	s_cbranch_scc1 .LBB78_10
; %bb.8:
	s_add_i32 s40, s5, -1
	s_add_i32 s5, s5, 1
	s_lshl_b64 s[14:15], s[40:41], 2
	s_delay_alu instid0(SALU_CYCLE_1)
	s_add_u32 s10, s14, s10
	s_addc_u32 s11, s15, s11
	s_add_u32 s10, s10, 8
	s_addc_u32 s11, s11, 0
	s_set_inst_prefetch_distance 0x1
	.p2align	6
.LBB78_9:                               ; =>This Inner Loop Header: Depth=1
	s_clause 0x1
	s_load_b32 s14, s[10:11], 0x0
	s_load_b32 s15, s[10:11], 0x64
	s_mov_b32 s18, s48
	s_waitcnt lgkmcnt(0)
	v_cvt_f32_u32_e32 v1, s14
	s_sub_i32 s17, 0, s14
	s_waitcnt_depctr 0xfff
	v_rcp_iflag_f32_e32 v1, v1
	s_waitcnt_depctr 0xfff
	v_mul_f32_e32 v1, 0x4f7ffffe, v1
	s_delay_alu instid0(VALU_DEP_1) | instskip(NEXT) | instid1(VALU_DEP_1)
	v_cvt_u32_f32_e32 v1, v1
	v_readfirstlane_b32 s16, v1
	s_delay_alu instid0(VALU_DEP_1) | instskip(NEXT) | instid1(SALU_CYCLE_1)
	s_mul_i32 s17, s17, s16
	s_mul_hi_u32 s17, s16, s17
	s_delay_alu instid0(SALU_CYCLE_1) | instskip(NEXT) | instid1(SALU_CYCLE_1)
	s_add_i32 s16, s16, s17
	s_mul_hi_u32 s16, s48, s16
	s_delay_alu instid0(SALU_CYCLE_1) | instskip(SKIP_2) | instid1(SALU_CYCLE_1)
	s_mul_i32 s17, s16, s14
	s_add_i32 s19, s16, 1
	s_sub_i32 s17, s48, s17
	s_sub_i32 s20, s17, s14
	s_cmp_ge_u32 s17, s14
	s_cselect_b32 s16, s19, s16
	s_cselect_b32 s17, s20, s17
	s_add_i32 s19, s16, 1
	s_cmp_ge_u32 s17, s14
	s_cselect_b32 s48, s19, s16
	s_add_i32 s5, s5, -1
	s_mul_i32 s14, s48, s14
	s_delay_alu instid0(SALU_CYCLE_1) | instskip(NEXT) | instid1(SALU_CYCLE_1)
	s_sub_i32 s14, s18, s14
	s_mul_i32 s14, s15, s14
	s_delay_alu instid0(SALU_CYCLE_1)
	s_add_i32 s41, s14, s41
	s_add_u32 s10, s10, -4
	s_addc_u32 s11, s11, -1
	s_cmp_gt_u32 s5, 2
	s_cbranch_scc1 .LBB78_9
.LBB78_10:
	s_set_inst_prefetch_distance 0x2
	s_clause 0x3
	s_load_b32 s50, s[8:9], 0x6c
	s_load_b64 s[8:9], s[0:1], 0x0
	s_load_b64 s[44:45], s[0:1], 0xf0
	;; [unrolled: 1-line block ×3, first 2 shown]
	v_cmp_eq_u32_e64 s5, 0, v0
	s_mov_b32 s47, 0
	s_delay_alu instid0(VALU_DEP_1)
	s_and_saveexec_b32 s10, s5
	s_cbranch_execz .LBB78_12
; %bb.11:
	v_dual_mov_b32 v1, 0 :: v_dual_mov_b32 v2, s36
	s_delay_alu instid0(VALU_DEP_1)
	v_mov_b32_e32 v3, v1
	ds_store_b96 v1, v[1:3] offset:4096
.LBB78_12:
	s_or_b32 exec_lo, exec_lo, s10
	s_waitcnt lgkmcnt(0)
	s_barrier
	buffer_gl0_inv
	s_load_b32 s14, s[6:7], 0xc
	s_mul_i32 s2, s12, s2
	v_mbcnt_lo_u32_b32 v28, -1, 0
	s_add_i32 s46, s2, s3
	v_cmp_gt_u32_e32 vcc_lo, 32, v0
	s_lshl_b64 s[10:11], s[46:47], 3
	v_mul_lo_u32 v13, v0, s30
	s_add_u32 s31, s8, s10
	s_addc_u32 s33, s9, s11
	s_bitcmp1_b32 s38, 0
	v_cmp_gt_i32_e64 s2, 4, v28
	s_cselect_b32 s3, -1, 0
	v_mov_b32_e32 v21, 0
	s_xor_b32 s52, s3, -1
	v_lshlrev_b32_e32 v36, 2, v13
	s_and_b32 s51, vcc_lo, s2
	s_load_b32 s46, s[0:1], 0x23c
	v_dual_mov_b32 v5, 0 :: v_dual_lshlrev_b32 v38, 5, v0
	v_lshl_or_b32 v39, v28, 2, 0xc00
	s_waitcnt lgkmcnt(0)
	s_and_b32 s34, s14, 0xffff
	s_bfe_u32 s2, s14, 0xb0005
	s_lshl_b32 s53, s34, 2
	s_cmpk_gt_u32 s36, 0x180
	v_cvt_f32_u32_e32 v1, s53
	s_cselect_b32 s54, -1, 0
	s_cmp_gt_u32 s34, 31
	v_cvt_f32_u32_e32 v2, s34
	s_cselect_b32 s55, -1, 0
	v_rcp_iflag_f32_e32 v1, v1
	s_add_i32 s56, s34, -1
	v_mov_b32_e32 v40, s37
	s_add_i32 s9, s56, s36
	s_cmp_lt_u32 s13, s4
	v_rcp_iflag_f32_e32 v2, v2
	s_cselect_b32 s8, 12, 18
	v_lshlrev_b32_e32 v30, 3, v0
	s_add_u32 s38, s6, s8
	s_addc_u32 s39, s7, 0
	s_waitcnt_depctr 0xfff
	v_mul_f32_e32 v1, 0x4f7ffffe, v1
	s_add_i32 s6, s2, -1
	s_bfe_u32 s57, s34, 0x30005
	s_cmp_gt_u32 s6, 6
	v_dual_mul_f32 v2, 0x4f7ffffe, v2 :: v_dual_lshlrev_b32 v29, 2, v0
	v_cvt_u32_f32_e32 v1, v1
	s_cselect_b32 s58, -1, 0
	s_and_b32 s59, s2, 0x7f8
	s_cmp_lg_u32 s57, 0
	v_dual_mov_b32 v15, 0 :: v_dual_add_nc_u32 v32, 0xc00, v30
	v_readfirstlane_b32 s2, v1
	s_cselect_b32 s60, -1, 0
	s_sub_i32 s6, 0, s53
	v_cvt_u32_f32_e32 v2, v2
	v_lshrrev_b32_e32 v1, 3, v0
	s_mul_i32 s6, s6, s2
	v_mov_b32_e32 v14, v15
	s_mul_hi_u32 s7, s2, s6
	v_mad_u64_u32 v[18:19], null, s30, v29, s[30:31]
	v_and_b32_e32 v31, 0x7c, v1
	s_add_i32 s61, s2, s7
	v_cmp_gt_u32_e64 s4, s36, v0
	s_mul_hi_u32 s2, s36, s61
	v_cmp_gt_u32_e64 s6, 2, v0
	s_mul_i32 s7, s2, s53
	v_cmp_eq_u32_e64 s2, 0, v28
	s_sub_i32 s7, s36, s7
	s_mul_i32 s40, s30, s34
	s_sub_i32 s8, s7, s53
	s_cmp_ge_u32 s7, s53
	s_mov_b32 s74, 62
	s_cselect_b32 s7, s8, s7
	v_readfirstlane_b32 s8, v2
	s_sub_i32 s10, s7, s53
	s_cmp_ge_u32 s7, s53
	v_lshlrev_b64 v[1:2], v28, -1
	s_cselect_b32 s10, s10, s7
	v_lshlrev_b64 v[2:3], 3, v[13:14]
	s_sub_i32 s62, s36, s10
	s_delay_alu instid0(SALU_CYCLE_1)
	v_dual_mov_b32 v22, 0 :: v_dual_add_nc_u32 v33, s62, v0
	s_sub_i32 s7, 0, s34
	v_not_b32_e32 v27, v1
	s_mul_i32 s7, s7, s8
	v_add_co_u32 v11, vcc_lo, s31, v2
	v_mul_lo_u32 v14, v33, s30
	s_mul_hi_u32 s7, s8, s7
	v_add_co_ci_u32_e32 v12, vcc_lo, s33, v3, vcc_lo
	s_add_i32 s63, s8, s7
	v_or_b32_e32 v3, 3, v29
	s_mul_hi_u32 s7, s9, s63
	v_dual_mov_b32 v6, 0 :: v_dual_mov_b32 v19, v21
	s_delay_alu instid0(VALU_DEP_4)
	v_lshlrev_b64 v[1:2], 3, v[14:15]
	s_mul_i32 s7, s7, s34
	v_mul_lo_u32 v35, s30, v3
	s_sub_i32 s7, s9, s7
	v_mov_b32_e32 v20, v22
	s_sub_i32 s8, s7, s34
	v_add_co_u32 v16, vcc_lo, s31, v1
	v_add3_u32 v1, s34, s36, v0
	s_cmp_ge_u32 s7, s34
	v_add_co_ci_u32_e32 v17, vcc_lo, s33, v2, vcc_lo
	s_cselect_b32 s8, s8, s7
	v_or_b32_e32 v2, 2, v29
	v_subrev_nc_u32_e32 v1, s10, v1
	s_sub_i32 s11, s8, s34
	s_cmp_ge_u32 s8, s34
	v_cmp_gt_u32_e64 s7, s62, v29
	s_cselect_b32 s11, s11, s8
	v_mul_lo_u32 v34, s30, v2
	v_mul_lo_u32 v37, s30, v1
	s_sub_i32 s64, s9, s11
	v_cmp_gt_u32_e64 s8, s36, v33
	v_cmp_gt_u32_e64 s9, s64, v0
	v_mov_b32_e32 v2, 0x3ff00000
	s_lshl_b32 s65, s40, 2
	s_lshl_b32 s66, s34, 5
	;; [unrolled: 1-line block ×3, first 2 shown]
	s_mov_b32 s69, 0
                                        ; implicit-def: $sgpr68
                                        ; implicit-def: $sgpr72
                                        ; implicit-def: $sgpr71
                                        ; implicit-def: $sgpr73
                                        ; implicit-def: $sgpr70
                                        ; implicit-def: $sgpr75
                                        ; implicit-def: $sgpr77
                                        ; implicit-def: $sgpr76
                                        ; implicit-def: $sgpr78
                                        ; implicit-def: $sgpr79
	s_branch .LBB78_15
.LBB78_13:                              ;   in Loop: Header=BB78_15 Depth=1
	s_or_b32 exec_lo, exec_lo, s13
	v_dual_mov_b32 v19, v25 :: v_dual_mov_b32 v20, v26
	v_dual_mov_b32 v21, v23 :: v_dual_mov_b32 v22, v24
	v_mov_b32_e32 v40, v41
	v_dual_mov_b32 v5, v9 :: v_dual_mov_b32 v6, v10
	s_and_not1_b32 s13, s79, exec_lo
	s_and_b32 s12, s12, exec_lo
	s_and_not1_b32 s78, s78, exec_lo
	s_or_b32 s79, s13, s12
	s_and_not1_b32 s76, s76, exec_lo
	s_and_not1_b32 s77, s77, exec_lo
	;; [unrolled: 1-line block ×3, first 2 shown]
	s_or_not1_b32 s12, s11, exec_lo
.LBB78_14:                              ;   in Loop: Header=BB78_15 Depth=1
	s_or_b32 exec_lo, exec_lo, s10
	s_delay_alu instid0(SALU_CYCLE_1) | instskip(NEXT) | instid1(SALU_CYCLE_1)
	s_and_b32 s10, exec_lo, s12
	s_or_b32 s47, s10, s47
	s_and_not1_b32 s10, s70, exec_lo
	s_and_b32 s11, s79, exec_lo
	s_and_not1_b32 s12, s73, exec_lo
	s_or_b32 s70, s10, s11
	s_and_b32 s10, s78, exec_lo
	s_and_not1_b32 s11, s71, exec_lo
	s_and_b32 s13, s76, exec_lo
	s_or_b32 s73, s12, s10
	s_or_b32 s71, s11, s13
	s_and_not1_b32 s10, s72, exec_lo
	s_and_b32 s11, s77, exec_lo
	s_and_not1_b32 s12, s68, exec_lo
	s_and_b32 s13, s75, exec_lo
	s_or_b32 s72, s10, s11
	s_or_b32 s68, s12, s13
	s_and_not1_b32 exec_lo, exec_lo, s47
	s_cbranch_execz .LBB78_415
.LBB78_15:                              ; =>This Loop Header: Depth=1
                                        ;     Child Loop BB78_23 Depth 2
                                        ;     Child Loop BB78_38 Depth 2
	;; [unrolled: 1-line block ×24, first 2 shown]
	ds_load_b64 v[3:4], v15 offset:4096
	s_waitcnt lgkmcnt(0)
	v_readfirstlane_b32 s80, v3
	s_delay_alu instid0(VALU_DEP_1)
	s_cmp_lg_u32 s80, 0
	s_cbranch_scc1 .LBB78_45
; %bb.16:                               ;   in Loop: Header=BB78_15 Depth=1
	s_and_b32 vcc_lo, exec_lo, s54
	s_cbranch_vccz .LBB78_31
; %bb.17:                               ;   in Loop: Header=BB78_15 Depth=1
	v_cmp_gt_u32_e32 vcc_lo, 0x181, v4
	s_mov_b32 s80, 0
	s_mov_b32 s10, 0
	s_cbranch_vccz .LBB78_32
; %bb.18:                               ;   in Loop: Header=BB78_15 Depth=1
	v_mov_b32_e32 v3, 0
	v_mov_b32_e32 v4, 0
	s_and_saveexec_b32 s10, s4
	s_cbranch_execz .LBB78_20
; %bb.19:                               ;   in Loop: Header=BB78_15 Depth=1
	global_load_b64 v[3:4], v[11:12], off
.LBB78_20:                              ;   in Loop: Header=BB78_15 Depth=1
	s_or_b32 exec_lo, exec_lo, s10
	s_and_saveexec_b32 s12, s4
	s_cbranch_execz .LBB78_96
; %bb.21:                               ;   in Loop: Header=BB78_15 Depth=1
	global_load_u16 v1, v15, s[38:39]
	v_mov_b32_e32 v10, v0
	s_mov_b32 s13, 0
	s_waitcnt vmcnt(0)
	v_add_nc_u32_e32 v7, v0, v1
	v_mul_lo_u32 v9, s30, v1
	s_delay_alu instid0(VALU_DEP_2)
	v_mul_lo_u32 v14, s30, v7
	s_branch .LBB78_23
.LBB78_22:                              ;   in Loop: Header=BB78_23 Depth=2
	s_or_b32 exec_lo, exec_lo, s11
	s_waitcnt vmcnt(0)
	v_dual_mov_b32 v3, v7 :: v_dual_add_nc_u32 v14, v14, v9
	v_mov_b32_e32 v4, v8
	s_and_not1_b32 exec_lo, exec_lo, s13
	s_cbranch_execz .LBB78_96
.LBB78_23:                              ;   Parent Loop BB78_15 Depth=1
                                        ; =>  This Inner Loop Header: Depth=2
	v_dual_mov_b32 v7, 0 :: v_dual_add_nc_u32 v10, v10, v1
	v_mov_b32_e32 v8, 0
	s_mov_b32 s11, exec_lo
	s_delay_alu instid0(VALU_DEP_2)
	v_cmp_le_u32_e32 vcc_lo, s36, v10
	v_cmpx_gt_u32_e64 s36, v10
	s_cbranch_execz .LBB78_25
; %bb.24:                               ;   in Loop: Header=BB78_23 Depth=2
	v_lshlrev_b64 v[7:8], 3, v[14:15]
	s_delay_alu instid0(VALU_DEP_1) | instskip(NEXT) | instid1(VALU_DEP_1)
	v_add_co_u32 v7, s10, s31, v7
	v_add_co_ci_u32_e64 v8, s10, s33, v8, s10
	global_load_b64 v[7:8], v[7:8], off
.LBB78_25:                              ;   in Loop: Header=BB78_23 Depth=2
	s_or_b32 exec_lo, exec_lo, s11
	v_cmp_o_f64_e64 s10, v[3:4], v[3:4]
	s_waitcnt lgkmcnt(0)
	v_ashrrev_i32_e32 v23, 31, v4
	s_delay_alu instid0(VALU_DEP_1) | instskip(SKIP_1) | instid1(VALU_DEP_2)
	v_or_b32_e32 v24, 0x80000000, v23
	v_xor_b32_e32 v23, v23, v3
	v_xor_b32_e32 v24, v24, v4
	s_delay_alu instid0(VALU_DEP_1) | instskip(NEXT) | instid1(VALU_DEP_3)
	v_cndmask_b32_e64 v24, -1, v24, s10
	v_cndmask_b32_e64 v23, -1, v23, s10
	s_delay_alu instid0(VALU_DEP_2) | instskip(NEXT) | instid1(VALU_DEP_2)
	v_and_b32_e32 v24, v24, v20
	v_and_b32_e32 v23, v23, v19
	s_delay_alu instid0(VALU_DEP_1) | instskip(SKIP_1) | instid1(VALU_DEP_2)
	v_cmp_eq_u64_e64 s10, v[23:24], v[21:22]
	v_mov_b32_e32 v23, 0
	s_cmp_lg_u32 s10, 0
	s_cselect_b32 s11, -1, 0
	s_delay_alu instid0(SALU_CYCLE_1) | instskip(NEXT) | instid1(SALU_CYCLE_1)
	s_and_b32 s11, s2, s11
	s_and_saveexec_b32 s14, s11
	s_cbranch_execz .LBB78_29
; %bb.26:                               ;   in Loop: Header=BB78_23 Depth=2
	s_mov_b32 s17, exec_lo
	s_bcnt1_i32_b32 s15, s10
	v_mbcnt_lo_u32_b32 v23, s17, 0
	s_mov_b32 s16, exec_lo
                                        ; implicit-def: $vgpr24
	s_delay_alu instid0(VALU_DEP_1)
	v_cmpx_eq_u32_e32 0, v23
	s_cbranch_execz .LBB78_28
; %bb.27:                               ;   in Loop: Header=BB78_23 Depth=2
	s_bcnt1_i32_b32 s11, s17
	s_delay_alu instid0(SALU_CYCLE_1) | instskip(NEXT) | instid1(SALU_CYCLE_1)
	s_mul_i32 s11, s15, s11
	v_mov_b32_e32 v24, s11
	ds_add_rtn_u32 v24, v15, v24 offset:4104
.LBB78_28:                              ;   in Loop: Header=BB78_23 Depth=2
	s_or_b32 exec_lo, exec_lo, s16
	s_waitcnt lgkmcnt(0)
	v_readfirstlane_b32 s11, v24
	s_delay_alu instid0(VALU_DEP_1)
	v_mad_u32_u24 v23, s15, v23, s11
.LBB78_29:                              ;   in Loop: Header=BB78_23 Depth=2
	s_or_b32 exec_lo, exec_lo, s14
	ds_bpermute_b32 v23, v15, v23
	s_and_b32 s11, exec_lo, vcc_lo
	s_delay_alu instid0(SALU_CYCLE_1)
	s_or_b32 s13, s11, s13
	s_and_saveexec_b32 s11, s10
	s_cbranch_execz .LBB78_22
; %bb.30:                               ;   in Loop: Header=BB78_23 Depth=2
	v_and_b32_e32 v24, s10, v27
	s_delay_alu instid0(VALU_DEP_1) | instskip(NEXT) | instid1(VALU_DEP_1)
	v_bcnt_u32_b32 v24, v24, 0
	v_lshlrev_b32_e32 v24, 3, v24
	s_waitcnt lgkmcnt(0)
	s_delay_alu instid0(VALU_DEP_1)
	v_lshl_add_u32 v23, v23, 3, v24
	ds_store_b64 v23, v[3:4]
	s_branch .LBB78_22
.LBB78_31:                              ;   in Loop: Header=BB78_15 Depth=1
	s_mov_b32 s80, -1
	s_mov_b32 s10, 0
.LBB78_32:                              ;   in Loop: Header=BB78_15 Depth=1
	s_and_b32 vcc_lo, exec_lo, s80
	s_cbranch_vccz .LBB78_43
.LBB78_33:                              ;   in Loop: Header=BB78_15 Depth=1
	v_mov_b32_e32 v3, 0
	v_mov_b32_e32 v4, 0
	s_and_saveexec_b32 s10, s4
	s_cbranch_execz .LBB78_35
; %bb.34:                               ;   in Loop: Header=BB78_15 Depth=1
	global_load_b64 v[3:4], v[11:12], off
.LBB78_35:                              ;   in Loop: Header=BB78_15 Depth=1
	s_or_b32 exec_lo, exec_lo, s10
	s_and_saveexec_b32 s11, s4
	s_cbranch_execz .LBB78_40
; %bb.36:                               ;   in Loop: Header=BB78_15 Depth=1
	global_load_u16 v1, v15, s[38:39]
	v_mov_b32_e32 v24, v0
	s_mov_b32 s12, 0
	v_mov_b32_e32 v23, v30
	s_waitcnt vmcnt(0)
	v_add_nc_u32_e32 v7, v0, v1
	v_mul_lo_u32 v9, s30, v1
	v_lshlrev_b32_e32 v10, 3, v1
	s_delay_alu instid0(VALU_DEP_3)
	v_mul_lo_u32 v14, s30, v7
	s_set_inst_prefetch_distance 0x1
	s_branch .LBB78_38
	.p2align	6
.LBB78_37:                              ;   in Loop: Header=BB78_38 Depth=2
	s_or_b32 exec_lo, exec_lo, s13
	ds_store_b64 v23, v[3:4]
	s_waitcnt vmcnt(0)
	v_dual_mov_b32 v3, v7 :: v_dual_add_nc_u32 v14, v14, v9
	v_dual_mov_b32 v4, v8 :: v_dual_add_nc_u32 v23, v23, v10
	s_and_b32 s10, exec_lo, vcc_lo
	s_delay_alu instid0(SALU_CYCLE_1) | instskip(NEXT) | instid1(SALU_CYCLE_1)
	s_or_b32 s12, s10, s12
	s_and_not1_b32 exec_lo, exec_lo, s12
	s_cbranch_execz .LBB78_40
.LBB78_38:                              ;   Parent Loop BB78_15 Depth=1
                                        ; =>  This Inner Loop Header: Depth=2
	v_dual_mov_b32 v7, 0 :: v_dual_add_nc_u32 v24, v24, v1
	v_mov_b32_e32 v8, 0
	s_mov_b32 s13, exec_lo
	s_delay_alu instid0(VALU_DEP_2)
	v_cmp_le_u32_e32 vcc_lo, s36, v24
	v_cmpx_gt_u32_e64 s36, v24
	s_cbranch_execz .LBB78_37
; %bb.39:                               ;   in Loop: Header=BB78_38 Depth=2
	v_lshlrev_b64 v[7:8], 3, v[14:15]
	s_delay_alu instid0(VALU_DEP_1) | instskip(NEXT) | instid1(VALU_DEP_1)
	v_add_co_u32 v7, s10, s31, v7
	v_add_co_ci_u32_e64 v8, s10, s33, v8, s10
	global_load_b64 v[7:8], v[7:8], off
	s_branch .LBB78_37
.LBB78_40:                              ;   in Loop: Header=BB78_15 Depth=1
	s_set_inst_prefetch_distance 0x2
	s_or_b32 exec_lo, exec_lo, s11
	s_waitcnt vmcnt(0) lgkmcnt(0)
	s_barrier
	buffer_gl0_inv
	s_and_saveexec_b32 s10, s5
	s_cbranch_execz .LBB78_42
; %bb.41:                               ;   in Loop: Header=BB78_15 Depth=1
	v_mov_b32_e32 v1, s36
	ds_store_b32 v15, v1 offset:4096
.LBB78_42:                              ;   in Loop: Header=BB78_15 Depth=1
	s_or_b32 exec_lo, exec_lo, s10
	s_mov_b32 s10, -1
	s_waitcnt lgkmcnt(0)
	s_barrier
                                        ; implicit-def: $sgpr80
.LBB78_43:                              ;   in Loop: Header=BB78_15 Depth=1
	s_and_b32 vcc_lo, exec_lo, s10
	s_cbranch_vccz .LBB78_45
; %bb.44:                               ;   in Loop: Header=BB78_15 Depth=1
	buffer_gl0_inv
	ds_load_b32 v1, v15 offset:4096
	s_waitcnt lgkmcnt(0)
	v_readfirstlane_b32 s80, v1
.LBB78_45:                              ;   in Loop: Header=BB78_15 Depth=1
	s_delay_alu instid0(VALU_DEP_1)
	s_cmp_lt_i32 s80, 1
	s_cbranch_scc0 .LBB78_57
; %bb.46:                               ;   in Loop: Header=BB78_15 Depth=1
	v_dual_mov_b32 v7, 0 :: v_dual_mov_b32 v8, 0
	v_dual_mov_b32 v9, 0 :: v_dual_mov_b32 v10, 0
	s_mov_b32 s25, 0
	s_and_saveexec_b32 s24, s7
	s_cbranch_execz .LBB78_50
; %bb.47:                               ;   in Loop: Header=BB78_15 Depth=1
	v_mov_b32_e32 v1, v29
	s_and_b32 s26, s74, 0xfe
	s_mov_b32 s27, 0
	s_mov_b32 s28, 0
	;; [unrolled: 1-line block ×5, first 2 shown]
.LBB78_48:                              ;   Parent Loop BB78_15 Depth=1
                                        ; =>  This Inner Loop Header: Depth=2
	v_dual_mov_b32 v25, v15 :: v_dual_add_nc_u32 v14, s27, v36
	v_dual_mov_b32 v42, v15 :: v_dual_add_nc_u32 v1, s53, v1
	s_delay_alu instid0(VALU_DEP_2) | instskip(SKIP_1) | instid1(VALU_DEP_1)
	v_lshlrev_b64 v[3:4], 3, v[14:15]
	v_add_nc_u32_e32 v14, s27, v18
	v_lshlrev_b64 v[7:8], 3, v[14:15]
	v_add_nc_u32_e32 v14, s27, v34
	s_delay_alu instid0(VALU_DEP_4) | instskip(SKIP_1) | instid1(VALU_DEP_3)
	v_add_co_u32 v3, vcc_lo, s31, v3
	v_add_co_ci_u32_e32 v4, vcc_lo, s33, v4, vcc_lo
	v_lshlrev_b64 v[9:10], 3, v[14:15]
	v_add_nc_u32_e32 v14, s27, v35
	v_add_co_u32 v7, vcc_lo, s31, v7
	global_load_b64 v[3:4], v[3:4], off
	v_add_co_ci_u32_e32 v8, vcc_lo, s33, v8, vcc_lo
	v_lshlrev_b64 v[23:24], 3, v[14:15]
	v_add_co_u32 v9, vcc_lo, s31, v9
	v_add_co_ci_u32_e32 v10, vcc_lo, s33, v10, vcc_lo
	s_clause 0x1
	global_load_b64 v[7:8], v[7:8], off
	global_load_b64 v[9:10], v[9:10], off
	v_add_co_u32 v23, vcc_lo, s31, v23
	v_add_co_ci_u32_e32 v24, vcc_lo, s33, v24, vcc_lo
	v_cmp_le_u32_e32 vcc_lo, s62, v1
	s_add_i32 s27, s27, s65
	global_load_b64 v[23:24], v[23:24], off
	s_waitcnt vmcnt(3)
	v_cmp_o_f64_e64 s10, v[3:4], v[3:4]
	v_ashrrev_i32_e32 v14, 31, v4
	s_delay_alu instid0(VALU_DEP_1)
	v_or_b32_e32 v41, 0x80000000, v14
	v_xor_b32_e32 v14, v14, v3
	s_waitcnt vmcnt(2)
	v_cmp_o_f64_e64 s11, v[7:8], v[7:8]
	s_waitcnt vmcnt(1)
	v_cmp_o_f64_e64 s12, v[9:10], v[9:10]
	v_xor_b32_e32 v41, v41, v4
	v_ashrrev_i32_e32 v44, 31, v10
	v_ashrrev_i32_e32 v43, 31, v8
	s_delay_alu instid0(VALU_DEP_2) | instskip(SKIP_2) | instid1(VALU_DEP_3)
	v_or_b32_e32 v3, 0x80000000, v44
	s_waitcnt vmcnt(0)
	v_cmp_o_f64_e64 s13, v[23:24], v[23:24]
	v_or_b32_e32 v45, 0x80000000, v43
	v_xor_b32_e32 v43, v43, v7
	v_xor_b32_e32 v47, v44, v9
	;; [unrolled: 1-line block ×3, first 2 shown]
	s_delay_alu instid0(VALU_DEP_4) | instskip(SKIP_2) | instid1(VALU_DEP_2)
	v_xor_b32_e32 v45, v45, v8
	v_cndmask_b32_e64 v4, -1, v41, s10
	v_ashrrev_i32_e32 v41, 31, v24
	v_and_b32_e32 v10, v4, v20
	s_delay_alu instid0(VALU_DEP_2) | instskip(SKIP_3) | instid1(VALU_DEP_4)
	v_or_b32_e32 v7, 0x80000000, v41
	v_xor_b32_e32 v41, v41, v23
	v_cndmask_b32_e64 v8, -1, v45, s11
	v_cndmask_b32_e64 v23, -1, v47, s12
	v_xor_b32_e32 v7, v7, v24
	v_cndmask_b32_e64 v24, -1, v3, s12
	v_cndmask_b32_e64 v3, -1, v14, s10
	v_and_b32_e32 v44, v8, v20
	v_and_b32_e32 v47, v23, v19
	s_delay_alu instid0(VALU_DEP_4) | instskip(NEXT) | instid1(VALU_DEP_4)
	v_and_b32_e32 v48, v24, v20
	v_and_b32_e32 v9, v3, v19
	v_lshrrev_b64 v[3:4], s26, v[3:4]
	v_cndmask_b32_e64 v46, -1, v7, s13
	v_cndmask_b32_e64 v7, -1, v43, s11
	;; [unrolled: 1-line block ×3, first 2 shown]
	v_cmp_eq_u64_e64 s10, v[9:10], v[21:22]
	v_cmp_eq_u64_e64 s16, v[47:48], v[21:22]
	v_and_b32_e32 v14, 3, v3
	v_and_b32_e32 v43, v7, v19
	v_lshrrev_b64 v[7:8], s26, v[7:8]
	v_lshrrev_b64 v[3:4], s26, v[23:24]
	v_dual_mov_b32 v26, v15 :: v_dual_and_b32 v49, v46, v20
	v_cmp_eq_u64_e64 s12, 0, v[14:15]
	v_cmp_eq_u64_e64 s13, 1, v[14:15]
	v_and_b32_e32 v24, 3, v7
	v_cmp_eq_u64_e64 s14, 2, v[14:15]
	v_cmp_eq_u64_e64 s15, 3, v[14:15]
	;; [unrolled: 1-line block ×3, first 2 shown]
	s_and_b32 s12, s10, s12
	v_and_b32_e32 v41, 3, v3
	v_cmp_eq_u64_e64 s17, 0, v[24:25]
	v_cmp_eq_u64_e64 s18, 1, v[24:25]
	;; [unrolled: 1-line block ×3, first 2 shown]
	v_lshrrev_b64 v[7:8], s26, v[45:46]
	v_cndmask_b32_e64 v3, 0, 1, s12
	s_and_b32 s12, s10, s13
	v_cmp_eq_u64_e64 s20, 3, v[24:25]
	v_cndmask_b32_e64 v4, 0, 1, s12
	s_and_b32 s12, s10, s14
	s_and_b32 s10, s10, s15
	v_cndmask_b32_e64 v8, 0, 1, s12
	v_cmp_eq_u64_e64 s12, 0, v[41:42]
	v_cmp_eq_u64_e64 s13, 1, v[41:42]
	v_cndmask_b32_e64 v9, 0, 1, s10
	s_and_b32 s17, s11, s17
	s_and_b32 s18, s11, s18
	s_and_b32 s19, s11, s19
	v_and_b32_e32 v48, v45, v19
	v_and_b32_e32 v25, 3, v7
	v_cmp_eq_u64_e64 s14, 2, v[41:42]
	v_cmp_eq_u64_e64 s15, 3, v[41:42]
	v_cmp_ne_u32_e64 s21, 0, v3
	v_cndmask_b32_e64 v3, 0, 1, s17
	v_cmp_ne_u32_e64 s17, 0, v4
	v_cndmask_b32_e64 v4, 0, 1, s18
	v_cndmask_b32_e64 v7, 0, 1, s19
	s_and_b32 s11, s11, s20
	v_cmp_ne_u32_e64 s18, 0, v8
	v_cndmask_b32_e64 v8, 0, 1, s11
	v_cmp_ne_u32_e64 s19, 0, v9
	s_and_b32 s12, s16, s12
	s_and_b32 s13, s16, s13
	v_cmp_eq_u64_e64 s10, v[48:49], v[21:22]
	v_cmp_eq_u64_e64 s11, 0, v[25:26]
	;; [unrolled: 1-line block ×5, first 2 shown]
	s_bcnt1_i32_b32 s83, s21
	v_cmp_ne_u32_e64 s21, 0, v3
	v_cndmask_b32_e64 v3, 0, 1, s12
	v_cmp_ne_u32_e64 s12, 0, v4
	v_cndmask_b32_e64 v4, 0, 1, s13
	v_cmp_ne_u32_e64 s13, 0, v7
	s_and_b32 s14, s16, s14
	s_and_b32 s15, s16, s15
	v_cndmask_b32_e64 v7, 0, 1, s14
	v_cmp_ne_u32_e64 s14, 0, v8
	v_cndmask_b32_e64 v8, 0, 1, s15
	s_bcnt1_i32_b32 s19, s19
	s_and_b32 s11, s10, s11
	s_add_i32 s19, s19, s28
	s_bcnt1_i32_b32 s28, s12
	s_and_b32 s12, s10, s20
	s_bcnt1_i32_b32 s20, s13
	s_and_b32 s13, s10, s22
	s_and_b32 s10, s10, s23
	v_cmp_ne_u32_e64 s15, 0, v3
	v_cndmask_b32_e64 v3, 0, 1, s11
	v_cmp_ne_u32_e64 s11, 0, v4
	v_cndmask_b32_e64 v4, 0, 1, s12
	;; [unrolled: 2-line block ×4, first 2 shown]
	s_bcnt1_i32_b32 s18, s18
	s_add_i32 s16, s83, s82
	s_add_i32 s18, s18, s29
	s_bcnt1_i32_b32 s21, s21
	s_bcnt1_i32_b32 s14, s14
	;; [unrolled: 1-line block ×3, first 2 shown]
	s_add_i32 s16, s16, s21
	s_add_i32 s18, s18, s20
	s_add_i32 s14, s19, s14
	v_cmp_ne_u32_e64 s10, 0, v3
	s_bcnt1_i32_b32 s19, s11
	v_cmp_ne_u32_e64 s11, 0, v4
	s_bcnt1_i32_b32 s20, s12
	;; [unrolled: 2-line block ×3, first 2 shown]
	v_cmp_ne_u32_e64 s13, 0, v8
	s_add_i32 s17, s17, s81
	s_bcnt1_i32_b32 s15, s15
	s_add_i32 s17, s17, s28
	s_add_i32 s15, s16, s15
	;; [unrolled: 1-line block ×5, first 2 shown]
	s_bcnt1_i32_b32 s10, s10
	s_bcnt1_i32_b32 s11, s11
	;; [unrolled: 1-line block ×4, first 2 shown]
	s_add_i32 s82, s15, s10
	s_add_i32 s81, s16, s11
	;; [unrolled: 1-line block ×4, first 2 shown]
	v_dual_mov_b32 v7, s82 :: v_dual_mov_b32 v8, s81
	v_dual_mov_b32 v9, s29 :: v_dual_mov_b32 v10, s28
	s_or_b32 s25, vcc_lo, s25
	s_delay_alu instid0(SALU_CYCLE_1)
	s_and_not1_b32 exec_lo, exec_lo, s25
	s_cbranch_execnz .LBB78_48
; %bb.49:                               ;   in Loop: Header=BB78_15 Depth=1
	s_or_b32 exec_lo, exec_lo, s25
.LBB78_50:                              ;   in Loop: Header=BB78_15 Depth=1
	s_delay_alu instid0(SALU_CYCLE_1)
	s_or_b32 exec_lo, exec_lo, s24
	v_mov_b32_e32 v25, 0
	v_mov_b32_e32 v26, 0
	s_and_saveexec_b32 s10, s8
	s_cbranch_execz .LBB78_52
; %bb.51:                               ;   in Loop: Header=BB78_15 Depth=1
	global_load_b64 v[25:26], v[16:17], off
.LBB78_52:                              ;   in Loop: Header=BB78_15 Depth=1
	s_or_b32 exec_lo, exec_lo, s10
	s_and_saveexec_b32 s14, s8
	s_cbranch_execz .LBB78_59
; %bb.53:                               ;   in Loop: Header=BB78_15 Depth=1
	v_mov_b32_e32 v3, v37
	v_mov_b32_e32 v1, v33
	s_and_b32 s16, s74, 0xfe
	s_mov_b32 s15, 0
	s_branch .LBB78_55
.LBB78_54:                              ;   in Loop: Header=BB78_55 Depth=2
	s_or_b32 exec_lo, exec_lo, s11
	s_waitcnt vmcnt(0)
	v_cmp_o_f64_e64 s10, v[25:26], v[25:26]
	v_ashrrev_i32_e32 v4, 31, v26
	s_and_b32 s12, exec_lo, vcc_lo
	v_add_nc_u32_e32 v3, s40, v3
	s_or_b32 s15, s12, s15
	s_delay_alu instid0(VALU_DEP_2) | instskip(SKIP_1) | instid1(VALU_DEP_2)
	v_or_b32_e32 v14, 0x80000000, v4
	v_xor_b32_e32 v4, v4, v25
	v_xor_b32_e32 v14, v14, v26
	s_delay_alu instid0(VALU_DEP_1) | instskip(NEXT) | instid1(VALU_DEP_3)
	v_cndmask_b32_e64 v26, -1, v14, s10
	v_cndmask_b32_e64 v25, -1, v4, s10
	s_delay_alu instid0(VALU_DEP_1) | instskip(SKIP_2) | instid1(VALU_DEP_3)
	v_lshrrev_b64 v[41:42], s16, v[25:26]
	v_and_b32_e32 v26, v26, v20
	v_and_b32_e32 v25, v25, v19
	;; [unrolled: 1-line block ×3, first 2 shown]
	s_delay_alu instid0(VALU_DEP_2) | instskip(NEXT) | instid1(VALU_DEP_2)
	v_cmp_eq_u64_e64 s10, v[25:26], v[21:22]
	v_cmp_eq_u64_e64 s11, 0, v[14:15]
	v_cmp_eq_u64_e32 vcc_lo, 1, v[14:15]
	v_cmp_eq_u64_e64 s12, 2, v[14:15]
	v_cmp_eq_u64_e64 s13, 3, v[14:15]
	s_delay_alu instid0(VALU_DEP_4) | instskip(NEXT) | instid1(SALU_CYCLE_1)
	s_and_b32 s11, s10, s11
	v_cndmask_b32_e64 v4, 0, 1, s11
	s_and_b32 s11, s10, vcc_lo
	s_delay_alu instid0(SALU_CYCLE_1)
	v_cndmask_b32_e64 v14, 0, 1, s11
	s_and_b32 s11, s10, s12
	s_and_b32 s10, s10, s13
	v_cndmask_b32_e64 v25, 0, 1, s11
	v_cndmask_b32_e64 v26, 0, 1, s10
	v_cmp_ne_u32_e32 vcc_lo, 0, v4
	v_cmp_ne_u32_e64 s10, 0, v14
	s_delay_alu instid0(VALU_DEP_4) | instskip(NEXT) | instid1(VALU_DEP_4)
	v_cmp_ne_u32_e64 s11, 0, v25
	v_cmp_ne_u32_e64 s12, 0, v26
	s_bcnt1_i32_b32 s13, vcc_lo
	s_delay_alu instid0(VALU_DEP_3)
	s_bcnt1_i32_b32 s10, s10
	v_dual_mov_b32 v26, v24 :: v_dual_mov_b32 v25, v23
	s_bcnt1_i32_b32 s11, s11
	s_bcnt1_i32_b32 s12, s12
	v_add_nc_u32_e32 v7, s13, v7
	v_add_nc_u32_e32 v8, s10, v8
	;; [unrolled: 1-line block ×4, first 2 shown]
	s_and_not1_b32 exec_lo, exec_lo, s15
	s_cbranch_execz .LBB78_58
.LBB78_55:                              ;   Parent Loop BB78_15 Depth=1
                                        ; =>  This Inner Loop Header: Depth=2
	s_delay_alu instid0(VALU_DEP_1) | instskip(SKIP_3) | instid1(VALU_DEP_3)
	v_add_nc_u32_e32 v1, s34, v1
	v_mov_b32_e32 v23, 0
	v_mov_b32_e32 v24, 0
	s_mov_b32 s11, exec_lo
	v_cmp_le_u32_e32 vcc_lo, s36, v1
	v_cmpx_gt_u32_e64 s36, v1
	s_cbranch_execz .LBB78_54
; %bb.56:                               ;   in Loop: Header=BB78_55 Depth=2
	v_mov_b32_e32 v4, v15
	s_delay_alu instid0(VALU_DEP_1) | instskip(NEXT) | instid1(VALU_DEP_1)
	v_lshlrev_b64 v[23:24], 3, v[3:4]
	v_add_co_u32 v23, s10, s31, v23
	s_delay_alu instid0(VALU_DEP_1)
	v_add_co_ci_u32_e64 v24, s10, s33, v24, s10
	global_load_b64 v[23:24], v[23:24], off
	s_branch .LBB78_54
.LBB78_57:                              ;   in Loop: Header=BB78_15 Depth=1
                                        ; implicit-def: $vgpr10
	s_cbranch_execnz .LBB78_60
	s_branch .LBB78_69
.LBB78_58:                              ;   in Loop: Header=BB78_15 Depth=1
	s_or_b32 exec_lo, exec_lo, s15
.LBB78_59:                              ;   in Loop: Header=BB78_15 Depth=1
	s_delay_alu instid0(SALU_CYCLE_1)
	s_or_b32 exec_lo, exec_lo, s14
	s_branch .LBB78_69
.LBB78_60:                              ;   in Loop: Header=BB78_15 Depth=1
	s_mul_hi_u32 s10, s80, s61
	v_dual_mov_b32 v7, 0 :: v_dual_mov_b32 v8, 0
	s_mul_i32 s10, s10, s53
	v_dual_mov_b32 v9, 0 :: v_dual_mov_b32 v10, 0
	s_sub_i32 s10, s80, s10
	s_mov_b32 s83, 0
	s_sub_i32 s11, s10, s53
	s_cmp_ge_u32 s10, s53
	s_mov_b32 s82, exec_lo
	s_cselect_b32 s10, s11, s10
	s_delay_alu instid0(SALU_CYCLE_1) | instskip(SKIP_2) | instid1(SALU_CYCLE_1)
	s_sub_i32 s11, s10, s53
	s_cmp_ge_u32 s10, s53
	s_cselect_b32 s10, s11, s10
	s_sub_i32 s81, s80, s10
	s_delay_alu instid0(SALU_CYCLE_1)
	v_cmpx_gt_u32_e64 s81, v29
	s_cbranch_execz .LBB78_64
; %bb.61:                               ;   in Loop: Header=BB78_15 Depth=1
	v_mov_b32_e32 v1, v38
	v_mov_b32_e32 v3, v29
	s_and_b32 s84, s74, 0xfe
	s_mov_b32 s85, 0
	s_mov_b32 s86, 0
	;; [unrolled: 1-line block ×4, first 2 shown]
.LBB78_62:                              ;   Parent Loop BB78_15 Depth=1
                                        ; =>  This Inner Loop Header: Depth=2
	ds_load_b128 v[7:10], v1
	s_waitcnt vmcnt(0)
	ds_load_b128 v[23:26], v1 offset:16
	v_dual_mov_b32 v42, v15 :: v_dual_add_nc_u32 v3, s53, v3
	v_dual_mov_b32 v44, v15 :: v_dual_add_nc_u32 v1, s66, v1
	s_delay_alu instid0(VALU_DEP_2)
	v_cmp_le_u32_e32 vcc_lo, s81, v3
	s_waitcnt lgkmcnt(1)
	v_cmp_o_f64_e64 s11, v[7:8], v[7:8]
	s_waitcnt lgkmcnt(0)
	v_cmp_o_f64_e64 s13, v[25:26], v[25:26]
	v_cmp_o_f64_e64 s10, v[9:10], v[9:10]
	;; [unrolled: 1-line block ×3, first 2 shown]
	v_ashrrev_i32_e32 v4, 31, v8
	v_ashrrev_i32_e32 v43, 31, v26
	;; [unrolled: 1-line block ×4, first 2 shown]
	s_delay_alu instid0(VALU_DEP_4) | instskip(NEXT) | instid1(VALU_DEP_4)
	v_or_b32_e32 v45, 0x80000000, v4
	v_or_b32_e32 v49, 0x80000000, v43
	s_delay_alu instid0(VALU_DEP_4) | instskip(NEXT) | instid1(VALU_DEP_4)
	v_or_b32_e32 v47, 0x80000000, v14
	v_or_b32_e32 v48, 0x80000000, v41
	v_xor_b32_e32 v4, v4, v7
	v_xor_b32_e32 v45, v45, v8
	;; [unrolled: 1-line block ×8, first 2 shown]
	v_cndmask_b32_e64 v8, -1, v45, s11
	v_cndmask_b32_e64 v26, -1, v7, s13
	;; [unrolled: 1-line block ×7, first 2 shown]
	v_and_b32_e32 v48, v8, v20
	v_and_b32_e32 v47, v7, v19
	v_lshrrev_b64 v[7:8], s84, v[7:8]
	v_cndmask_b32_e64 v25, -1, v43, s13
	v_dual_mov_b32 v46, v15 :: v_dual_and_b32 v49, v9, v19
	v_lshrrev_b64 v[8:9], s84, v[9:10]
	v_and_b32_e32 v50, v10, v20
	v_lshrrev_b64 v[9:10], s84, v[23:24]
	v_and_b32_e32 v52, v24, v20
	v_and_b32_e32 v51, v23, v19
	v_lshrrev_b64 v[23:24], s84, v[25:26]
	v_and_b32_e32 v14, 3, v7
	v_and_b32_e32 v41, 3, v8
	;; [unrolled: 1-line block ×3, first 2 shown]
	v_cmp_eq_u64_e64 s10, v[47:48], v[21:22]
	v_and_b32_e32 v54, v26, v20
	v_cmp_eq_u64_e64 s14, 0, v[14:15]
	v_and_b32_e32 v53, v25, v19
	v_and_b32_e32 v45, 3, v23
	v_cmp_eq_u64_e64 s11, v[49:50], v[21:22]
	v_cmp_eq_u64_e64 s15, 0, v[41:42]
	;; [unrolled: 1-line block ×6, first 2 shown]
	s_and_b32 s14, s10, s14
	v_cmp_eq_u64_e64 s18, 1, v[14:15]
	v_cndmask_b32_e64 v4, 0, 1, s14
	s_and_b32 s14, s11, s15
	v_cmp_eq_u64_e64 s19, 1, v[41:42]
	v_cndmask_b32_e64 v7, 0, 1, s14
	;; [unrolled: 3-line block ×4, first 2 shown]
	s_and_b32 s14, s10, s18
	v_cmp_eq_u64_e64 s22, 2, v[14:15]
	v_cmp_eq_u64_e64 s26, 3, v[14:15]
	v_cndmask_b32_e64 v10, 0, 1, s14
	s_and_b32 s14, s11, s19
	v_cmp_eq_u64_e64 s23, 2, v[41:42]
	v_cmp_eq_u64_e64 s27, 3, v[41:42]
	v_cndmask_b32_e64 v14, 0, 1, s14
	;; [unrolled: 4-line block ×4, first 2 shown]
	s_and_b32 s14, s10, s22
	s_and_b32 s10, s10, s26
	v_cndmask_b32_e64 v25, 0, 1, s14
	s_and_b32 s14, s11, s23
	v_cndmask_b32_e64 v43, 0, 1, s10
	;; [unrolled: 2-line block ×7, first 2 shown]
	v_cndmask_b32_e64 v46, 0, 1, s10
	v_cmp_ne_u32_e64 s10, 0, v4
	v_cmp_ne_u32_e64 s14, 0, v10
	;; [unrolled: 1-line block ×12, first 2 shown]
	s_bcnt1_i32_b32 s10, s10
	s_bcnt1_i32_b32 s14, s14
	;; [unrolled: 1-line block ×4, first 2 shown]
	v_cmp_ne_u32_e64 s13, 0, v9
	v_cmp_ne_u32_e64 s17, 0, v24
	;; [unrolled: 1-line block ×4, first 2 shown]
	s_bcnt1_i32_b32 s11, s11
	s_bcnt1_i32_b32 s15, s15
	s_bcnt1_i32_b32 s19, s19
	s_bcnt1_i32_b32 s23, s23
	s_add_i32 s10, s10, s88
	s_add_i32 s14, s14, s87
	s_add_i32 s18, s18, s86
	s_add_i32 s22, s22, s85
	s_bcnt1_i32_b32 s12, s12
	s_bcnt1_i32_b32 s16, s16
	s_bcnt1_i32_b32 s20, s20
	s_bcnt1_i32_b32 s24, s24
	s_add_i32 s10, s10, s11
	s_add_i32 s11, s14, s15
	s_add_i32 s14, s18, s19
	s_add_i32 s15, s22, s23
	;; [unrolled: 8-line block ×3, first 2 shown]
	s_add_i32 s88, s10, s13
	s_add_i32 s87, s11, s17
	;; [unrolled: 1-line block ×4, first 2 shown]
	s_delay_alu instid0(SALU_CYCLE_1) | instskip(SKIP_2) | instid1(SALU_CYCLE_1)
	v_dual_mov_b32 v7, s88 :: v_dual_mov_b32 v10, s85
	v_dual_mov_b32 v8, s87 :: v_dual_mov_b32 v9, s86
	s_or_b32 s83, vcc_lo, s83
	s_and_not1_b32 exec_lo, exec_lo, s83
	s_cbranch_execnz .LBB78_62
; %bb.63:                               ;   in Loop: Header=BB78_15 Depth=1
	s_or_b32 exec_lo, exec_lo, s83
.LBB78_64:                              ;   in Loop: Header=BB78_15 Depth=1
	s_delay_alu instid0(SALU_CYCLE_1) | instskip(SKIP_2) | instid1(VALU_DEP_1)
	s_or_b32 exec_lo, exec_lo, s82
	v_add_nc_u32_e32 v1, s81, v0
	s_mov_b32 s15, exec_lo
	v_cmpx_gt_u32_e64 s80, v1
	s_cbranch_execz .LBB78_68
; %bb.65:                               ;   in Loop: Header=BB78_15 Depth=1
	v_lshlrev_b32_e32 v3, 3, v1
	s_and_b32 s17, s74, 0xfe
	s_mov_b32 s16, 0
.LBB78_66:                              ;   Parent Loop BB78_15 Depth=1
                                        ; =>  This Inner Loop Header: Depth=2
	ds_load_b64 v[23:24], v3
	v_add_nc_u32_e32 v3, s67, v3
	s_waitcnt lgkmcnt(0)
	v_cmp_o_f64_e32 vcc_lo, v[23:24], v[23:24]
	v_ashrrev_i32_e32 v4, 31, v24
	s_delay_alu instid0(VALU_DEP_1) | instskip(SKIP_1) | instid1(VALU_DEP_2)
	v_or_b32_e32 v14, 0x80000000, v4
	v_xor_b32_e32 v4, v4, v23
	v_xor_b32_e32 v14, v14, v24
	s_delay_alu instid0(VALU_DEP_1) | instskip(NEXT) | instid1(VALU_DEP_3)
	v_dual_cndmask_b32 v24, -1, v14 :: v_dual_add_nc_u32 v1, s34, v1
	v_cndmask_b32_e32 v23, -1, v4, vcc_lo
	s_delay_alu instid0(VALU_DEP_2) | instskip(SKIP_1) | instid1(VALU_DEP_3)
	v_cmp_le_u32_e64 s10, s80, v1
	s_waitcnt vmcnt(0)
	v_and_b32_e32 v26, v24, v20
	s_delay_alu instid0(VALU_DEP_3) | instskip(SKIP_1) | instid1(VALU_DEP_2)
	v_and_b32_e32 v25, v23, v19
	v_lshrrev_b64 v[23:24], s17, v[23:24]
	v_cmp_eq_u64_e32 vcc_lo, v[25:26], v[21:22]
	s_delay_alu instid0(VALU_DEP_2) | instskip(NEXT) | instid1(VALU_DEP_1)
	v_and_b32_e32 v14, 3, v23
	v_cmp_eq_u64_e64 s11, 0, v[14:15]
	v_cmp_eq_u64_e64 s12, 1, v[14:15]
	;; [unrolled: 1-line block ×4, first 2 shown]
	s_delay_alu instid0(VALU_DEP_4) | instskip(NEXT) | instid1(SALU_CYCLE_1)
	s_and_b32 s11, vcc_lo, s11
	v_cndmask_b32_e64 v4, 0, 1, s11
	s_delay_alu instid0(VALU_DEP_4) | instskip(NEXT) | instid1(SALU_CYCLE_1)
	s_and_b32 s11, vcc_lo, s12
	v_cndmask_b32_e64 v14, 0, 1, s11
	s_and_b32 s11, vcc_lo, s13
	s_delay_alu instid0(SALU_CYCLE_1)
	v_cndmask_b32_e64 v23, 0, 1, s11
	s_and_b32 s11, vcc_lo, s14
	v_cmp_ne_u32_e32 vcc_lo, 0, v4
	v_cndmask_b32_e64 v24, 0, 1, s11
	v_cmp_ne_u32_e64 s11, 0, v14
	v_cmp_ne_u32_e64 s12, 0, v23
	s_bcnt1_i32_b32 s14, vcc_lo
	s_delay_alu instid0(VALU_DEP_3) | instskip(NEXT) | instid1(VALU_DEP_3)
	v_cmp_ne_u32_e64 s13, 0, v24
	s_bcnt1_i32_b32 s11, s11
	s_delay_alu instid0(VALU_DEP_2)
	s_bcnt1_i32_b32 s12, s12
	v_add_nc_u32_e32 v7, s14, v7
	v_add_nc_u32_e32 v8, s11, v8
	s_bcnt1_i32_b32 s13, s13
	v_add_nc_u32_e32 v9, s12, v9
	v_add_nc_u32_e32 v10, s13, v10
	s_or_b32 s16, s10, s16
	s_delay_alu instid0(SALU_CYCLE_1)
	s_and_not1_b32 exec_lo, exec_lo, s16
	s_cbranch_execnz .LBB78_66
; %bb.67:                               ;   in Loop: Header=BB78_15 Depth=1
	s_or_b32 exec_lo, exec_lo, s16
.LBB78_68:                              ;   in Loop: Header=BB78_15 Depth=1
	s_delay_alu instid0(SALU_CYCLE_1)
	s_or_b32 exec_lo, exec_lo, s15
.LBB78_69:                              ;   in Loop: Header=BB78_15 Depth=1
	s_lshl_b32 s10, s69, 7
	s_and_saveexec_b32 s11, s2
	s_cbranch_execz .LBB78_71
; %bb.70:                               ;   in Loop: Header=BB78_15 Depth=1
	v_or_b32_e32 v1, s10, v31
	s_delay_alu instid0(VALU_DEP_1)
	v_lshlrev_b32_e32 v1, 2, v1
	ds_store_b128 v1, v[7:10] offset:3072
.LBB78_71:                              ;   in Loop: Header=BB78_15 Depth=1
	s_or_b32 exec_lo, exec_lo, s11
	s_waitcnt vmcnt(0) lgkmcnt(0)
	s_barrier
	buffer_gl0_inv
	s_and_saveexec_b32 s11, s51
	s_cbranch_execz .LBB78_81
; %bb.72:                               ;   in Loop: Header=BB78_15 Depth=1
	v_mov_b32_e32 v1, 0
	s_and_not1_b32 vcc_lo, exec_lo, s55
	s_cbranch_vccnz .LBB78_80
; %bb.73:                               ;   in Loop: Header=BB78_15 Depth=1
	v_mov_b32_e32 v1, 0
	s_and_not1_b32 vcc_lo, exec_lo, s58
	s_mov_b32 s12, 0
	s_cbranch_vccnz .LBB78_77
; %bb.74:                               ;   in Loop: Header=BB78_15 Depth=1
	v_lshl_add_u32 v3, s69, 9, v39
	v_mov_b32_e32 v1, 0
	.p2align	6
.LBB78_75:                              ;   Parent Loop BB78_15 Depth=1
                                        ; =>  This Inner Loop Header: Depth=2
	ds_load_2addr_b32 v[7:8], v3 offset1:4
	ds_load_2addr_b32 v[9:10], v3 offset0:8 offset1:12
	ds_load_2addr_b32 v[23:24], v3 offset0:16 offset1:20
	;; [unrolled: 1-line block ×3, first 2 shown]
	v_add_nc_u32_e32 v3, 0x80, v3
	s_add_i32 s12, s12, 8
	s_delay_alu instid0(SALU_CYCLE_1) | instskip(SKIP_3) | instid1(VALU_DEP_1)
	s_cmp_eq_u32 s59, s12
	s_waitcnt lgkmcnt(3)
	v_add3_u32 v1, v7, v1, v8
	s_waitcnt lgkmcnt(2)
	v_add3_u32 v1, v9, v1, v10
	s_waitcnt lgkmcnt(1)
	s_delay_alu instid0(VALU_DEP_1) | instskip(SKIP_1) | instid1(VALU_DEP_1)
	v_add3_u32 v1, v23, v1, v24
	s_waitcnt lgkmcnt(0)
	v_add3_u32 v1, v25, v1, v26
	s_cbranch_scc0 .LBB78_75
; %bb.76:                               ;   in Loop: Header=BB78_15 Depth=1
	s_mov_b32 s12, s59
.LBB78_77:                              ;   in Loop: Header=BB78_15 Depth=1
	s_and_not1_b32 vcc_lo, exec_lo, s60
	s_cbranch_vccnz .LBB78_80
; %bb.78:                               ;   in Loop: Header=BB78_15 Depth=1
	s_lshl_b32 s13, s69, 9
	s_lshl_b32 s12, s12, 4
	s_delay_alu instid0(SALU_CYCLE_1)
	v_add3_u32 v3, s13, s12, v39
	s_mov_b32 s12, s57
.LBB78_79:                              ;   Parent Loop BB78_15 Depth=1
                                        ; =>  This Inner Loop Header: Depth=2
	ds_load_b32 v4, v3
	v_add_nc_u32_e32 v3, 16, v3
	s_add_i32 s12, s12, -1
	s_delay_alu instid0(SALU_CYCLE_1)
	s_cmp_lg_u32 s12, 0
	s_waitcnt lgkmcnt(0)
	v_add_nc_u32_e32 v1, v4, v1
	s_cbranch_scc1 .LBB78_79
.LBB78_80:                              ;   in Loop: Header=BB78_15 Depth=1
	v_add_lshl_u32 v3, s10, v28, 2
	ds_store_b32 v3, v1 offset:3072
.LBB78_81:                              ;   in Loop: Header=BB78_15 Depth=1
	s_or_b32 exec_lo, exec_lo, s11
	s_lshl_b32 s10, s10, 2
	s_waitcnt lgkmcnt(0)
	v_mov_b32_e32 v1, s10
	s_barrier
	buffer_gl0_inv
	s_and_b32 s19, s74, 0xfe
	v_cmp_eq_u32_e64 s10, 1, v40
	ds_load_b128 v[7:10], v1 offset:3072
	s_lshl_b64 s[12:13], 3, s19
	s_mov_b32 s22, 0
	s_and_not1_b32 vcc_lo, exec_lo, s52
	s_not_b64 s[14:15], s[12:13]
	s_waitcnt lgkmcnt(0)
	v_readfirstlane_b32 s16, v7
	v_readfirstlane_b32 s18, v8
	v_readfirstlane_b32 s20, v9
	v_readfirstlane_b32 s21, v10
	s_cbranch_vccnz .LBB78_94
; %bb.82:                               ;   in Loop: Header=BB78_15 Depth=1
	s_cmp_eq_u32 s16, 1
	v_dual_mov_b32 v24, v22 :: v_dual_mov_b32 v23, v21
	v_dual_mov_b32 v26, v20 :: v_dual_mov_b32 v25, v19
	;; [unrolled: 1-line block ×3, first 2 shown]
	s_cselect_b32 s11, -1, 0
	s_mov_b32 s28, -1
	s_and_b32 s27, s11, s10
                                        ; implicit-def: $sgpr17
                                        ; implicit-def: $sgpr24
                                        ; implicit-def: $sgpr23
	s_delay_alu instid0(SALU_CYCLE_1)
	s_and_saveexec_b32 s22, s27
	s_cbranch_execz .LBB78_113
; %bb.83:                               ;   in Loop: Header=BB78_15 Depth=1
	ds_load_b32 v1, v15 offset:4096
	s_waitcnt lgkmcnt(0)
	s_barrier
	buffer_gl0_inv
	v_readfirstlane_b32 s17, v1
	s_and_saveexec_b32 s11, s6
	s_cbranch_execz .LBB78_85
; %bb.84:                               ;   in Loop: Header=BB78_15 Depth=1
	v_mov_b32_e32 v14, v15
	ds_store_b64 v32, v[14:15]
.LBB78_85:                              ;   in Loop: Header=BB78_15 Depth=1
	s_or_b32 exec_lo, exec_lo, s11
	v_and_b32_e32 v24, s15, v22
	v_and_b32_e32 v23, s14, v21
	v_or_b32_e32 v26, s13, v20
	v_or_b32_e32 v25, s12, v19
	s_cmp_eq_u32 s17, 0
	s_waitcnt lgkmcnt(0)
	s_barrier
	buffer_gl0_inv
	s_cbranch_scc1 .LBB78_99
; %bb.86:                               ;   in Loop: Header=BB78_15 Depth=1
	s_add_i32 s11, s17, s56
                                        ; implicit-def: $vgpr9_vgpr10
	s_delay_alu instid0(SALU_CYCLE_1) | instskip(NEXT) | instid1(SALU_CYCLE_1)
	s_mul_hi_u32 s23, s11, s63
	s_mul_i32 s23, s23, s34
	s_delay_alu instid0(SALU_CYCLE_1) | instskip(NEXT) | instid1(SALU_CYCLE_1)
	s_sub_i32 s23, s11, s23
	s_sub_i32 s24, s23, s34
	s_cmp_ge_u32 s23, s34
	s_cselect_b32 s23, s24, s23
	s_delay_alu instid0(SALU_CYCLE_1) | instskip(SKIP_2) | instid1(SALU_CYCLE_1)
	s_sub_i32 s24, s23, s34
	s_cmp_ge_u32 s23, s34
	s_cselect_b32 s23, s24, s23
	s_sub_i32 s24, s11, s23
	s_mov_b32 s11, 0
	s_mov_b32 s23, exec_lo
	v_cmpx_gt_u32_e64 s24, v0
	s_cbranch_execz .LBB78_101
; %bb.87:                               ;   in Loop: Header=BB78_15 Depth=1
	v_dual_mov_b32 v14, v30 :: v_dual_mov_b32 v41, v0
	s_mov_b32 s26, 0
                                        ; implicit-def: $sgpr25
	s_set_inst_prefetch_distance 0x1
	s_branch .LBB78_89
	.p2align	6
.LBB78_88:                              ;   in Loop: Header=BB78_89 Depth=2
	s_or_b32 exec_lo, exec_lo, s11
	s_waitcnt lgkmcnt(0)
	s_barrier
	buffer_gl0_inv
	ds_load_b128 v[7:10], v15 offset:3072
	v_add_nc_u32_e32 v41, s34, v41
	v_add_nc_u32_e32 v14, s67, v14
	s_waitcnt lgkmcnt(0)
	s_barrier
	buffer_gl0_inv
	v_cmp_le_u32_e64 s11, s24, v41
	v_cmp_neq_f64_e32 vcc_lo, 0, v[7:8]
	s_delay_alu instid0(VALU_DEP_2) | instskip(NEXT) | instid1(SALU_CYCLE_1)
	s_or_b32 s11, s11, vcc_lo
	s_and_b32 s11, exec_lo, s11
	s_delay_alu instid0(SALU_CYCLE_1) | instskip(SKIP_2) | instid1(SALU_CYCLE_1)
	s_or_b32 s26, s11, s26
	s_and_not1_b32 s11, s25, exec_lo
	s_and_b32 s25, vcc_lo, exec_lo
	s_or_b32 s25, s11, s25
	s_and_not1_b32 exec_lo, exec_lo, s26
	s_cbranch_execz .LBB78_100
.LBB78_89:                              ;   Parent Loop BB78_15 Depth=1
                                        ; =>  This Inner Loop Header: Depth=2
	v_mov_b32_e32 v3, 0
	v_mov_b32_e32 v4, 0
	v_cmp_gt_u32_e32 vcc_lo, s17, v41
	s_and_saveexec_b32 s11, vcc_lo
	s_cbranch_execz .LBB78_91
; %bb.90:                               ;   in Loop: Header=BB78_89 Depth=2
	ds_load_b64 v[3:4], v14
.LBB78_91:                              ;   in Loop: Header=BB78_89 Depth=2
	s_or_b32 exec_lo, exec_lo, s11
	s_and_saveexec_b32 s11, vcc_lo
	s_cbranch_execz .LBB78_88
; %bb.92:                               ;   in Loop: Header=BB78_89 Depth=2
	s_waitcnt lgkmcnt(0)
	v_cmp_o_f64_e32 vcc_lo, v[3:4], v[3:4]
	v_ashrrev_i32_e32 v1, 31, v4
	s_delay_alu instid0(VALU_DEP_1) | instskip(SKIP_1) | instid1(VALU_DEP_2)
	v_or_b32_e32 v7, 0x80000000, v1
	v_xor_b32_e32 v1, v1, v3
	v_xor_b32_e32 v7, v7, v4
	s_delay_alu instid0(VALU_DEP_1) | instskip(NEXT) | instid1(VALU_DEP_1)
	v_cndmask_b32_e32 v7, -1, v7, vcc_lo
	v_dual_cndmask_b32 v1, -1, v1 :: v_dual_and_b32 v8, v7, v26
	s_delay_alu instid0(VALU_DEP_1) | instskip(NEXT) | instid1(VALU_DEP_1)
	v_and_b32_e32 v7, v1, v25
	v_cmp_eq_u64_e32 vcc_lo, v[7:8], v[23:24]
	s_and_b32 exec_lo, exec_lo, vcc_lo
	s_cbranch_execz .LBB78_88
; %bb.93:                               ;   in Loop: Header=BB78_89 Depth=2
	v_mov_b32_e32 v1, v15
	ds_store_b128 v15, v[1:4] offset:3072
	s_branch .LBB78_88
.LBB78_94:                              ;   in Loop: Header=BB78_15 Depth=1
	s_mov_b32 s11, 0
                                        ; implicit-def: $sgpr23
                                        ; implicit-def: $sgpr24
                                        ; implicit-def: $sgpr17
                                        ; implicit-def: $vgpr1
                                        ; implicit-def: $vgpr41
                                        ; implicit-def: $vgpr23_vgpr24
                                        ; implicit-def: $vgpr25_vgpr26
                                        ; implicit-def: $vgpr9_vgpr10
	s_cbranch_execnz .LBB78_249
.LBB78_95:                              ;   in Loop: Header=BB78_15 Depth=1
	s_mov_b32 s25, s17
	s_mov_b32 s26, s17
	s_and_saveexec_b32 s10, s22
	s_cbranch_execnz .LBB78_411
	s_branch .LBB78_412
.LBB78_96:                              ;   in Loop: Header=BB78_15 Depth=1
	s_or_b32 exec_lo, exec_lo, s12
	s_waitcnt vmcnt(0) lgkmcnt(0)
	s_barrier
	buffer_gl0_inv
	s_and_saveexec_b32 s10, s5
	s_cbranch_execz .LBB78_98
; %bb.97:                               ;   in Loop: Header=BB78_15 Depth=1
	ds_load_b32 v1, v15 offset:4104
	s_waitcnt lgkmcnt(0)
	ds_store_b32 v15, v1 offset:4096
.LBB78_98:                              ;   in Loop: Header=BB78_15 Depth=1
	s_or_b32 exec_lo, exec_lo, s10
	s_waitcnt lgkmcnt(0)
	s_mov_b32 s10, -1
	s_barrier
	s_and_b32 vcc_lo, exec_lo, s80
	s_cbranch_vccnz .LBB78_33
	s_branch .LBB78_43
.LBB78_99:                              ;   in Loop: Header=BB78_15 Depth=1
	s_mov_b32 s17, -1
	s_mov_b32 s11, 0
                                        ; implicit-def: $sgpr23
                                        ; implicit-def: $vgpr9_vgpr10
	s_mov_b32 s24, s17
	s_cbranch_execnz .LBB78_102
	s_branch .LBB78_112
.LBB78_100:                             ;   in Loop: Header=BB78_15 Depth=1
	s_set_inst_prefetch_distance 0x2
	s_or_b32 exec_lo, exec_lo, s26
	s_delay_alu instid0(SALU_CYCLE_1)
	s_and_b32 s11, s25, exec_lo
.LBB78_101:                             ;   in Loop: Header=BB78_15 Depth=1
	s_or_b32 exec_lo, exec_lo, s23
	s_mov_b32 s23, -1
	s_mov_b32 s17, 0
	s_delay_alu instid0(SALU_CYCLE_1)
	s_mov_b32 s24, s17
	s_branch .LBB78_112
.LBB78_102:                             ;   in Loop: Header=BB78_15 Depth=1
	s_mov_b32 s11, 0
                                        ; implicit-def: $vgpr9_vgpr10
	s_and_saveexec_b32 s17, s9
	s_cbranch_execz .LBB78_111
; %bb.103:                              ;   in Loop: Header=BB78_15 Depth=1
	v_dual_mov_b32 v14, v13 :: v_dual_mov_b32 v41, v0
	s_mov_b32 s24, 0
                                        ; implicit-def: $sgpr23
	s_branch .LBB78_105
.LBB78_104:                             ;   in Loop: Header=BB78_105 Depth=2
	s_or_b32 exec_lo, exec_lo, s11
	s_waitcnt vmcnt(0) lgkmcnt(0)
	s_barrier
	buffer_gl0_inv
	ds_load_b128 v[7:10], v15 offset:3072
	v_add_nc_u32_e32 v41, s34, v41
	v_add_nc_u32_e32 v14, s40, v14
	s_waitcnt lgkmcnt(0)
	s_barrier
	buffer_gl0_inv
	v_cmp_le_u32_e64 s11, s64, v41
	v_cmp_neq_f64_e32 vcc_lo, 0, v[7:8]
	s_delay_alu instid0(VALU_DEP_2) | instskip(NEXT) | instid1(SALU_CYCLE_1)
	s_or_b32 s11, s11, vcc_lo
	s_and_b32 s11, exec_lo, s11
	s_delay_alu instid0(SALU_CYCLE_1) | instskip(SKIP_2) | instid1(SALU_CYCLE_1)
	s_or_b32 s24, s11, s24
	s_and_not1_b32 s11, s23, exec_lo
	s_and_b32 s23, vcc_lo, exec_lo
	s_or_b32 s23, s11, s23
	s_and_not1_b32 exec_lo, exec_lo, s24
	s_cbranch_execz .LBB78_110
.LBB78_105:                             ;   Parent Loop BB78_15 Depth=1
                                        ; =>  This Inner Loop Header: Depth=2
	v_mov_b32_e32 v3, 0
	v_mov_b32_e32 v4, 0
	v_cmp_gt_u32_e32 vcc_lo, s36, v41
	s_and_saveexec_b32 s25, vcc_lo
	s_cbranch_execz .LBB78_107
; %bb.106:                              ;   in Loop: Header=BB78_105 Depth=2
	v_lshlrev_b64 v[3:4], 3, v[14:15]
	s_delay_alu instid0(VALU_DEP_1) | instskip(NEXT) | instid1(VALU_DEP_1)
	v_add_co_u32 v3, s11, s31, v3
	v_add_co_ci_u32_e64 v4, s11, s33, v4, s11
	global_load_b64 v[3:4], v[3:4], off
.LBB78_107:                             ;   in Loop: Header=BB78_105 Depth=2
	s_or_b32 exec_lo, exec_lo, s25
	s_and_saveexec_b32 s11, vcc_lo
	s_cbranch_execz .LBB78_104
; %bb.108:                              ;   in Loop: Header=BB78_105 Depth=2
	s_waitcnt vmcnt(0)
	v_cmp_o_f64_e32 vcc_lo, v[3:4], v[3:4]
	v_ashrrev_i32_e32 v1, 31, v4
	s_delay_alu instid0(VALU_DEP_1) | instskip(SKIP_1) | instid1(VALU_DEP_2)
	v_or_b32_e32 v7, 0x80000000, v1
	v_xor_b32_e32 v1, v1, v3
	v_xor_b32_e32 v7, v7, v4
	s_delay_alu instid0(VALU_DEP_1) | instskip(NEXT) | instid1(VALU_DEP_1)
	v_cndmask_b32_e32 v7, -1, v7, vcc_lo
	v_dual_cndmask_b32 v1, -1, v1 :: v_dual_and_b32 v8, v7, v26
	s_delay_alu instid0(VALU_DEP_1) | instskip(NEXT) | instid1(VALU_DEP_1)
	v_and_b32_e32 v7, v1, v25
	v_cmp_eq_u64_e32 vcc_lo, v[7:8], v[23:24]
	s_and_b32 exec_lo, exec_lo, vcc_lo
	s_cbranch_execz .LBB78_104
; %bb.109:                              ;   in Loop: Header=BB78_105 Depth=2
	v_mov_b32_e32 v1, v15
	ds_store_b128 v15, v[1:4] offset:3072
	s_branch .LBB78_104
.LBB78_110:                             ;   in Loop: Header=BB78_15 Depth=1
	s_or_b32 exec_lo, exec_lo, s24
	s_delay_alu instid0(SALU_CYCLE_1)
	s_and_b32 s11, s23, exec_lo
.LBB78_111:                             ;   in Loop: Header=BB78_15 Depth=1
	s_or_b32 exec_lo, exec_lo, s17
	s_mov_b32 s24, -1
	s_mov_b32 s17, 0
	s_mov_b32 s23, 0
.LBB78_112:                             ;   in Loop: Header=BB78_15 Depth=1
	s_or_not1_b32 s28, s11, exec_lo
.LBB78_113:                             ;   in Loop: Header=BB78_15 Depth=1
	s_or_b32 exec_lo, exec_lo, s22
	s_mov_b32 s25, 0
	s_mov_b32 s22, 0
	;; [unrolled: 1-line block ×3, first 2 shown]
                                        ; implicit-def: $vgpr1
                                        ; implicit-def: $vgpr41
	s_and_saveexec_b32 s26, s28
	s_cbranch_execz .LBB78_248
; %bb.114:                              ;   in Loop: Header=BB78_15 Depth=1
	v_mov_b32_e32 v41, 1
	v_mov_b32_e32 v1, 1
	s_xor_b32 s27, s27, -1
	s_delay_alu instid0(SALU_CYCLE_1)
	s_and_saveexec_b32 s11, s27
	s_cbranch_execz .LBB78_124
; %bb.115:                              ;   in Loop: Header=BB78_15 Depth=1
	s_mov_b32 s27, exec_lo
                                        ; implicit-def: $sgpr28
                                        ; implicit-def: $sgpr22
	v_cmpx_ge_u32_e64 s16, v40
	s_xor_b32 s27, exec_lo, s27
	s_cbranch_execz .LBB78_121
; %bb.116:                              ;   in Loop: Header=BB78_15 Depth=1
	ds_load_b32 v1, v15 offset:4096
	s_waitcnt lgkmcnt(0)
	v_cmp_ne_u32_e32 vcc_lo, 0, v1
	s_cbranch_vccnz .LBB78_120
; %bb.117:                              ;   in Loop: Header=BB78_15 Depth=1
	s_and_saveexec_b32 s22, s5
	s_cbranch_execz .LBB78_119
; %bb.118:                              ;   in Loop: Header=BB78_15 Depth=1
	v_mov_b32_e32 v1, s16
	ds_store_b32 v15, v1 offset:4100
.LBB78_119:                             ;   in Loop: Header=BB78_15 Depth=1
	s_or_b32 exec_lo, exec_lo, s22
	s_waitcnt lgkmcnt(0)
	s_barrier
	buffer_gl0_inv
.LBB78_120:                             ;   in Loop: Header=BB78_15 Depth=1
	v_and_b32_e32 v24, s15, v24
	v_and_b32_e32 v23, s14, v23
	v_or_b32_e32 v26, s13, v26
	v_or_b32_e32 v25, s12, v25
	s_mov_b32 s22, 0
	s_mov_b32 s28, 8
.LBB78_121:                             ;   in Loop: Header=BB78_15 Depth=1
	s_or_saveexec_b32 s27, s27
	v_mov_b32_e32 v1, s28
	v_mov_b32_e32 v41, v40
	s_xor_b32 exec_lo, exec_lo, s27
; %bb.122:                              ;   in Loop: Header=BB78_15 Depth=1
	v_subrev_nc_u32_e32 v41, s16, v40
	v_mov_b32_e32 v1, 0
	s_or_b32 s22, s22, exec_lo
; %bb.123:                              ;   in Loop: Header=BB78_15 Depth=1
	s_or_b32 exec_lo, exec_lo, s27
	s_delay_alu instid0(SALU_CYCLE_1)
	s_and_b32 s22, s22, exec_lo
.LBB78_124:                             ;   in Loop: Header=BB78_15 Depth=1
	s_or_b32 exec_lo, exec_lo, s11
	s_mov_b32 s11, -1
                                        ; implicit-def: $sgpr27
                                        ; implicit-def: $sgpr29
                                        ; implicit-def: $sgpr80
	s_and_saveexec_b32 s28, s22
	s_delay_alu instid0(SALU_CYCLE_1)
	s_xor_b32 s22, exec_lo, s28
	s_cbranch_execz .LBB78_245
; %bb.125:                              ;   in Loop: Header=BB78_15 Depth=1
	v_cmp_eq_u32_e32 vcc_lo, 1, v41
	s_cmp_eq_u32 s18, 1
                                        ; implicit-def: $sgpr27
                                        ; implicit-def: $sgpr29
                                        ; implicit-def: $sgpr28
	s_cselect_b32 s11, -1, 0
	s_delay_alu instid0(SALU_CYCLE_1)
	s_and_b32 s81, s11, vcc_lo
	s_mov_b32 s11, -1
	s_and_saveexec_b32 s80, s81
	s_cbranch_execz .LBB78_151
; %bb.126:                              ;   in Loop: Header=BB78_15 Depth=1
	ds_load_b32 v1, v15 offset:4096
	s_waitcnt lgkmcnt(0)
	s_barrier
	buffer_gl0_inv
	v_readfirstlane_b32 s27, v1
	s_and_saveexec_b32 s11, s6
	s_cbranch_execz .LBB78_128
; %bb.127:                              ;   in Loop: Header=BB78_15 Depth=1
	v_mov_b32_e32 v14, v15
	ds_store_b64 v32, v[14:15]
.LBB78_128:                             ;   in Loop: Header=BB78_15 Depth=1
	s_or_b32 exec_lo, exec_lo, s11
	v_and_b32_e32 v1, s15, v24
	v_and_b32_e32 v3, s14, v23
	s_lshl_b64 s[28:29], 1, s19
	v_or_b32_e32 v26, s13, v26
	v_or_b32_e32 v25, s12, v25
	;; [unrolled: 1-line block ×4, first 2 shown]
	s_cmp_eq_u32 s27, 0
	s_waitcnt lgkmcnt(0)
	s_barrier
	buffer_gl0_inv
	s_cbranch_scc1 .LBB78_137
; %bb.129:                              ;   in Loop: Header=BB78_15 Depth=1
	s_add_i32 s11, s27, s56
                                        ; implicit-def: $vgpr9_vgpr10
	s_delay_alu instid0(SALU_CYCLE_1) | instskip(NEXT) | instid1(SALU_CYCLE_1)
	s_mul_hi_u32 s28, s11, s63
	s_mul_i32 s28, s28, s34
	s_delay_alu instid0(SALU_CYCLE_1) | instskip(NEXT) | instid1(SALU_CYCLE_1)
	s_sub_i32 s28, s11, s28
	s_sub_i32 s29, s28, s34
	s_cmp_ge_u32 s28, s34
	s_cselect_b32 s28, s29, s28
	s_delay_alu instid0(SALU_CYCLE_1) | instskip(SKIP_2) | instid1(SALU_CYCLE_1)
	s_sub_i32 s29, s28, s34
	s_cmp_ge_u32 s28, s34
	s_cselect_b32 s28, s29, s28
	s_sub_i32 s29, s11, s28
	s_mov_b32 s11, 0
	s_mov_b32 s28, exec_lo
	v_cmpx_gt_u32_e64 s29, v0
	s_cbranch_execz .LBB78_139
; %bb.130:                              ;   in Loop: Header=BB78_15 Depth=1
	v_mov_b32_e32 v14, v30
	v_mov_b32_e32 v42, v0
	s_mov_b32 s83, 0
                                        ; implicit-def: $sgpr82
	s_set_inst_prefetch_distance 0x1
	s_branch .LBB78_132
	.p2align	6
.LBB78_131:                             ;   in Loop: Header=BB78_132 Depth=2
	s_or_b32 exec_lo, exec_lo, s11
	s_waitcnt lgkmcnt(0)
	s_barrier
	buffer_gl0_inv
	ds_load_b128 v[7:10], v15 offset:3072
	v_add_nc_u32_e32 v42, s34, v42
	v_add_nc_u32_e32 v14, s67, v14
	s_waitcnt lgkmcnt(0)
	s_barrier
	buffer_gl0_inv
	v_cmp_le_u32_e64 s11, s29, v42
	v_cmp_neq_f64_e32 vcc_lo, 0, v[7:8]
	s_delay_alu instid0(VALU_DEP_2) | instskip(NEXT) | instid1(SALU_CYCLE_1)
	s_or_b32 s11, s11, vcc_lo
	s_and_b32 s11, exec_lo, s11
	s_delay_alu instid0(SALU_CYCLE_1) | instskip(SKIP_2) | instid1(SALU_CYCLE_1)
	s_or_b32 s83, s11, s83
	s_and_not1_b32 s11, s82, exec_lo
	s_and_b32 s82, vcc_lo, exec_lo
	s_or_b32 s82, s11, s82
	s_and_not1_b32 exec_lo, exec_lo, s83
	s_cbranch_execz .LBB78_138
.LBB78_132:                             ;   Parent Loop BB78_15 Depth=1
                                        ; =>  This Inner Loop Header: Depth=2
	v_mov_b32_e32 v3, 0
	v_mov_b32_e32 v4, 0
	v_cmp_gt_u32_e32 vcc_lo, s27, v42
	s_and_saveexec_b32 s11, vcc_lo
	s_cbranch_execz .LBB78_134
; %bb.133:                              ;   in Loop: Header=BB78_132 Depth=2
	ds_load_b64 v[3:4], v14
.LBB78_134:                             ;   in Loop: Header=BB78_132 Depth=2
	s_or_b32 exec_lo, exec_lo, s11
	s_and_saveexec_b32 s11, vcc_lo
	s_cbranch_execz .LBB78_131
; %bb.135:                              ;   in Loop: Header=BB78_132 Depth=2
	s_waitcnt lgkmcnt(0)
	v_cmp_o_f64_e32 vcc_lo, v[3:4], v[3:4]
	v_ashrrev_i32_e32 v1, 31, v4
	s_delay_alu instid0(VALU_DEP_1) | instskip(SKIP_1) | instid1(VALU_DEP_2)
	v_or_b32_e32 v7, 0x80000000, v1
	v_xor_b32_e32 v1, v1, v3
	v_xor_b32_e32 v7, v7, v4
	s_delay_alu instid0(VALU_DEP_1) | instskip(NEXT) | instid1(VALU_DEP_1)
	v_cndmask_b32_e32 v7, -1, v7, vcc_lo
	v_dual_cndmask_b32 v1, -1, v1 :: v_dual_and_b32 v8, v7, v26
	s_delay_alu instid0(VALU_DEP_1) | instskip(NEXT) | instid1(VALU_DEP_1)
	v_and_b32_e32 v7, v1, v25
	v_cmp_eq_u64_e32 vcc_lo, v[7:8], v[23:24]
	s_and_b32 exec_lo, exec_lo, vcc_lo
	s_cbranch_execz .LBB78_131
; %bb.136:                              ;   in Loop: Header=BB78_132 Depth=2
	v_mov_b32_e32 v1, v15
	ds_store_b128 v15, v[1:4] offset:3072
	s_branch .LBB78_131
.LBB78_137:                             ;   in Loop: Header=BB78_15 Depth=1
	s_mov_b32 s27, -1
	s_mov_b32 s11, 0
                                        ; implicit-def: $sgpr28
                                        ; implicit-def: $vgpr9_vgpr10
	s_mov_b32 s29, s27
	s_cbranch_execnz .LBB78_140
	s_branch .LBB78_150
.LBB78_138:                             ;   in Loop: Header=BB78_15 Depth=1
	s_set_inst_prefetch_distance 0x2
	s_or_b32 exec_lo, exec_lo, s83
	s_delay_alu instid0(SALU_CYCLE_1)
	s_and_b32 s11, s82, exec_lo
.LBB78_139:                             ;   in Loop: Header=BB78_15 Depth=1
	s_or_b32 exec_lo, exec_lo, s28
	s_mov_b32 s28, -1
	s_mov_b32 s27, 0
	s_delay_alu instid0(SALU_CYCLE_1)
	s_mov_b32 s29, s27
	s_branch .LBB78_150
.LBB78_140:                             ;   in Loop: Header=BB78_15 Depth=1
	s_mov_b32 s11, 0
                                        ; implicit-def: $vgpr9_vgpr10
	s_and_saveexec_b32 s27, s9
	s_cbranch_execz .LBB78_149
; %bb.141:                              ;   in Loop: Header=BB78_15 Depth=1
	v_mov_b32_e32 v14, v13
	v_mov_b32_e32 v42, v0
	s_mov_b32 s29, 0
                                        ; implicit-def: $sgpr28
	s_branch .LBB78_143
.LBB78_142:                             ;   in Loop: Header=BB78_143 Depth=2
	s_or_b32 exec_lo, exec_lo, s11
	s_waitcnt vmcnt(0) lgkmcnt(0)
	s_barrier
	buffer_gl0_inv
	ds_load_b128 v[7:10], v15 offset:3072
	v_add_nc_u32_e32 v42, s34, v42
	v_add_nc_u32_e32 v14, s40, v14
	s_waitcnt lgkmcnt(0)
	s_barrier
	buffer_gl0_inv
	v_cmp_le_u32_e64 s11, s64, v42
	v_cmp_neq_f64_e32 vcc_lo, 0, v[7:8]
	s_delay_alu instid0(VALU_DEP_2) | instskip(NEXT) | instid1(SALU_CYCLE_1)
	s_or_b32 s11, s11, vcc_lo
	s_and_b32 s11, exec_lo, s11
	s_delay_alu instid0(SALU_CYCLE_1) | instskip(SKIP_2) | instid1(SALU_CYCLE_1)
	s_or_b32 s29, s11, s29
	s_and_not1_b32 s11, s28, exec_lo
	s_and_b32 s28, vcc_lo, exec_lo
	s_or_b32 s28, s11, s28
	s_and_not1_b32 exec_lo, exec_lo, s29
	s_cbranch_execz .LBB78_148
.LBB78_143:                             ;   Parent Loop BB78_15 Depth=1
                                        ; =>  This Inner Loop Header: Depth=2
	v_mov_b32_e32 v3, 0
	v_mov_b32_e32 v4, 0
	v_cmp_gt_u32_e32 vcc_lo, s36, v42
	s_and_saveexec_b32 s82, vcc_lo
	s_cbranch_execz .LBB78_145
; %bb.144:                              ;   in Loop: Header=BB78_143 Depth=2
	v_lshlrev_b64 v[3:4], 3, v[14:15]
	s_delay_alu instid0(VALU_DEP_1) | instskip(NEXT) | instid1(VALU_DEP_1)
	v_add_co_u32 v3, s11, s31, v3
	v_add_co_ci_u32_e64 v4, s11, s33, v4, s11
	global_load_b64 v[3:4], v[3:4], off
.LBB78_145:                             ;   in Loop: Header=BB78_143 Depth=2
	s_or_b32 exec_lo, exec_lo, s82
	s_and_saveexec_b32 s11, vcc_lo
	s_cbranch_execz .LBB78_142
; %bb.146:                              ;   in Loop: Header=BB78_143 Depth=2
	s_waitcnt vmcnt(0)
	v_cmp_o_f64_e32 vcc_lo, v[3:4], v[3:4]
	v_ashrrev_i32_e32 v1, 31, v4
	s_delay_alu instid0(VALU_DEP_1) | instskip(SKIP_1) | instid1(VALU_DEP_2)
	v_or_b32_e32 v7, 0x80000000, v1
	v_xor_b32_e32 v1, v1, v3
	v_xor_b32_e32 v7, v7, v4
	s_delay_alu instid0(VALU_DEP_1) | instskip(NEXT) | instid1(VALU_DEP_1)
	v_cndmask_b32_e32 v7, -1, v7, vcc_lo
	v_dual_cndmask_b32 v1, -1, v1 :: v_dual_and_b32 v8, v7, v26
	s_delay_alu instid0(VALU_DEP_1) | instskip(NEXT) | instid1(VALU_DEP_1)
	v_and_b32_e32 v7, v1, v25
	v_cmp_eq_u64_e32 vcc_lo, v[7:8], v[23:24]
	s_and_b32 exec_lo, exec_lo, vcc_lo
	s_cbranch_execz .LBB78_142
; %bb.147:                              ;   in Loop: Header=BB78_143 Depth=2
	v_mov_b32_e32 v1, v15
	ds_store_b128 v15, v[1:4] offset:3072
	s_branch .LBB78_142
.LBB78_148:                             ;   in Loop: Header=BB78_15 Depth=1
	s_or_b32 exec_lo, exec_lo, s29
	s_delay_alu instid0(SALU_CYCLE_1)
	s_and_b32 s11, s28, exec_lo
.LBB78_149:                             ;   in Loop: Header=BB78_15 Depth=1
	s_or_b32 exec_lo, exec_lo, s27
	s_mov_b32 s29, -1
	s_mov_b32 s27, 0
	s_mov_b32 s28, 0
.LBB78_150:                             ;   in Loop: Header=BB78_15 Depth=1
	s_or_not1_b32 s11, s11, exec_lo
.LBB78_151:                             ;   in Loop: Header=BB78_15 Depth=1
	s_or_b32 exec_lo, exec_lo, s80
	s_mov_b32 s82, 0
                                        ; implicit-def: $vgpr1
	s_and_saveexec_b32 s80, s11
	s_cbranch_execz .LBB78_244
; %bb.152:                              ;   in Loop: Header=BB78_15 Depth=1
	v_dual_mov_b32 v42, 1 :: v_dual_mov_b32 v1, 1
	s_xor_b32 s81, s81, -1
	s_mov_b32 s83, 0
	s_and_saveexec_b32 s11, s81
	s_cbranch_execz .LBB78_162
; %bb.153:                              ;   in Loop: Header=BB78_15 Depth=1
	s_mov_b32 s82, exec_lo
                                        ; implicit-def: $sgpr83
                                        ; implicit-def: $sgpr81
	v_cmpx_ge_u32_e64 s18, v41
	s_xor_b32 s82, exec_lo, s82
	s_cbranch_execz .LBB78_159
; %bb.154:                              ;   in Loop: Header=BB78_15 Depth=1
	ds_load_b32 v1, v15 offset:4096
	s_waitcnt lgkmcnt(0)
	v_cmp_ne_u32_e32 vcc_lo, 0, v1
	s_cbranch_vccnz .LBB78_158
; %bb.155:                              ;   in Loop: Header=BB78_15 Depth=1
	s_and_saveexec_b32 s81, s5
	s_cbranch_execz .LBB78_157
; %bb.156:                              ;   in Loop: Header=BB78_15 Depth=1
	v_mov_b32_e32 v1, s18
	ds_store_b32 v15, v1 offset:4100
.LBB78_157:                             ;   in Loop: Header=BB78_15 Depth=1
	s_or_b32 exec_lo, exec_lo, s81
	s_waitcnt lgkmcnt(0)
	s_barrier
	buffer_gl0_inv
.LBB78_158:                             ;   in Loop: Header=BB78_15 Depth=1
	v_and_b32_e32 v1, s15, v24
	v_and_b32_e32 v3, s14, v23
	s_lshl_b64 s[84:85], 1, s19
	v_or_b32_e32 v26, s13, v26
	v_or_b32_e32 v25, s12, v25
	;; [unrolled: 1-line block ×4, first 2 shown]
	s_mov_b32 s81, 0
	s_mov_b32 s83, 8
.LBB78_159:                             ;   in Loop: Header=BB78_15 Depth=1
	s_or_saveexec_b32 s82, s82
	v_mov_b32_e32 v1, s83
	s_xor_b32 exec_lo, exec_lo, s82
; %bb.160:                              ;   in Loop: Header=BB78_15 Depth=1
	v_subrev_nc_u32_e32 v41, s18, v41
	v_mov_b32_e32 v1, 0
	s_or_b32 s81, s81, exec_lo
; %bb.161:                              ;   in Loop: Header=BB78_15 Depth=1
	s_or_b32 exec_lo, exec_lo, s82
	s_delay_alu instid0(VALU_DEP_2)
	v_mov_b32_e32 v42, v41
	s_and_b32 s83, s81, exec_lo
.LBB78_162:                             ;   in Loop: Header=BB78_15 Depth=1
	s_or_b32 exec_lo, exec_lo, s11
	s_mov_b32 s11, -1
                                        ; implicit-def: $sgpr82
                                        ; implicit-def: $sgpr84
                                        ; implicit-def: $sgpr85
	s_and_saveexec_b32 s81, s83
	s_cbranch_execz .LBB78_243
; %bb.163:                              ;   in Loop: Header=BB78_15 Depth=1
	v_cmp_eq_u32_e32 vcc_lo, 1, v42
	s_cmp_eq_u32 s20, 1
                                        ; implicit-def: $sgpr82
                                        ; implicit-def: $sgpr84
                                        ; implicit-def: $sgpr83
	s_cselect_b32 s11, -1, 0
	s_delay_alu instid0(SALU_CYCLE_1)
	s_and_b32 s86, s11, vcc_lo
	s_mov_b32 s11, -1
	s_and_saveexec_b32 s85, s86
	s_cbranch_execz .LBB78_189
; %bb.164:                              ;   in Loop: Header=BB78_15 Depth=1
	ds_load_b32 v1, v15 offset:4096
	s_waitcnt lgkmcnt(0)
	s_barrier
	buffer_gl0_inv
	v_readfirstlane_b32 s82, v1
	s_and_saveexec_b32 s11, s6
	s_cbranch_execz .LBB78_166
; %bb.165:                              ;   in Loop: Header=BB78_15 Depth=1
	v_mov_b32_e32 v14, v15
	ds_store_b64 v32, v[14:15]
.LBB78_166:                             ;   in Loop: Header=BB78_15 Depth=1
	s_or_b32 exec_lo, exec_lo, s11
	v_and_b32_e32 v1, s15, v24
	v_and_b32_e32 v3, s14, v23
	s_lshl_b64 s[88:89], 2, s19
	v_or_b32_e32 v26, s13, v26
	v_or_b32_e32 v25, s12, v25
	;; [unrolled: 1-line block ×4, first 2 shown]
	s_cmp_eq_u32 s82, 0
	s_waitcnt lgkmcnt(0)
	s_barrier
	buffer_gl0_inv
	s_cbranch_scc1 .LBB78_175
; %bb.167:                              ;   in Loop: Header=BB78_15 Depth=1
	s_add_i32 s11, s82, s56
                                        ; implicit-def: $vgpr9_vgpr10
	s_delay_alu instid0(SALU_CYCLE_1) | instskip(NEXT) | instid1(SALU_CYCLE_1)
	s_mul_hi_u32 s83, s11, s63
	s_mul_i32 s83, s83, s34
	s_delay_alu instid0(SALU_CYCLE_1) | instskip(NEXT) | instid1(SALU_CYCLE_1)
	s_sub_i32 s83, s11, s83
	s_sub_i32 s84, s83, s34
	s_cmp_ge_u32 s83, s34
	s_cselect_b32 s83, s84, s83
	s_delay_alu instid0(SALU_CYCLE_1) | instskip(SKIP_2) | instid1(SALU_CYCLE_1)
	s_sub_i32 s84, s83, s34
	s_cmp_ge_u32 s83, s34
	s_cselect_b32 s83, s84, s83
	s_sub_i32 s84, s11, s83
	s_mov_b32 s11, 0
	s_mov_b32 s83, exec_lo
	v_cmpx_gt_u32_e64 s84, v0
	s_cbranch_execz .LBB78_177
; %bb.168:                              ;   in Loop: Header=BB78_15 Depth=1
	v_dual_mov_b32 v14, v30 :: v_dual_mov_b32 v41, v0
	s_mov_b32 s88, 0
                                        ; implicit-def: $sgpr87
	s_set_inst_prefetch_distance 0x1
	s_branch .LBB78_170
	.p2align	6
.LBB78_169:                             ;   in Loop: Header=BB78_170 Depth=2
	s_or_b32 exec_lo, exec_lo, s11
	s_waitcnt lgkmcnt(0)
	s_barrier
	buffer_gl0_inv
	ds_load_b128 v[7:10], v15 offset:3072
	v_add_nc_u32_e32 v41, s34, v41
	v_add_nc_u32_e32 v14, s67, v14
	s_waitcnt lgkmcnt(0)
	s_barrier
	buffer_gl0_inv
	v_cmp_le_u32_e64 s11, s84, v41
	v_cmp_neq_f64_e32 vcc_lo, 0, v[7:8]
	s_delay_alu instid0(VALU_DEP_2) | instskip(NEXT) | instid1(SALU_CYCLE_1)
	s_or_b32 s11, s11, vcc_lo
	s_and_b32 s11, exec_lo, s11
	s_delay_alu instid0(SALU_CYCLE_1) | instskip(SKIP_2) | instid1(SALU_CYCLE_1)
	s_or_b32 s88, s11, s88
	s_and_not1_b32 s11, s87, exec_lo
	s_and_b32 s87, vcc_lo, exec_lo
	s_or_b32 s87, s11, s87
	s_and_not1_b32 exec_lo, exec_lo, s88
	s_cbranch_execz .LBB78_176
.LBB78_170:                             ;   Parent Loop BB78_15 Depth=1
                                        ; =>  This Inner Loop Header: Depth=2
	v_mov_b32_e32 v3, 0
	v_mov_b32_e32 v4, 0
	v_cmp_gt_u32_e32 vcc_lo, s82, v41
	s_and_saveexec_b32 s11, vcc_lo
	s_cbranch_execz .LBB78_172
; %bb.171:                              ;   in Loop: Header=BB78_170 Depth=2
	ds_load_b64 v[3:4], v14
.LBB78_172:                             ;   in Loop: Header=BB78_170 Depth=2
	s_or_b32 exec_lo, exec_lo, s11
	s_and_saveexec_b32 s11, vcc_lo
	s_cbranch_execz .LBB78_169
; %bb.173:                              ;   in Loop: Header=BB78_170 Depth=2
	s_waitcnt lgkmcnt(0)
	v_cmp_o_f64_e32 vcc_lo, v[3:4], v[3:4]
	v_ashrrev_i32_e32 v1, 31, v4
	s_delay_alu instid0(VALU_DEP_1) | instskip(SKIP_1) | instid1(VALU_DEP_2)
	v_or_b32_e32 v7, 0x80000000, v1
	v_xor_b32_e32 v1, v1, v3
	v_xor_b32_e32 v7, v7, v4
	s_delay_alu instid0(VALU_DEP_1) | instskip(NEXT) | instid1(VALU_DEP_1)
	v_cndmask_b32_e32 v7, -1, v7, vcc_lo
	v_dual_cndmask_b32 v1, -1, v1 :: v_dual_and_b32 v8, v7, v26
	s_delay_alu instid0(VALU_DEP_1) | instskip(NEXT) | instid1(VALU_DEP_1)
	v_and_b32_e32 v7, v1, v25
	v_cmp_eq_u64_e32 vcc_lo, v[7:8], v[23:24]
	s_and_b32 exec_lo, exec_lo, vcc_lo
	s_cbranch_execz .LBB78_169
; %bb.174:                              ;   in Loop: Header=BB78_170 Depth=2
	v_mov_b32_e32 v1, v15
	ds_store_b128 v15, v[1:4] offset:3072
	s_branch .LBB78_169
.LBB78_175:                             ;   in Loop: Header=BB78_15 Depth=1
	s_mov_b32 s82, -1
	s_mov_b32 s11, 0
                                        ; implicit-def: $sgpr83
                                        ; implicit-def: $vgpr9_vgpr10
	s_mov_b32 s84, s82
	s_cbranch_execnz .LBB78_178
	s_branch .LBB78_188
.LBB78_176:                             ;   in Loop: Header=BB78_15 Depth=1
	s_set_inst_prefetch_distance 0x2
	s_or_b32 exec_lo, exec_lo, s88
	s_delay_alu instid0(SALU_CYCLE_1)
	s_and_b32 s11, s87, exec_lo
.LBB78_177:                             ;   in Loop: Header=BB78_15 Depth=1
	s_or_b32 exec_lo, exec_lo, s83
	s_mov_b32 s83, -1
	s_mov_b32 s82, 0
	s_delay_alu instid0(SALU_CYCLE_1)
	s_mov_b32 s84, s82
	s_branch .LBB78_188
.LBB78_178:                             ;   in Loop: Header=BB78_15 Depth=1
	s_mov_b32 s11, 0
                                        ; implicit-def: $vgpr9_vgpr10
	s_and_saveexec_b32 s82, s9
	s_cbranch_execz .LBB78_187
; %bb.179:                              ;   in Loop: Header=BB78_15 Depth=1
	v_dual_mov_b32 v14, v13 :: v_dual_mov_b32 v41, v0
	s_mov_b32 s84, 0
                                        ; implicit-def: $sgpr83
	s_branch .LBB78_181
.LBB78_180:                             ;   in Loop: Header=BB78_181 Depth=2
	s_or_b32 exec_lo, exec_lo, s11
	s_waitcnt vmcnt(0) lgkmcnt(0)
	s_barrier
	buffer_gl0_inv
	ds_load_b128 v[7:10], v15 offset:3072
	v_add_nc_u32_e32 v41, s34, v41
	v_add_nc_u32_e32 v14, s40, v14
	s_waitcnt lgkmcnt(0)
	s_barrier
	buffer_gl0_inv
	v_cmp_le_u32_e64 s11, s64, v41
	v_cmp_neq_f64_e32 vcc_lo, 0, v[7:8]
	s_delay_alu instid0(VALU_DEP_2) | instskip(NEXT) | instid1(SALU_CYCLE_1)
	s_or_b32 s11, s11, vcc_lo
	s_and_b32 s11, exec_lo, s11
	s_delay_alu instid0(SALU_CYCLE_1) | instskip(SKIP_2) | instid1(SALU_CYCLE_1)
	s_or_b32 s84, s11, s84
	s_and_not1_b32 s11, s83, exec_lo
	s_and_b32 s83, vcc_lo, exec_lo
	s_or_b32 s83, s11, s83
	s_and_not1_b32 exec_lo, exec_lo, s84
	s_cbranch_execz .LBB78_186
.LBB78_181:                             ;   Parent Loop BB78_15 Depth=1
                                        ; =>  This Inner Loop Header: Depth=2
	v_mov_b32_e32 v3, 0
	v_mov_b32_e32 v4, 0
	v_cmp_gt_u32_e32 vcc_lo, s36, v41
	s_and_saveexec_b32 s87, vcc_lo
	s_cbranch_execz .LBB78_183
; %bb.182:                              ;   in Loop: Header=BB78_181 Depth=2
	v_lshlrev_b64 v[3:4], 3, v[14:15]
	s_delay_alu instid0(VALU_DEP_1) | instskip(NEXT) | instid1(VALU_DEP_1)
	v_add_co_u32 v3, s11, s31, v3
	v_add_co_ci_u32_e64 v4, s11, s33, v4, s11
	global_load_b64 v[3:4], v[3:4], off
.LBB78_183:                             ;   in Loop: Header=BB78_181 Depth=2
	s_or_b32 exec_lo, exec_lo, s87
	s_and_saveexec_b32 s11, vcc_lo
	s_cbranch_execz .LBB78_180
; %bb.184:                              ;   in Loop: Header=BB78_181 Depth=2
	s_waitcnt vmcnt(0)
	v_cmp_o_f64_e32 vcc_lo, v[3:4], v[3:4]
	v_ashrrev_i32_e32 v1, 31, v4
	s_delay_alu instid0(VALU_DEP_1) | instskip(SKIP_1) | instid1(VALU_DEP_2)
	v_or_b32_e32 v7, 0x80000000, v1
	v_xor_b32_e32 v1, v1, v3
	v_xor_b32_e32 v7, v7, v4
	s_delay_alu instid0(VALU_DEP_1) | instskip(NEXT) | instid1(VALU_DEP_1)
	v_cndmask_b32_e32 v7, -1, v7, vcc_lo
	v_dual_cndmask_b32 v1, -1, v1 :: v_dual_and_b32 v8, v7, v26
	s_delay_alu instid0(VALU_DEP_1) | instskip(NEXT) | instid1(VALU_DEP_1)
	v_and_b32_e32 v7, v1, v25
	v_cmp_eq_u64_e32 vcc_lo, v[7:8], v[23:24]
	s_and_b32 exec_lo, exec_lo, vcc_lo
	s_cbranch_execz .LBB78_180
; %bb.185:                              ;   in Loop: Header=BB78_181 Depth=2
	v_mov_b32_e32 v1, v15
	ds_store_b128 v15, v[1:4] offset:3072
	s_branch .LBB78_180
.LBB78_186:                             ;   in Loop: Header=BB78_15 Depth=1
	s_or_b32 exec_lo, exec_lo, s84
	s_delay_alu instid0(SALU_CYCLE_1)
	s_and_b32 s11, s83, exec_lo
.LBB78_187:                             ;   in Loop: Header=BB78_15 Depth=1
	s_or_b32 exec_lo, exec_lo, s82
	s_mov_b32 s84, -1
	s_mov_b32 s82, 0
	s_mov_b32 s83, 0
.LBB78_188:                             ;   in Loop: Header=BB78_15 Depth=1
	s_or_not1_b32 s11, s11, exec_lo
.LBB78_189:                             ;   in Loop: Header=BB78_15 Depth=1
	s_or_b32 exec_lo, exec_lo, s85
	s_mov_b32 s87, 0
                                        ; implicit-def: $vgpr1
	s_and_saveexec_b32 s85, s11
	s_cbranch_execz .LBB78_242
; %bb.190:                              ;   in Loop: Header=BB78_15 Depth=1
	v_mov_b32_e32 v41, 1
	v_mov_b32_e32 v1, 1
	s_xor_b32 s86, s86, -1
	s_mov_b32 s88, 0
	s_and_saveexec_b32 s11, s86
	s_cbranch_execz .LBB78_200
; %bb.191:                              ;   in Loop: Header=BB78_15 Depth=1
	s_mov_b32 s87, exec_lo
                                        ; implicit-def: $sgpr88
                                        ; implicit-def: $sgpr86
	v_cmpx_ge_u32_e64 s20, v42
	s_xor_b32 s87, exec_lo, s87
	s_cbranch_execz .LBB78_197
; %bb.192:                              ;   in Loop: Header=BB78_15 Depth=1
	ds_load_b32 v1, v15 offset:4096
	s_waitcnt lgkmcnt(0)
	v_cmp_ne_u32_e32 vcc_lo, 0, v1
	s_cbranch_vccnz .LBB78_196
; %bb.193:                              ;   in Loop: Header=BB78_15 Depth=1
	s_and_saveexec_b32 s86, s5
	s_cbranch_execz .LBB78_195
; %bb.194:                              ;   in Loop: Header=BB78_15 Depth=1
	v_mov_b32_e32 v1, s20
	ds_store_b32 v15, v1 offset:4100
.LBB78_195:                             ;   in Loop: Header=BB78_15 Depth=1
	s_or_b32 exec_lo, exec_lo, s86
	s_waitcnt lgkmcnt(0)
	s_barrier
	buffer_gl0_inv
.LBB78_196:                             ;   in Loop: Header=BB78_15 Depth=1
	v_and_b32_e32 v1, s15, v24
	v_and_b32_e32 v3, s14, v23
	s_lshl_b64 s[88:89], 2, s19
	v_or_b32_e32 v26, s13, v26
	v_or_b32_e32 v25, s12, v25
	;; [unrolled: 1-line block ×4, first 2 shown]
	s_mov_b32 s86, 0
	s_mov_b32 s88, 8
.LBB78_197:                             ;   in Loop: Header=BB78_15 Depth=1
	s_or_saveexec_b32 s87, s87
	v_mov_b32_e32 v1, s88
	s_xor_b32 exec_lo, exec_lo, s87
; %bb.198:                              ;   in Loop: Header=BB78_15 Depth=1
	v_subrev_nc_u32_e32 v42, s20, v42
	v_mov_b32_e32 v1, 0
	s_or_b32 s86, s86, exec_lo
; %bb.199:                              ;   in Loop: Header=BB78_15 Depth=1
	s_or_b32 exec_lo, exec_lo, s87
	s_delay_alu instid0(VALU_DEP_2)
	v_mov_b32_e32 v41, v42
	s_and_b32 s88, s86, exec_lo
.LBB78_200:                             ;   in Loop: Header=BB78_15 Depth=1
	s_or_b32 exec_lo, exec_lo, s11
	s_mov_b32 s87, -1
                                        ; implicit-def: $sgpr11
                                        ; implicit-def: $sgpr90
                                        ; implicit-def: $sgpr89
	s_and_saveexec_b32 s86, s88
	s_cbranch_execz .LBB78_241
; %bb.201:                              ;   in Loop: Header=BB78_15 Depth=1
	v_cmp_eq_u32_e32 vcc_lo, 1, v41
	s_cmp_eq_u32 s21, 1
	s_mov_b32 s91, -1
	s_cselect_b32 s11, -1, 0
                                        ; implicit-def: $sgpr90
                                        ; implicit-def: $sgpr89
	s_delay_alu instid0(SALU_CYCLE_1) | instskip(NEXT) | instid1(SALU_CYCLE_1)
	s_and_b32 s87, s11, vcc_lo
                                        ; implicit-def: $sgpr11
	s_and_saveexec_b32 s88, s87
	s_cbranch_execz .LBB78_228
; %bb.202:                              ;   in Loop: Header=BB78_15 Depth=1
	ds_load_b32 v1, v15 offset:4096
	s_waitcnt lgkmcnt(0)
	s_barrier
	buffer_gl0_inv
	v_readfirstlane_b32 s89, v1
	s_and_saveexec_b32 s11, s6
	s_cbranch_execz .LBB78_204
; %bb.203:                              ;   in Loop: Header=BB78_15 Depth=1
	v_mov_b32_e32 v14, v15
	ds_store_b64 v32, v[14:15]
.LBB78_204:                             ;   in Loop: Header=BB78_15 Depth=1
	s_or_b32 exec_lo, exec_lo, s11
	v_or_b32_e32 v24, s13, v24
	v_or_b32_e32 v23, s12, v23
	;; [unrolled: 1-line block ×4, first 2 shown]
	s_cmp_eq_u32 s89, 0
	s_waitcnt lgkmcnt(0)
	s_barrier
	buffer_gl0_inv
	s_cbranch_scc1 .LBB78_213
; %bb.205:                              ;   in Loop: Header=BB78_15 Depth=1
	s_add_i32 s11, s89, s56
	s_mov_b32 s92, 0
	s_mul_hi_u32 s90, s11, s63
                                        ; implicit-def: $vgpr9_vgpr10
	s_delay_alu instid0(SALU_CYCLE_1) | instskip(NEXT) | instid1(SALU_CYCLE_1)
	s_mul_i32 s90, s90, s34
	s_sub_i32 s90, s11, s90
	s_delay_alu instid0(SALU_CYCLE_1) | instskip(SKIP_2) | instid1(SALU_CYCLE_1)
	s_sub_i32 s91, s90, s34
	s_cmp_ge_u32 s90, s34
	s_cselect_b32 s90, s91, s90
	s_sub_i32 s91, s90, s34
	s_cmp_ge_u32 s90, s34
	s_cselect_b32 s90, s91, s90
	s_delay_alu instid0(SALU_CYCLE_1)
	s_sub_i32 s91, s11, s90
	s_mov_b32 s90, exec_lo
	v_cmpx_gt_u32_e64 s91, v0
	s_cbranch_execz .LBB78_215
; %bb.206:                              ;   in Loop: Header=BB78_15 Depth=1
	v_mov_b32_e32 v14, v30
	v_mov_b32_e32 v42, v0
	s_mov_b32 s93, 0
                                        ; implicit-def: $sgpr92
	s_set_inst_prefetch_distance 0x1
	s_branch .LBB78_208
	.p2align	6
.LBB78_207:                             ;   in Loop: Header=BB78_208 Depth=2
	s_or_b32 exec_lo, exec_lo, s11
	s_waitcnt lgkmcnt(0)
	s_barrier
	buffer_gl0_inv
	ds_load_b128 v[7:10], v15 offset:3072
	v_add_nc_u32_e32 v42, s34, v42
	v_add_nc_u32_e32 v14, s67, v14
	s_waitcnt lgkmcnt(0)
	s_barrier
	buffer_gl0_inv
	v_cmp_le_u32_e64 s11, s91, v42
	v_cmp_neq_f64_e32 vcc_lo, 0, v[7:8]
	s_delay_alu instid0(VALU_DEP_2) | instskip(NEXT) | instid1(SALU_CYCLE_1)
	s_or_b32 s11, s11, vcc_lo
	s_and_b32 s11, exec_lo, s11
	s_delay_alu instid0(SALU_CYCLE_1) | instskip(SKIP_2) | instid1(SALU_CYCLE_1)
	s_or_b32 s93, s11, s93
	s_and_not1_b32 s11, s92, exec_lo
	s_and_b32 s92, vcc_lo, exec_lo
	s_or_b32 s92, s11, s92
	s_and_not1_b32 exec_lo, exec_lo, s93
	s_cbranch_execz .LBB78_214
.LBB78_208:                             ;   Parent Loop BB78_15 Depth=1
                                        ; =>  This Inner Loop Header: Depth=2
	v_mov_b32_e32 v3, 0
	v_mov_b32_e32 v4, 0
	v_cmp_gt_u32_e32 vcc_lo, s89, v42
	s_and_saveexec_b32 s11, vcc_lo
	s_cbranch_execz .LBB78_210
; %bb.209:                              ;   in Loop: Header=BB78_208 Depth=2
	ds_load_b64 v[3:4], v14
.LBB78_210:                             ;   in Loop: Header=BB78_208 Depth=2
	s_or_b32 exec_lo, exec_lo, s11
	s_and_saveexec_b32 s11, vcc_lo
	s_cbranch_execz .LBB78_207
; %bb.211:                              ;   in Loop: Header=BB78_208 Depth=2
	s_waitcnt lgkmcnt(0)
	v_cmp_o_f64_e32 vcc_lo, v[3:4], v[3:4]
	v_ashrrev_i32_e32 v1, 31, v4
	s_delay_alu instid0(VALU_DEP_1) | instskip(SKIP_1) | instid1(VALU_DEP_2)
	v_or_b32_e32 v7, 0x80000000, v1
	v_xor_b32_e32 v1, v1, v3
	v_xor_b32_e32 v7, v7, v4
	s_delay_alu instid0(VALU_DEP_1) | instskip(NEXT) | instid1(VALU_DEP_1)
	v_cndmask_b32_e32 v7, -1, v7, vcc_lo
	v_dual_cndmask_b32 v1, -1, v1 :: v_dual_and_b32 v8, v7, v26
	s_delay_alu instid0(VALU_DEP_1) | instskip(NEXT) | instid1(VALU_DEP_1)
	v_and_b32_e32 v7, v1, v25
	v_cmp_eq_u64_e32 vcc_lo, v[7:8], v[23:24]
	s_and_b32 exec_lo, exec_lo, vcc_lo
	s_cbranch_execz .LBB78_207
; %bb.212:                              ;   in Loop: Header=BB78_208 Depth=2
	v_mov_b32_e32 v1, v15
	ds_store_b128 v15, v[1:4] offset:3072
	s_branch .LBB78_207
.LBB78_213:                             ;   in Loop: Header=BB78_15 Depth=1
	s_mov_b32 s11, -1
	s_mov_b32 s92, 0
                                        ; implicit-def: $sgpr89
                                        ; implicit-def: $vgpr9_vgpr10
	s_branch .LBB78_216
.LBB78_214:                             ;   in Loop: Header=BB78_15 Depth=1
	s_set_inst_prefetch_distance 0x2
	s_or_b32 exec_lo, exec_lo, s93
	s_delay_alu instid0(SALU_CYCLE_1)
	s_and_b32 s92, s92, exec_lo
.LBB78_215:                             ;   in Loop: Header=BB78_15 Depth=1
	s_or_b32 exec_lo, exec_lo, s90
	s_mov_b32 s89, -1
	s_mov_b32 s11, 0
.LBB78_216:                             ;   in Loop: Header=BB78_15 Depth=1
	s_delay_alu instid0(SALU_CYCLE_1)
	s_and_b32 vcc_lo, exec_lo, s11
	s_mov_b32 s90, s11
	s_cbranch_vccz .LBB78_227
; %bb.217:                              ;   in Loop: Header=BB78_15 Depth=1
	s_mov_b32 s92, 0
                                        ; implicit-def: $vgpr9_vgpr10
	s_and_saveexec_b32 s89, s9
	s_cbranch_execz .LBB78_226
; %bb.218:                              ;   in Loop: Header=BB78_15 Depth=1
	v_mov_b32_e32 v14, v13
	v_mov_b32_e32 v42, v0
	s_mov_b32 s91, 0
                                        ; implicit-def: $sgpr90
	s_branch .LBB78_220
.LBB78_219:                             ;   in Loop: Header=BB78_220 Depth=2
	s_or_b32 exec_lo, exec_lo, s11
	s_waitcnt vmcnt(0) lgkmcnt(0)
	s_barrier
	buffer_gl0_inv
	ds_load_b128 v[7:10], v15 offset:3072
	v_add_nc_u32_e32 v42, s34, v42
	v_add_nc_u32_e32 v14, s40, v14
	s_waitcnt lgkmcnt(0)
	s_barrier
	buffer_gl0_inv
	v_cmp_le_u32_e64 s11, s64, v42
	v_cmp_neq_f64_e32 vcc_lo, 0, v[7:8]
	s_delay_alu instid0(VALU_DEP_2) | instskip(NEXT) | instid1(SALU_CYCLE_1)
	s_or_b32 s11, s11, vcc_lo
	s_and_b32 s11, exec_lo, s11
	s_delay_alu instid0(SALU_CYCLE_1) | instskip(SKIP_2) | instid1(SALU_CYCLE_1)
	s_or_b32 s91, s11, s91
	s_and_not1_b32 s11, s90, exec_lo
	s_and_b32 s90, vcc_lo, exec_lo
	s_or_b32 s90, s11, s90
	s_and_not1_b32 exec_lo, exec_lo, s91
	s_cbranch_execz .LBB78_225
.LBB78_220:                             ;   Parent Loop BB78_15 Depth=1
                                        ; =>  This Inner Loop Header: Depth=2
	v_mov_b32_e32 v3, 0
	v_mov_b32_e32 v4, 0
	v_cmp_gt_u32_e32 vcc_lo, s36, v42
	s_and_saveexec_b32 s92, vcc_lo
	s_cbranch_execz .LBB78_222
; %bb.221:                              ;   in Loop: Header=BB78_220 Depth=2
	v_lshlrev_b64 v[3:4], 3, v[14:15]
	s_delay_alu instid0(VALU_DEP_1) | instskip(NEXT) | instid1(VALU_DEP_1)
	v_add_co_u32 v3, s11, s31, v3
	v_add_co_ci_u32_e64 v4, s11, s33, v4, s11
	global_load_b64 v[3:4], v[3:4], off
.LBB78_222:                             ;   in Loop: Header=BB78_220 Depth=2
	s_or_b32 exec_lo, exec_lo, s92
	s_and_saveexec_b32 s11, vcc_lo
	s_cbranch_execz .LBB78_219
; %bb.223:                              ;   in Loop: Header=BB78_220 Depth=2
	s_waitcnt vmcnt(0)
	v_cmp_o_f64_e32 vcc_lo, v[3:4], v[3:4]
	v_ashrrev_i32_e32 v1, 31, v4
	s_delay_alu instid0(VALU_DEP_1) | instskip(SKIP_1) | instid1(VALU_DEP_2)
	v_or_b32_e32 v7, 0x80000000, v1
	v_xor_b32_e32 v1, v1, v3
	v_xor_b32_e32 v7, v7, v4
	s_delay_alu instid0(VALU_DEP_1) | instskip(NEXT) | instid1(VALU_DEP_1)
	v_cndmask_b32_e32 v7, -1, v7, vcc_lo
	v_dual_cndmask_b32 v1, -1, v1 :: v_dual_and_b32 v8, v7, v26
	s_delay_alu instid0(VALU_DEP_1) | instskip(NEXT) | instid1(VALU_DEP_1)
	v_and_b32_e32 v7, v1, v25
	v_cmp_eq_u64_e32 vcc_lo, v[7:8], v[23:24]
	s_and_b32 exec_lo, exec_lo, vcc_lo
	s_cbranch_execz .LBB78_219
; %bb.224:                              ;   in Loop: Header=BB78_220 Depth=2
	v_mov_b32_e32 v1, v15
	ds_store_b128 v15, v[1:4] offset:3072
	s_branch .LBB78_219
.LBB78_225:                             ;   in Loop: Header=BB78_15 Depth=1
	s_or_b32 exec_lo, exec_lo, s91
	s_delay_alu instid0(SALU_CYCLE_1)
	s_and_b32 s92, s90, exec_lo
.LBB78_226:                             ;   in Loop: Header=BB78_15 Depth=1
	s_or_b32 exec_lo, exec_lo, s89
	s_mov_b32 s90, -1
	s_mov_b32 s11, 0
	s_mov_b32 s89, 0
.LBB78_227:                             ;   in Loop: Header=BB78_15 Depth=1
	s_or_not1_b32 s91, s92, exec_lo
.LBB78_228:                             ;   in Loop: Header=BB78_15 Depth=1
	s_or_b32 exec_lo, exec_lo, s88
	s_mov_b32 s92, 0
                                        ; implicit-def: $vgpr1
                                        ; implicit-def: $vgpr3
	s_and_saveexec_b32 s88, s91
	s_cbranch_execz .LBB78_240
; %bb.229:                              ;   in Loop: Header=BB78_15 Depth=1
	v_mov_b32_e32 v1, 1
	v_mov_b32_e32 v3, 1
	s_xor_b32 s91, s87, -1
	s_delay_alu instid0(SALU_CYCLE_1)
	s_and_saveexec_b32 s87, s91
	s_cbranch_execz .LBB78_239
; %bb.230:                              ;   in Loop: Header=BB78_15 Depth=1
	s_mov_b32 s91, exec_lo
                                        ; implicit-def: $sgpr92
	v_cmpx_ge_u32_e64 s21, v41
	s_xor_b32 s91, exec_lo, s91
	s_cbranch_execz .LBB78_236
; %bb.231:                              ;   in Loop: Header=BB78_15 Depth=1
	ds_load_b32 v1, v15 offset:4096
	s_waitcnt lgkmcnt(0)
	v_cmp_ne_u32_e32 vcc_lo, 0, v1
	s_cbranch_vccnz .LBB78_235
; %bb.232:                              ;   in Loop: Header=BB78_15 Depth=1
	s_and_saveexec_b32 s92, s5
	s_cbranch_execz .LBB78_234
; %bb.233:                              ;   in Loop: Header=BB78_15 Depth=1
	v_mov_b32_e32 v1, s21
	ds_store_b32 v15, v1 offset:4100
.LBB78_234:                             ;   in Loop: Header=BB78_15 Depth=1
	s_or_b32 exec_lo, exec_lo, s92
	s_waitcnt lgkmcnt(0)
	s_barrier
	buffer_gl0_inv
.LBB78_235:                             ;   in Loop: Header=BB78_15 Depth=1
	v_or_b32_e32 v24, s13, v24
	v_or_b32_e32 v23, s12, v23
	;; [unrolled: 1-line block ×4, first 2 shown]
	s_mov_b32 s92, 8
.LBB78_236:                             ;   in Loop: Header=BB78_15 Depth=1
	s_or_saveexec_b32 s91, s91
	v_mov_b32_e32 v1, s92
	s_xor_b32 exec_lo, exec_lo, s91
; %bb.237:                              ;   in Loop: Header=BB78_15 Depth=1
	v_subrev_nc_u32_e32 v41, s21, v41
	v_mov_b32_e32 v1, 8
; %bb.238:                              ;   in Loop: Header=BB78_15 Depth=1
	s_or_b32 exec_lo, exec_lo, s91
	s_delay_alu instid0(VALU_DEP_2)
	v_mov_b32_e32 v3, v41
.LBB78_239:                             ;   in Loop: Header=BB78_15 Depth=1
	s_or_b32 exec_lo, exec_lo, s87
	s_delay_alu instid0(SALU_CYCLE_1)
	s_mov_b32 s92, exec_lo
.LBB78_240:                             ;   in Loop: Header=BB78_15 Depth=1
	s_or_b32 exec_lo, exec_lo, s88
	s_delay_alu instid0(VALU_DEP_1)
	v_mov_b32_e32 v41, v3
	s_or_not1_b32 s87, s92, exec_lo
.LBB78_241:                             ;   in Loop: Header=BB78_15 Depth=1
	s_or_b32 exec_lo, exec_lo, s86
	s_delay_alu instid0(SALU_CYCLE_1)
	s_and_not1_b32 s82, s82, exec_lo
	s_and_b32 s11, s11, exec_lo
	v_mov_b32_e32 v42, v41
	s_or_b32 s82, s82, s11
	s_and_not1_b32 s11, s84, exec_lo
	s_and_b32 s84, s90, exec_lo
	s_and_not1_b32 s83, s83, exec_lo
	s_and_b32 s86, s89, exec_lo
	s_or_b32 s84, s11, s84
	s_or_b32 s83, s83, s86
	s_and_b32 s87, s87, exec_lo
.LBB78_242:                             ;   in Loop: Header=BB78_15 Depth=1
	s_or_b32 exec_lo, exec_lo, s85
	s_delay_alu instid0(SALU_CYCLE_1)
	s_and_b32 s85, s82, exec_lo
	s_and_b32 s84, s84, exec_lo
	;; [unrolled: 1-line block ×3, first 2 shown]
	s_or_not1_b32 s11, s87, exec_lo
.LBB78_243:                             ;   in Loop: Header=BB78_15 Depth=1
	s_or_b32 exec_lo, exec_lo, s81
	s_delay_alu instid0(SALU_CYCLE_1)
	s_and_not1_b32 s27, s27, exec_lo
	s_and_b32 s81, s85, exec_lo
	v_mov_b32_e32 v41, v42
	s_or_b32 s27, s27, s81
	s_and_not1_b32 s29, s29, exec_lo
	s_and_b32 s81, s84, exec_lo
	s_and_not1_b32 s28, s28, exec_lo
	s_and_b32 s82, s82, exec_lo
	s_or_b32 s29, s29, s81
	s_or_b32 s28, s28, s82
	s_and_b32 s82, s11, exec_lo
.LBB78_244:                             ;   in Loop: Header=BB78_15 Depth=1
	s_or_b32 exec_lo, exec_lo, s80
	s_delay_alu instid0(SALU_CYCLE_1)
	s_and_b32 s80, s27, exec_lo
	s_and_b32 s29, s29, exec_lo
	;; [unrolled: 1-line block ×3, first 2 shown]
	s_or_not1_b32 s11, s82, exec_lo
.LBB78_245:                             ;   in Loop: Header=BB78_15 Depth=1
	s_or_b32 exec_lo, exec_lo, s22
	s_mov_b32 s22, 0
	s_mov_b32 s28, 0
	s_and_saveexec_b32 s81, s11
	s_delay_alu instid0(SALU_CYCLE_1)
	s_xor_b32 s81, exec_lo, s81
; %bb.246:                              ;   in Loop: Header=BB78_15 Depth=1
	v_cmp_ne_u32_e32 vcc_lo, 8, v1
	v_cmp_eq_u32_e64 s11, 8, v1
	s_and_not1_b32 s80, s80, exec_lo
	s_and_not1_b32 s29, s29, exec_lo
	;; [unrolled: 1-line block ×3, first 2 shown]
	s_and_b32 s28, vcc_lo, exec_lo
	s_and_b32 s22, s11, exec_lo
; %bb.247:                              ;   in Loop: Header=BB78_15 Depth=1
	s_or_b32 exec_lo, exec_lo, s81
	s_delay_alu instid0(SALU_CYCLE_1)
	s_and_not1_b32 s11, s17, exec_lo
	s_and_b32 s17, s80, exec_lo
	s_and_not1_b32 s23, s23, exec_lo
	s_or_b32 s17, s11, s17
	s_and_not1_b32 s11, s24, exec_lo
	s_and_b32 s24, s29, exec_lo
	s_and_b32 s27, s27, exec_lo
	s_or_b32 s24, s11, s24
	s_or_b32 s23, s23, s27
	s_and_b32 s11, s28, exec_lo
	s_and_b32 s22, s22, exec_lo
.LBB78_248:                             ;   in Loop: Header=BB78_15 Depth=1
	s_or_b32 exec_lo, exec_lo, s26
	s_delay_alu instid0(SALU_CYCLE_1)
	s_and_b32 vcc_lo, exec_lo, s25
	s_cbranch_vccz .LBB78_95
.LBB78_249:                             ;   in Loop: Header=BB78_15 Depth=1
	s_delay_alu instid0(VALU_DEP_1) | instskip(SKIP_1) | instid1(SALU_CYCLE_1)
	s_cmp_eq_u32 s21, 1
                                        ; implicit-def: $sgpr25
                                        ; implicit-def: $sgpr26
	s_cselect_b32 s17, -1, 0
	s_and_b32 s24, s17, s10
	s_mov_b32 s10, -1
                                        ; implicit-def: $sgpr17
	s_and_saveexec_b32 s23, s24
	s_cbranch_execz .LBB78_275
; %bb.250:                              ;   in Loop: Header=BB78_15 Depth=1
	ds_load_b32 v1, v15 offset:4096
	s_waitcnt lgkmcnt(0)
	s_barrier
	buffer_gl0_inv
	v_readfirstlane_b32 s17, v1
	s_and_saveexec_b32 s10, s6
	s_cbranch_execz .LBB78_252
; %bb.251:                              ;   in Loop: Header=BB78_15 Depth=1
	v_mov_b32_e32 v14, v15
	ds_store_b64 v32, v[14:15]
.LBB78_252:                             ;   in Loop: Header=BB78_15 Depth=1
	s_or_b32 exec_lo, exec_lo, s10
	v_or_b32_e32 v22, s13, v22
	v_or_b32_e32 v21, s12, v21
	;; [unrolled: 1-line block ×4, first 2 shown]
	s_cmp_eq_u32 s17, 0
	s_waitcnt lgkmcnt(0)
	s_barrier
	buffer_gl0_inv
	s_cbranch_scc1 .LBB78_261
; %bb.253:                              ;   in Loop: Header=BB78_15 Depth=1
	s_add_i32 s10, s17, s56
                                        ; implicit-def: $vgpr5_vgpr6
	s_delay_alu instid0(SALU_CYCLE_1) | instskip(NEXT) | instid1(SALU_CYCLE_1)
	s_mul_hi_u32 s25, s10, s63
	s_mul_i32 s25, s25, s34
	s_delay_alu instid0(SALU_CYCLE_1) | instskip(NEXT) | instid1(SALU_CYCLE_1)
	s_sub_i32 s25, s10, s25
	s_sub_i32 s26, s25, s34
	s_cmp_ge_u32 s25, s34
	s_cselect_b32 s25, s26, s25
	s_delay_alu instid0(SALU_CYCLE_1) | instskip(SKIP_2) | instid1(SALU_CYCLE_1)
	s_sub_i32 s26, s25, s34
	s_cmp_ge_u32 s25, s34
	s_cselect_b32 s25, s26, s25
	s_sub_i32 s26, s10, s25
	s_mov_b32 s10, 0
	s_mov_b32 s25, exec_lo
	v_cmpx_gt_u32_e64 s26, v0
	s_cbranch_execz .LBB78_263
; %bb.254:                              ;   in Loop: Header=BB78_15 Depth=1
	v_dual_mov_b32 v7, v30 :: v_dual_mov_b32 v8, v0
	s_mov_b32 s28, 0
                                        ; implicit-def: $sgpr27
	s_set_inst_prefetch_distance 0x1
	s_branch .LBB78_256
	.p2align	6
.LBB78_255:                             ;   in Loop: Header=BB78_256 Depth=2
	s_or_b32 exec_lo, exec_lo, s10
	s_waitcnt lgkmcnt(0)
	s_barrier
	buffer_gl0_inv
	ds_load_b128 v[3:6], v15 offset:3072
	v_add_nc_u32_e32 v8, s34, v8
	v_add_nc_u32_e32 v7, s67, v7
	s_waitcnt lgkmcnt(0)
	s_barrier
	buffer_gl0_inv
	v_cmp_le_u32_e64 s10, s26, v8
	v_cmp_neq_f64_e32 vcc_lo, 0, v[3:4]
	s_delay_alu instid0(VALU_DEP_2) | instskip(NEXT) | instid1(SALU_CYCLE_1)
	s_or_b32 s10, s10, vcc_lo
	s_and_b32 s10, exec_lo, s10
	s_delay_alu instid0(SALU_CYCLE_1) | instskip(SKIP_2) | instid1(SALU_CYCLE_1)
	s_or_b32 s28, s10, s28
	s_and_not1_b32 s10, s27, exec_lo
	s_and_b32 s27, vcc_lo, exec_lo
	s_or_b32 s27, s10, s27
	s_and_not1_b32 exec_lo, exec_lo, s28
	s_cbranch_execz .LBB78_262
.LBB78_256:                             ;   Parent Loop BB78_15 Depth=1
                                        ; =>  This Inner Loop Header: Depth=2
	v_mov_b32_e32 v3, 0
	v_mov_b32_e32 v4, 0
	v_cmp_gt_u32_e32 vcc_lo, s17, v8
	s_and_saveexec_b32 s10, vcc_lo
	s_cbranch_execz .LBB78_258
; %bb.257:                              ;   in Loop: Header=BB78_256 Depth=2
	ds_load_b64 v[3:4], v7
.LBB78_258:                             ;   in Loop: Header=BB78_256 Depth=2
	s_or_b32 exec_lo, exec_lo, s10
	s_and_saveexec_b32 s10, vcc_lo
	s_cbranch_execz .LBB78_255
; %bb.259:                              ;   in Loop: Header=BB78_256 Depth=2
	s_waitcnt lgkmcnt(0)
	v_cmp_o_f64_e32 vcc_lo, v[3:4], v[3:4]
	v_ashrrev_i32_e32 v1, 31, v4
	s_delay_alu instid0(VALU_DEP_1) | instskip(SKIP_1) | instid1(VALU_DEP_2)
	v_or_b32_e32 v5, 0x80000000, v1
	v_xor_b32_e32 v1, v1, v3
	v_xor_b32_e32 v5, v5, v4
	s_delay_alu instid0(VALU_DEP_1) | instskip(NEXT) | instid1(VALU_DEP_1)
	v_cndmask_b32_e32 v5, -1, v5, vcc_lo
	v_dual_cndmask_b32 v1, -1, v1 :: v_dual_and_b32 v6, v5, v20
	s_delay_alu instid0(VALU_DEP_1) | instskip(NEXT) | instid1(VALU_DEP_1)
	v_and_b32_e32 v5, v1, v19
	v_cmp_eq_u64_e32 vcc_lo, v[5:6], v[21:22]
	s_and_b32 exec_lo, exec_lo, vcc_lo
	s_cbranch_execz .LBB78_255
; %bb.260:                              ;   in Loop: Header=BB78_256 Depth=2
	v_mov_b32_e32 v1, v15
	ds_store_b128 v15, v[1:4] offset:3072
	s_branch .LBB78_255
.LBB78_261:                             ;   in Loop: Header=BB78_15 Depth=1
	s_mov_b32 s25, -1
	s_mov_b32 s10, 0
                                        ; implicit-def: $sgpr26
                                        ; implicit-def: $vgpr5_vgpr6
	s_mov_b32 s17, s25
	s_cbranch_execnz .LBB78_264
	s_branch .LBB78_274
.LBB78_262:                             ;   in Loop: Header=BB78_15 Depth=1
	s_set_inst_prefetch_distance 0x2
	s_or_b32 exec_lo, exec_lo, s28
	s_delay_alu instid0(SALU_CYCLE_1)
	s_and_b32 s10, s27, exec_lo
.LBB78_263:                             ;   in Loop: Header=BB78_15 Depth=1
	s_or_b32 exec_lo, exec_lo, s25
	s_mov_b32 s25, 0
	s_mov_b32 s26, -1
	s_mov_b32 s17, s25
	s_branch .LBB78_274
.LBB78_264:                             ;   in Loop: Header=BB78_15 Depth=1
	s_mov_b32 s10, 0
                                        ; implicit-def: $vgpr5_vgpr6
	s_and_saveexec_b32 s17, s9
	s_cbranch_execz .LBB78_273
; %bb.265:                              ;   in Loop: Header=BB78_15 Depth=1
	v_dual_mov_b32 v14, v13 :: v_dual_mov_b32 v7, v0
	s_mov_b32 s26, 0
                                        ; implicit-def: $sgpr25
	s_branch .LBB78_267
.LBB78_266:                             ;   in Loop: Header=BB78_267 Depth=2
	s_or_b32 exec_lo, exec_lo, s10
	s_waitcnt vmcnt(0) lgkmcnt(0)
	s_barrier
	buffer_gl0_inv
	ds_load_b128 v[3:6], v15 offset:3072
	v_add_nc_u32_e32 v7, s34, v7
	v_add_nc_u32_e32 v14, s40, v14
	s_waitcnt lgkmcnt(0)
	s_barrier
	buffer_gl0_inv
	v_cmp_le_u32_e64 s10, s64, v7
	v_cmp_neq_f64_e32 vcc_lo, 0, v[3:4]
	s_delay_alu instid0(VALU_DEP_2) | instskip(NEXT) | instid1(SALU_CYCLE_1)
	s_or_b32 s10, s10, vcc_lo
	s_and_b32 s10, exec_lo, s10
	s_delay_alu instid0(SALU_CYCLE_1) | instskip(SKIP_2) | instid1(SALU_CYCLE_1)
	s_or_b32 s26, s10, s26
	s_and_not1_b32 s10, s25, exec_lo
	s_and_b32 s25, vcc_lo, exec_lo
	s_or_b32 s25, s10, s25
	s_and_not1_b32 exec_lo, exec_lo, s26
	s_cbranch_execz .LBB78_272
.LBB78_267:                             ;   Parent Loop BB78_15 Depth=1
                                        ; =>  This Inner Loop Header: Depth=2
	v_mov_b32_e32 v3, 0
	v_mov_b32_e32 v4, 0
	v_cmp_gt_u32_e32 vcc_lo, s36, v7
	s_and_saveexec_b32 s27, vcc_lo
	s_cbranch_execz .LBB78_269
; %bb.268:                              ;   in Loop: Header=BB78_267 Depth=2
	v_lshlrev_b64 v[3:4], 3, v[14:15]
	s_delay_alu instid0(VALU_DEP_1) | instskip(NEXT) | instid1(VALU_DEP_1)
	v_add_co_u32 v3, s10, s31, v3
	v_add_co_ci_u32_e64 v4, s10, s33, v4, s10
	global_load_b64 v[3:4], v[3:4], off
.LBB78_269:                             ;   in Loop: Header=BB78_267 Depth=2
	s_or_b32 exec_lo, exec_lo, s27
	s_and_saveexec_b32 s10, vcc_lo
	s_cbranch_execz .LBB78_266
; %bb.270:                              ;   in Loop: Header=BB78_267 Depth=2
	s_waitcnt vmcnt(0)
	v_cmp_o_f64_e32 vcc_lo, v[3:4], v[3:4]
	v_ashrrev_i32_e32 v1, 31, v4
	s_delay_alu instid0(VALU_DEP_1) | instskip(SKIP_1) | instid1(VALU_DEP_2)
	v_or_b32_e32 v5, 0x80000000, v1
	v_xor_b32_e32 v1, v1, v3
	v_xor_b32_e32 v5, v5, v4
	s_delay_alu instid0(VALU_DEP_1) | instskip(NEXT) | instid1(VALU_DEP_1)
	v_cndmask_b32_e32 v5, -1, v5, vcc_lo
	v_dual_cndmask_b32 v1, -1, v1 :: v_dual_and_b32 v6, v5, v20
	s_delay_alu instid0(VALU_DEP_1) | instskip(NEXT) | instid1(VALU_DEP_1)
	v_and_b32_e32 v5, v1, v19
	v_cmp_eq_u64_e32 vcc_lo, v[5:6], v[21:22]
	s_and_b32 exec_lo, exec_lo, vcc_lo
	s_cbranch_execz .LBB78_266
; %bb.271:                              ;   in Loop: Header=BB78_267 Depth=2
	v_mov_b32_e32 v1, v15
	ds_store_b128 v15, v[1:4] offset:3072
	s_branch .LBB78_266
.LBB78_272:                             ;   in Loop: Header=BB78_15 Depth=1
	s_or_b32 exec_lo, exec_lo, s26
	s_delay_alu instid0(SALU_CYCLE_1)
	s_and_b32 s10, s25, exec_lo
.LBB78_273:                             ;   in Loop: Header=BB78_15 Depth=1
	s_or_b32 exec_lo, exec_lo, s17
	s_mov_b32 s26, 0
	s_mov_b32 s25, -1
	s_mov_b32 s17, 0
.LBB78_274:                             ;   in Loop: Header=BB78_15 Depth=1
	s_or_not1_b32 s10, s10, exec_lo
.LBB78_275:                             ;   in Loop: Header=BB78_15 Depth=1
	s_or_b32 exec_lo, exec_lo, s23
                                        ; implicit-def: $vgpr1
                                        ; implicit-def: $vgpr41
                                        ; implicit-def: $vgpr23_vgpr24
                                        ; implicit-def: $vgpr25_vgpr26
                                        ; implicit-def: $vgpr9_vgpr10
	s_and_saveexec_b32 s23, s10
	s_cbranch_execz .LBB78_410
; %bb.276:                              ;   in Loop: Header=BB78_15 Depth=1
	v_mov_b32_e32 v41, 1
	v_mov_b32_e32 v1, 1
	s_xor_b32 s24, s24, -1
	s_mov_b32 s80, 0
	s_and_saveexec_b32 s10, s24
	s_cbranch_execz .LBB78_286
; %bb.277:                              ;   in Loop: Header=BB78_15 Depth=1
	s_mov_b32 s27, exec_lo
                                        ; implicit-def: $sgpr28
                                        ; implicit-def: $sgpr24
	v_cmpx_ge_u32_e64 s21, v40
	s_xor_b32 s27, exec_lo, s27
	s_cbranch_execz .LBB78_283
; %bb.278:                              ;   in Loop: Header=BB78_15 Depth=1
	ds_load_b32 v1, v15 offset:4096
	s_waitcnt lgkmcnt(0)
	v_cmp_ne_u32_e32 vcc_lo, 0, v1
	s_cbranch_vccnz .LBB78_282
; %bb.279:                              ;   in Loop: Header=BB78_15 Depth=1
	s_and_saveexec_b32 s24, s5
	s_cbranch_execz .LBB78_281
; %bb.280:                              ;   in Loop: Header=BB78_15 Depth=1
	v_mov_b32_e32 v1, s21
	ds_store_b32 v15, v1 offset:4100
.LBB78_281:                             ;   in Loop: Header=BB78_15 Depth=1
	s_or_b32 exec_lo, exec_lo, s24
	s_waitcnt lgkmcnt(0)
	s_barrier
	buffer_gl0_inv
.LBB78_282:                             ;   in Loop: Header=BB78_15 Depth=1
	v_or_b32_e32 v22, s13, v22
	v_or_b32_e32 v21, s12, v21
	;; [unrolled: 1-line block ×4, first 2 shown]
	s_mov_b32 s24, 0
	s_mov_b32 s28, 5
.LBB78_283:                             ;   in Loop: Header=BB78_15 Depth=1
	s_or_saveexec_b32 s27, s27
	v_mov_b32_e32 v1, s28
	s_xor_b32 exec_lo, exec_lo, s27
; %bb.284:                              ;   in Loop: Header=BB78_15 Depth=1
	v_subrev_nc_u32_e32 v40, s21, v40
	v_mov_b32_e32 v1, 0
	s_or_b32 s24, s24, exec_lo
; %bb.285:                              ;   in Loop: Header=BB78_15 Depth=1
	s_or_b32 exec_lo, exec_lo, s27
	s_delay_alu instid0(VALU_DEP_2)
	v_mov_b32_e32 v41, v40
	s_and_b32 s80, s24, exec_lo
.LBB78_286:                             ;   in Loop: Header=BB78_15 Depth=1
	s_or_b32 exec_lo, exec_lo, s10
	s_mov_b32 s28, -1
                                        ; implicit-def: $sgpr24
                                        ; implicit-def: $sgpr27
                                        ; implicit-def: $sgpr29
	s_and_saveexec_b32 s10, s80
	s_delay_alu instid0(SALU_CYCLE_1)
	s_xor_b32 s21, exec_lo, s10
	s_cbranch_execz .LBB78_407
; %bb.287:                              ;   in Loop: Header=BB78_15 Depth=1
	v_cmp_eq_u32_e32 vcc_lo, 1, v41
	s_cmp_eq_u32 s20, 1
                                        ; implicit-def: $sgpr24
                                        ; implicit-def: $sgpr27
                                        ; implicit-def: $sgpr28
	s_cselect_b32 s10, -1, 0
	s_delay_alu instid0(SALU_CYCLE_1)
	s_and_b32 s80, s10, vcc_lo
	s_mov_b32 s10, -1
	s_and_saveexec_b32 s29, s80
	s_cbranch_execz .LBB78_313
; %bb.288:                              ;   in Loop: Header=BB78_15 Depth=1
	ds_load_b32 v1, v15 offset:4096
	s_waitcnt lgkmcnt(0)
	s_barrier
	buffer_gl0_inv
	v_readfirstlane_b32 s24, v1
	s_and_saveexec_b32 s10, s6
	s_cbranch_execz .LBB78_290
; %bb.289:                              ;   in Loop: Header=BB78_15 Depth=1
	v_mov_b32_e32 v14, v15
	ds_store_b64 v32, v[14:15]
.LBB78_290:                             ;   in Loop: Header=BB78_15 Depth=1
	s_or_b32 exec_lo, exec_lo, s10
	v_and_b32_e32 v1, s15, v22
	v_and_b32_e32 v3, s14, v21
	s_lshl_b64 s[82:83], 2, s19
	v_or_b32_e32 v20, s13, v20
	v_or_b32_e32 v19, s12, v19
	;; [unrolled: 1-line block ×4, first 2 shown]
	s_cmp_eq_u32 s24, 0
	s_waitcnt lgkmcnt(0)
	s_barrier
	buffer_gl0_inv
	s_cbranch_scc1 .LBB78_299
; %bb.291:                              ;   in Loop: Header=BB78_15 Depth=1
	s_add_i32 s10, s24, s56
                                        ; implicit-def: $vgpr5_vgpr6
	s_delay_alu instid0(SALU_CYCLE_1) | instskip(NEXT) | instid1(SALU_CYCLE_1)
	s_mul_hi_u32 s27, s10, s63
	s_mul_i32 s27, s27, s34
	s_delay_alu instid0(SALU_CYCLE_1) | instskip(NEXT) | instid1(SALU_CYCLE_1)
	s_sub_i32 s27, s10, s27
	s_sub_i32 s28, s27, s34
	s_cmp_ge_u32 s27, s34
	s_cselect_b32 s27, s28, s27
	s_delay_alu instid0(SALU_CYCLE_1) | instskip(SKIP_2) | instid1(SALU_CYCLE_1)
	s_sub_i32 s28, s27, s34
	s_cmp_ge_u32 s27, s34
	s_cselect_b32 s27, s28, s27
	s_sub_i32 s28, s10, s27
	s_mov_b32 s10, 0
	s_mov_b32 s27, exec_lo
	v_cmpx_gt_u32_e64 s28, v0
	s_cbranch_execz .LBB78_301
; %bb.292:                              ;   in Loop: Header=BB78_15 Depth=1
	v_dual_mov_b32 v7, v30 :: v_dual_mov_b32 v8, v0
	s_mov_b32 s82, 0
                                        ; implicit-def: $sgpr81
	s_set_inst_prefetch_distance 0x1
	s_branch .LBB78_294
	.p2align	6
.LBB78_293:                             ;   in Loop: Header=BB78_294 Depth=2
	s_or_b32 exec_lo, exec_lo, s10
	s_waitcnt lgkmcnt(0)
	s_barrier
	buffer_gl0_inv
	ds_load_b128 v[3:6], v15 offset:3072
	v_add_nc_u32_e32 v8, s34, v8
	v_add_nc_u32_e32 v7, s67, v7
	s_waitcnt lgkmcnt(0)
	s_barrier
	buffer_gl0_inv
	v_cmp_le_u32_e64 s10, s28, v8
	v_cmp_neq_f64_e32 vcc_lo, 0, v[3:4]
	s_delay_alu instid0(VALU_DEP_2) | instskip(NEXT) | instid1(SALU_CYCLE_1)
	s_or_b32 s10, s10, vcc_lo
	s_and_b32 s10, exec_lo, s10
	s_delay_alu instid0(SALU_CYCLE_1) | instskip(SKIP_2) | instid1(SALU_CYCLE_1)
	s_or_b32 s82, s10, s82
	s_and_not1_b32 s10, s81, exec_lo
	s_and_b32 s81, vcc_lo, exec_lo
	s_or_b32 s81, s10, s81
	s_and_not1_b32 exec_lo, exec_lo, s82
	s_cbranch_execz .LBB78_300
.LBB78_294:                             ;   Parent Loop BB78_15 Depth=1
                                        ; =>  This Inner Loop Header: Depth=2
	v_mov_b32_e32 v3, 0
	v_mov_b32_e32 v4, 0
	v_cmp_gt_u32_e32 vcc_lo, s24, v8
	s_and_saveexec_b32 s10, vcc_lo
	s_cbranch_execz .LBB78_296
; %bb.295:                              ;   in Loop: Header=BB78_294 Depth=2
	ds_load_b64 v[3:4], v7
.LBB78_296:                             ;   in Loop: Header=BB78_294 Depth=2
	s_or_b32 exec_lo, exec_lo, s10
	s_and_saveexec_b32 s10, vcc_lo
	s_cbranch_execz .LBB78_293
; %bb.297:                              ;   in Loop: Header=BB78_294 Depth=2
	s_waitcnt lgkmcnt(0)
	v_cmp_o_f64_e32 vcc_lo, v[3:4], v[3:4]
	v_ashrrev_i32_e32 v1, 31, v4
	s_delay_alu instid0(VALU_DEP_1) | instskip(SKIP_1) | instid1(VALU_DEP_2)
	v_or_b32_e32 v5, 0x80000000, v1
	v_xor_b32_e32 v1, v1, v3
	v_xor_b32_e32 v5, v5, v4
	s_delay_alu instid0(VALU_DEP_1) | instskip(NEXT) | instid1(VALU_DEP_1)
	v_cndmask_b32_e32 v5, -1, v5, vcc_lo
	v_dual_cndmask_b32 v1, -1, v1 :: v_dual_and_b32 v6, v5, v20
	s_delay_alu instid0(VALU_DEP_1) | instskip(NEXT) | instid1(VALU_DEP_1)
	v_and_b32_e32 v5, v1, v19
	v_cmp_eq_u64_e32 vcc_lo, v[5:6], v[21:22]
	s_and_b32 exec_lo, exec_lo, vcc_lo
	s_cbranch_execz .LBB78_293
; %bb.298:                              ;   in Loop: Header=BB78_294 Depth=2
	v_mov_b32_e32 v1, v15
	ds_store_b128 v15, v[1:4] offset:3072
	s_branch .LBB78_293
.LBB78_299:                             ;   in Loop: Header=BB78_15 Depth=1
	s_mov_b32 s24, -1
	s_mov_b32 s10, 0
                                        ; implicit-def: $sgpr27
                                        ; implicit-def: $vgpr5_vgpr6
	s_mov_b32 s28, s24
	s_cbranch_execnz .LBB78_302
	s_branch .LBB78_312
.LBB78_300:                             ;   in Loop: Header=BB78_15 Depth=1
	s_set_inst_prefetch_distance 0x2
	s_or_b32 exec_lo, exec_lo, s82
	s_delay_alu instid0(SALU_CYCLE_1)
	s_and_b32 s10, s81, exec_lo
.LBB78_301:                             ;   in Loop: Header=BB78_15 Depth=1
	s_or_b32 exec_lo, exec_lo, s27
	s_mov_b32 s24, 0
	s_mov_b32 s27, -1
	s_mov_b32 s28, s24
	s_branch .LBB78_312
.LBB78_302:                             ;   in Loop: Header=BB78_15 Depth=1
	s_mov_b32 s10, 0
                                        ; implicit-def: $vgpr5_vgpr6
	s_and_saveexec_b32 s24, s9
	s_cbranch_execz .LBB78_311
; %bb.303:                              ;   in Loop: Header=BB78_15 Depth=1
	v_dual_mov_b32 v14, v13 :: v_dual_mov_b32 v7, v0
	s_mov_b32 s28, 0
                                        ; implicit-def: $sgpr27
	s_branch .LBB78_305
.LBB78_304:                             ;   in Loop: Header=BB78_305 Depth=2
	s_or_b32 exec_lo, exec_lo, s10
	s_waitcnt vmcnt(0) lgkmcnt(0)
	s_barrier
	buffer_gl0_inv
	ds_load_b128 v[3:6], v15 offset:3072
	v_add_nc_u32_e32 v7, s34, v7
	v_add_nc_u32_e32 v14, s40, v14
	s_waitcnt lgkmcnt(0)
	s_barrier
	buffer_gl0_inv
	v_cmp_le_u32_e64 s10, s64, v7
	v_cmp_neq_f64_e32 vcc_lo, 0, v[3:4]
	s_delay_alu instid0(VALU_DEP_2) | instskip(NEXT) | instid1(SALU_CYCLE_1)
	s_or_b32 s10, s10, vcc_lo
	s_and_b32 s10, exec_lo, s10
	s_delay_alu instid0(SALU_CYCLE_1) | instskip(SKIP_2) | instid1(SALU_CYCLE_1)
	s_or_b32 s28, s10, s28
	s_and_not1_b32 s10, s27, exec_lo
	s_and_b32 s27, vcc_lo, exec_lo
	s_or_b32 s27, s10, s27
	s_and_not1_b32 exec_lo, exec_lo, s28
	s_cbranch_execz .LBB78_310
.LBB78_305:                             ;   Parent Loop BB78_15 Depth=1
                                        ; =>  This Inner Loop Header: Depth=2
	v_mov_b32_e32 v3, 0
	v_mov_b32_e32 v4, 0
	v_cmp_gt_u32_e32 vcc_lo, s36, v7
	s_and_saveexec_b32 s81, vcc_lo
	s_cbranch_execz .LBB78_307
; %bb.306:                              ;   in Loop: Header=BB78_305 Depth=2
	v_lshlrev_b64 v[3:4], 3, v[14:15]
	s_delay_alu instid0(VALU_DEP_1) | instskip(NEXT) | instid1(VALU_DEP_1)
	v_add_co_u32 v3, s10, s31, v3
	v_add_co_ci_u32_e64 v4, s10, s33, v4, s10
	global_load_b64 v[3:4], v[3:4], off
.LBB78_307:                             ;   in Loop: Header=BB78_305 Depth=2
	s_or_b32 exec_lo, exec_lo, s81
	s_and_saveexec_b32 s10, vcc_lo
	s_cbranch_execz .LBB78_304
; %bb.308:                              ;   in Loop: Header=BB78_305 Depth=2
	s_waitcnt vmcnt(0)
	v_cmp_o_f64_e32 vcc_lo, v[3:4], v[3:4]
	v_ashrrev_i32_e32 v1, 31, v4
	s_delay_alu instid0(VALU_DEP_1) | instskip(SKIP_1) | instid1(VALU_DEP_2)
	v_or_b32_e32 v5, 0x80000000, v1
	v_xor_b32_e32 v1, v1, v3
	v_xor_b32_e32 v5, v5, v4
	s_delay_alu instid0(VALU_DEP_1) | instskip(NEXT) | instid1(VALU_DEP_1)
	v_cndmask_b32_e32 v5, -1, v5, vcc_lo
	v_dual_cndmask_b32 v1, -1, v1 :: v_dual_and_b32 v6, v5, v20
	s_delay_alu instid0(VALU_DEP_1) | instskip(NEXT) | instid1(VALU_DEP_1)
	v_and_b32_e32 v5, v1, v19
	v_cmp_eq_u64_e32 vcc_lo, v[5:6], v[21:22]
	s_and_b32 exec_lo, exec_lo, vcc_lo
	s_cbranch_execz .LBB78_304
; %bb.309:                              ;   in Loop: Header=BB78_305 Depth=2
	v_mov_b32_e32 v1, v15
	ds_store_b128 v15, v[1:4] offset:3072
	s_branch .LBB78_304
.LBB78_310:                             ;   in Loop: Header=BB78_15 Depth=1
	s_or_b32 exec_lo, exec_lo, s28
	s_delay_alu instid0(SALU_CYCLE_1)
	s_and_b32 s10, s27, exec_lo
.LBB78_311:                             ;   in Loop: Header=BB78_15 Depth=1
	s_or_b32 exec_lo, exec_lo, s24
	s_mov_b32 s27, 0
	s_mov_b32 s24, -1
	s_mov_b32 s28, 0
.LBB78_312:                             ;   in Loop: Header=BB78_15 Depth=1
	s_or_not1_b32 s10, s10, exec_lo
.LBB78_313:                             ;   in Loop: Header=BB78_15 Depth=1
	s_or_b32 exec_lo, exec_lo, s29
	s_mov_b32 s81, 0
                                        ; implicit-def: $vgpr1
	s_and_saveexec_b32 s29, s10
	s_cbranch_execz .LBB78_406
; %bb.314:                              ;   in Loop: Header=BB78_15 Depth=1
	v_mov_b32_e32 v7, 1
	v_mov_b32_e32 v1, 1
	s_xor_b32 s80, s80, -1
	s_mov_b32 s82, 0
	s_and_saveexec_b32 s10, s80
	s_cbranch_execz .LBB78_324
; %bb.315:                              ;   in Loop: Header=BB78_15 Depth=1
	s_mov_b32 s81, exec_lo
                                        ; implicit-def: $sgpr82
                                        ; implicit-def: $sgpr80
	v_cmpx_ge_u32_e64 s20, v41
	s_xor_b32 s81, exec_lo, s81
	s_cbranch_execz .LBB78_321
; %bb.316:                              ;   in Loop: Header=BB78_15 Depth=1
	ds_load_b32 v1, v15 offset:4096
	s_waitcnt lgkmcnt(0)
	v_cmp_ne_u32_e32 vcc_lo, 0, v1
	s_cbranch_vccnz .LBB78_320
; %bb.317:                              ;   in Loop: Header=BB78_15 Depth=1
	s_and_saveexec_b32 s80, s5
	s_cbranch_execz .LBB78_319
; %bb.318:                              ;   in Loop: Header=BB78_15 Depth=1
	v_mov_b32_e32 v1, s20
	ds_store_b32 v15, v1 offset:4100
.LBB78_319:                             ;   in Loop: Header=BB78_15 Depth=1
	s_or_b32 exec_lo, exec_lo, s80
	s_waitcnt lgkmcnt(0)
	s_barrier
	buffer_gl0_inv
.LBB78_320:                             ;   in Loop: Header=BB78_15 Depth=1
	v_and_b32_e32 v1, s15, v22
	v_and_b32_e32 v3, s14, v21
	s_lshl_b64 s[82:83], 2, s19
	v_or_b32_e32 v20, s13, v20
	v_or_b32_e32 v19, s12, v19
	;; [unrolled: 1-line block ×4, first 2 shown]
	s_mov_b32 s80, 0
	s_mov_b32 s82, 5
.LBB78_321:                             ;   in Loop: Header=BB78_15 Depth=1
	s_or_saveexec_b32 s81, s81
	v_mov_b32_e32 v1, s82
	s_xor_b32 exec_lo, exec_lo, s81
; %bb.322:                              ;   in Loop: Header=BB78_15 Depth=1
	v_subrev_nc_u32_e32 v41, s20, v41
	v_mov_b32_e32 v1, 0
	s_or_b32 s80, s80, exec_lo
; %bb.323:                              ;   in Loop: Header=BB78_15 Depth=1
	s_or_b32 exec_lo, exec_lo, s81
	s_delay_alu instid0(VALU_DEP_2)
	v_mov_b32_e32 v7, v41
	s_and_b32 s82, s80, exec_lo
.LBB78_324:                             ;   in Loop: Header=BB78_15 Depth=1
	s_or_b32 exec_lo, exec_lo, s10
	s_mov_b32 s10, -1
                                        ; implicit-def: $sgpr80
                                        ; implicit-def: $sgpr81
                                        ; implicit-def: $sgpr83
	s_and_saveexec_b32 s20, s82
	s_cbranch_execz .LBB78_405
; %bb.325:                              ;   in Loop: Header=BB78_15 Depth=1
	v_cmp_eq_u32_e32 vcc_lo, 1, v7
	s_cmp_eq_u32 s18, 1
                                        ; implicit-def: $sgpr80
                                        ; implicit-def: $sgpr81
                                        ; implicit-def: $sgpr82
	s_cselect_b32 s10, -1, 0
	s_delay_alu instid0(SALU_CYCLE_1)
	s_and_b32 s84, s10, vcc_lo
	s_mov_b32 s10, -1
	s_and_saveexec_b32 s83, s84
	s_cbranch_execz .LBB78_351
; %bb.326:                              ;   in Loop: Header=BB78_15 Depth=1
	ds_load_b32 v1, v15 offset:4096
	s_waitcnt lgkmcnt(0)
	s_barrier
	buffer_gl0_inv
	v_readfirstlane_b32 s80, v1
	s_and_saveexec_b32 s10, s6
	s_cbranch_execz .LBB78_328
; %bb.327:                              ;   in Loop: Header=BB78_15 Depth=1
	v_mov_b32_e32 v14, v15
	ds_store_b64 v32, v[14:15]
.LBB78_328:                             ;   in Loop: Header=BB78_15 Depth=1
	s_or_b32 exec_lo, exec_lo, s10
	v_and_b32_e32 v1, s15, v22
	v_and_b32_e32 v3, s14, v21
	s_lshl_b64 s[86:87], 1, s19
	v_or_b32_e32 v20, s13, v20
	v_or_b32_e32 v19, s12, v19
	;; [unrolled: 1-line block ×4, first 2 shown]
	s_cmp_eq_u32 s80, 0
	s_waitcnt lgkmcnt(0)
	s_barrier
	buffer_gl0_inv
	s_cbranch_scc1 .LBB78_337
; %bb.329:                              ;   in Loop: Header=BB78_15 Depth=1
	s_add_i32 s10, s80, s56
                                        ; implicit-def: $vgpr5_vgpr6
	s_delay_alu instid0(SALU_CYCLE_1) | instskip(NEXT) | instid1(SALU_CYCLE_1)
	s_mul_hi_u32 s81, s10, s63
	s_mul_i32 s81, s81, s34
	s_delay_alu instid0(SALU_CYCLE_1) | instskip(NEXT) | instid1(SALU_CYCLE_1)
	s_sub_i32 s81, s10, s81
	s_sub_i32 s82, s81, s34
	s_cmp_ge_u32 s81, s34
	s_cselect_b32 s81, s82, s81
	s_delay_alu instid0(SALU_CYCLE_1) | instskip(SKIP_2) | instid1(SALU_CYCLE_1)
	s_sub_i32 s82, s81, s34
	s_cmp_ge_u32 s81, s34
	s_cselect_b32 s81, s82, s81
	s_sub_i32 s82, s10, s81
	s_mov_b32 s10, 0
	s_mov_b32 s81, exec_lo
	v_cmpx_gt_u32_e64 s82, v0
	s_cbranch_execz .LBB78_339
; %bb.330:                              ;   in Loop: Header=BB78_15 Depth=1
	v_dual_mov_b32 v8, v30 :: v_dual_mov_b32 v9, v0
	s_mov_b32 s86, 0
                                        ; implicit-def: $sgpr85
	s_set_inst_prefetch_distance 0x1
	s_branch .LBB78_332
	.p2align	6
.LBB78_331:                             ;   in Loop: Header=BB78_332 Depth=2
	s_or_b32 exec_lo, exec_lo, s10
	s_waitcnt lgkmcnt(0)
	s_barrier
	buffer_gl0_inv
	ds_load_b128 v[3:6], v15 offset:3072
	v_add_nc_u32_e32 v9, s34, v9
	v_add_nc_u32_e32 v8, s67, v8
	s_waitcnt lgkmcnt(0)
	s_barrier
	buffer_gl0_inv
	v_cmp_le_u32_e64 s10, s82, v9
	v_cmp_neq_f64_e32 vcc_lo, 0, v[3:4]
	s_delay_alu instid0(VALU_DEP_2) | instskip(NEXT) | instid1(SALU_CYCLE_1)
	s_or_b32 s10, s10, vcc_lo
	s_and_b32 s10, exec_lo, s10
	s_delay_alu instid0(SALU_CYCLE_1) | instskip(SKIP_2) | instid1(SALU_CYCLE_1)
	s_or_b32 s86, s10, s86
	s_and_not1_b32 s10, s85, exec_lo
	s_and_b32 s85, vcc_lo, exec_lo
	s_or_b32 s85, s10, s85
	s_and_not1_b32 exec_lo, exec_lo, s86
	s_cbranch_execz .LBB78_338
.LBB78_332:                             ;   Parent Loop BB78_15 Depth=1
                                        ; =>  This Inner Loop Header: Depth=2
	v_mov_b32_e32 v3, 0
	v_mov_b32_e32 v4, 0
	v_cmp_gt_u32_e32 vcc_lo, s80, v9
	s_and_saveexec_b32 s10, vcc_lo
	s_cbranch_execz .LBB78_334
; %bb.333:                              ;   in Loop: Header=BB78_332 Depth=2
	ds_load_b64 v[3:4], v8
.LBB78_334:                             ;   in Loop: Header=BB78_332 Depth=2
	s_or_b32 exec_lo, exec_lo, s10
	s_and_saveexec_b32 s10, vcc_lo
	s_cbranch_execz .LBB78_331
; %bb.335:                              ;   in Loop: Header=BB78_332 Depth=2
	s_waitcnt lgkmcnt(0)
	v_cmp_o_f64_e32 vcc_lo, v[3:4], v[3:4]
	v_ashrrev_i32_e32 v1, 31, v4
	s_delay_alu instid0(VALU_DEP_1) | instskip(SKIP_1) | instid1(VALU_DEP_2)
	v_or_b32_e32 v5, 0x80000000, v1
	v_xor_b32_e32 v1, v1, v3
	v_xor_b32_e32 v5, v5, v4
	s_delay_alu instid0(VALU_DEP_1) | instskip(NEXT) | instid1(VALU_DEP_1)
	v_cndmask_b32_e32 v5, -1, v5, vcc_lo
	v_dual_cndmask_b32 v1, -1, v1 :: v_dual_and_b32 v6, v5, v20
	s_delay_alu instid0(VALU_DEP_1) | instskip(NEXT) | instid1(VALU_DEP_1)
	v_and_b32_e32 v5, v1, v19
	v_cmp_eq_u64_e32 vcc_lo, v[5:6], v[21:22]
	s_and_b32 exec_lo, exec_lo, vcc_lo
	s_cbranch_execz .LBB78_331
; %bb.336:                              ;   in Loop: Header=BB78_332 Depth=2
	v_mov_b32_e32 v1, v15
	ds_store_b128 v15, v[1:4] offset:3072
	s_branch .LBB78_331
.LBB78_337:                             ;   in Loop: Header=BB78_15 Depth=1
	s_mov_b32 s80, -1
	s_mov_b32 s10, 0
                                        ; implicit-def: $sgpr81
                                        ; implicit-def: $vgpr5_vgpr6
	s_mov_b32 s82, s80
	s_cbranch_execnz .LBB78_340
	s_branch .LBB78_350
.LBB78_338:                             ;   in Loop: Header=BB78_15 Depth=1
	s_set_inst_prefetch_distance 0x2
	s_or_b32 exec_lo, exec_lo, s86
	s_delay_alu instid0(SALU_CYCLE_1)
	s_and_b32 s10, s85, exec_lo
.LBB78_339:                             ;   in Loop: Header=BB78_15 Depth=1
	s_or_b32 exec_lo, exec_lo, s81
	s_mov_b32 s80, 0
	s_mov_b32 s81, -1
	s_mov_b32 s82, s80
	s_branch .LBB78_350
.LBB78_340:                             ;   in Loop: Header=BB78_15 Depth=1
	s_mov_b32 s10, 0
                                        ; implicit-def: $vgpr5_vgpr6
	s_and_saveexec_b32 s80, s9
	s_cbranch_execz .LBB78_349
; %bb.341:                              ;   in Loop: Header=BB78_15 Depth=1
	v_mov_b32_e32 v14, v13
	v_mov_b32_e32 v8, v0
	s_mov_b32 s82, 0
                                        ; implicit-def: $sgpr81
	s_branch .LBB78_343
.LBB78_342:                             ;   in Loop: Header=BB78_343 Depth=2
	s_or_b32 exec_lo, exec_lo, s10
	s_waitcnt vmcnt(0) lgkmcnt(0)
	s_barrier
	buffer_gl0_inv
	ds_load_b128 v[3:6], v15 offset:3072
	v_add_nc_u32_e32 v8, s34, v8
	v_add_nc_u32_e32 v14, s40, v14
	s_waitcnt lgkmcnt(0)
	s_barrier
	buffer_gl0_inv
	v_cmp_le_u32_e64 s10, s64, v8
	v_cmp_neq_f64_e32 vcc_lo, 0, v[3:4]
	s_delay_alu instid0(VALU_DEP_2) | instskip(NEXT) | instid1(SALU_CYCLE_1)
	s_or_b32 s10, s10, vcc_lo
	s_and_b32 s10, exec_lo, s10
	s_delay_alu instid0(SALU_CYCLE_1) | instskip(SKIP_2) | instid1(SALU_CYCLE_1)
	s_or_b32 s82, s10, s82
	s_and_not1_b32 s10, s81, exec_lo
	s_and_b32 s81, vcc_lo, exec_lo
	s_or_b32 s81, s10, s81
	s_and_not1_b32 exec_lo, exec_lo, s82
	s_cbranch_execz .LBB78_348
.LBB78_343:                             ;   Parent Loop BB78_15 Depth=1
                                        ; =>  This Inner Loop Header: Depth=2
	v_mov_b32_e32 v3, 0
	v_mov_b32_e32 v4, 0
	v_cmp_gt_u32_e32 vcc_lo, s36, v8
	s_and_saveexec_b32 s85, vcc_lo
	s_cbranch_execz .LBB78_345
; %bb.344:                              ;   in Loop: Header=BB78_343 Depth=2
	v_lshlrev_b64 v[3:4], 3, v[14:15]
	s_delay_alu instid0(VALU_DEP_1) | instskip(NEXT) | instid1(VALU_DEP_1)
	v_add_co_u32 v3, s10, s31, v3
	v_add_co_ci_u32_e64 v4, s10, s33, v4, s10
	global_load_b64 v[3:4], v[3:4], off
.LBB78_345:                             ;   in Loop: Header=BB78_343 Depth=2
	s_or_b32 exec_lo, exec_lo, s85
	s_and_saveexec_b32 s10, vcc_lo
	s_cbranch_execz .LBB78_342
; %bb.346:                              ;   in Loop: Header=BB78_343 Depth=2
	s_waitcnt vmcnt(0)
	v_cmp_o_f64_e32 vcc_lo, v[3:4], v[3:4]
	v_ashrrev_i32_e32 v1, 31, v4
	s_delay_alu instid0(VALU_DEP_1) | instskip(SKIP_1) | instid1(VALU_DEP_2)
	v_or_b32_e32 v5, 0x80000000, v1
	v_xor_b32_e32 v1, v1, v3
	v_xor_b32_e32 v5, v5, v4
	s_delay_alu instid0(VALU_DEP_1) | instskip(NEXT) | instid1(VALU_DEP_1)
	v_cndmask_b32_e32 v5, -1, v5, vcc_lo
	v_dual_cndmask_b32 v1, -1, v1 :: v_dual_and_b32 v6, v5, v20
	s_delay_alu instid0(VALU_DEP_1) | instskip(NEXT) | instid1(VALU_DEP_1)
	v_and_b32_e32 v5, v1, v19
	v_cmp_eq_u64_e32 vcc_lo, v[5:6], v[21:22]
	s_and_b32 exec_lo, exec_lo, vcc_lo
	s_cbranch_execz .LBB78_342
; %bb.347:                              ;   in Loop: Header=BB78_343 Depth=2
	v_mov_b32_e32 v1, v15
	ds_store_b128 v15, v[1:4] offset:3072
	s_branch .LBB78_342
.LBB78_348:                             ;   in Loop: Header=BB78_15 Depth=1
	s_or_b32 exec_lo, exec_lo, s82
	s_delay_alu instid0(SALU_CYCLE_1)
	s_and_b32 s10, s81, exec_lo
.LBB78_349:                             ;   in Loop: Header=BB78_15 Depth=1
	s_or_b32 exec_lo, exec_lo, s80
	s_mov_b32 s81, 0
	s_mov_b32 s80, -1
	s_mov_b32 s82, 0
.LBB78_350:                             ;   in Loop: Header=BB78_15 Depth=1
	s_or_not1_b32 s10, s10, exec_lo
.LBB78_351:                             ;   in Loop: Header=BB78_15 Depth=1
	s_or_b32 exec_lo, exec_lo, s83
	s_mov_b32 s85, 0
                                        ; implicit-def: $vgpr1
	s_and_saveexec_b32 s83, s10
	s_cbranch_execz .LBB78_404
; %bb.352:                              ;   in Loop: Header=BB78_15 Depth=1
	v_dual_mov_b32 v8, 1 :: v_dual_mov_b32 v1, 1
	s_xor_b32 s85, s84, -1
	s_mov_b32 s84, 0
	s_and_saveexec_b32 s10, s85
	s_cbranch_execz .LBB78_362
; %bb.353:                              ;   in Loop: Header=BB78_15 Depth=1
	s_mov_b32 s85, exec_lo
                                        ; implicit-def: $sgpr86
                                        ; implicit-def: $sgpr84
	v_cmpx_ge_u32_e64 s18, v7
	s_xor_b32 s85, exec_lo, s85
	s_cbranch_execz .LBB78_359
; %bb.354:                              ;   in Loop: Header=BB78_15 Depth=1
	ds_load_b32 v1, v15 offset:4096
	s_waitcnt lgkmcnt(0)
	v_cmp_ne_u32_e32 vcc_lo, 0, v1
	s_cbranch_vccnz .LBB78_358
; %bb.355:                              ;   in Loop: Header=BB78_15 Depth=1
	s_and_saveexec_b32 s84, s5
	s_cbranch_execz .LBB78_357
; %bb.356:                              ;   in Loop: Header=BB78_15 Depth=1
	v_mov_b32_e32 v1, s18
	ds_store_b32 v15, v1 offset:4100
.LBB78_357:                             ;   in Loop: Header=BB78_15 Depth=1
	s_or_b32 exec_lo, exec_lo, s84
	s_waitcnt lgkmcnt(0)
	s_barrier
	buffer_gl0_inv
.LBB78_358:                             ;   in Loop: Header=BB78_15 Depth=1
	v_and_b32_e32 v1, s15, v22
	v_and_b32_e32 v3, s14, v21
	s_lshl_b64 s[86:87], 1, s19
	v_or_b32_e32 v20, s13, v20
	v_or_b32_e32 v19, s12, v19
	v_or_b32_e32 v22, s87, v1
	v_or_b32_e32 v21, s86, v3
	s_mov_b32 s84, 0
	s_mov_b32 s86, 5
.LBB78_359:                             ;   in Loop: Header=BB78_15 Depth=1
	s_or_saveexec_b32 s19, s85
	v_mov_b32_e32 v1, s86
	s_xor_b32 exec_lo, exec_lo, s19
; %bb.360:                              ;   in Loop: Header=BB78_15 Depth=1
	v_subrev_nc_u32_e32 v7, s18, v7
	v_mov_b32_e32 v1, 0
	s_or_b32 s84, s84, exec_lo
; %bb.361:                              ;   in Loop: Header=BB78_15 Depth=1
	s_or_b32 exec_lo, exec_lo, s19
	s_delay_alu instid0(VALU_DEP_2)
	v_mov_b32_e32 v8, v7
	s_and_b32 s84, s84, exec_lo
.LBB78_362:                             ;   in Loop: Header=BB78_15 Depth=1
	s_or_b32 exec_lo, exec_lo, s10
	s_mov_b32 s19, -1
                                        ; implicit-def: $sgpr10
                                        ; implicit-def: $sgpr85
                                        ; implicit-def: $sgpr86
	s_and_saveexec_b32 s18, s84
	s_cbranch_execz .LBB78_403
; %bb.363:                              ;   in Loop: Header=BB78_15 Depth=1
	v_cmp_eq_u32_e32 vcc_lo, 1, v8
	s_cmp_eq_u32 s16, 1
	s_mov_b32 s87, -1
	s_cselect_b32 s10, -1, 0
                                        ; implicit-def: $sgpr85
                                        ; implicit-def: $sgpr86
	s_delay_alu instid0(SALU_CYCLE_1) | instskip(NEXT) | instid1(SALU_CYCLE_1)
	s_and_b32 s19, s10, vcc_lo
                                        ; implicit-def: $sgpr10
	s_and_saveexec_b32 s84, s19
	s_cbranch_execz .LBB78_390
; %bb.364:                              ;   in Loop: Header=BB78_15 Depth=1
	ds_load_b32 v1, v15 offset:4096
	s_waitcnt lgkmcnt(0)
	s_barrier
	buffer_gl0_inv
	v_readfirstlane_b32 s85, v1
	s_and_saveexec_b32 s10, s6
	s_cbranch_execz .LBB78_366
; %bb.365:                              ;   in Loop: Header=BB78_15 Depth=1
	v_mov_b32_e32 v14, v15
	ds_store_b64 v32, v[14:15]
.LBB78_366:                             ;   in Loop: Header=BB78_15 Depth=1
	s_or_b32 exec_lo, exec_lo, s10
	v_and_b32_e32 v22, s15, v22
	v_and_b32_e32 v21, s14, v21
	v_or_b32_e32 v20, s13, v20
	v_or_b32_e32 v19, s12, v19
	s_cmp_eq_u32 s85, 0
	s_waitcnt lgkmcnt(0)
	s_barrier
	buffer_gl0_inv
	s_cbranch_scc1 .LBB78_375
; %bb.367:                              ;   in Loop: Header=BB78_15 Depth=1
	s_add_i32 s10, s85, s56
	s_mov_b32 s88, 0
	s_mul_hi_u32 s86, s10, s63
                                        ; implicit-def: $vgpr5_vgpr6
	s_delay_alu instid0(SALU_CYCLE_1) | instskip(NEXT) | instid1(SALU_CYCLE_1)
	s_mul_i32 s86, s86, s34
	s_sub_i32 s86, s10, s86
	s_delay_alu instid0(SALU_CYCLE_1) | instskip(SKIP_2) | instid1(SALU_CYCLE_1)
	s_sub_i32 s87, s86, s34
	s_cmp_ge_u32 s86, s34
	s_cselect_b32 s86, s87, s86
	s_sub_i32 s87, s86, s34
	s_cmp_ge_u32 s86, s34
	s_cselect_b32 s86, s87, s86
	s_delay_alu instid0(SALU_CYCLE_1)
	s_sub_i32 s87, s10, s86
	s_mov_b32 s86, exec_lo
	v_cmpx_gt_u32_e64 s87, v0
	s_cbranch_execz .LBB78_377
; %bb.368:                              ;   in Loop: Header=BB78_15 Depth=1
	v_mov_b32_e32 v7, v30
	v_mov_b32_e32 v9, v0
	s_mov_b32 s89, 0
                                        ; implicit-def: $sgpr88
	s_set_inst_prefetch_distance 0x1
	s_branch .LBB78_370
	.p2align	6
.LBB78_369:                             ;   in Loop: Header=BB78_370 Depth=2
	s_or_b32 exec_lo, exec_lo, s10
	s_waitcnt lgkmcnt(0)
	s_barrier
	buffer_gl0_inv
	ds_load_b128 v[3:6], v15 offset:3072
	v_add_nc_u32_e32 v9, s34, v9
	v_add_nc_u32_e32 v7, s67, v7
	s_waitcnt lgkmcnt(0)
	s_barrier
	buffer_gl0_inv
	v_cmp_le_u32_e64 s10, s87, v9
	v_cmp_neq_f64_e32 vcc_lo, 0, v[3:4]
	s_delay_alu instid0(VALU_DEP_2) | instskip(NEXT) | instid1(SALU_CYCLE_1)
	s_or_b32 s10, s10, vcc_lo
	s_and_b32 s10, exec_lo, s10
	s_delay_alu instid0(SALU_CYCLE_1) | instskip(SKIP_2) | instid1(SALU_CYCLE_1)
	s_or_b32 s89, s10, s89
	s_and_not1_b32 s10, s88, exec_lo
	s_and_b32 s88, vcc_lo, exec_lo
	s_or_b32 s88, s10, s88
	s_and_not1_b32 exec_lo, exec_lo, s89
	s_cbranch_execz .LBB78_376
.LBB78_370:                             ;   Parent Loop BB78_15 Depth=1
                                        ; =>  This Inner Loop Header: Depth=2
	v_mov_b32_e32 v3, 0
	v_mov_b32_e32 v4, 0
	v_cmp_gt_u32_e32 vcc_lo, s85, v9
	s_and_saveexec_b32 s10, vcc_lo
	s_cbranch_execz .LBB78_372
; %bb.371:                              ;   in Loop: Header=BB78_370 Depth=2
	ds_load_b64 v[3:4], v7
.LBB78_372:                             ;   in Loop: Header=BB78_370 Depth=2
	s_or_b32 exec_lo, exec_lo, s10
	s_and_saveexec_b32 s10, vcc_lo
	s_cbranch_execz .LBB78_369
; %bb.373:                              ;   in Loop: Header=BB78_370 Depth=2
	s_waitcnt lgkmcnt(0)
	v_cmp_o_f64_e32 vcc_lo, v[3:4], v[3:4]
	v_ashrrev_i32_e32 v1, 31, v4
	s_delay_alu instid0(VALU_DEP_1) | instskip(SKIP_1) | instid1(VALU_DEP_2)
	v_or_b32_e32 v5, 0x80000000, v1
	v_xor_b32_e32 v1, v1, v3
	v_xor_b32_e32 v5, v5, v4
	s_delay_alu instid0(VALU_DEP_1) | instskip(NEXT) | instid1(VALU_DEP_1)
	v_cndmask_b32_e32 v5, -1, v5, vcc_lo
	v_dual_cndmask_b32 v1, -1, v1 :: v_dual_and_b32 v6, v5, v20
	s_delay_alu instid0(VALU_DEP_1) | instskip(NEXT) | instid1(VALU_DEP_1)
	v_and_b32_e32 v5, v1, v19
	v_cmp_eq_u64_e32 vcc_lo, v[5:6], v[21:22]
	s_and_b32 exec_lo, exec_lo, vcc_lo
	s_cbranch_execz .LBB78_369
; %bb.374:                              ;   in Loop: Header=BB78_370 Depth=2
	v_mov_b32_e32 v1, v15
	ds_store_b128 v15, v[1:4] offset:3072
	s_branch .LBB78_369
.LBB78_375:                             ;   in Loop: Header=BB78_15 Depth=1
	s_mov_b32 s10, -1
	s_mov_b32 s88, 0
                                        ; implicit-def: $sgpr85
                                        ; implicit-def: $vgpr5_vgpr6
	s_branch .LBB78_378
.LBB78_376:                             ;   in Loop: Header=BB78_15 Depth=1
	s_set_inst_prefetch_distance 0x2
	s_or_b32 exec_lo, exec_lo, s89
	s_delay_alu instid0(SALU_CYCLE_1)
	s_and_b32 s88, s88, exec_lo
.LBB78_377:                             ;   in Loop: Header=BB78_15 Depth=1
	s_or_b32 exec_lo, exec_lo, s86
	s_mov_b32 s10, 0
	s_mov_b32 s85, -1
.LBB78_378:                             ;   in Loop: Header=BB78_15 Depth=1
	s_and_b32 vcc_lo, exec_lo, s10
	s_mov_b32 s86, s10
	s_cbranch_vccz .LBB78_389
; %bb.379:                              ;   in Loop: Header=BB78_15 Depth=1
	s_mov_b32 s88, 0
                                        ; implicit-def: $vgpr5_vgpr6
	s_and_saveexec_b32 s85, s9
	s_cbranch_execz .LBB78_388
; %bb.380:                              ;   in Loop: Header=BB78_15 Depth=1
	v_dual_mov_b32 v14, v13 :: v_dual_mov_b32 v7, v0
	s_mov_b32 s87, 0
                                        ; implicit-def: $sgpr86
	s_branch .LBB78_382
.LBB78_381:                             ;   in Loop: Header=BB78_382 Depth=2
	s_or_b32 exec_lo, exec_lo, s10
	s_waitcnt vmcnt(0) lgkmcnt(0)
	s_barrier
	buffer_gl0_inv
	ds_load_b128 v[3:6], v15 offset:3072
	v_add_nc_u32_e32 v7, s34, v7
	v_add_nc_u32_e32 v14, s40, v14
	s_waitcnt lgkmcnt(0)
	s_barrier
	buffer_gl0_inv
	v_cmp_le_u32_e64 s10, s64, v7
	v_cmp_neq_f64_e32 vcc_lo, 0, v[3:4]
	s_delay_alu instid0(VALU_DEP_2) | instskip(NEXT) | instid1(SALU_CYCLE_1)
	s_or_b32 s10, s10, vcc_lo
	s_and_b32 s10, exec_lo, s10
	s_delay_alu instid0(SALU_CYCLE_1) | instskip(SKIP_2) | instid1(SALU_CYCLE_1)
	s_or_b32 s87, s10, s87
	s_and_not1_b32 s10, s86, exec_lo
	s_and_b32 s86, vcc_lo, exec_lo
	s_or_b32 s86, s10, s86
	s_and_not1_b32 exec_lo, exec_lo, s87
	s_cbranch_execz .LBB78_387
.LBB78_382:                             ;   Parent Loop BB78_15 Depth=1
                                        ; =>  This Inner Loop Header: Depth=2
	v_mov_b32_e32 v3, 0
	v_mov_b32_e32 v4, 0
	v_cmp_gt_u32_e32 vcc_lo, s36, v7
	s_and_saveexec_b32 s88, vcc_lo
	s_cbranch_execz .LBB78_384
; %bb.383:                              ;   in Loop: Header=BB78_382 Depth=2
	v_lshlrev_b64 v[3:4], 3, v[14:15]
	s_delay_alu instid0(VALU_DEP_1) | instskip(NEXT) | instid1(VALU_DEP_1)
	v_add_co_u32 v3, s10, s31, v3
	v_add_co_ci_u32_e64 v4, s10, s33, v4, s10
	global_load_b64 v[3:4], v[3:4], off
.LBB78_384:                             ;   in Loop: Header=BB78_382 Depth=2
	s_or_b32 exec_lo, exec_lo, s88
	s_and_saveexec_b32 s10, vcc_lo
	s_cbranch_execz .LBB78_381
; %bb.385:                              ;   in Loop: Header=BB78_382 Depth=2
	s_waitcnt vmcnt(0)
	v_cmp_o_f64_e32 vcc_lo, v[3:4], v[3:4]
	v_ashrrev_i32_e32 v1, 31, v4
	s_delay_alu instid0(VALU_DEP_1) | instskip(SKIP_1) | instid1(VALU_DEP_2)
	v_or_b32_e32 v5, 0x80000000, v1
	v_xor_b32_e32 v1, v1, v3
	v_xor_b32_e32 v5, v5, v4
	s_delay_alu instid0(VALU_DEP_1) | instskip(NEXT) | instid1(VALU_DEP_1)
	v_cndmask_b32_e32 v5, -1, v5, vcc_lo
	v_dual_cndmask_b32 v1, -1, v1 :: v_dual_and_b32 v6, v5, v20
	s_delay_alu instid0(VALU_DEP_1) | instskip(NEXT) | instid1(VALU_DEP_1)
	v_and_b32_e32 v5, v1, v19
	v_cmp_eq_u64_e32 vcc_lo, v[5:6], v[21:22]
	s_and_b32 exec_lo, exec_lo, vcc_lo
	s_cbranch_execz .LBB78_381
; %bb.386:                              ;   in Loop: Header=BB78_382 Depth=2
	v_mov_b32_e32 v1, v15
	ds_store_b128 v15, v[1:4] offset:3072
	s_branch .LBB78_381
.LBB78_387:                             ;   in Loop: Header=BB78_15 Depth=1
	s_or_b32 exec_lo, exec_lo, s87
	s_delay_alu instid0(SALU_CYCLE_1)
	s_and_b32 s88, s86, exec_lo
.LBB78_388:                             ;   in Loop: Header=BB78_15 Depth=1
	s_or_b32 exec_lo, exec_lo, s85
	s_mov_b32 s85, 0
	s_mov_b32 s10, -1
	s_mov_b32 s86, 0
.LBB78_389:                             ;   in Loop: Header=BB78_15 Depth=1
	s_or_not1_b32 s87, s88, exec_lo
.LBB78_390:                             ;   in Loop: Header=BB78_15 Depth=1
	s_or_b32 exec_lo, exec_lo, s84
	s_mov_b32 s88, 0
                                        ; implicit-def: $vgpr1
                                        ; implicit-def: $vgpr3
	s_and_saveexec_b32 s84, s87
	s_cbranch_execz .LBB78_402
; %bb.391:                              ;   in Loop: Header=BB78_15 Depth=1
	v_mov_b32_e32 v1, 1
	v_mov_b32_e32 v3, 1
	s_xor_b32 s87, s19, -1
	s_delay_alu instid0(SALU_CYCLE_1)
	s_and_saveexec_b32 s19, s87
	s_cbranch_execz .LBB78_401
; %bb.392:                              ;   in Loop: Header=BB78_15 Depth=1
	s_mov_b32 s87, exec_lo
                                        ; implicit-def: $sgpr88
	v_cmpx_ge_u32_e64 s16, v8
	s_xor_b32 s87, exec_lo, s87
	s_cbranch_execz .LBB78_398
; %bb.393:                              ;   in Loop: Header=BB78_15 Depth=1
	ds_load_b32 v1, v15 offset:4096
	s_waitcnt lgkmcnt(0)
	v_cmp_ne_u32_e32 vcc_lo, 0, v1
	s_cbranch_vccnz .LBB78_397
; %bb.394:                              ;   in Loop: Header=BB78_15 Depth=1
	s_and_saveexec_b32 s88, s5
	s_cbranch_execz .LBB78_396
; %bb.395:                              ;   in Loop: Header=BB78_15 Depth=1
	v_mov_b32_e32 v1, s16
	ds_store_b32 v15, v1 offset:4100
.LBB78_396:                             ;   in Loop: Header=BB78_15 Depth=1
	s_or_b32 exec_lo, exec_lo, s88
	s_waitcnt lgkmcnt(0)
	s_barrier
	buffer_gl0_inv
.LBB78_397:                             ;   in Loop: Header=BB78_15 Depth=1
	v_and_b32_e32 v22, s15, v22
	v_and_b32_e32 v21, s14, v21
	v_or_b32_e32 v20, s13, v20
	v_or_b32_e32 v19, s12, v19
	s_mov_b32 s88, 5
.LBB78_398:                             ;   in Loop: Header=BB78_15 Depth=1
	s_or_saveexec_b32 s12, s87
	v_mov_b32_e32 v1, s88
	s_xor_b32 exec_lo, exec_lo, s12
; %bb.399:                              ;   in Loop: Header=BB78_15 Depth=1
	v_subrev_nc_u32_e32 v8, s16, v8
	v_mov_b32_e32 v1, 5
; %bb.400:                              ;   in Loop: Header=BB78_15 Depth=1
	s_or_b32 exec_lo, exec_lo, s12
	s_delay_alu instid0(VALU_DEP_2)
	v_mov_b32_e32 v3, v8
.LBB78_401:                             ;   in Loop: Header=BB78_15 Depth=1
	s_or_b32 exec_lo, exec_lo, s19
	s_delay_alu instid0(SALU_CYCLE_1)
	s_mov_b32 s88, exec_lo
.LBB78_402:                             ;   in Loop: Header=BB78_15 Depth=1
	s_or_b32 exec_lo, exec_lo, s84
	s_delay_alu instid0(VALU_DEP_1)
	v_mov_b32_e32 v8, v3
	s_or_not1_b32 s19, s88, exec_lo
.LBB78_403:                             ;   in Loop: Header=BB78_15 Depth=1
	s_or_b32 exec_lo, exec_lo, s18
	s_delay_alu instid0(SALU_CYCLE_1)
	s_and_not1_b32 s12, s80, exec_lo
	s_and_b32 s10, s10, exec_lo
	s_and_not1_b32 s13, s82, exec_lo
	s_or_b32 s80, s12, s10
	s_and_not1_b32 s10, s81, exec_lo
	s_and_b32 s12, s85, exec_lo
	s_and_b32 s14, s86, exec_lo
	v_mov_b32_e32 v7, v8
	s_or_b32 s81, s10, s12
	s_or_b32 s82, s13, s14
	s_and_b32 s85, s19, exec_lo
.LBB78_404:                             ;   in Loop: Header=BB78_15 Depth=1
	s_or_b32 exec_lo, exec_lo, s83
	s_delay_alu instid0(SALU_CYCLE_1)
	s_and_b32 s83, s80, exec_lo
	s_and_b32 s81, s81, exec_lo
	s_and_b32 s80, s82, exec_lo
	s_or_not1_b32 s10, s85, exec_lo
.LBB78_405:                             ;   in Loop: Header=BB78_15 Depth=1
	s_or_b32 exec_lo, exec_lo, s20
	s_delay_alu instid0(SALU_CYCLE_1)
	s_and_not1_b32 s12, s24, exec_lo
	s_and_b32 s13, s83, exec_lo
	s_and_not1_b32 s14, s28, exec_lo
	s_or_b32 s24, s12, s13
	s_and_not1_b32 s12, s27, exec_lo
	s_and_b32 s13, s81, exec_lo
	s_and_b32 s15, s80, exec_lo
	v_mov_b32_e32 v41, v7
	s_or_b32 s27, s12, s13
	s_or_b32 s28, s14, s15
	s_and_b32 s81, s10, exec_lo
.LBB78_406:                             ;   in Loop: Header=BB78_15 Depth=1
	s_or_b32 exec_lo, exec_lo, s29
	s_delay_alu instid0(SALU_CYCLE_1)
	s_and_b32 s29, s24, exec_lo
	s_and_b32 s27, s27, exec_lo
	;; [unrolled: 1-line block ×3, first 2 shown]
	s_or_not1_b32 s28, s81, exec_lo
.LBB78_407:                             ;   in Loop: Header=BB78_15 Depth=1
	s_or_b32 exec_lo, exec_lo, s21
	s_mov_b32 s10, s22
	s_mov_b32 s12, s11
	s_and_saveexec_b32 s13, s28
; %bb.408:                              ;   in Loop: Header=BB78_15 Depth=1
	v_cmp_eq_u32_e32 vcc_lo, 5, v1
	v_cmp_ne_u32_e64 s10, 5, v1
	s_and_not1_b32 s12, s11, exec_lo
	s_and_not1_b32 s14, s22, exec_lo
	;; [unrolled: 1-line block ×3, first 2 shown]
	s_and_b32 s15, vcc_lo, exec_lo
	s_and_b32 s10, s10, exec_lo
	s_and_not1_b32 s27, s27, exec_lo
	s_and_not1_b32 s24, s24, exec_lo
	s_or_b32 s12, s12, s10
	s_or_b32 s10, s14, s15
; %bb.409:                              ;   in Loop: Header=BB78_15 Depth=1
	s_or_b32 exec_lo, exec_lo, s13
	s_delay_alu instid0(SALU_CYCLE_1)
	s_and_not1_b32 s13, s25, exec_lo
	s_and_b32 s14, s29, exec_lo
	v_dual_mov_b32 v24, v22 :: v_dual_mov_b32 v23, v21
	s_or_b32 s25, s13, s14
	s_and_not1_b32 s13, s26, exec_lo
	s_and_b32 s14, s27, exec_lo
	v_dual_mov_b32 v26, v20 :: v_dual_mov_b32 v25, v19
	v_dual_mov_b32 v10, v6 :: v_dual_mov_b32 v9, v5
	s_and_not1_b32 s15, s17, exec_lo
	s_and_b32 s16, s24, exec_lo
	s_or_b32 s26, s13, s14
	s_and_not1_b32 s11, s11, exec_lo
	s_and_b32 s12, s12, exec_lo
	s_and_not1_b32 s13, s22, exec_lo
	s_and_b32 s10, s10, exec_lo
	s_or_b32 s17, s15, s16
	s_or_b32 s11, s11, s12
	;; [unrolled: 1-line block ×3, first 2 shown]
.LBB78_410:                             ;   in Loop: Header=BB78_15 Depth=1
	s_or_b32 exec_lo, exec_lo, s23
	s_mov_b32 s24, s17
	s_mov_b32 s23, s17
	s_and_saveexec_b32 s10, s22
.LBB78_411:                             ;   in Loop: Header=BB78_15 Depth=1
	v_mov_b32_e32 v1, 0
	s_and_not1_b32 s17, s17, exec_lo
	s_and_not1_b32 s25, s25, exec_lo
	;; [unrolled: 1-line block ×5, first 2 shown]
	s_or_b32 s11, s11, exec_lo
.LBB78_412:                             ;   in Loop: Header=BB78_15 Depth=1
	s_or_b32 exec_lo, exec_lo, s10
	s_delay_alu instid0(SALU_CYCLE_1)
	s_and_not1_b32 s10, s79, exec_lo
	s_and_b32 s13, s17, exec_lo
	s_and_not1_b32 s14, s76, exec_lo
	s_or_b32 s79, s10, s13
	s_and_not1_b32 s10, s78, exec_lo
	s_and_b32 s13, s25, exec_lo
	s_and_b32 s15, s26, exec_lo
	s_or_b32 s78, s10, s13
	s_or_b32 s76, s14, s15
	s_and_not1_b32 s10, s77, exec_lo
	s_and_b32 s13, s24, exec_lo
	s_and_not1_b32 s14, s75, exec_lo
	s_and_b32 s15, s23, exec_lo
	s_mov_b32 s12, -1
	s_or_b32 s77, s10, s13
	s_or_b32 s75, s14, s15
                                        ; implicit-def: $vgpr19_vgpr20
                                        ; implicit-def: $vgpr21_vgpr22
                                        ; implicit-def: $vgpr40
                                        ; implicit-def: $vgpr5_vgpr6
	s_and_saveexec_b32 s10, s11
	s_delay_alu instid0(SALU_CYCLE_1)
	s_xor_b32 s10, exec_lo, s10
	s_cbranch_execz .LBB78_14
; %bb.413:                              ;   in Loop: Header=BB78_15 Depth=1
	s_mov_b32 s11, -1
	s_mov_b32 s13, exec_lo
	v_cmpx_eq_u32_e32 0, v1
	s_cbranch_execz .LBB78_13
; %bb.414:                              ;   in Loop: Header=BB78_15 Depth=1
	s_xor_b32 s69, s69, 1
	s_add_i32 s14, s74, -2
	s_cmp_eq_u32 s74, 0
	s_mov_b32 s74, s14
	s_cselect_b32 s11, -1, 0
	s_xor_b32 s12, exec_lo, -1
	s_or_not1_b32 s11, s11, exec_lo
	s_branch .LBB78_13
.LBB78_415:
	s_or_b32 exec_lo, exec_lo, s47
	s_xor_b32 s9, s73, -1
	s_xor_b32 s12, s71, -1
	;; [unrolled: 1-line block ×5, first 2 shown]
	s_mov_b32 s7, 0
	s_and_saveexec_b32 s8, s6
	s_delay_alu instid0(SALU_CYCLE_1)
	s_xor_b32 s6, exec_lo, s8
	s_cbranch_execz .LBB78_476
; %bb.416:
	s_mov_b32 s8, 0
	s_and_saveexec_b32 s7, s11
	s_delay_alu instid0(SALU_CYCLE_1)
	s_xor_b32 s7, exec_lo, s7
	s_cbranch_execz .LBB78_474
; %bb.417:
	;; [unrolled: 6-line block ×3, first 2 shown]
	s_and_saveexec_b32 s12, s9
	s_delay_alu instid0(SALU_CYCLE_1)
	s_xor_b32 s9, exec_lo, s12
	s_cbranch_execz .LBB78_470
; %bb.419:
	s_and_saveexec_b32 s11, s10
	s_delay_alu instid0(SALU_CYCLE_1)
	s_xor_b32 s10, exec_lo, s11
; %bb.420:
	v_lshrrev_b32_e32 v1, 31, v24
	s_delay_alu instid0(VALU_DEP_1) | instskip(NEXT) | instid1(VALU_DEP_1)
	v_add_co_u32 v1, s11, v1, -1
	v_add_co_ci_u32_e64 v2, null, 0, -1, s11
	s_delay_alu instid0(VALU_DEP_2) | instskip(NEXT) | instid1(VALU_DEP_2)
	v_xor_b32_e32 v9, v1, v23
	v_or_b32_e32 v2, 0x80000000, v2
	s_delay_alu instid0(VALU_DEP_1)
	v_xor_b32_e32 v10, v2, v24
; %bb.421:
	s_or_b32 exec_lo, exec_lo, s10
	s_and_saveexec_b32 s10, s5
	s_cbranch_execz .LBB78_423
; %bb.422:
	v_mov_b32_e32 v1, 0
	ds_store_b32 v1, v1 offset:4108
.LBB78_423:
	s_or_b32 exec_lo, exec_lo, s10
	v_mov_b32_e32 v6, 0
	v_mov_b32_e32 v7, 0
	s_waitcnt lgkmcnt(0)
	s_barrier
	buffer_gl0_inv
	s_and_saveexec_b32 s5, s4
	s_cbranch_execz .LBB78_425
; %bb.424:
	global_load_b64 v[6:7], v[11:12], off
.LBB78_425:
	s_or_b32 exec_lo, exec_lo, s5
	v_cmp_o_f64_e32 vcc_lo, v[9:10], v[9:10]
	v_ashrrev_i32_e32 v2, 31, v10
	s_clause 0x1
	s_load_b32 s5, s[0:1], 0x1c8
	s_load_b32 s10, s[0:1], 0x2a8
	s_mul_i32 s12, s50, s49
	s_mul_i32 s13, s46, s48
	s_mov_b32 s1, 0
	v_or_b32_e32 v1, 0x80000000, v2
	s_add_i32 s0, s12, s35
	v_xor_b32_e32 v4, v2, v9
	s_add_i32 s11, s36, 31
	s_add_i32 s14, s13, s41
	v_xor_b32_e32 v3, v1, v10
	v_add_nc_u32_e32 v1, s34, v0
	s_lshl_b64 s[12:13], s[0:1], 3
	s_and_not1_b32 s11, s11, 31
	s_mov_b32 s15, s1
	s_add_u32 s12, s44, s12
	v_mul_lo_u32 v2, s30, v1
	s_addc_u32 s13, s45, s13
	s_lshl_b64 s[14:15], s[14:15], 3
	s_mov_b32 s18, -1
	s_add_u32 s14, s42, s14
	s_addc_u32 s15, s43, s15
	s_mov_b32 s16, 0
	s_mov_b32 s17, exec_lo
	v_dual_cndmask_b32 v5, -1, v3 :: v_dual_cndmask_b32 v4, -1, v4
	v_cmpx_gt_u32_e64 s11, v0
	s_cbranch_execz .LBB78_443
; %bb.426:
	v_mul_lo_u32 v8, s30, v1
	v_mov_b32_e32 v9, 0
	v_mov_b32_e32 v15, v0
                                        ; implicit-def: $sgpr18
                                        ; implicit-def: $vgpr3
	s_branch .LBB78_428
.LBB78_427:                             ;   in Loop: Header=BB78_428 Depth=1
	s_or_b32 exec_lo, exec_lo, s19
	s_xor_b32 s19, s21, -1
	s_and_b32 s0, exec_lo, s0
	s_waitcnt vmcnt(0)
	v_dual_mov_b32 v6, v13 :: v_dual_mov_b32 v7, v14
	s_or_b32 s16, s0, s16
	v_mov_b32_e32 v15, v1
	s_and_not1_b32 s0, s18, exec_lo
	s_and_b32 s18, s19, exec_lo
	s_delay_alu instid0(SALU_CYCLE_1)
	s_or_b32 s18, s0, s18
	s_and_not1_b32 exec_lo, exec_lo, s16
	s_cbranch_execz .LBB78_442
.LBB78_428:                             ; =>This Inner Loop Header: Depth=1
	v_mov_b32_e32 v13, 0
	s_delay_alu instid0(VALU_DEP_2) | instskip(SKIP_1) | instid1(VALU_DEP_1)
	v_dual_mov_b32 v14, 0 :: v_dual_add_nc_u32 v1, s34, v15
	s_mov_b32 s0, exec_lo
	v_cmpx_gt_u32_e64 s36, v1
	s_cbranch_execz .LBB78_430
; %bb.429:                              ;   in Loop: Header=BB78_428 Depth=1
	v_lshlrev_b64 v[13:14], 3, v[8:9]
	s_delay_alu instid0(VALU_DEP_1) | instskip(NEXT) | instid1(VALU_DEP_2)
	v_add_co_u32 v13, vcc_lo, s31, v13
	v_add_co_ci_u32_e32 v14, vcc_lo, s33, v14, vcc_lo
	global_load_b64 v[13:14], v[13:14], off
.LBB78_430:                             ;   in Loop: Header=BB78_428 Depth=1
	s_or_b32 exec_lo, exec_lo, s0
	s_mov_b32 s19, 0
	s_mov_b32 s0, exec_lo
	v_cmpx_gt_u32_e64 s36, v15
	s_cbranch_execz .LBB78_432
; %bb.431:                              ;   in Loop: Header=BB78_428 Depth=1
	s_waitcnt vmcnt(0)
	v_cmp_o_f64_e32 vcc_lo, v[6:7], v[6:7]
	v_ashrrev_i32_e32 v10, 31, v7
	s_delay_alu instid0(VALU_DEP_1) | instskip(SKIP_1) | instid1(VALU_DEP_2)
	v_or_b32_e32 v16, 0x80000000, v10
	v_xor_b32_e32 v10, v10, v6
	v_xor_b32_e32 v16, v16, v7
	s_delay_alu instid0(VALU_DEP_1) | instskip(NEXT) | instid1(VALU_DEP_1)
	v_dual_cndmask_b32 v17, -1, v16 :: v_dual_cndmask_b32 v16, -1, v10
	v_cmp_gt_u64_e32 vcc_lo, v[16:17], v[4:5]
	v_cndmask_b32_e64 v10, 0, 1, vcc_lo
	v_cmp_lt_u64_e32 vcc_lo, v[16:17], v[4:5]
	v_cndmask_b32_e64 v16, 0, 1, vcc_lo
	s_delay_alu instid0(VALU_DEP_1) | instskip(NEXT) | instid1(VALU_DEP_1)
	v_cndmask_b32_e64 v10, v16, v10, s3
	v_and_b32_e32 v10, 1, v10
	s_delay_alu instid0(VALU_DEP_1)
	v_cmp_eq_u32_e32 vcc_lo, 1, v10
	s_and_b32 s19, vcc_lo, exec_lo
.LBB78_432:                             ;   in Loop: Header=BB78_428 Depth=1
	s_or_b32 exec_lo, exec_lo, s0
	v_cndmask_b32_e64 v10, 0, 1, s19
	s_delay_alu instid0(VALU_DEP_1) | instskip(SKIP_2) | instid1(SALU_CYCLE_1)
	v_cmp_ne_u32_e32 vcc_lo, 0, v10
	s_cmp_lg_u32 vcc_lo, 0
	s_cselect_b32 s0, -1, 0
	s_and_b32 s0, s2, s0
	s_delay_alu instid0(SALU_CYCLE_1)
	s_and_saveexec_b32 s20, s0
	s_cbranch_execz .LBB78_436
; %bb.433:                              ;   in Loop: Header=BB78_428 Depth=1
	s_mov_b32 s23, exec_lo
	s_bcnt1_i32_b32 s21, vcc_lo
	s_waitcnt lgkmcnt(0)
	v_mbcnt_lo_u32_b32 v3, s23, 0
	s_mov_b32 s22, exec_lo
                                        ; implicit-def: $vgpr10
	s_delay_alu instid0(VALU_DEP_1)
	v_cmpx_eq_u32_e32 0, v3
	s_cbranch_execz .LBB78_435
; %bb.434:                              ;   in Loop: Header=BB78_428 Depth=1
	s_bcnt1_i32_b32 s0, s23
	s_delay_alu instid0(SALU_CYCLE_1) | instskip(NEXT) | instid1(SALU_CYCLE_1)
	s_mul_i32 s0, s21, s0
	v_mov_b32_e32 v10, s0
	ds_add_rtn_u32 v10, v9, v10 offset:4108
.LBB78_435:                             ;   in Loop: Header=BB78_428 Depth=1
	s_or_b32 exec_lo, exec_lo, s22
	s_waitcnt lgkmcnt(0)
	v_readfirstlane_b32 s0, v10
	s_delay_alu instid0(VALU_DEP_1)
	v_mad_u32_u24 v3, s21, v3, s0
.LBB78_436:                             ;   in Loop: Header=BB78_428 Depth=1
	s_or_b32 exec_lo, exec_lo, s20
	s_waitcnt lgkmcnt(0)
	ds_bpermute_b32 v3, v9, v3
	s_mov_b32 s0, -1
	s_mov_b32 s22, -1
                                        ; implicit-def: $sgpr21
	s_and_saveexec_b32 s20, s19
	s_cbranch_execz .LBB78_440
; %bb.437:                              ;   in Loop: Header=BB78_428 Depth=1
	v_and_b32_e32 v10, vcc_lo, v27
	s_mov_b32 s19, 0
	s_mov_b32 s21, exec_lo
	s_waitcnt lgkmcnt(0)
	s_delay_alu instid0(VALU_DEP_1) | instskip(NEXT) | instid1(VALU_DEP_1)
	v_bcnt_u32_b32 v10, v10, v3
	v_cmpx_gt_u32_e64 s37, v10
	s_cbranch_execz .LBB78_439
; %bb.438:                              ;   in Loop: Header=BB78_428 Depth=1
	v_mul_lo_u32 v16, v10, s5
	v_mov_b32_e32 v17, v9
	v_mul_lo_u32 v18, v10, s10
	v_mov_b32_e32 v19, v9
	s_mov_b32 s19, exec_lo
	s_delay_alu instid0(VALU_DEP_3) | instskip(SKIP_1) | instid1(VALU_DEP_3)
	v_lshlrev_b64 v[20:21], 3, v[16:17]
	v_mov_b32_e32 v16, v9
	v_lshlrev_b64 v[17:18], 3, v[18:19]
	s_delay_alu instid0(VALU_DEP_3) | instskip(NEXT) | instid1(VALU_DEP_4)
	v_add_co_u32 v19, vcc_lo, s12, v20
	v_add_co_ci_u32_e32 v20, vcc_lo, s13, v21, vcc_lo
	s_delay_alu instid0(VALU_DEP_3) | instskip(NEXT) | instid1(VALU_DEP_4)
	v_add_co_u32 v17, vcc_lo, s14, v17
	v_add_co_ci_u32_e32 v18, vcc_lo, s15, v18, vcc_lo
	s_waitcnt vmcnt(0)
	global_store_b64 v[19:20], v[6:7], off
	global_store_b64 v[17:18], v[15:16], off
.LBB78_439:                             ;   in Loop: Header=BB78_428 Depth=1
	s_or_b32 exec_lo, exec_lo, s21
	s_mov_b32 s21, -1
	s_or_not1_b32 s22, s19, exec_lo
.LBB78_440:                             ;   in Loop: Header=BB78_428 Depth=1
	s_or_b32 exec_lo, exec_lo, s20
	s_and_saveexec_b32 s19, s22
	s_cbranch_execz .LBB78_427
; %bb.441:                              ;   in Loop: Header=BB78_428 Depth=1
	v_cmp_le_u32_e32 vcc_lo, s11, v1
	v_add_nc_u32_e32 v8, s40, v8
	s_and_not1_b32 s21, s21, exec_lo
	s_or_not1_b32 s0, vcc_lo, exec_lo
	s_branch .LBB78_427
.LBB78_442:
	s_or_b32 exec_lo, exec_lo, s16
	s_delay_alu instid0(SALU_CYCLE_1)
	s_mov_b32 s16, exec_lo
	s_or_not1_b32 s18, s18, exec_lo
.LBB78_443:
	s_or_b32 exec_lo, exec_lo, s17
	s_and_saveexec_b32 s3, s18
	s_cbranch_execz .LBB78_468
; %bb.444:
	s_waitcnt vmcnt(0)
	v_mov_b32_e32 v6, 0
	v_mov_b32_e32 v7, 0
	s_waitcnt lgkmcnt(0)
	s_waitcnt_vscnt null, 0x0
	s_barrier
	buffer_gl0_inv
	s_and_saveexec_b32 s0, s4
	s_cbranch_execz .LBB78_446
; %bb.445:
	global_load_b64 v[6:7], v[11:12], off
.LBB78_446:
	s_or_b32 exec_lo, exec_lo, s0
	v_mov_b32_e32 v3, 0
	s_mov_b32 s4, 0
                                        ; implicit-def: $sgpr1
                                        ; implicit-def: $sgpr17
                                        ; implicit-def: $sgpr18
                                        ; implicit-def: $vgpr12
	s_branch .LBB78_449
.LBB78_447:                             ;   in Loop: Header=BB78_449 Depth=1
	s_or_b32 exec_lo, exec_lo, s21
	v_mov_b32_e32 v6, v10
	v_dual_mov_b32 v0, v13 :: v_dual_mov_b32 v7, v11
	s_and_not1_b32 s18, s18, exec_lo
	s_and_b32 s20, s23, exec_lo
	s_and_not1_b32 s17, s17, exec_lo
	s_and_b32 s0, s0, exec_lo
	s_or_b32 s18, s18, s20
	s_or_b32 s17, s17, s0
.LBB78_448:                             ;   in Loop: Header=BB78_449 Depth=1
	s_or_b32 exec_lo, exec_lo, s19
	s_xor_b32 s0, s18, -1
	s_and_b32 s19, exec_lo, s17
	s_delay_alu instid0(SALU_CYCLE_1) | instskip(SKIP_2) | instid1(SALU_CYCLE_1)
	s_or_b32 s4, s19, s4
	s_and_not1_b32 s1, s1, exec_lo
	s_and_b32 s0, s0, exec_lo
	s_or_b32 s1, s1, s0
	s_and_not1_b32 exec_lo, exec_lo, s4
	s_cbranch_execz .LBB78_466
.LBB78_449:                             ; =>This Inner Loop Header: Depth=1
	s_or_b32 s18, s18, exec_lo
	s_or_b32 s17, s17, exec_lo
	s_mov_b32 s19, exec_lo
	v_cmpx_gt_u32_e64 s11, v0
	s_cbranch_execz .LBB78_448
; %bb.450:                              ;   in Loop: Header=BB78_449 Depth=1
	v_dual_mov_b32 v8, 0 :: v_dual_add_nc_u32 v13, s34, v0
	v_mov_b32_e32 v9, 0
	s_mov_b32 s0, exec_lo
	s_delay_alu instid0(VALU_DEP_2)
	v_cmpx_gt_u32_e64 s36, v13
	s_cbranch_execz .LBB78_452
; %bb.451:                              ;   in Loop: Header=BB78_449 Depth=1
	v_lshlrev_b64 v[8:9], 3, v[2:3]
	s_delay_alu instid0(VALU_DEP_1) | instskip(NEXT) | instid1(VALU_DEP_2)
	v_add_co_u32 v8, vcc_lo, s31, v8
	v_add_co_ci_u32_e32 v9, vcc_lo, s33, v9, vcc_lo
	global_load_b64 v[8:9], v[8:9], off
.LBB78_452:                             ;   in Loop: Header=BB78_449 Depth=1
	s_or_b32 exec_lo, exec_lo, s0
	s_mov_b32 s21, 0
	s_mov_b32 s0, exec_lo
	v_cmpx_gt_u32_e64 s36, v0
	s_cbranch_execz .LBB78_454
; %bb.453:                              ;   in Loop: Header=BB78_449 Depth=1
	s_waitcnt vmcnt(0)
	v_cmp_o_f64_e32 vcc_lo, v[6:7], v[6:7]
	v_ashrrev_i32_e32 v1, 31, v7
	s_delay_alu instid0(VALU_DEP_1) | instskip(SKIP_1) | instid1(VALU_DEP_2)
	v_or_b32_e32 v10, 0x80000000, v1
	v_xor_b32_e32 v1, v1, v6
	v_xor_b32_e32 v10, v10, v7
	s_delay_alu instid0(VALU_DEP_1) | instskip(NEXT) | instid1(VALU_DEP_1)
	v_dual_cndmask_b32 v11, -1, v10 :: v_dual_cndmask_b32 v10, -1, v1
	v_cmp_eq_u64_e32 vcc_lo, v[10:11], v[4:5]
	s_and_b32 s21, vcc_lo, exec_lo
.LBB78_454:                             ;   in Loop: Header=BB78_449 Depth=1
	s_or_b32 exec_lo, exec_lo, s0
	v_cndmask_b32_e64 v1, 0, 1, s21
	s_delay_alu instid0(VALU_DEP_1) | instskip(SKIP_2) | instid1(SALU_CYCLE_1)
	v_cmp_ne_u32_e32 vcc_lo, 0, v1
	s_cmp_lg_u32 vcc_lo, 0
	s_cselect_b32 s0, -1, 0
	s_and_b32 s0, s2, s0
	s_delay_alu instid0(SALU_CYCLE_1)
	s_and_saveexec_b32 s20, s0
	s_cbranch_execz .LBB78_458
; %bb.455:                              ;   in Loop: Header=BB78_449 Depth=1
	s_mov_b32 s24, exec_lo
	s_bcnt1_i32_b32 s22, vcc_lo
	v_mbcnt_lo_u32_b32 v1, s24, 0
	s_mov_b32 s23, exec_lo
                                        ; implicit-def: $vgpr10
	s_delay_alu instid0(VALU_DEP_1)
	v_cmpx_eq_u32_e32 0, v1
	s_cbranch_execz .LBB78_457
; %bb.456:                              ;   in Loop: Header=BB78_449 Depth=1
	s_bcnt1_i32_b32 s0, s24
	s_delay_alu instid0(SALU_CYCLE_1) | instskip(NEXT) | instid1(SALU_CYCLE_1)
	s_mul_i32 s0, s22, s0
	v_mov_b32_e32 v10, s0
	ds_add_rtn_u32 v10, v3, v10 offset:4108
.LBB78_457:                             ;   in Loop: Header=BB78_449 Depth=1
	s_or_b32 exec_lo, exec_lo, s23
	s_waitcnt lgkmcnt(0)
	v_readfirstlane_b32 s0, v10
	s_delay_alu instid0(VALU_DEP_1)
	v_mad_u32_u24 v12, s22, v1, s0
.LBB78_458:                             ;   in Loop: Header=BB78_449 Depth=1
	s_or_b32 exec_lo, exec_lo, s20
	ds_bpermute_b32 v12, v3, v12
	s_cmp_eq_u32 vcc_lo, 0
	s_mov_b32 s22, -1
	s_cselect_b32 s20, -1, 0
	s_mov_b32 s23, -1
	s_waitcnt lgkmcnt(0)
	v_cmp_gt_u32_e64 s0, s37, v12
	s_delay_alu instid0(VALU_DEP_1)
	s_or_b32 s20, s20, s0
	s_mov_b32 s0, -1
	s_waitcnt vmcnt(0)
	v_cndmask_b32_e64 v11, v7, v9, s20
	v_cndmask_b32_e64 v10, v6, v8, s20
	s_and_b32 s24, s21, s20
	s_delay_alu instid0(SALU_CYCLE_1)
	s_and_saveexec_b32 s21, s24
	s_cbranch_execz .LBB78_464
; %bb.459:                              ;   in Loop: Header=BB78_449 Depth=1
	v_and_b32_e32 v1, vcc_lo, v27
	v_sub_nc_u32_e32 v10, s37, v12
	s_mov_b32 s24, -1
	s_mov_b32 s23, exec_lo
	s_delay_alu instid0(VALU_DEP_2) | instskip(NEXT) | instid1(VALU_DEP_1)
	v_bcnt_u32_b32 v1, v1, 0
	v_cmp_le_u32_e64 s22, v10, v1
	v_cmpx_gt_u32_e64 v10, v1
	s_cbranch_execz .LBB78_463
; %bb.460:                              ;   in Loop: Header=BB78_449 Depth=1
	v_add_nc_u32_e32 v1, v12, v1
	s_delay_alu instid0(VALU_DEP_3) | instskip(SKIP_1) | instid1(VALU_DEP_1)
	s_mov_b32 s25, s22
	s_mov_b32 s24, exec_lo
	v_cmpx_gt_u32_e64 s37, v1
	s_cbranch_execz .LBB78_462
; %bb.461:                              ;   in Loop: Header=BB78_449 Depth=1
	v_mul_lo_u32 v10, v1, s5
	v_mov_b32_e32 v11, v3
	v_mul_lo_u32 v14, v1, s10
	v_mov_b32_e32 v15, v3
	v_mov_b32_e32 v1, v3
	s_or_b32 s25, s22, exec_lo
	v_lshlrev_b64 v[10:11], 3, v[10:11]
	s_delay_alu instid0(VALU_DEP_3) | instskip(NEXT) | instid1(VALU_DEP_2)
	v_lshlrev_b64 v[14:15], 3, v[14:15]
	v_add_co_u32 v10, vcc_lo, s12, v10
	s_delay_alu instid0(VALU_DEP_3) | instskip(NEXT) | instid1(VALU_DEP_3)
	v_add_co_ci_u32_e32 v11, vcc_lo, s13, v11, vcc_lo
	v_add_co_u32 v14, vcc_lo, s14, v14
	s_delay_alu instid0(VALU_DEP_4)
	v_add_co_ci_u32_e32 v15, vcc_lo, s15, v15, vcc_lo
	global_store_b64 v[10:11], v[6:7], off
	global_store_b64 v[14:15], v[0:1], off
.LBB78_462:                             ;   in Loop: Header=BB78_449 Depth=1
	s_or_b32 exec_lo, exec_lo, s24
	s_delay_alu instid0(SALU_CYCLE_1)
	s_and_not1_b32 s22, s22, exec_lo
	s_and_b32 s25, s25, exec_lo
	s_xor_b32 s24, exec_lo, -1
	s_or_b32 s22, s22, s25
.LBB78_463:                             ;   in Loop: Header=BB78_449 Depth=1
	s_or_b32 exec_lo, exec_lo, s23
	v_dual_mov_b32 v11, v9 :: v_dual_mov_b32 v10, v8
	s_or_not1_b32 s23, s24, exec_lo
	s_or_b32 s20, s20, exec_lo
	s_or_not1_b32 s22, s22, exec_lo
.LBB78_464:                             ;   in Loop: Header=BB78_449 Depth=1
	s_or_b32 exec_lo, exec_lo, s21
	s_and_saveexec_b32 s21, s22
	s_cbranch_execz .LBB78_447
; %bb.465:                              ;   in Loop: Header=BB78_449 Depth=1
	v_add_nc_u32_e32 v2, s40, v2
	s_xor_b32 s0, s20, -1
	s_or_b32 s23, s23, exec_lo
	s_or_not1_b32 s0, s0, exec_lo
	s_branch .LBB78_447
.LBB78_466:
	s_or_b32 exec_lo, exec_lo, s4
	s_mov_b32 s0, 0
	s_and_saveexec_b32 s2, s1
	s_delay_alu instid0(SALU_CYCLE_1)
	s_xor_b32 s1, exec_lo, s2
	s_cbranch_execnz .LBB78_498
.LBB78_467:
	s_or_b32 exec_lo, exec_lo, s1
	s_delay_alu instid0(SALU_CYCLE_1)
	s_and_b32 s1, s0, exec_lo
	s_and_not1_b32 s16, s16, exec_lo
.LBB78_468:
	s_or_b32 exec_lo, exec_lo, s3
	s_and_saveexec_b32 s0, s16
	s_delay_alu instid0(SALU_CYCLE_1)
	s_xor_b32 s0, exec_lo, s0
	s_cbranch_execnz .LBB78_494
.LBB78_469:
	s_or_b32 exec_lo, exec_lo, s0
	s_delay_alu instid0(SALU_CYCLE_1)
	s_and_b32 s11, s1, exec_lo
.LBB78_470:
	s_and_not1_saveexec_b32 s0, s9
	s_cbranch_execnz .LBB78_490
.LBB78_471:
	s_or_b32 exec_lo, exec_lo, s0
	s_delay_alu instid0(SALU_CYCLE_1)
	s_and_b32 s11, s11, exec_lo
.LBB78_472:
	s_and_not1_saveexec_b32 s0, s8
	s_cbranch_execnz .LBB78_486
.LBB78_473:
	s_or_b32 exec_lo, exec_lo, s0
	s_delay_alu instid0(SALU_CYCLE_1)
	s_and_b32 s8, s11, exec_lo
.LBB78_474:
	s_and_not1_saveexec_b32 s0, s7
	s_cbranch_execnz .LBB78_482
.LBB78_475:
	s_or_b32 exec_lo, exec_lo, s0
	s_delay_alu instid0(SALU_CYCLE_1)
	s_and_b32 s7, s8, exec_lo
.LBB78_476:
	s_and_not1_saveexec_b32 s0, s6
	s_cbranch_execnz .LBB78_480
; %bb.477:
	s_or_b32 exec_lo, exec_lo, s0
	s_and_saveexec_b32 s0, s7
.LBB78_478:
	; divergent unreachable
.LBB78_479:
	s_nop 0
	s_sendmsg sendmsg(MSG_DEALLOC_VGPRS)
	s_endpgm
.LBB78_480:
	s_cbranch_execnz .LBB78_484
; %bb.481:
	s_or_b32 s7, s7, exec_lo
	s_or_b32 exec_lo, exec_lo, s0
	s_and_saveexec_b32 s0, s7
	s_cbranch_execnz .LBB78_478
	s_branch .LBB78_479
.LBB78_482:
	s_cbranch_execnz .LBB78_488
; %bb.483:
	s_or_b32 s8, s8, exec_lo
	s_branch .LBB78_475
.LBB78_484:
	s_trap 2
	s_sendmsg_rtn_b32 s0, sendmsg(MSG_RTN_GET_DOORBELL)
	s_mov_b32 ttmp2, m0
	s_waitcnt lgkmcnt(0)
	s_and_b32 s0, s0, 0x3ff
	s_delay_alu instid0(SALU_CYCLE_1) | instskip(NEXT) | instid1(SALU_CYCLE_1)
	s_bitset1_b32 s0, 10
	s_mov_b32 m0, s0
	s_sendmsg sendmsg(MSG_INTERRUPT)
	s_mov_b32 m0, ttmp2
.LBB78_485:                             ; =>This Inner Loop Header: Depth=1
	s_sethalt 5
	s_branch .LBB78_485
.LBB78_486:
	s_cbranch_execnz .LBB78_492
; %bb.487:
	s_or_b32 s11, s11, exec_lo
	s_branch .LBB78_473
.LBB78_488:
	s_trap 2
	s_sendmsg_rtn_b32 s0, sendmsg(MSG_RTN_GET_DOORBELL)
	s_mov_b32 ttmp2, m0
	s_waitcnt lgkmcnt(0)
	s_and_b32 s0, s0, 0x3ff
	s_delay_alu instid0(SALU_CYCLE_1) | instskip(NEXT) | instid1(SALU_CYCLE_1)
	s_bitset1_b32 s0, 10
	s_mov_b32 m0, s0
	s_sendmsg sendmsg(MSG_INTERRUPT)
	s_mov_b32 m0, ttmp2
.LBB78_489:                             ; =>This Inner Loop Header: Depth=1
	s_sethalt 5
	s_branch .LBB78_489
.LBB78_490:
	s_cbranch_execnz .LBB78_496
; %bb.491:
	s_or_b32 s11, s11, exec_lo
	s_branch .LBB78_471
.LBB78_492:
	s_trap 2
	s_sendmsg_rtn_b32 s0, sendmsg(MSG_RTN_GET_DOORBELL)
	s_mov_b32 ttmp2, m0
	s_waitcnt lgkmcnt(0)
	s_and_b32 s0, s0, 0x3ff
	s_delay_alu instid0(SALU_CYCLE_1) | instskip(NEXT) | instid1(SALU_CYCLE_1)
	s_bitset1_b32 s0, 10
	s_mov_b32 m0, s0
	s_sendmsg sendmsg(MSG_INTERRUPT)
	s_mov_b32 m0, ttmp2
.LBB78_493:                             ; =>This Inner Loop Header: Depth=1
	s_sethalt 5
	s_branch .LBB78_493
.LBB78_494:
	s_cbranch_execnz .LBB78_500
; %bb.495:
	s_or_b32 s1, s1, exec_lo
	s_branch .LBB78_469
.LBB78_496:
	s_trap 2
	s_sendmsg_rtn_b32 s0, sendmsg(MSG_RTN_GET_DOORBELL)
	s_mov_b32 ttmp2, m0
	s_waitcnt lgkmcnt(0)
	s_and_b32 s0, s0, 0x3ff
	s_delay_alu instid0(SALU_CYCLE_1) | instskip(NEXT) | instid1(SALU_CYCLE_1)
	s_bitset1_b32 s0, 10
	s_mov_b32 m0, s0
	s_sendmsg sendmsg(MSG_INTERRUPT)
	s_mov_b32 m0, ttmp2
.LBB78_497:                             ; =>This Inner Loop Header: Depth=1
	s_sethalt 5
	s_branch .LBB78_497
.LBB78_498:
	s_cbranch_execnz .LBB78_502
; %bb.499:
	s_mov_b32 s0, exec_lo
	s_branch .LBB78_467
.LBB78_500:
	s_trap 2
	s_sendmsg_rtn_b32 s0, sendmsg(MSG_RTN_GET_DOORBELL)
	s_mov_b32 ttmp2, m0
	s_waitcnt lgkmcnt(0)
	s_and_b32 s0, s0, 0x3ff
	s_delay_alu instid0(SALU_CYCLE_1) | instskip(NEXT) | instid1(SALU_CYCLE_1)
	s_bitset1_b32 s0, 10
	s_mov_b32 m0, s0
	s_sendmsg sendmsg(MSG_INTERRUPT)
	s_mov_b32 m0, ttmp2
.LBB78_501:                             ; =>This Inner Loop Header: Depth=1
	s_sethalt 5
	s_branch .LBB78_501
.LBB78_502:
	s_trap 2
	s_sendmsg_rtn_b32 s0, sendmsg(MSG_RTN_GET_DOORBELL)
	s_mov_b32 ttmp2, m0
	s_waitcnt lgkmcnt(0)
	s_and_b32 s0, s0, 0x3ff
	s_delay_alu instid0(SALU_CYCLE_1) | instskip(NEXT) | instid1(SALU_CYCLE_1)
	s_bitset1_b32 s0, 10
	s_mov_b32 m0, s0
	s_sendmsg sendmsg(MSG_INTERRUPT)
	s_mov_b32 m0, ttmp2
.LBB78_503:                             ; =>This Inner Loop Header: Depth=1
	s_sethalt 5
	s_branch .LBB78_503
	.section	.rodata,"a",@progbits
	.p2align	6, 0x0
	.amdhsa_kernel _ZN2at6native6sbtopk10gatherTopKIdjLin1ELb0EEEvNS_4cuda6detail10TensorInfoIKT_T0_EES8_S8_bS8_S8_NS5_IS6_S8_EES8_NS5_IlS8_EES8_PS6_
		.amdhsa_group_segment_fixed_size 4112
		.amdhsa_private_segment_fixed_size 0
		.amdhsa_kernarg_size 952
		.amdhsa_user_sgpr_count 13
		.amdhsa_user_sgpr_dispatch_ptr 0
		.amdhsa_user_sgpr_queue_ptr 0
		.amdhsa_user_sgpr_kernarg_segment_ptr 1
		.amdhsa_user_sgpr_dispatch_id 0
		.amdhsa_user_sgpr_private_segment_size 0
		.amdhsa_wavefront_size32 1
		.amdhsa_uses_dynamic_stack 0
		.amdhsa_enable_private_segment 0
		.amdhsa_system_sgpr_workgroup_id_x 1
		.amdhsa_system_sgpr_workgroup_id_y 1
		.amdhsa_system_sgpr_workgroup_id_z 1
		.amdhsa_system_sgpr_workgroup_info 0
		.amdhsa_system_vgpr_workitem_id 0
		.amdhsa_next_free_vgpr 55
		.amdhsa_next_free_sgpr 94
		.amdhsa_reserve_vcc 1
		.amdhsa_float_round_mode_32 0
		.amdhsa_float_round_mode_16_64 0
		.amdhsa_float_denorm_mode_32 3
		.amdhsa_float_denorm_mode_16_64 3
		.amdhsa_dx10_clamp 1
		.amdhsa_ieee_mode 1
		.amdhsa_fp16_overflow 0
		.amdhsa_workgroup_processor_mode 1
		.amdhsa_memory_ordered 1
		.amdhsa_forward_progress 0
		.amdhsa_shared_vgpr_count 0
		.amdhsa_exception_fp_ieee_invalid_op 0
		.amdhsa_exception_fp_denorm_src 0
		.amdhsa_exception_fp_ieee_div_zero 0
		.amdhsa_exception_fp_ieee_overflow 0
		.amdhsa_exception_fp_ieee_underflow 0
		.amdhsa_exception_fp_ieee_inexact 0
		.amdhsa_exception_int_div_zero 0
	.end_amdhsa_kernel
	.section	.text._ZN2at6native6sbtopk10gatherTopKIdjLin1ELb0EEEvNS_4cuda6detail10TensorInfoIKT_T0_EES8_S8_bS8_S8_NS5_IS6_S8_EES8_NS5_IlS8_EES8_PS6_,"axG",@progbits,_ZN2at6native6sbtopk10gatherTopKIdjLin1ELb0EEEvNS_4cuda6detail10TensorInfoIKT_T0_EES8_S8_bS8_S8_NS5_IS6_S8_EES8_NS5_IlS8_EES8_PS6_,comdat
.Lfunc_end78:
	.size	_ZN2at6native6sbtopk10gatherTopKIdjLin1ELb0EEEvNS_4cuda6detail10TensorInfoIKT_T0_EES8_S8_bS8_S8_NS5_IS6_S8_EES8_NS5_IlS8_EES8_PS6_, .Lfunc_end78-_ZN2at6native6sbtopk10gatherTopKIdjLin1ELb0EEEvNS_4cuda6detail10TensorInfoIKT_T0_EES8_S8_bS8_S8_NS5_IS6_S8_EES8_NS5_IlS8_EES8_PS6_
                                        ; -- End function
	.section	.AMDGPU.csdata,"",@progbits
; Kernel info:
; codeLenInByte = 17536
; NumSgprs: 96
; NumVgprs: 55
; ScratchSize: 0
; MemoryBound: 0
; FloatMode: 240
; IeeeMode: 1
; LDSByteSize: 4112 bytes/workgroup (compile time only)
; SGPRBlocks: 11
; VGPRBlocks: 6
; NumSGPRsForWavesPerEU: 96
; NumVGPRsForWavesPerEU: 55
; Occupancy: 16
; WaveLimiterHint : 1
; COMPUTE_PGM_RSRC2:SCRATCH_EN: 0
; COMPUTE_PGM_RSRC2:USER_SGPR: 13
; COMPUTE_PGM_RSRC2:TRAP_HANDLER: 0
; COMPUTE_PGM_RSRC2:TGID_X_EN: 1
; COMPUTE_PGM_RSRC2:TGID_Y_EN: 1
; COMPUTE_PGM_RSRC2:TGID_Z_EN: 1
; COMPUTE_PGM_RSRC2:TIDIG_COMP_CNT: 0
	.section	.text._ZN2at6native6mbtopk23computeBlockDigitCountsIfjjLi1EEEvNS_4cuda6detail10TensorInfoIKT_T0_EEjPjjS8_iijT1_PSB_Ps,"axG",@progbits,_ZN2at6native6mbtopk23computeBlockDigitCountsIfjjLi1EEEvNS_4cuda6detail10TensorInfoIKT_T0_EEjPjjS8_iijT1_PSB_Ps,comdat
	.protected	_ZN2at6native6mbtopk23computeBlockDigitCountsIfjjLi1EEEvNS_4cuda6detail10TensorInfoIKT_T0_EEjPjjS8_iijT1_PSB_Ps ; -- Begin function _ZN2at6native6mbtopk23computeBlockDigitCountsIfjjLi1EEEvNS_4cuda6detail10TensorInfoIKT_T0_EEjPjjS8_iijT1_PSB_Ps
	.globl	_ZN2at6native6mbtopk23computeBlockDigitCountsIfjjLi1EEEvNS_4cuda6detail10TensorInfoIKT_T0_EEjPjjS8_iijT1_PSB_Ps
	.p2align	8
	.type	_ZN2at6native6mbtopk23computeBlockDigitCountsIfjjLi1EEEvNS_4cuda6detail10TensorInfoIKT_T0_EEjPjjS8_iijT1_PSB_Ps,@function
_ZN2at6native6mbtopk23computeBlockDigitCountsIfjjLi1EEEvNS_4cuda6detail10TensorInfoIKT_T0_EEjPjjS8_iijT1_PSB_Ps: ; @_ZN2at6native6mbtopk23computeBlockDigitCountsIfjjLi1EEEvNS_4cuda6detail10TensorInfoIKT_T0_EEjPjjS8_iijT1_PSB_Ps
; %bb.0:
	s_clause 0x2
	s_load_b64 s[2:3], s[0:1], 0xf8
	s_load_b128 s[8:11], s[0:1], 0xe8
	s_load_b64 s[4:5], s[0:1], 0x110
	s_waitcnt lgkmcnt(0)
	v_cvt_f32_u32_e32 v1, s2
	s_sub_i32 s7, 0, s2
	s_mul_i32 s5, s5, s15
	s_delay_alu instid0(SALU_CYCLE_1) | instskip(NEXT) | instid1(VALU_DEP_1)
	s_add_i32 s5, s5, s14
	v_rcp_iflag_f32_e32 v1, v1
	s_mul_i32 s16, s5, s4
	s_delay_alu instid0(SALU_CYCLE_1) | instskip(SKIP_3) | instid1(VALU_DEP_1)
	s_add_i32 s16, s16, s13
	s_mov_b32 s13, 0
	s_waitcnt_depctr 0xfff
	v_mul_f32_e32 v1, 0x4f7ffffe, v1
	v_cvt_u32_f32_e32 v1, v1
	s_delay_alu instid0(VALU_DEP_1) | instskip(NEXT) | instid1(VALU_DEP_1)
	v_readfirstlane_b32 s6, v1
	s_mul_i32 s7, s7, s6
	s_delay_alu instid0(SALU_CYCLE_1) | instskip(NEXT) | instid1(SALU_CYCLE_1)
	s_mul_hi_u32 s4, s6, s7
	s_add_i32 s6, s6, s4
	s_delay_alu instid0(SALU_CYCLE_1) | instskip(NEXT) | instid1(SALU_CYCLE_1)
	s_mul_hi_u32 s4, s16, s6
	s_mul_i32 s5, s4, s2
	s_add_i32 s6, s4, 1
	s_sub_i32 s5, s16, s5
	s_delay_alu instid0(SALU_CYCLE_1)
	s_sub_i32 s7, s5, s2
	s_cmp_ge_u32 s5, s2
	s_cselect_b32 s4, s6, s4
	s_cselect_b32 s5, s7, s5
	s_add_i32 s6, s4, 1
	s_cmp_ge_u32 s5, s2
	s_cselect_b32 s12, s6, s4
	s_delay_alu instid0(SALU_CYCLE_1)
	s_cmp_ge_u32 s12, s8
	s_cbranch_scc1 .LBB79_29
; %bb.1:
	s_load_b128 s[4:7], s[0:1], 0x100
	s_lshl_b64 s[14:15], s[12:13], 2
	v_cmp_gt_u32_e32 vcc_lo, 0x100, v0
	v_lshlrev_b32_e32 v3, 2, v0
	s_waitcnt lgkmcnt(0)
	s_add_u32 s14, s4, s14
	s_addc_u32 s15, s5, s15
	s_and_saveexec_b32 s4, vcc_lo
	s_cbranch_execz .LBB79_3
; %bb.2:
	v_mov_b32_e32 v1, 0
	ds_store_b32 v3, v1
.LBB79_3:
	s_or_b32 exec_lo, exec_lo, s4
	s_load_b32 s8, s[0:1], 0xd8
	s_mul_i32 s4, s12, s2
	s_waitcnt lgkmcnt(0)
	s_sub_i32 s4, s16, s4
	s_barrier
	s_mul_i32 s5, s11, s4
	s_add_i32 s4, s4, 1
	s_lshl_b32 s13, s5, 8
	buffer_gl0_inv
	s_sub_i32 s5, s8, s13
	s_delay_alu instid0(SALU_CYCLE_1) | instskip(SKIP_3) | instid1(VALU_DEP_1)
	s_add_u32 s5, s5, 0xff
	s_addc_u32 s17, 0, 0
	s_cmp_lt_u32 s4, s2
	v_alignbit_b32 v1, s17, s5, 8
	v_readfirstlane_b32 s5, v1
	s_delay_alu instid0(VALU_DEP_1)
	s_cselect_b32 s11, s11, s5
	s_mov_b32 s5, 0
	s_cmp_lt_i32 s11, 1
	s_cbranch_scc1 .LBB79_25
; %bb.4:
	s_clause 0x1
	s_load_b32 s2, s[0:1], 0x6c
	s_load_b64 s[18:19], s[0:1], 0x0
	s_load_b32 s1, s[14:15], 0x0
	s_waitcnt lgkmcnt(0)
	s_mul_i32 s4, s2, s12
	s_delay_alu instid0(SALU_CYCLE_1) | instskip(NEXT) | instid1(SALU_CYCLE_1)
	s_lshl_b64 s[14:15], s[4:5], 2
	s_add_u32 s2, s18, s14
	s_addc_u32 s4, s19, s15
	s_and_b32 s10, s10, 0xff
	s_cmp_lt_u32 s11, 4
	s_cbranch_scc1 .LBB79_19
; %bb.5:
	v_add_nc_u32_e32 v1, s13, v0
	s_and_b32 s5, s11, 0x7ffffffc
	s_lshl_b32 s12, s9, 10
	s_mov_b32 s14, 0
	s_mov_b32 s15, 0
	v_dual_mov_b32 v9, 1 :: v_dual_add_nc_u32 v2, 0x200, v1
	s_delay_alu instid0(VALU_DEP_1) | instskip(SKIP_4) | instid1(VALU_DEP_3)
	v_mul_lo_u32 v6, s9, v2
	v_mov_b32_e32 v2, 0
	v_add_nc_u32_e32 v4, 0x300, v1
	v_add_nc_u32_e32 v7, 0x100, v1
	v_mul_lo_u32 v8, s9, v1
	v_mul_lo_u32 v5, s9, v4
	s_delay_alu instid0(VALU_DEP_3)
	v_mul_lo_u32 v7, s9, v7
	s_branch .LBB79_7
.LBB79_6:                               ;   in Loop: Header=BB79_7 Depth=1
	s_or_b32 exec_lo, exec_lo, s17
	v_add_nc_u32_e32 v4, 0x400, v4
	s_add_i32 s15, s15, 4
	s_add_i32 s14, s14, s12
	s_cmp_eq_u32 s5, s15
	s_cbranch_scc1 .LBB79_19
.LBB79_7:                               ; =>This Inner Loop Header: Depth=1
	v_add_nc_u32_e32 v1, 0xfffffd00, v4
	s_mov_b32 s17, exec_lo
	s_delay_alu instid0(VALU_DEP_1)
	v_cmpx_gt_u32_e64 s8, v1
	s_cbranch_execz .LBB79_10
; %bb.8:                                ;   in Loop: Header=BB79_7 Depth=1
	v_add_nc_u32_e32 v1, s14, v8
	s_delay_alu instid0(VALU_DEP_1) | instskip(NEXT) | instid1(VALU_DEP_1)
	v_lshlrev_b64 v[10:11], 2, v[1:2]
	v_add_co_u32 v10, s0, s2, v10
	s_delay_alu instid0(VALU_DEP_1) | instskip(SKIP_3) | instid1(VALU_DEP_1)
	v_add_co_ci_u32_e64 v11, s0, s4, v11, s0
	global_load_b32 v1, v[10:11], off
	s_waitcnt vmcnt(0)
	v_cmp_lt_i32_e64 s0, -1, v1
	v_cndmask_b32_e64 v10, -1, 0x80000000, s0
	v_cmp_o_f32_e64 s0, v1, v1
	s_delay_alu instid0(VALU_DEP_2) | instskip(NEXT) | instid1(VALU_DEP_1)
	v_xor_b32_e32 v10, v10, v1
	v_cndmask_b32_e64 v1, -1, v10, s0
	s_delay_alu instid0(VALU_DEP_1) | instskip(NEXT) | instid1(VALU_DEP_1)
	v_xor_b32_e32 v10, s1, v1
	v_and_b32_e32 v10, s3, v10
	s_delay_alu instid0(VALU_DEP_1) | instskip(NEXT) | instid1(VALU_DEP_1)
	v_cmp_eq_u32_e64 s0, 0, v10
	s_and_b32 exec_lo, exec_lo, s0
	s_cbranch_execz .LBB79_10
; %bb.9:                                ;   in Loop: Header=BB79_7 Depth=1
	v_bfe_u32 v1, v1, s10, 8
	s_delay_alu instid0(VALU_DEP_1)
	v_lshlrev_b32_e32 v1, 2, v1
	ds_add_u32 v1, v9
.LBB79_10:                              ;   in Loop: Header=BB79_7 Depth=1
	s_or_b32 exec_lo, exec_lo, s17
	v_add_nc_u32_e32 v1, 0xfffffe00, v4
	s_mov_b32 s17, exec_lo
	s_delay_alu instid0(VALU_DEP_1)
	v_cmpx_gt_u32_e64 s8, v1
	s_cbranch_execz .LBB79_13
; %bb.11:                               ;   in Loop: Header=BB79_7 Depth=1
	v_add_nc_u32_e32 v1, s14, v7
	s_delay_alu instid0(VALU_DEP_1) | instskip(NEXT) | instid1(VALU_DEP_1)
	v_lshlrev_b64 v[10:11], 2, v[1:2]
	v_add_co_u32 v10, s0, s2, v10
	s_delay_alu instid0(VALU_DEP_1) | instskip(SKIP_3) | instid1(VALU_DEP_1)
	v_add_co_ci_u32_e64 v11, s0, s4, v11, s0
	global_load_b32 v1, v[10:11], off
	s_waitcnt vmcnt(0)
	v_cmp_lt_i32_e64 s0, -1, v1
	v_cndmask_b32_e64 v10, -1, 0x80000000, s0
	v_cmp_o_f32_e64 s0, v1, v1
	s_delay_alu instid0(VALU_DEP_2) | instskip(NEXT) | instid1(VALU_DEP_1)
	v_xor_b32_e32 v10, v10, v1
	v_cndmask_b32_e64 v1, -1, v10, s0
	s_delay_alu instid0(VALU_DEP_1) | instskip(NEXT) | instid1(VALU_DEP_1)
	v_xor_b32_e32 v10, s1, v1
	v_and_b32_e32 v10, s3, v10
	s_delay_alu instid0(VALU_DEP_1) | instskip(NEXT) | instid1(VALU_DEP_1)
	v_cmp_eq_u32_e64 s0, 0, v10
	s_and_b32 exec_lo, exec_lo, s0
	s_cbranch_execz .LBB79_13
; %bb.12:                               ;   in Loop: Header=BB79_7 Depth=1
	v_bfe_u32 v1, v1, s10, 8
	s_delay_alu instid0(VALU_DEP_1)
	v_lshlrev_b32_e32 v1, 2, v1
	ds_add_u32 v1, v9
.LBB79_13:                              ;   in Loop: Header=BB79_7 Depth=1
	s_or_b32 exec_lo, exec_lo, s17
	v_add_nc_u32_e32 v1, 0xffffff00, v4
	s_mov_b32 s17, exec_lo
	s_delay_alu instid0(VALU_DEP_1)
	v_cmpx_gt_u32_e64 s8, v1
	s_cbranch_execz .LBB79_16
; %bb.14:                               ;   in Loop: Header=BB79_7 Depth=1
	v_add_nc_u32_e32 v1, s14, v6
	s_delay_alu instid0(VALU_DEP_1) | instskip(NEXT) | instid1(VALU_DEP_1)
	v_lshlrev_b64 v[10:11], 2, v[1:2]
	v_add_co_u32 v10, s0, s2, v10
	s_delay_alu instid0(VALU_DEP_1) | instskip(SKIP_3) | instid1(VALU_DEP_1)
	v_add_co_ci_u32_e64 v11, s0, s4, v11, s0
	global_load_b32 v1, v[10:11], off
	s_waitcnt vmcnt(0)
	v_cmp_lt_i32_e64 s0, -1, v1
	v_cndmask_b32_e64 v10, -1, 0x80000000, s0
	v_cmp_o_f32_e64 s0, v1, v1
	s_delay_alu instid0(VALU_DEP_2) | instskip(NEXT) | instid1(VALU_DEP_1)
	v_xor_b32_e32 v10, v10, v1
	v_cndmask_b32_e64 v1, -1, v10, s0
	s_delay_alu instid0(VALU_DEP_1) | instskip(NEXT) | instid1(VALU_DEP_1)
	v_xor_b32_e32 v10, s1, v1
	v_and_b32_e32 v10, s3, v10
	s_delay_alu instid0(VALU_DEP_1) | instskip(NEXT) | instid1(VALU_DEP_1)
	v_cmp_eq_u32_e64 s0, 0, v10
	s_and_b32 exec_lo, exec_lo, s0
	s_cbranch_execz .LBB79_16
; %bb.15:                               ;   in Loop: Header=BB79_7 Depth=1
	v_bfe_u32 v1, v1, s10, 8
	s_delay_alu instid0(VALU_DEP_1)
	v_lshlrev_b32_e32 v1, 2, v1
	ds_add_u32 v1, v9
.LBB79_16:                              ;   in Loop: Header=BB79_7 Depth=1
	s_or_b32 exec_lo, exec_lo, s17
	s_delay_alu instid0(SALU_CYCLE_1)
	s_mov_b32 s17, exec_lo
	v_cmpx_gt_u32_e64 s8, v4
	s_cbranch_execz .LBB79_6
; %bb.17:                               ;   in Loop: Header=BB79_7 Depth=1
	v_add_nc_u32_e32 v1, s14, v5
	s_delay_alu instid0(VALU_DEP_1) | instskip(NEXT) | instid1(VALU_DEP_1)
	v_lshlrev_b64 v[10:11], 2, v[1:2]
	v_add_co_u32 v10, s0, s2, v10
	s_delay_alu instid0(VALU_DEP_1) | instskip(SKIP_3) | instid1(VALU_DEP_1)
	v_add_co_ci_u32_e64 v11, s0, s4, v11, s0
	global_load_b32 v1, v[10:11], off
	s_waitcnt vmcnt(0)
	v_cmp_lt_i32_e64 s0, -1, v1
	v_cndmask_b32_e64 v10, -1, 0x80000000, s0
	v_cmp_o_f32_e64 s0, v1, v1
	s_delay_alu instid0(VALU_DEP_2) | instskip(NEXT) | instid1(VALU_DEP_1)
	v_xor_b32_e32 v10, v10, v1
	v_cndmask_b32_e64 v1, -1, v10, s0
	s_delay_alu instid0(VALU_DEP_1) | instskip(NEXT) | instid1(VALU_DEP_1)
	v_xor_b32_e32 v10, s1, v1
	v_and_b32_e32 v10, s3, v10
	s_delay_alu instid0(VALU_DEP_1) | instskip(NEXT) | instid1(VALU_DEP_1)
	v_cmp_eq_u32_e64 s0, 0, v10
	s_and_b32 exec_lo, exec_lo, s0
	s_cbranch_execz .LBB79_6
; %bb.18:                               ;   in Loop: Header=BB79_7 Depth=1
	v_bfe_u32 v1, v1, s10, 8
	s_delay_alu instid0(VALU_DEP_1)
	v_lshlrev_b32_e32 v1, 2, v1
	ds_add_u32 v1, v9
	s_branch .LBB79_6
.LBB79_19:
	s_and_b32 s11, s11, 3
	s_delay_alu instid0(SALU_CYCLE_1)
	s_cmp_eq_u32 s11, 0
	s_cbranch_scc1 .LBB79_25
; %bb.20:
	s_lshl_b32 s0, s5, 8
	v_dual_mov_b32 v2, 0 :: v_dual_mov_b32 v5, 1
	v_add3_u32 v4, s0, s13, v0
	s_lshl_b32 s5, s9, 8
	s_delay_alu instid0(VALU_DEP_1)
	v_mul_lo_u32 v1, s9, v4
	s_set_inst_prefetch_distance 0x1
	s_branch .LBB79_22
	.p2align	6
.LBB79_21:                              ;   in Loop: Header=BB79_22 Depth=1
	s_or_b32 exec_lo, exec_lo, s9
	s_delay_alu instid0(VALU_DEP_2) | instskip(SKIP_2) | instid1(SALU_CYCLE_1)
	v_add_nc_u32_e32 v1, s5, v1
	v_add_nc_u32_e32 v4, 0x100, v4
	s_add_i32 s11, s11, -1
	s_cmp_lg_u32 s11, 0
	s_cbranch_scc0 .LBB79_25
.LBB79_22:                              ; =>This Inner Loop Header: Depth=1
	s_mov_b32 s9, exec_lo
	v_cmpx_gt_u32_e64 s8, v4
	s_cbranch_execz .LBB79_21
; %bb.23:                               ;   in Loop: Header=BB79_22 Depth=1
	s_delay_alu instid0(VALU_DEP_2) | instskip(NEXT) | instid1(VALU_DEP_1)
	v_lshlrev_b64 v[6:7], 2, v[1:2]
	v_add_co_u32 v6, s0, s2, v6
	s_delay_alu instid0(VALU_DEP_1) | instskip(SKIP_3) | instid1(VALU_DEP_1)
	v_add_co_ci_u32_e64 v7, s0, s4, v7, s0
	global_load_b32 v6, v[6:7], off
	s_waitcnt vmcnt(0)
	v_cmp_lt_i32_e64 s0, -1, v6
	v_cndmask_b32_e64 v7, -1, 0x80000000, s0
	v_cmp_o_f32_e64 s0, v6, v6
	s_delay_alu instid0(VALU_DEP_2) | instskip(NEXT) | instid1(VALU_DEP_1)
	v_xor_b32_e32 v7, v7, v6
	v_cndmask_b32_e64 v6, -1, v7, s0
	s_delay_alu instid0(VALU_DEP_1) | instskip(NEXT) | instid1(VALU_DEP_1)
	v_xor_b32_e32 v7, s1, v6
	v_and_b32_e32 v7, s3, v7
	s_delay_alu instid0(VALU_DEP_1) | instskip(NEXT) | instid1(VALU_DEP_1)
	v_cmp_eq_u32_e64 s0, 0, v7
	s_and_b32 exec_lo, exec_lo, s0
	s_cbranch_execz .LBB79_21
; %bb.24:                               ;   in Loop: Header=BB79_22 Depth=1
	v_bfe_u32 v6, v6, s10, 8
	s_delay_alu instid0(VALU_DEP_1)
	v_lshlrev_b32_e32 v6, 2, v6
	ds_add_u32 v6, v5
	s_branch .LBB79_21
.LBB79_25:
	s_set_inst_prefetch_distance 0x2
	v_mov_b32_e32 v1, 0
	s_waitcnt lgkmcnt(0)
	s_barrier
	buffer_gl0_inv
	s_and_saveexec_b32 s0, vcc_lo
	s_cbranch_execz .LBB79_27
; %bb.26:
	ds_load_b32 v1, v3
.LBB79_27:
	s_or_b32 exec_lo, exec_lo, s0
	s_and_saveexec_b32 s0, vcc_lo
	s_cbranch_execz .LBB79_29
; %bb.28:
	v_lshl_or_b32 v2, s16, 8, v0
	v_mov_b32_e32 v3, 0
	s_delay_alu instid0(VALU_DEP_1) | instskip(NEXT) | instid1(VALU_DEP_1)
	v_lshlrev_b64 v[2:3], 1, v[2:3]
	v_add_co_u32 v2, vcc_lo, s6, v2
	s_delay_alu instid0(VALU_DEP_2)
	v_add_co_ci_u32_e32 v3, vcc_lo, s7, v3, vcc_lo
	s_waitcnt lgkmcnt(0)
	global_store_b16 v[2:3], v1, off
.LBB79_29:
	s_nop 0
	s_sendmsg sendmsg(MSG_DEALLOC_VGPRS)
	s_endpgm
	.section	.rodata,"a",@progbits
	.p2align	6, 0x0
	.amdhsa_kernel _ZN2at6native6mbtopk23computeBlockDigitCountsIfjjLi1EEEvNS_4cuda6detail10TensorInfoIKT_T0_EEjPjjS8_iijT1_PSB_Ps
		.amdhsa_group_segment_fixed_size 1024
		.amdhsa_private_segment_fixed_size 0
		.amdhsa_kernarg_size 528
		.amdhsa_user_sgpr_count 13
		.amdhsa_user_sgpr_dispatch_ptr 0
		.amdhsa_user_sgpr_queue_ptr 0
		.amdhsa_user_sgpr_kernarg_segment_ptr 1
		.amdhsa_user_sgpr_dispatch_id 0
		.amdhsa_user_sgpr_private_segment_size 0
		.amdhsa_wavefront_size32 1
		.amdhsa_uses_dynamic_stack 0
		.amdhsa_enable_private_segment 0
		.amdhsa_system_sgpr_workgroup_id_x 1
		.amdhsa_system_sgpr_workgroup_id_y 1
		.amdhsa_system_sgpr_workgroup_id_z 1
		.amdhsa_system_sgpr_workgroup_info 0
		.amdhsa_system_vgpr_workitem_id 0
		.amdhsa_next_free_vgpr 12
		.amdhsa_next_free_sgpr 20
		.amdhsa_reserve_vcc 1
		.amdhsa_float_round_mode_32 0
		.amdhsa_float_round_mode_16_64 0
		.amdhsa_float_denorm_mode_32 3
		.amdhsa_float_denorm_mode_16_64 3
		.amdhsa_dx10_clamp 1
		.amdhsa_ieee_mode 1
		.amdhsa_fp16_overflow 0
		.amdhsa_workgroup_processor_mode 1
		.amdhsa_memory_ordered 1
		.amdhsa_forward_progress 0
		.amdhsa_shared_vgpr_count 0
		.amdhsa_exception_fp_ieee_invalid_op 0
		.amdhsa_exception_fp_denorm_src 0
		.amdhsa_exception_fp_ieee_div_zero 0
		.amdhsa_exception_fp_ieee_overflow 0
		.amdhsa_exception_fp_ieee_underflow 0
		.amdhsa_exception_fp_ieee_inexact 0
		.amdhsa_exception_int_div_zero 0
	.end_amdhsa_kernel
	.section	.text._ZN2at6native6mbtopk23computeBlockDigitCountsIfjjLi1EEEvNS_4cuda6detail10TensorInfoIKT_T0_EEjPjjS8_iijT1_PSB_Ps,"axG",@progbits,_ZN2at6native6mbtopk23computeBlockDigitCountsIfjjLi1EEEvNS_4cuda6detail10TensorInfoIKT_T0_EEjPjjS8_iijT1_PSB_Ps,comdat
.Lfunc_end79:
	.size	_ZN2at6native6mbtopk23computeBlockDigitCountsIfjjLi1EEEvNS_4cuda6detail10TensorInfoIKT_T0_EEjPjjS8_iijT1_PSB_Ps, .Lfunc_end79-_ZN2at6native6mbtopk23computeBlockDigitCountsIfjjLi1EEEvNS_4cuda6detail10TensorInfoIKT_T0_EEjPjjS8_iijT1_PSB_Ps
                                        ; -- End function
	.section	.AMDGPU.csdata,"",@progbits
; Kernel info:
; codeLenInByte = 1616
; NumSgprs: 22
; NumVgprs: 12
; ScratchSize: 0
; MemoryBound: 0
; FloatMode: 240
; IeeeMode: 1
; LDSByteSize: 1024 bytes/workgroup (compile time only)
; SGPRBlocks: 2
; VGPRBlocks: 1
; NumSGPRsForWavesPerEU: 22
; NumVGPRsForWavesPerEU: 12
; Occupancy: 16
; WaveLimiterHint : 1
; COMPUTE_PGM_RSRC2:SCRATCH_EN: 0
; COMPUTE_PGM_RSRC2:USER_SGPR: 13
; COMPUTE_PGM_RSRC2:TRAP_HANDLER: 0
; COMPUTE_PGM_RSRC2:TGID_X_EN: 1
; COMPUTE_PGM_RSRC2:TGID_Y_EN: 1
; COMPUTE_PGM_RSRC2:TGID_Z_EN: 1
; COMPUTE_PGM_RSRC2:TIDIG_COMP_CNT: 0
	.section	.text._ZN2at6native6mbtopk29computeBlockwiseWithinKCountsIjfEEvPT_PsPjjibS6_PT0_S6_S4_S6_j,"axG",@progbits,_ZN2at6native6mbtopk29computeBlockwiseWithinKCountsIjfEEvPT_PsPjjibS6_PT0_S6_S4_S6_j,comdat
	.protected	_ZN2at6native6mbtopk29computeBlockwiseWithinKCountsIjfEEvPT_PsPjjibS6_PT0_S6_S4_S6_j ; -- Begin function _ZN2at6native6mbtopk29computeBlockwiseWithinKCountsIjfEEvPT_PsPjjibS6_PT0_S6_S4_S6_j
	.globl	_ZN2at6native6mbtopk29computeBlockwiseWithinKCountsIjfEEvPT_PsPjjibS6_PT0_S6_S4_S6_j
	.p2align	8
	.type	_ZN2at6native6mbtopk29computeBlockwiseWithinKCountsIjfEEvPT_PsPjjibS6_PT0_S6_S4_S6_j,@function
_ZN2at6native6mbtopk29computeBlockwiseWithinKCountsIjfEEvPT_PsPjjibS6_PT0_S6_S4_S6_j: ; @_ZN2at6native6mbtopk29computeBlockwiseWithinKCountsIjfEEvPT_PsPjjibS6_PT0_S6_S4_S6_j
; %bb.0:
	s_clause 0x2
	s_load_b128 s[16:19], s[0:1], 0x18
	s_load_b64 s[2:3], s[0:1], 0x58
	s_load_b32 s4, s[0:1], 0x50
	s_waitcnt lgkmcnt(0)
	v_cvt_f32_u32_e32 v1, s16
	s_mul_i32 s3, s3, s15
	s_delay_alu instid0(SALU_CYCLE_1) | instskip(NEXT) | instid1(VALU_DEP_1)
	s_add_i32 s3, s3, s14
	v_rcp_iflag_f32_e32 v1, v1
	s_mul_i32 s2, s3, s2
	s_delay_alu instid0(SALU_CYCLE_1) | instskip(NEXT) | instid1(SALU_CYCLE_1)
	s_add_i32 s20, s2, s13
	s_cmp_ge_u32 s20, s4
	s_waitcnt_depctr 0xfff
	v_mul_f32_e32 v1, 0x4f7ffffe, v1
	s_delay_alu instid0(VALU_DEP_1) | instskip(NEXT) | instid1(VALU_DEP_1)
	v_cvt_u32_f32_e32 v1, v1
	v_readfirstlane_b32 s2, v1
	s_cbranch_scc1 .LBB80_40
; %bb.1:
	s_sub_i32 s3, 0, s16
	s_mov_b32 s21, 0
	s_delay_alu instid0(VALU_DEP_1)
	s_mul_i32 s3, s3, s2
	s_mov_b32 s27, s21
	s_mul_hi_u32 s3, s2, s3
	v_cmp_gt_u32_e32 vcc_lo, 0x100, v0
	s_add_i32 s4, s2, s3
	s_clause 0x1
	s_load_b64 s[2:3], s[0:1], 0x10
	s_load_b128 s[12:15], s[0:1], 0x0
	s_mul_hi_u32 s4, s20, s4
	s_delay_alu instid0(SALU_CYCLE_1) | instskip(SKIP_2) | instid1(SALU_CYCLE_1)
	s_mul_i32 s5, s4, s16
	s_add_i32 s6, s4, 1
	s_sub_i32 s5, s20, s5
	s_sub_i32 s7, s5, s16
	s_cmp_ge_u32 s5, s16
	s_cselect_b32 s4, s6, s4
	s_cselect_b32 s5, s7, s5
	s_add_i32 s6, s4, 1
	s_cmp_ge_u32 s5, s16
	s_cselect_b32 s26, s6, s4
	s_delay_alu instid0(SALU_CYCLE_1)
	s_lshl_b64 s[22:23], s[26:27], 2
	s_waitcnt lgkmcnt(0)
	s_add_u32 s4, s2, s22
	s_addc_u32 s5, s3, s23
	s_and_saveexec_b32 s3, vcc_lo
	s_cbranch_execz .LBB80_8
; %bb.2:
	s_mul_i32 s2, s26, s16
	s_mov_b32 s7, s21
	s_lshl_b32 s6, s2, 8
	v_lshlrev_b32_e32 v1, 1, v0
	s_lshl_b64 s[6:7], s[6:7], 1
	v_mov_b32_e32 v3, 0
	s_add_u32 s2, s14, s6
	s_addc_u32 s6, s15, s7
	v_add_co_u32 v1, s2, s2, v1
	s_delay_alu instid0(VALU_DEP_1)
	v_add_co_ci_u32_e64 v2, null, s6, 0, s2
	s_cmp_lt_u32 s16, 4
	s_cbranch_scc1 .LBB80_41
; %bb.3:
	v_mov_b32_e32 v3, 0
	s_mov_b32 s6, 0
	.p2align	6
.LBB80_4:                               ; =>This Inner Loop Header: Depth=1
	s_clause 0x3
	global_load_i16 v4, v[1:2], off
	global_load_i16 v5, v[1:2], off offset:512
	global_load_i16 v6, v[1:2], off offset:1024
	;; [unrolled: 1-line block ×3, first 2 shown]
	v_add_co_u32 v1, s2, 0x800, v1
	s_delay_alu instid0(VALU_DEP_1)
	v_add_co_ci_u32_e64 v2, s2, 0, v2, s2
	s_add_i32 s2, s6, 7
	s_add_i32 s6, s6, 4
	s_cmp_ge_u32 s2, s16
	s_waitcnt vmcnt(2)
	v_add3_u32 v3, v3, v4, v5
	s_waitcnt vmcnt(0)
	s_delay_alu instid0(VALU_DEP_1)
	v_add3_u32 v3, v3, v6, v7
	s_cbranch_scc0 .LBB80_4
; %bb.5:
	s_cmp_ge_u32 s6, s16
	s_cbranch_scc1 .LBB80_7
.LBB80_6:                               ; =>This Inner Loop Header: Depth=1
	global_load_i16 v4, v[1:2], off
	v_add_co_u32 v1, s2, 0x200, v1
	s_delay_alu instid0(VALU_DEP_1) | instskip(SKIP_1) | instid1(SALU_CYCLE_1)
	v_add_co_ci_u32_e64 v2, s2, 0, v2, s2
	s_add_i32 s6, s6, 1
	s_cmp_lt_u32 s6, s16
	s_waitcnt vmcnt(0)
	v_add_nc_u32_e32 v3, v3, v4
	s_cbranch_scc1 .LBB80_6
.LBB80_7:
	v_lshlrev_b32_e32 v1, 2, v0
	ds_store_b32 v1, v3 offset:1056
.LBB80_8:
	s_or_b32 exec_lo, exec_lo, s3
	s_load_b32 s19, s[4:5], 0x0
	v_mov_b32_e32 v4, 0
	s_waitcnt lgkmcnt(0)
	s_barrier
	buffer_gl0_inv
	s_and_saveexec_b32 s2, vcc_lo
	s_cbranch_execz .LBB80_10
; %bb.9:
	v_lshlrev_b32_e32 v1, 2, v0
	ds_load_b32 v4, v1 offset:1056
.LBB80_10:
	s_or_b32 exec_lo, exec_lo, s2
	v_lshrrev_b32_e32 v2, 5, v0
	v_cmp_gt_u32_e64 s2, 32, v0
	v_mbcnt_lo_u32_b32 v1, -1, 0
	s_delay_alu instid0(VALU_DEP_3)
	v_add_lshl_u32 v3, v2, v0, 2
	s_waitcnt lgkmcnt(0)
	ds_store_b32 v3, v4
	s_waitcnt lgkmcnt(0)
	s_barrier
	buffer_gl0_inv
	s_and_saveexec_b32 s4, s2
	s_cbranch_execz .LBB80_12
; %bb.11:
	v_and_b32_e32 v5, 0xfc, v0
	s_delay_alu instid0(VALU_DEP_1)
	v_lshl_or_b32 v13, v0, 5, v5
	ds_load_2addr_b32 v[5:6], v13 offset1:1
	ds_load_2addr_b32 v[7:8], v13 offset0:2 offset1:3
	ds_load_2addr_b32 v[9:10], v13 offset0:4 offset1:5
	;; [unrolled: 1-line block ×3, first 2 shown]
	; wave barrier
	s_waitcnt lgkmcnt(3)
	v_add_nc_u32_e32 v6, v6, v5
	s_waitcnt lgkmcnt(2)
	s_delay_alu instid0(VALU_DEP_1) | instskip(SKIP_2) | instid1(VALU_DEP_2)
	v_add3_u32 v6, v6, v7, v8
	v_and_b32_e32 v7, 15, v1
	s_waitcnt lgkmcnt(1)
	v_add3_u32 v6, v6, v9, v10
	s_delay_alu instid0(VALU_DEP_2) | instskip(SKIP_2) | instid1(VALU_DEP_3)
	v_cmp_ne_u32_e64 s3, 0, v7
	v_bfe_i32 v9, v1, 4, 1
	s_waitcnt lgkmcnt(0)
	v_add3_u32 v6, v6, v11, v12
	s_delay_alu instid0(VALU_DEP_1) | instskip(NEXT) | instid1(VALU_DEP_1)
	v_mov_b32_dpp v8, v6 row_shr:1 row_mask:0xf bank_mask:0xf
	v_cndmask_b32_e64 v8, 0, v8, s3
	v_cmp_lt_u32_e64 s3, 1, v7
	s_delay_alu instid0(VALU_DEP_2) | instskip(NEXT) | instid1(VALU_DEP_1)
	v_add_nc_u32_e32 v6, v8, v6
	v_mov_b32_dpp v8, v6 row_shr:2 row_mask:0xf bank_mask:0xf
	s_delay_alu instid0(VALU_DEP_1) | instskip(SKIP_1) | instid1(VALU_DEP_2)
	v_cndmask_b32_e64 v8, 0, v8, s3
	v_cmp_lt_u32_e64 s3, 3, v7
	v_add_nc_u32_e32 v6, v6, v8
	s_delay_alu instid0(VALU_DEP_1) | instskip(NEXT) | instid1(VALU_DEP_1)
	v_mov_b32_dpp v8, v6 row_shr:4 row_mask:0xf bank_mask:0xf
	v_cndmask_b32_e64 v8, 0, v8, s3
	v_cmp_lt_u32_e64 s3, 7, v7
	s_delay_alu instid0(VALU_DEP_2) | instskip(NEXT) | instid1(VALU_DEP_1)
	v_add_nc_u32_e32 v6, v6, v8
	v_mov_b32_dpp v8, v6 row_shr:8 row_mask:0xf bank_mask:0xf
	s_delay_alu instid0(VALU_DEP_1) | instskip(SKIP_1) | instid1(VALU_DEP_2)
	v_cndmask_b32_e64 v7, 0, v8, s3
	v_add_nc_u32_e32 v8, -1, v1
	v_add_nc_u32_e32 v6, v6, v7
	s_delay_alu instid0(VALU_DEP_2) | instskip(SKIP_3) | instid1(VALU_DEP_2)
	v_cmp_gt_i32_e64 s3, 0, v8
	ds_swizzle_b32 v7, v6 offset:swizzle(BROADCAST,32,15)
	v_cndmask_b32_e64 v8, v8, v1, s3
	v_cmp_eq_u32_e64 s3, 0, v0
	v_lshlrev_b32_e32 v8, 2, v8
	s_waitcnt lgkmcnt(0)
	v_and_b32_e32 v7, v9, v7
	s_delay_alu instid0(VALU_DEP_1) | instskip(SKIP_3) | instid1(VALU_DEP_1)
	v_add_nc_u32_e32 v6, v6, v7
	ds_bpermute_b32 v6, v8, v6
	s_waitcnt lgkmcnt(0)
	v_add_nc_u32_e32 v5, v6, v5
	v_cndmask_b32_e64 v10, v5, v4, s3
	ds_store_b32 v13, v10
	; wave barrier
	ds_load_2addr_b32 v[4:5], v13 offset0:1 offset1:2
	ds_load_2addr_b32 v[6:7], v13 offset0:3 offset1:4
	;; [unrolled: 1-line block ×3, first 2 shown]
	ds_load_b32 v11, v13 offset:28
	s_waitcnt lgkmcnt(3)
	v_add_nc_u32_e32 v4, v4, v10
	s_delay_alu instid0(VALU_DEP_1) | instskip(SKIP_1) | instid1(VALU_DEP_1)
	v_add_nc_u32_e32 v5, v5, v4
	s_waitcnt lgkmcnt(2)
	v_add_nc_u32_e32 v6, v6, v5
	s_delay_alu instid0(VALU_DEP_1) | instskip(SKIP_1) | instid1(VALU_DEP_1)
	v_add_nc_u32_e32 v7, v7, v6
	;; [unrolled: 4-line block ×3, first 2 shown]
	s_waitcnt lgkmcnt(0)
	v_add_nc_u32_e32 v10, v11, v9
	ds_store_2addr_b32 v13, v4, v5 offset0:1 offset1:2
	ds_store_2addr_b32 v13, v6, v7 offset0:3 offset1:4
	;; [unrolled: 1-line block ×3, first 2 shown]
	ds_store_b32 v13, v10 offset:28
.LBB80_12:
	s_or_b32 exec_lo, exec_lo, s4
	s_waitcnt lgkmcnt(0)
	s_barrier
	buffer_gl0_inv
	ds_load_b32 v4, v3
	s_waitcnt lgkmcnt(0)
	s_barrier
	buffer_gl0_inv
	s_and_saveexec_b32 s3, vcc_lo
	s_cbranch_execz .LBB80_14
; %bb.13:
	v_lshlrev_b32_e32 v3, 2, v0
	ds_store_b32 v3, v4 offset:1056
.LBB80_14:
	s_or_b32 exec_lo, exec_lo, s3
	s_clause 0x1
	s_load_b256 s[4:11], s[0:1], 0x28
	s_load_b64 s[24:25], s[0:1], 0x48
	s_waitcnt lgkmcnt(0)
	s_barrier
	buffer_gl0_inv
	s_and_saveexec_b32 s1, vcc_lo
	s_cbranch_execz .LBB80_23
; %bb.15:
	v_mov_b32_e32 v3, 0
	s_mov_b32 s0, exec_lo
	v_cmpx_ne_u32_e32 0, v0
	s_cbranch_execz .LBB80_17
; %bb.16:
	v_lshlrev_b32_e32 v3, 2, v0
	ds_load_b32 v3, v3 offset:1052
.LBB80_17:
	s_or_b32 exec_lo, exec_lo, s0
	s_waitcnt lgkmcnt(0)
	v_cmp_gt_u32_e32 vcc_lo, s19, v3
	v_cmp_le_u32_e64 s0, s19, v4
	s_delay_alu instid0(VALU_DEP_1) | instskip(NEXT) | instid1(SALU_CYCLE_1)
	s_and_b32 s0, vcc_lo, s0
	s_and_b32 exec_lo, exec_lo, s0
	s_cbranch_execz .LBB80_23
; %bb.18:
	s_add_u32 s12, s12, s22
	s_addc_u32 s13, s13, s23
	s_lshl_b32 s0, 0xff, s17
	s_delay_alu instid0(SALU_CYCLE_1) | instskip(SKIP_2) | instid1(SALU_CYCLE_1)
	v_not_b32_e32 v6, s0
	v_mov_b32_e32 v5, 0
	s_mul_i32 s0, s26, s16
	s_cmp_lg_u32 s20, s0
	global_load_b32 v4, v5, s[12:13]
	s_waitcnt vmcnt(0)
	v_and_b32_e32 v4, v4, v6
	s_delay_alu instid0(VALU_DEP_1)
	v_lshl_or_b32 v4, v0, s17, v4
	ds_store_b32 v5, v4 offset:2112
	s_cbranch_scc1 .LBB80_23
; %bb.19:
	s_add_u32 s10, s10, s22
	s_addc_u32 s11, s11, s23
	s_cmp_lt_i32 s17, 1
	s_mov_b32 s0, -1
	global_store_b32 v5, v4, s[10:11]
	s_cbranch_scc0 .LBB80_21
; %bb.20:
	v_cmp_lt_i32_e32 vcc_lo, -1, v4
	s_add_u32 s6, s6, s22
	s_addc_u32 s7, s7, s23
	s_mov_b32 s0, 0
	v_cndmask_b32_e64 v5, 0x80000000, -1, vcc_lo
	s_delay_alu instid0(VALU_DEP_1)
	v_xor_b32_e32 v4, v5, v4
	v_mov_b32_e32 v5, 0
	global_store_b32 v5, v4, s[6:7]
.LBB80_21:
	s_and_not1_b32 vcc_lo, exec_lo, s0
	s_cbranch_vccnz .LBB80_23
; %bb.22:
	v_sub_nc_u32_e32 v3, s19, v3
	v_mov_b32_e32 v4, 0
	s_add_u32 s6, s8, s22
	s_addc_u32 s7, s9, s23
	global_store_b32 v4, v3, s[6:7]
.LBB80_23:
	s_or_b32 exec_lo, exec_lo, s1
	v_mov_b32_e32 v3, 0
	s_waitcnt lgkmcnt(0)
	s_waitcnt_vscnt null, 0x0
	s_barrier
	buffer_gl0_inv
	s_bitcmp0_b32 s18, 0
	ds_load_b32 v3, v3 offset:2112
	s_mov_b32 s6, 0
	s_waitcnt lgkmcnt(0)
	v_lshrrev_b32_e32 v3, s17, v3
	s_delay_alu instid0(VALU_DEP_1)
	v_and_b32_e32 v3, 0xff, v3
	s_cbranch_scc0 .LBB80_25
; %bb.24:
	v_and_b32_e32 v4, 0xe0, v0
	s_delay_alu instid0(VALU_DEP_2) | instskip(NEXT) | instid1(VALU_DEP_2)
	v_cmp_lt_u32_e64 s0, v0, v3
	v_cmp_lt_u32_e32 vcc_lo, v4, v3
	s_delay_alu instid0(VALU_DEP_2)
	s_and_b32 s1, s0, exec_lo
	s_and_b32 s3, vcc_lo, exec_lo
	s_and_not1_b32 vcc_lo, exec_lo, s6
	s_cbranch_vccz .LBB80_26
	s_branch .LBB80_27
.LBB80_25:
                                        ; implicit-def: $sgpr1
                                        ; implicit-def: $sgpr3
.LBB80_26:
	v_or_b32_e32 v4, 31, v0
	s_delay_alu instid0(VALU_DEP_2) | instskip(SKIP_2) | instid1(VALU_DEP_2)
	v_cmp_gt_u32_e32 vcc_lo, v0, v3
	s_and_not1_b32 s1, s1, exec_lo
	s_and_not1_b32 s3, s3, exec_lo
	v_cmp_gt_u32_e64 s0, v4, v3
	s_and_b32 s6, vcc_lo, exec_lo
	s_delay_alu instid0(SALU_CYCLE_1) | instskip(NEXT) | instid1(VALU_DEP_1)
	s_or_b32 s1, s1, s6
	s_and_b32 s0, s0, exec_lo
	s_delay_alu instid0(SALU_CYCLE_1)
	s_or_b32 s3, s3, s0
.LBB80_27:
	v_mov_b32_e32 v3, 0
	s_and_saveexec_b32 s0, s3
	s_cbranch_execz .LBB80_31
; %bb.28:
	v_mov_b32_e32 v3, 0
	s_and_saveexec_b32 s3, s1
	s_cbranch_execz .LBB80_30
; %bb.29:
	s_lshl_b32 s6, s20, 8
	s_mov_b32 s7, 0
	v_lshlrev_b32_e32 v3, 1, v0
	s_lshl_b64 s[6:7], s[6:7], 1
	s_delay_alu instid0(SALU_CYCLE_1)
	s_add_u32 s6, s14, s6
	s_addc_u32 s7, s15, s7
	global_load_i16 v3, v3, s[6:7]
.LBB80_30:
	s_or_b32 exec_lo, exec_lo, s3
	v_cmp_gt_u32_e32 vcc_lo, 16, v1
	v_cndmask_b32_e64 v4, 0, 1, vcc_lo
	v_cmp_gt_u32_e32 vcc_lo, 24, v1
	s_delay_alu instid0(VALU_DEP_2) | instskip(SKIP_2) | instid1(VALU_DEP_3)
	v_lshlrev_b32_e32 v4, 4, v4
	v_cndmask_b32_e64 v5, 0, 1, vcc_lo
	v_cmp_gt_u32_e32 vcc_lo, 28, v1
	v_add_lshl_u32 v4, v4, v1, 2
	s_delay_alu instid0(VALU_DEP_3)
	v_lshlrev_b32_e32 v5, 3, v5
	s_waitcnt vmcnt(0)
	ds_bpermute_b32 v4, v4, v3
	v_add_lshl_u32 v5, v5, v1, 2
	s_waitcnt lgkmcnt(0)
	v_add_nc_u32_e32 v3, v4, v3
	ds_bpermute_b32 v4, v5, v3
	v_cndmask_b32_e64 v5, 0, 1, vcc_lo
	v_cmp_gt_u32_e32 vcc_lo, 30, v1
	s_delay_alu instid0(VALU_DEP_2) | instskip(NEXT) | instid1(VALU_DEP_1)
	v_lshlrev_b32_e32 v5, 2, v5
	v_add_lshl_u32 v5, v5, v1, 2
	s_waitcnt lgkmcnt(0)
	v_add_nc_u32_e32 v3, v4, v3
	ds_bpermute_b32 v4, v5, v3
	v_cndmask_b32_e64 v5, 0, 1, vcc_lo
	v_cmp_ne_u32_e32 vcc_lo, 31, v1
	s_delay_alu instid0(VALU_DEP_2) | instskip(NEXT) | instid1(VALU_DEP_1)
	v_lshlrev_b32_e32 v5, 1, v5
	v_add_lshl_u32 v5, v5, v1, 2
	s_waitcnt lgkmcnt(0)
	v_add_nc_u32_e32 v3, v4, v3
	ds_bpermute_b32 v4, v5, v3
	v_add_co_ci_u32_e32 v5, vcc_lo, 0, v1, vcc_lo
	s_waitcnt lgkmcnt(0)
	v_add_nc_u32_e32 v3, v4, v3
	s_delay_alu instid0(VALU_DEP_2)
	v_lshlrev_b32_e32 v4, 2, v5
	ds_bpermute_b32 v4, v4, v3
	s_waitcnt lgkmcnt(0)
	v_add_nc_u32_e32 v3, v4, v3
.LBB80_31:
	s_or_b32 exec_lo, exec_lo, s0
	v_and_b32_e32 v4, 31, v0
	s_mov_b32 s0, exec_lo
	s_delay_alu instid0(VALU_DEP_1)
	v_cmpx_eq_u32_e32 0, v4
	s_cbranch_execz .LBB80_33
; %bb.32:
	v_lshlrev_b32_e32 v2, 2, v2
	ds_store_b32 v2, v3 offset:2080
.LBB80_33:
	s_or_b32 exec_lo, exec_lo, s0
	s_waitcnt lgkmcnt(0)
	s_barrier
	buffer_gl0_inv
	s_and_saveexec_b32 s0, s2
	s_cbranch_execz .LBB80_40
; %bb.34:
	v_mov_b32_e32 v2, 0
	s_mov_b32 s0, exec_lo
	v_cmpx_gt_u32_e32 8, v0
	s_cbranch_execz .LBB80_36
; %bb.35:
	v_lshlrev_b32_e32 v2, 2, v0
	ds_load_b32 v2, v2 offset:2080
.LBB80_36:
	s_or_b32 exec_lo, exec_lo, s0
	v_cmp_gt_u32_e32 vcc_lo, 28, v1
	s_mov_b32 s0, exec_lo
	v_cndmask_b32_e64 v3, 0, 1, vcc_lo
	v_cmp_gt_u32_e32 vcc_lo, 30, v1
	s_delay_alu instid0(VALU_DEP_2) | instskip(SKIP_2) | instid1(VALU_DEP_3)
	v_lshlrev_b32_e32 v3, 2, v3
	v_cndmask_b32_e64 v4, 0, 1, vcc_lo
	v_cmp_ne_u32_e32 vcc_lo, 31, v1
	v_add_lshl_u32 v3, v3, v1, 2
	s_delay_alu instid0(VALU_DEP_3)
	v_lshlrev_b32_e32 v4, 1, v4
	s_waitcnt lgkmcnt(0)
	ds_bpermute_b32 v3, v3, v2
	v_add_lshl_u32 v4, v4, v1, 2
	s_waitcnt lgkmcnt(0)
	v_add_nc_u32_e32 v2, v3, v2
	ds_bpermute_b32 v3, v4, v2
	v_add_co_ci_u32_e32 v4, vcc_lo, 0, v1, vcc_lo
	s_waitcnt lgkmcnt(0)
	v_add_nc_u32_e32 v1, v3, v2
	s_delay_alu instid0(VALU_DEP_2)
	v_lshlrev_b32_e32 v2, 2, v4
	ds_bpermute_b32 v2, v2, v1
	v_cmpx_eq_u32_e32 0, v0
	s_cbranch_execz .LBB80_38
; %bb.37:
	s_lshl_b64 s[2:3], s[20:21], 2
	v_mov_b32_e32 v3, 0
	s_add_u32 s2, s4, s2
	s_addc_u32 s3, s5, s3
	global_load_b32 v4, v3, s[2:3]
	s_waitcnt vmcnt(0) lgkmcnt(0)
	v_add3_u32 v1, v2, v1, v4
	global_store_b32 v3, v1, s[2:3]
.LBB80_38:
	s_or_b32 exec_lo, exec_lo, s0
	v_or_b32_e32 v0, s17, v0
	s_delay_alu instid0(VALU_DEP_1)
	v_cmp_eq_u32_e32 vcc_lo, 0, v0
	s_and_b32 exec_lo, exec_lo, vcc_lo
	s_cbranch_execz .LBB80_40
; %bb.39:
	v_mov_b32_e32 v0, 0
	s_lshl_b32 s0, s20, 8
	s_mov_b32 s1, 0
	s_delay_alu instid0(SALU_CYCLE_1)
	s_lshl_b64 s[0:1], s[0:1], 1
	ds_load_b32 v1, v0 offset:2112
	s_add_u32 s0, s14, s0
	s_addc_u32 s1, s15, s1
	s_waitcnt lgkmcnt(0)
	v_and_b32_e32 v1, 0xff, v1
	s_delay_alu instid0(VALU_DEP_1) | instskip(SKIP_2) | instid1(SALU_CYCLE_1)
	v_lshlrev_b32_e32 v1, 1, v1
	global_load_i16 v1, v1, s[0:1]
	s_lshl_b64 s[0:1], s[20:21], 2
	s_add_u32 s0, s24, s0
	s_addc_u32 s1, s25, s1
	s_waitcnt vmcnt(0)
	global_store_b32 v0, v1, s[0:1]
.LBB80_40:
	s_nop 0
	s_sendmsg sendmsg(MSG_DEALLOC_VGPRS)
	s_endpgm
.LBB80_41:
	s_mov_b32 s6, s21
	s_delay_alu instid0(SALU_CYCLE_1)
	s_cmp_ge_u32 s6, s16
	s_cbranch_scc0 .LBB80_6
	s_branch .LBB80_7
	.section	.rodata,"a",@progbits
	.p2align	6, 0x0
	.amdhsa_kernel _ZN2at6native6mbtopk29computeBlockwiseWithinKCountsIjfEEvPT_PsPjjibS6_PT0_S6_S4_S6_j
		.amdhsa_group_segment_fixed_size 2116
		.amdhsa_private_segment_fixed_size 0
		.amdhsa_kernarg_size 344
		.amdhsa_user_sgpr_count 13
		.amdhsa_user_sgpr_dispatch_ptr 0
		.amdhsa_user_sgpr_queue_ptr 0
		.amdhsa_user_sgpr_kernarg_segment_ptr 1
		.amdhsa_user_sgpr_dispatch_id 0
		.amdhsa_user_sgpr_private_segment_size 0
		.amdhsa_wavefront_size32 1
		.amdhsa_uses_dynamic_stack 0
		.amdhsa_enable_private_segment 0
		.amdhsa_system_sgpr_workgroup_id_x 1
		.amdhsa_system_sgpr_workgroup_id_y 1
		.amdhsa_system_sgpr_workgroup_id_z 1
		.amdhsa_system_sgpr_workgroup_info 0
		.amdhsa_system_vgpr_workitem_id 0
		.amdhsa_next_free_vgpr 14
		.amdhsa_next_free_sgpr 28
		.amdhsa_reserve_vcc 1
		.amdhsa_float_round_mode_32 0
		.amdhsa_float_round_mode_16_64 0
		.amdhsa_float_denorm_mode_32 3
		.amdhsa_float_denorm_mode_16_64 3
		.amdhsa_dx10_clamp 1
		.amdhsa_ieee_mode 1
		.amdhsa_fp16_overflow 0
		.amdhsa_workgroup_processor_mode 1
		.amdhsa_memory_ordered 1
		.amdhsa_forward_progress 0
		.amdhsa_shared_vgpr_count 0
		.amdhsa_exception_fp_ieee_invalid_op 0
		.amdhsa_exception_fp_denorm_src 0
		.amdhsa_exception_fp_ieee_div_zero 0
		.amdhsa_exception_fp_ieee_overflow 0
		.amdhsa_exception_fp_ieee_underflow 0
		.amdhsa_exception_fp_ieee_inexact 0
		.amdhsa_exception_int_div_zero 0
	.end_amdhsa_kernel
	.section	.text._ZN2at6native6mbtopk29computeBlockwiseWithinKCountsIjfEEvPT_PsPjjibS6_PT0_S6_S4_S6_j,"axG",@progbits,_ZN2at6native6mbtopk29computeBlockwiseWithinKCountsIjfEEvPT_PsPjjibS6_PT0_S6_S4_S6_j,comdat
.Lfunc_end80:
	.size	_ZN2at6native6mbtopk29computeBlockwiseWithinKCountsIjfEEvPT_PsPjjibS6_PT0_S6_S4_S6_j, .Lfunc_end80-_ZN2at6native6mbtopk29computeBlockwiseWithinKCountsIjfEEvPT_PsPjjibS6_PT0_S6_S4_S6_j
                                        ; -- End function
	.section	.AMDGPU.csdata,"",@progbits
; Kernel info:
; codeLenInByte = 2276
; NumSgprs: 30
; NumVgprs: 14
; ScratchSize: 0
; MemoryBound: 0
; FloatMode: 240
; IeeeMode: 1
; LDSByteSize: 2116 bytes/workgroup (compile time only)
; SGPRBlocks: 3
; VGPRBlocks: 1
; NumSGPRsForWavesPerEU: 30
; NumVGPRsForWavesPerEU: 14
; Occupancy: 16
; WaveLimiterHint : 1
; COMPUTE_PGM_RSRC2:SCRATCH_EN: 0
; COMPUTE_PGM_RSRC2:USER_SGPR: 13
; COMPUTE_PGM_RSRC2:TRAP_HANDLER: 0
; COMPUTE_PGM_RSRC2:TGID_X_EN: 1
; COMPUTE_PGM_RSRC2:TGID_Y_EN: 1
; COMPUTE_PGM_RSRC2:TGID_Z_EN: 1
; COMPUTE_PGM_RSRC2:TIDIG_COMP_CNT: 0
	.section	.text._ZN2at6native6mbtopk10gatherTopKIfjLi1EEEvNS_4cuda6detail10TensorInfoIKT_T0_EES8_S8_bjS8_NS5_IS6_S8_EES8_NS5_IlS8_EES8_jjPS6_PjSD_j,"axG",@progbits,_ZN2at6native6mbtopk10gatherTopKIfjLi1EEEvNS_4cuda6detail10TensorInfoIKT_T0_EES8_S8_bjS8_NS5_IS6_S8_EES8_NS5_IlS8_EES8_jjPS6_PjSD_j,comdat
	.protected	_ZN2at6native6mbtopk10gatherTopKIfjLi1EEEvNS_4cuda6detail10TensorInfoIKT_T0_EES8_S8_bjS8_NS5_IS6_S8_EES8_NS5_IlS8_EES8_jjPS6_PjSD_j ; -- Begin function _ZN2at6native6mbtopk10gatherTopKIfjLi1EEEvNS_4cuda6detail10TensorInfoIKT_T0_EES8_S8_bjS8_NS5_IS6_S8_EES8_NS5_IlS8_EES8_jjPS6_PjSD_j
	.globl	_ZN2at6native6mbtopk10gatherTopKIfjLi1EEEvNS_4cuda6detail10TensorInfoIKT_T0_EES8_S8_bjS8_NS5_IS6_S8_EES8_NS5_IlS8_EES8_jjPS6_PjSD_j
	.p2align	8
	.type	_ZN2at6native6mbtopk10gatherTopKIfjLi1EEEvNS_4cuda6detail10TensorInfoIKT_T0_EES8_S8_bjS8_NS5_IS6_S8_EES8_NS5_IlS8_EES8_jjPS6_PjSD_j,@function
_ZN2at6native6mbtopk10gatherTopKIfjLi1EEEvNS_4cuda6detail10TensorInfoIKT_T0_EES8_S8_bjS8_NS5_IS6_S8_EES8_NS5_IlS8_EES8_jjPS6_PjSD_j: ; @_ZN2at6native6mbtopk10gatherTopKIfjLi1EEEvNS_4cuda6detail10TensorInfoIKT_T0_EES8_S8_bjS8_NS5_IS6_S8_EES8_NS5_IlS8_EES8_jjPS6_PjSD_j
; %bb.0:
	s_clause 0x1
	s_load_b64 s[2:3], s[0:1], 0x2d8
	s_load_b32 s4, s[0:1], 0x2d0
	s_waitcnt lgkmcnt(0)
	s_mul_i32 s3, s3, s15
	s_delay_alu instid0(SALU_CYCLE_1) | instskip(NEXT) | instid1(SALU_CYCLE_1)
	s_add_i32 s3, s3, s14
	s_mul_i32 s2, s3, s2
	s_delay_alu instid0(SALU_CYCLE_1) | instskip(NEXT) | instid1(SALU_CYCLE_1)
	s_add_i32 s2, s2, s13
	s_cmp_ge_u32 s2, s4
	s_cbranch_scc1 .LBB81_40
; %bb.1:
	s_load_b256 s[4:11], s[0:1], 0x2a8
	s_mov_b32 s23, 0
	s_waitcnt lgkmcnt(0)
	v_cvt_f32_u32_e32 v1, s6
	s_sub_i32 s7, 0, s6
	s_delay_alu instid0(VALU_DEP_1) | instskip(SKIP_2) | instid1(VALU_DEP_1)
	v_rcp_iflag_f32_e32 v1, v1
	s_waitcnt_depctr 0xfff
	v_mul_f32_e32 v1, 0x4f7ffffe, v1
	v_cvt_u32_f32_e32 v1, v1
	s_delay_alu instid0(VALU_DEP_1) | instskip(NEXT) | instid1(VALU_DEP_1)
	v_readfirstlane_b32 s3, v1
	s_mul_i32 s7, s7, s3
	s_delay_alu instid0(SALU_CYCLE_1) | instskip(NEXT) | instid1(SALU_CYCLE_1)
	s_mul_hi_u32 s7, s3, s7
	s_add_i32 s3, s3, s7
	s_delay_alu instid0(SALU_CYCLE_1) | instskip(NEXT) | instid1(SALU_CYCLE_1)
	s_mul_hi_u32 s3, s2, s3
	s_mul_i32 s7, s3, s6
	s_add_i32 s12, s3, 1
	s_sub_i32 s7, s2, s7
	s_delay_alu instid0(SALU_CYCLE_1)
	s_sub_i32 s13, s7, s6
	s_cmp_ge_u32 s7, s6
	s_cselect_b32 s3, s12, s3
	s_cselect_b32 s7, s13, s7
	s_add_i32 s12, s3, 1
	s_cmp_ge_u32 s7, s6
	s_cselect_b32 s22, s12, s3
	s_delay_alu instid0(SALU_CYCLE_1)
	s_mul_i32 s12, s22, s6
	s_lshl_b64 s[14:15], s[22:23], 2
	s_sub_i32 s7, s2, s12
	s_add_u32 s2, s8, s14
	s_addc_u32 s3, s9, s15
	s_clause 0x2
	s_load_b64 s[16:17], s[0:1], 0x1d0
	s_load_b64 s[18:19], s[0:1], 0xf0
	;; [unrolled: 1-line block ×3, first 2 shown]
	s_load_b32 s28, s[2:3], 0x0
	v_cmp_ne_u32_e64 s2, 0, v0
	v_cmp_eq_u32_e64 s3, 0, v0
	s_delay_alu instid0(VALU_DEP_1)
	s_and_saveexec_b32 s29, s3
	s_cbranch_execz .LBB81_17
; %bb.2:
	s_load_b64 s[8:9], s[0:1], 0x2c8
	s_mov_b32 s13, s23
	s_delay_alu instid0(SALU_CYCLE_1) | instskip(NEXT) | instid1(SALU_CYCLE_1)
	s_lshl_b64 s[24:25], s[12:13], 2
	s_add_u32 s12, s10, s24
	s_addc_u32 s13, s11, s25
	s_waitcnt lgkmcnt(0)
	s_add_u32 s14, s8, s24
	s_addc_u32 s15, s9, s25
	s_cmp_lt_u32 s6, 4
	s_cbranch_scc1 .LBB81_14
; %bb.3:
	s_mov_b32 s30, s23
	s_mov_b32 s31, s23
	s_mov_b32 s33, s23
.LBB81_4:                               ; =>This Inner Loop Header: Depth=1
	s_add_u32 s12, s10, s24
	s_addc_u32 s13, s11, s25
	s_add_u32 s26, s8, s24
	s_load_b128 s[12:15], s[12:13], 0x0
	s_addc_u32 s27, s9, s25
	s_cmp_ge_u32 s33, s7
	s_cbranch_scc0 .LBB81_11
; %bb.5:                                ;   in Loop: Header=BB81_4 Depth=1
	s_add_i32 s34, s33, 1
	s_delay_alu instid0(SALU_CYCLE_1)
	s_cmp_ge_u32 s34, s7
	s_cbranch_scc0 .LBB81_12
.LBB81_6:                               ;   in Loop: Header=BB81_4 Depth=1
	s_add_i32 s34, s34, 1
	s_delay_alu instid0(SALU_CYCLE_1)
	s_cmp_ge_u32 s34, s7
	s_cbranch_scc0 .LBB81_13
.LBB81_7:                               ;   in Loop: Header=BB81_4 Depth=1
	s_add_i32 s34, s34, 1
	s_delay_alu instid0(SALU_CYCLE_1)
	s_cmp_ge_u32 s34, s7
	s_cbranch_scc1 .LBB81_9
.LBB81_8:                               ;   in Loop: Header=BB81_4 Depth=1
	s_load_b32 s26, s[26:27], 0xc
	s_waitcnt lgkmcnt(0)
	s_add_i32 s23, s23, s15
	s_add_i32 s30, s26, s30
.LBB81_9:                               ;   in Loop: Header=BB81_4 Depth=1
	s_waitcnt lgkmcnt(0)
	s_add_i32 s12, s12, s31
	s_delay_alu instid0(SALU_CYCLE_1) | instskip(NEXT) | instid1(SALU_CYCLE_1)
	s_add_i32 s12, s12, s13
	s_add_i32 s12, s12, s14
	s_delay_alu instid0(SALU_CYCLE_1)
	s_add_i32 s31, s12, s15
	s_add_u32 s10, s10, 16
	s_addc_u32 s11, s11, 0
	s_add_u32 s8, s8, 16
	s_addc_u32 s9, s9, 0
	s_add_i32 s27, s34, 4
	s_add_u32 s14, s8, s24
	s_addc_u32 s15, s9, s25
	s_add_u32 s12, s10, s24
	s_addc_u32 s13, s11, s25
	s_add_i32 s26, s34, 1
	s_cmp_ge_u32 s27, s6
	s_cbranch_scc1 .LBB81_15
; %bb.10:                               ;   in Loop: Header=BB81_4 Depth=1
	s_mov_b32 s33, s26
	s_branch .LBB81_4
.LBB81_11:                              ;   in Loop: Header=BB81_4 Depth=1
	s_load_b32 s34, s[26:27], 0x0
	s_waitcnt lgkmcnt(0)
	s_add_i32 s23, s12, s23
	s_add_i32 s30, s34, s30
	;; [unrolled: 1-line block ×3, first 2 shown]
	s_delay_alu instid0(SALU_CYCLE_1)
	s_cmp_ge_u32 s34, s7
	s_cbranch_scc1 .LBB81_6
.LBB81_12:                              ;   in Loop: Header=BB81_4 Depth=1
	s_load_b32 s35, s[26:27], 0x4
	s_waitcnt lgkmcnt(0)
	s_add_i32 s23, s23, s13
	s_add_i32 s30, s35, s30
	;; [unrolled: 1-line block ×3, first 2 shown]
	s_delay_alu instid0(SALU_CYCLE_1)
	s_cmp_ge_u32 s34, s7
	s_cbranch_scc1 .LBB81_7
.LBB81_13:                              ;   in Loop: Header=BB81_4 Depth=1
	s_load_b32 s35, s[26:27], 0x8
	s_waitcnt lgkmcnt(0)
	s_add_i32 s23, s23, s14
	s_add_i32 s30, s35, s30
	;; [unrolled: 1-line block ×3, first 2 shown]
	s_delay_alu instid0(SALU_CYCLE_1)
	s_cmp_ge_u32 s34, s7
	s_cbranch_scc0 .LBB81_8
	s_branch .LBB81_9
.LBB81_14:
	s_mov_b32 s30, 0
	s_mov_b32 s31, 0
	;; [unrolled: 1-line block ×3, first 2 shown]
	s_delay_alu instid0(SALU_CYCLE_1)
	s_cmp_ge_u32 s8, s6
	s_cbranch_scc0 .LBB81_38
	s_branch .LBB81_16
.LBB81_15:
	s_add_i32 s8, s33, 4
	s_delay_alu instid0(SALU_CYCLE_1)
	s_cmp_ge_u32 s8, s6
	s_cbranch_scc0 .LBB81_38
.LBB81_16:
	v_dual_mov_b32 v1, s30 :: v_dual_mov_b32 v2, s31
	v_dual_mov_b32 v3, s23 :: v_dual_mov_b32 v4, 0
	ds_store_b96 v4, v[1:3] offset:1056
.LBB81_17:
	s_or_b32 exec_lo, exec_lo, s29
	s_clause 0x3
	s_load_b32 s12, s[0:1], 0x23c
	s_load_b32 s13, s[0:1], 0x15c
	;; [unrolled: 1-line block ×3, first 2 shown]
	s_load_b128 s[8:11], s[0:1], 0xd8
	s_waitcnt lgkmcnt(0)
	s_mul_i32 s11, s5, s7
	s_add_i32 s7, s7, 1
	s_lshl_b32 s23, s11, 8
	s_barrier
	buffer_gl0_inv
	s_sub_i32 s11, s8, s23
	s_delay_alu instid0(SALU_CYCLE_1) | instskip(SKIP_4) | instid1(VALU_DEP_1)
	s_add_u32 s11, s11, 0xff
	s_addc_u32 s15, 0, 0
	s_cmp_lt_u32 s7, s6
	v_alignbit_b32 v1, s15, s11, 8
	s_mov_b32 s7, 0
	v_readfirstlane_b32 s11, v1
	s_delay_alu instid0(VALU_DEP_1) | instskip(NEXT) | instid1(SALU_CYCLE_1)
	s_cselect_b32 s5, s5, s11
	s_cmp_eq_u32 s5, 0
	s_cbranch_scc1 .LBB81_40
; %bb.18:
	s_mul_i32 s6, s22, s14
	v_mov_b32_e32 v5, 0
	s_mul_i32 s14, s22, s13
	s_mul_i32 s24, s22, s12
	s_lshl_b64 s[12:13], s[6:7], 2
	s_mov_b32 s15, s7
	s_add_u32 s6, s20, s12
	s_addc_u32 s11, s21, s13
	s_lshl_b64 s[12:13], s[14:15], 2
	ds_load_b96 v[1:3], v5 offset:1056
	s_mov_b32 s25, s7
	s_add_u32 s12, s18, s12
	s_addc_u32 s7, s19, s13
	s_lshl_b64 s[14:15], s[24:25], 3
	v_lshrrev_b32_e32 v4, 5, v0
	s_add_u32 s13, s16, s14
	s_load_b32 s16, s[0:1], 0xe8
	s_addc_u32 s14, s17, s15
	s_cmp_gt_i32 s28, -1
	v_cmp_o_f32_e64 s15, s28, s28
	s_cselect_b32 s17, 0x80000000, -1
	v_add_nc_u32_e32 v9, -1, v0
	s_xor_b32 s17, s17, s28
	v_add_lshl_u32 v7, v4, v0, 2
	s_and_b32 s15, s15, exec_lo
	s_cselect_b32 s15, s17, -1
	s_bitcmp1_b32 s10, 0
	s_load_b32 s10, s[0:1], 0x1c8
	v_lshrrev_b32_e32 v4, 2, v0
	s_waitcnt lgkmcnt(0)
	v_add_nc_u32_e32 v6, v1, v2
	v_lshlrev_b32_e32 v2, 3, v0
	v_add_nc_u32_e32 v1, s23, v0
	v_lshrrev_b32_e32 v10, 5, v9
	v_mbcnt_lo_u32_b32 v8, -1, 0
	v_cmp_gt_u32_e64 s0, 32, v0
	v_add_lshl_u32 v0, v4, v2, 2
	v_mul_lo_u32 v4, s16, v1
	v_add_lshl_u32 v9, v10, v9, 2
	v_and_b32_e32 v10, 15, v8
	v_bfe_i32 v11, v8, 4, 1
	v_add_nc_u32_e32 v12, -1, v8
	s_cselect_b32 s1, -1, 0
	s_lshl_b32 s16, s16, 8
                                        ; implicit-def: $vgpr13
	s_branch .LBB81_21
.LBB81_19:                              ;   in Loop: Header=BB81_21 Depth=1
	s_or_b32 exec_lo, exec_lo, s17
	v_add_nc_u32_e32 v6, v16, v6
.LBB81_20:                              ;   in Loop: Header=BB81_21 Depth=1
	v_add_nc_u32_e32 v3, v15, v3
	v_add_nc_u32_e32 v4, s16, v4
	v_add_nc_u32_e32 v1, 0x100, v1
	s_add_i32 s5, s5, -1
	s_delay_alu instid0(SALU_CYCLE_1)
	s_cmp_lg_u32 s5, 0
	s_cbranch_scc0 .LBB81_40
.LBB81_21:                              ; =>This Inner Loop Header: Depth=1
	v_mov_b32_e32 v2, 0
	v_mov_b32_e32 v14, 0
	s_mov_b32 s17, exec_lo
	v_cmpx_gt_u32_e64 s8, v1
	s_cbranch_execz .LBB81_23
; %bb.22:                               ;   in Loop: Header=BB81_21 Depth=1
	v_lshlrev_b64 v[13:14], 2, v[4:5]
	s_delay_alu instid0(VALU_DEP_1) | instskip(NEXT) | instid1(VALU_DEP_2)
	v_add_co_u32 v13, vcc_lo, s6, v13
	v_add_co_ci_u32_e32 v14, vcc_lo, s11, v14, vcc_lo
	global_load_b32 v13, v[13:14], off
	s_waitcnt vmcnt(0)
	v_cmp_lt_i32_e32 vcc_lo, -1, v13
	v_cndmask_b32_e64 v2, -1, 0x80000000, vcc_lo
	v_cmp_o_f32_e32 vcc_lo, v13, v13
	s_delay_alu instid0(VALU_DEP_2) | instskip(NEXT) | instid1(VALU_DEP_1)
	v_xor_b32_e32 v2, v2, v13
	v_cndmask_b32_e32 v14, -1, v2, vcc_lo
	s_delay_alu instid0(VALU_DEP_1) | instskip(SKIP_4) | instid1(VALU_DEP_2)
	v_cmp_lt_u32_e32 vcc_lo, s15, v14
	v_cndmask_b32_e64 v2, 0, 1, vcc_lo
	v_cmp_gt_u32_e32 vcc_lo, s15, v14
	v_cndmask_b32_e64 v15, 0, 1, vcc_lo
	v_cmp_eq_u32_e32 vcc_lo, s15, v14
	v_cndmask_b32_e64 v2, v15, v2, s1
	v_cndmask_b32_e64 v14, 0, 1, vcc_lo
	s_delay_alu instid0(VALU_DEP_2)
	v_and_b32_e32 v2, 1, v2
.LBB81_23:                              ;   in Loop: Header=BB81_21 Depth=1
	s_or_b32 exec_lo, exec_lo, s17
	ds_store_b32 v7, v2
	s_waitcnt lgkmcnt(0)
	s_waitcnt_vscnt null, 0x0
	s_barrier
	buffer_gl0_inv
	s_and_saveexec_b32 s17, s0
	s_cbranch_execz .LBB81_25
; %bb.24:                               ;   in Loop: Header=BB81_21 Depth=1
	ds_load_2addr_b32 v[15:16], v0 offset1:1
	ds_load_2addr_b32 v[17:18], v0 offset0:2 offset1:3
	ds_load_2addr_b32 v[19:20], v0 offset0:4 offset1:5
	;; [unrolled: 1-line block ×3, first 2 shown]
	v_cmp_ne_u32_e32 vcc_lo, 0, v10
	; wave barrier
	s_waitcnt lgkmcnt(3)
	v_add_nc_u32_e32 v16, v16, v15
	s_waitcnt lgkmcnt(2)
	s_delay_alu instid0(VALU_DEP_1) | instskip(SKIP_1) | instid1(VALU_DEP_1)
	v_add3_u32 v16, v16, v17, v18
	s_waitcnt lgkmcnt(1)
	v_add3_u32 v16, v16, v19, v20
	s_waitcnt lgkmcnt(0)
	s_delay_alu instid0(VALU_DEP_1) | instskip(NEXT) | instid1(VALU_DEP_1)
	v_add3_u32 v16, v16, v21, v22
	v_mov_b32_dpp v17, v16 row_shr:1 row_mask:0xf bank_mask:0xf
	s_delay_alu instid0(VALU_DEP_1) | instskip(SKIP_1) | instid1(VALU_DEP_2)
	v_cndmask_b32_e32 v17, 0, v17, vcc_lo
	v_cmp_lt_u32_e32 vcc_lo, 1, v10
	v_add_nc_u32_e32 v16, v17, v16
	s_delay_alu instid0(VALU_DEP_1) | instskip(NEXT) | instid1(VALU_DEP_1)
	v_mov_b32_dpp v17, v16 row_shr:2 row_mask:0xf bank_mask:0xf
	v_cndmask_b32_e32 v17, 0, v17, vcc_lo
	v_cmp_lt_u32_e32 vcc_lo, 3, v10
	s_delay_alu instid0(VALU_DEP_2) | instskip(NEXT) | instid1(VALU_DEP_1)
	v_add_nc_u32_e32 v16, v16, v17
	v_mov_b32_dpp v17, v16 row_shr:4 row_mask:0xf bank_mask:0xf
	s_delay_alu instid0(VALU_DEP_1) | instskip(SKIP_1) | instid1(VALU_DEP_2)
	v_cndmask_b32_e32 v17, 0, v17, vcc_lo
	v_cmp_lt_u32_e32 vcc_lo, 7, v10
	v_add_nc_u32_e32 v16, v16, v17
	s_delay_alu instid0(VALU_DEP_1) | instskip(NEXT) | instid1(VALU_DEP_1)
	v_mov_b32_dpp v17, v16 row_shr:8 row_mask:0xf bank_mask:0xf
	v_cndmask_b32_e32 v17, 0, v17, vcc_lo
	v_cmp_gt_i32_e32 vcc_lo, 0, v12
	v_cndmask_b32_e32 v18, v12, v8, vcc_lo
	s_delay_alu instid0(VALU_DEP_1) | instskip(NEXT) | instid1(VALU_DEP_4)
	v_lshlrev_b32_e32 v18, 2, v18
	v_add_nc_u32_e32 v16, v16, v17
	ds_swizzle_b32 v17, v16 offset:swizzle(BROADCAST,32,15)
	s_waitcnt lgkmcnt(0)
	v_and_b32_e32 v17, v11, v17
	s_delay_alu instid0(VALU_DEP_1) | instskip(SKIP_3) | instid1(VALU_DEP_1)
	v_add_nc_u32_e32 v16, v16, v17
	ds_bpermute_b32 v16, v18, v16
	s_waitcnt lgkmcnt(0)
	v_add_nc_u32_e32 v15, v16, v15
	v_cndmask_b32_e64 v21, v15, v2, s3
	ds_store_b32 v0, v21
	; wave barrier
	ds_load_2addr_b32 v[15:16], v0 offset0:1 offset1:2
	ds_load_2addr_b32 v[17:18], v0 offset0:3 offset1:4
	;; [unrolled: 1-line block ×3, first 2 shown]
	ds_load_b32 v22, v0 offset:28
	s_waitcnt lgkmcnt(3)
	v_add_nc_u32_e32 v15, v15, v21
	s_delay_alu instid0(VALU_DEP_1) | instskip(SKIP_1) | instid1(VALU_DEP_1)
	v_add_nc_u32_e32 v16, v16, v15
	s_waitcnt lgkmcnt(2)
	v_add_nc_u32_e32 v17, v17, v16
	s_delay_alu instid0(VALU_DEP_1) | instskip(SKIP_1) | instid1(VALU_DEP_1)
	v_add_nc_u32_e32 v18, v18, v17
	;; [unrolled: 4-line block ×3, first 2 shown]
	s_waitcnt lgkmcnt(0)
	v_add_nc_u32_e32 v21, v22, v20
	ds_store_2addr_b32 v0, v15, v16 offset0:1 offset1:2
	ds_store_2addr_b32 v0, v17, v18 offset0:3 offset1:4
	ds_store_2addr_b32 v0, v19, v20 offset0:5 offset1:6
	ds_store_b32 v0, v21 offset:28
.LBB81_25:                              ;   in Loop: Header=BB81_21 Depth=1
	s_or_b32 exec_lo, exec_lo, s17
	v_mov_b32_e32 v16, 0
	s_waitcnt lgkmcnt(0)
	s_barrier
	buffer_gl0_inv
	s_and_saveexec_b32 s17, s2
	s_cbranch_execz .LBB81_27
; %bb.26:                               ;   in Loop: Header=BB81_21 Depth=1
	ds_load_b32 v16, v9
.LBB81_27:                              ;   in Loop: Header=BB81_21 Depth=1
	s_or_b32 exec_lo, exec_lo, s17
	ds_load_b32 v15, v5 offset:1048
	s_mov_b32 s17, exec_lo
	s_waitcnt lgkmcnt(0)
	s_barrier
	buffer_gl0_inv
	v_cmpx_ne_u32_e32 0, v2
	s_cbranch_execz .LBB81_29
; %bb.28:                               ;   in Loop: Header=BB81_21 Depth=1
	v_dual_mov_b32 v17, v5 :: v_dual_add_nc_u32 v2, v16, v3
	v_mov_b32_e32 v19, v5
	s_delay_alu instid0(VALU_DEP_2) | instskip(SKIP_2) | instid1(VALU_DEP_3)
	v_mul_lo_u32 v16, v2, s10
	v_mul_lo_u32 v18, v2, s4
	v_mov_b32_e32 v2, v5
	v_lshlrev_b64 v[16:17], 2, v[16:17]
	s_delay_alu instid0(VALU_DEP_3) | instskip(NEXT) | instid1(VALU_DEP_2)
	v_lshlrev_b64 v[18:19], 3, v[18:19]
	v_add_co_u32 v16, vcc_lo, s12, v16
	s_delay_alu instid0(VALU_DEP_3) | instskip(NEXT) | instid1(VALU_DEP_3)
	v_add_co_ci_u32_e32 v17, vcc_lo, s7, v17, vcc_lo
	v_add_co_u32 v18, vcc_lo, s13, v18
	s_delay_alu instid0(VALU_DEP_4)
	v_add_co_ci_u32_e32 v19, vcc_lo, s14, v19, vcc_lo
	global_store_b32 v[16:17], v13, off
	global_store_b64 v[18:19], v[1:2], off
.LBB81_29:                              ;   in Loop: Header=BB81_21 Depth=1
	s_or_b32 exec_lo, exec_lo, s17
	v_cmp_le_u32_e32 vcc_lo, s9, v6
	s_cbranch_vccnz .LBB81_20
; %bb.30:                               ;   in Loop: Header=BB81_21 Depth=1
	ds_store_b32 v7, v14
	s_waitcnt lgkmcnt(0)
	s_waitcnt_vscnt null, 0x0
	s_barrier
	buffer_gl0_inv
	s_and_saveexec_b32 s17, s0
	s_cbranch_execz .LBB81_32
; %bb.31:                               ;   in Loop: Header=BB81_21 Depth=1
	ds_load_2addr_b32 v[16:17], v0 offset1:1
	ds_load_2addr_b32 v[18:19], v0 offset0:2 offset1:3
	ds_load_2addr_b32 v[20:21], v0 offset0:4 offset1:5
	;; [unrolled: 1-line block ×3, first 2 shown]
	v_cmp_ne_u32_e32 vcc_lo, 0, v10
	; wave barrier
	s_waitcnt lgkmcnt(3)
	v_add_nc_u32_e32 v2, v17, v16
	s_waitcnt lgkmcnt(2)
	s_delay_alu instid0(VALU_DEP_1) | instskip(SKIP_1) | instid1(VALU_DEP_1)
	v_add3_u32 v2, v2, v18, v19
	s_waitcnt lgkmcnt(1)
	v_add3_u32 v2, v2, v20, v21
	s_waitcnt lgkmcnt(0)
	s_delay_alu instid0(VALU_DEP_1) | instskip(NEXT) | instid1(VALU_DEP_1)
	v_add3_u32 v2, v2, v22, v23
	v_mov_b32_dpp v17, v2 row_shr:1 row_mask:0xf bank_mask:0xf
	s_delay_alu instid0(VALU_DEP_1) | instskip(SKIP_1) | instid1(VALU_DEP_2)
	v_cndmask_b32_e32 v17, 0, v17, vcc_lo
	v_cmp_lt_u32_e32 vcc_lo, 1, v10
	v_add_nc_u32_e32 v2, v17, v2
	s_delay_alu instid0(VALU_DEP_1) | instskip(NEXT) | instid1(VALU_DEP_1)
	v_mov_b32_dpp v17, v2 row_shr:2 row_mask:0xf bank_mask:0xf
	v_cndmask_b32_e32 v17, 0, v17, vcc_lo
	v_cmp_lt_u32_e32 vcc_lo, 3, v10
	s_delay_alu instid0(VALU_DEP_2) | instskip(NEXT) | instid1(VALU_DEP_1)
	v_add_nc_u32_e32 v2, v2, v17
	v_mov_b32_dpp v17, v2 row_shr:4 row_mask:0xf bank_mask:0xf
	s_delay_alu instid0(VALU_DEP_1) | instskip(SKIP_1) | instid1(VALU_DEP_2)
	v_cndmask_b32_e32 v17, 0, v17, vcc_lo
	v_cmp_lt_u32_e32 vcc_lo, 7, v10
	v_add_nc_u32_e32 v2, v2, v17
	s_delay_alu instid0(VALU_DEP_1) | instskip(NEXT) | instid1(VALU_DEP_1)
	v_mov_b32_dpp v17, v2 row_shr:8 row_mask:0xf bank_mask:0xf
	v_cndmask_b32_e32 v17, 0, v17, vcc_lo
	v_cmp_gt_i32_e32 vcc_lo, 0, v12
	v_cndmask_b32_e32 v18, v12, v8, vcc_lo
	s_delay_alu instid0(VALU_DEP_1) | instskip(NEXT) | instid1(VALU_DEP_4)
	v_lshlrev_b32_e32 v18, 2, v18
	v_add_nc_u32_e32 v2, v2, v17
	ds_swizzle_b32 v17, v2 offset:swizzle(BROADCAST,32,15)
	s_waitcnt lgkmcnt(0)
	v_and_b32_e32 v17, v11, v17
	s_delay_alu instid0(VALU_DEP_1) | instskip(SKIP_3) | instid1(VALU_DEP_1)
	v_add_nc_u32_e32 v2, v2, v17
	ds_bpermute_b32 v2, v18, v2
	s_waitcnt lgkmcnt(0)
	v_add_nc_u32_e32 v2, v2, v16
	v_cndmask_b32_e64 v2, v2, v14, s3
	ds_store_b32 v0, v2
	; wave barrier
	ds_load_2addr_b32 v[16:17], v0 offset0:1 offset1:2
	ds_load_2addr_b32 v[18:19], v0 offset0:3 offset1:4
	;; [unrolled: 1-line block ×3, first 2 shown]
	ds_load_b32 v22, v0 offset:28
	s_waitcnt lgkmcnt(3)
	v_add_nc_u32_e32 v2, v16, v2
	s_delay_alu instid0(VALU_DEP_1) | instskip(SKIP_1) | instid1(VALU_DEP_1)
	v_add_nc_u32_e32 v16, v17, v2
	s_waitcnt lgkmcnt(2)
	v_add_nc_u32_e32 v17, v18, v16
	s_delay_alu instid0(VALU_DEP_1) | instskip(SKIP_1) | instid1(VALU_DEP_1)
	v_add_nc_u32_e32 v18, v19, v17
	;; [unrolled: 4-line block ×3, first 2 shown]
	s_waitcnt lgkmcnt(0)
	v_add_nc_u32_e32 v21, v22, v20
	ds_store_2addr_b32 v0, v2, v16 offset0:1 offset1:2
	ds_store_2addr_b32 v0, v17, v18 offset0:3 offset1:4
	ds_store_2addr_b32 v0, v19, v20 offset0:5 offset1:6
	ds_store_b32 v0, v21 offset:28
.LBB81_32:                              ;   in Loop: Header=BB81_21 Depth=1
	s_or_b32 exec_lo, exec_lo, s17
	v_mov_b32_e32 v2, 0
	s_waitcnt lgkmcnt(0)
	s_barrier
	buffer_gl0_inv
	s_and_saveexec_b32 s17, s2
	s_cbranch_execz .LBB81_34
; %bb.33:                               ;   in Loop: Header=BB81_21 Depth=1
	ds_load_b32 v2, v9
.LBB81_34:                              ;   in Loop: Header=BB81_21 Depth=1
	s_or_b32 exec_lo, exec_lo, s17
	ds_load_b32 v16, v5 offset:1048
	s_mov_b32 s17, exec_lo
	s_waitcnt lgkmcnt(0)
	s_barrier
	buffer_gl0_inv
	v_cmpx_ne_u32_e32 0, v14
	s_cbranch_execz .LBB81_19
; %bb.35:                               ;   in Loop: Header=BB81_21 Depth=1
	v_add_nc_u32_e32 v2, v2, v6
	s_delay_alu instid0(VALU_DEP_1)
	v_cmp_gt_u32_e32 vcc_lo, s9, v2
	s_and_b32 exec_lo, exec_lo, vcc_lo
	s_cbranch_execz .LBB81_19
; %bb.36:                               ;   in Loop: Header=BB81_21 Depth=1
	v_mul_lo_u32 v17, v2, s10
	v_mov_b32_e32 v18, v5
	v_mul_lo_u32 v19, v2, s4
	v_mov_b32_e32 v20, v5
	v_mov_b32_e32 v2, v5
	s_delay_alu instid0(VALU_DEP_4) | instskip(NEXT) | instid1(VALU_DEP_3)
	v_lshlrev_b64 v[17:18], 2, v[17:18]
	v_lshlrev_b64 v[19:20], 3, v[19:20]
	s_delay_alu instid0(VALU_DEP_2) | instskip(NEXT) | instid1(VALU_DEP_3)
	v_add_co_u32 v17, vcc_lo, s12, v17
	v_add_co_ci_u32_e32 v18, vcc_lo, s7, v18, vcc_lo
	s_delay_alu instid0(VALU_DEP_3) | instskip(NEXT) | instid1(VALU_DEP_4)
	v_add_co_u32 v19, vcc_lo, s13, v19
	v_add_co_ci_u32_e32 v20, vcc_lo, s14, v20, vcc_lo
	global_store_b32 v[17:18], v13, off
	global_store_b64 v[19:20], v[1:2], off
	s_branch .LBB81_19
	.p2align	6
.LBB81_37:                              ;   in Loop: Header=BB81_38 Depth=1
	s_add_u32 s12, s12, 4
	s_addc_u32 s13, s13, 0
	s_waitcnt lgkmcnt(0)
	s_add_i32 s31, s9, s31
	s_add_u32 s14, s14, 4
	s_addc_u32 s15, s15, 0
	s_add_i32 s8, s8, 1
	s_delay_alu instid0(SALU_CYCLE_1)
	s_cmp_lt_u32 s8, s6
	s_cbranch_scc0 .LBB81_16
.LBB81_38:                              ; =>This Inner Loop Header: Depth=1
	s_load_b32 s9, s[12:13], 0x0
	s_cmp_ge_u32 s8, s7
	s_cbranch_scc1 .LBB81_37
; %bb.39:                               ;   in Loop: Header=BB81_38 Depth=1
	s_load_b32 s10, s[14:15], 0x0
	s_waitcnt lgkmcnt(0)
	s_add_i32 s23, s9, s23
	s_add_i32 s30, s10, s30
	s_branch .LBB81_37
.LBB81_40:
	s_nop 0
	s_sendmsg sendmsg(MSG_DEALLOC_VGPRS)
	s_endpgm
	.section	.rodata,"a",@progbits
	.p2align	6, 0x0
	.amdhsa_kernel _ZN2at6native6mbtopk10gatherTopKIfjLi1EEEvNS_4cuda6detail10TensorInfoIKT_T0_EES8_S8_bjS8_NS5_IS6_S8_EES8_NS5_IlS8_EES8_jjPS6_PjSD_j
		.amdhsa_group_segment_fixed_size 1068
		.amdhsa_private_segment_fixed_size 0
		.amdhsa_kernarg_size 984
		.amdhsa_user_sgpr_count 13
		.amdhsa_user_sgpr_dispatch_ptr 0
		.amdhsa_user_sgpr_queue_ptr 0
		.amdhsa_user_sgpr_kernarg_segment_ptr 1
		.amdhsa_user_sgpr_dispatch_id 0
		.amdhsa_user_sgpr_private_segment_size 0
		.amdhsa_wavefront_size32 1
		.amdhsa_uses_dynamic_stack 0
		.amdhsa_enable_private_segment 0
		.amdhsa_system_sgpr_workgroup_id_x 1
		.amdhsa_system_sgpr_workgroup_id_y 1
		.amdhsa_system_sgpr_workgroup_id_z 1
		.amdhsa_system_sgpr_workgroup_info 0
		.amdhsa_system_vgpr_workitem_id 0
		.amdhsa_next_free_vgpr 24
		.amdhsa_next_free_sgpr 36
		.amdhsa_reserve_vcc 1
		.amdhsa_float_round_mode_32 0
		.amdhsa_float_round_mode_16_64 0
		.amdhsa_float_denorm_mode_32 3
		.amdhsa_float_denorm_mode_16_64 3
		.amdhsa_dx10_clamp 1
		.amdhsa_ieee_mode 1
		.amdhsa_fp16_overflow 0
		.amdhsa_workgroup_processor_mode 1
		.amdhsa_memory_ordered 1
		.amdhsa_forward_progress 0
		.amdhsa_shared_vgpr_count 0
		.amdhsa_exception_fp_ieee_invalid_op 0
		.amdhsa_exception_fp_denorm_src 0
		.amdhsa_exception_fp_ieee_div_zero 0
		.amdhsa_exception_fp_ieee_overflow 0
		.amdhsa_exception_fp_ieee_underflow 0
		.amdhsa_exception_fp_ieee_inexact 0
		.amdhsa_exception_int_div_zero 0
	.end_amdhsa_kernel
	.section	.text._ZN2at6native6mbtopk10gatherTopKIfjLi1EEEvNS_4cuda6detail10TensorInfoIKT_T0_EES8_S8_bjS8_NS5_IS6_S8_EES8_NS5_IlS8_EES8_jjPS6_PjSD_j,"axG",@progbits,_ZN2at6native6mbtopk10gatherTopKIfjLi1EEEvNS_4cuda6detail10TensorInfoIKT_T0_EES8_S8_bjS8_NS5_IS6_S8_EES8_NS5_IlS8_EES8_jjPS6_PjSD_j,comdat
.Lfunc_end81:
	.size	_ZN2at6native6mbtopk10gatherTopKIfjLi1EEEvNS_4cuda6detail10TensorInfoIKT_T0_EES8_S8_bjS8_NS5_IS6_S8_EES8_NS5_IlS8_EES8_jjPS6_PjSD_j, .Lfunc_end81-_ZN2at6native6mbtopk10gatherTopKIfjLi1EEEvNS_4cuda6detail10TensorInfoIKT_T0_EES8_S8_bjS8_NS5_IS6_S8_EES8_NS5_IlS8_EES8_jjPS6_PjSD_j
                                        ; -- End function
	.section	.AMDGPU.csdata,"",@progbits
; Kernel info:
; codeLenInByte = 2548
; NumSgprs: 38
; NumVgprs: 24
; ScratchSize: 0
; MemoryBound: 0
; FloatMode: 240
; IeeeMode: 1
; LDSByteSize: 1068 bytes/workgroup (compile time only)
; SGPRBlocks: 4
; VGPRBlocks: 2
; NumSGPRsForWavesPerEU: 38
; NumVGPRsForWavesPerEU: 24
; Occupancy: 16
; WaveLimiterHint : 1
; COMPUTE_PGM_RSRC2:SCRATCH_EN: 0
; COMPUTE_PGM_RSRC2:USER_SGPR: 13
; COMPUTE_PGM_RSRC2:TRAP_HANDLER: 0
; COMPUTE_PGM_RSRC2:TGID_X_EN: 1
; COMPUTE_PGM_RSRC2:TGID_Y_EN: 1
; COMPUTE_PGM_RSRC2:TGID_Z_EN: 1
; COMPUTE_PGM_RSRC2:TIDIG_COMP_CNT: 0
	.section	.text._ZN2at6native6sbtopk10gatherTopKIfjLi1ELb0EEEvNS_4cuda6detail10TensorInfoIKT_T0_EES8_S8_bS8_S8_NS5_IS6_S8_EES8_NS5_IlS8_EES8_PS6_,"axG",@progbits,_ZN2at6native6sbtopk10gatherTopKIfjLi1ELb0EEEvNS_4cuda6detail10TensorInfoIKT_T0_EES8_S8_bS8_S8_NS5_IS6_S8_EES8_NS5_IlS8_EES8_PS6_,comdat
	.protected	_ZN2at6native6sbtopk10gatherTopKIfjLi1ELb0EEEvNS_4cuda6detail10TensorInfoIKT_T0_EES8_S8_bS8_S8_NS5_IS6_S8_EES8_NS5_IlS8_EES8_PS6_ ; -- Begin function _ZN2at6native6sbtopk10gatherTopKIfjLi1ELb0EEEvNS_4cuda6detail10TensorInfoIKT_T0_EES8_S8_bS8_S8_NS5_IS6_S8_EES8_NS5_IlS8_EES8_PS6_
	.globl	_ZN2at6native6sbtopk10gatherTopKIfjLi1ELb0EEEvNS_4cuda6detail10TensorInfoIKT_T0_EES8_S8_bS8_S8_NS5_IS6_S8_EES8_NS5_IlS8_EES8_PS6_
	.p2align	8
	.type	_ZN2at6native6sbtopk10gatherTopKIfjLi1ELb0EEEvNS_4cuda6detail10TensorInfoIKT_T0_EES8_S8_bS8_S8_NS5_IS6_S8_EES8_NS5_IlS8_EES8_PS6_,@function
_ZN2at6native6sbtopk10gatherTopKIfjLi1ELb0EEEvNS_4cuda6detail10TensorInfoIKT_T0_EES8_S8_bS8_S8_NS5_IS6_S8_EES8_NS5_IlS8_EES8_PS6_: ; @_ZN2at6native6sbtopk10gatherTopKIfjLi1ELb0EEEvNS_4cuda6detail10TensorInfoIKT_T0_EES8_S8_bS8_S8_NS5_IS6_S8_EES8_NS5_IlS8_EES8_PS6_
; %bb.0:
	s_clause 0x1
	s_load_b64 s[4:5], s[0:1], 0x2b8
	s_load_b128 s[36:39], s[0:1], 0xd8
	s_add_u32 s6, s0, 0x2b8
	s_addc_u32 s7, s1, 0
	s_waitcnt lgkmcnt(0)
	s_mul_i32 s2, s5, s15
	s_delay_alu instid0(SALU_CYCLE_1) | instskip(NEXT) | instid1(SALU_CYCLE_1)
	s_add_i32 s2, s2, s14
	s_mul_i32 s45, s2, s4
	s_delay_alu instid0(SALU_CYCLE_1) | instskip(NEXT) | instid1(SALU_CYCLE_1)
	s_add_i32 s45, s45, s13
	s_cmp_ge_u32 s45, s39
	s_cbranch_scc1 .LBB82_468
; %bb.1:
	s_clause 0x4
	s_load_b64 s[34:35], s[0:1], 0x1d0
	s_load_b64 s[40:41], s[0:1], 0xf0
	s_load_b32 s30, s[0:1], 0xe8
	s_load_b32 s8, s[0:1], 0x6c
	s_load_b64 s[2:3], s[0:1], 0x0
	v_cmp_eq_u32_e64 s5, 0, v0
	s_mov_b32 s43, 0
	s_delay_alu instid0(VALU_DEP_1)
	s_and_saveexec_b32 s9, s5
	s_cbranch_execz .LBB82_3
; %bb.2:
	v_dual_mov_b32 v1, 0 :: v_dual_mov_b32 v2, s36
	s_delay_alu instid0(VALU_DEP_1)
	v_mov_b32_e32 v3, v1
	ds_store_b96 v1, v[1:3] offset:4096
.LBB82_3:
	s_or_b32 exec_lo, exec_lo, s9
	s_waitcnt lgkmcnt(0)
	s_barrier
	buffer_gl0_inv
	s_load_b32 s10, s[6:7], 0xc
	s_mul_i32 s42, s8, s45
	v_mbcnt_lo_u32_b32 v17, -1, 0
	s_lshl_b64 s[8:9], s[42:43], 2
	v_cmp_gt_u32_e32 vcc_lo, 32, v0
	s_add_u32 s31, s2, s8
	s_addc_u32 s33, s3, s9
	s_bitcmp1_b32 s38, 0
	v_cmp_gt_i32_e64 s2, 4, v17
	s_cselect_b32 s3, -1, 0
	v_mul_lo_u32 v7, v0, s30
	s_xor_b32 s48, s3, -1
	s_clause 0x1
	s_load_b32 s46, s[0:1], 0x23c
	s_load_b32 s47, s[0:1], 0x15c
	s_and_b32 s49, vcc_lo, s2
	v_dual_mov_b32 v29, 0 :: v_dual_lshlrev_b32 v26, 4, v0
	v_lshl_or_b32 v27, v17, 2, 0xc00
	v_dual_mov_b32 v15, 0 :: v_dual_lshlrev_b32 v24, 2, v7
	v_mov_b32_e32 v28, 0
	s_waitcnt lgkmcnt(0)
	s_and_b32 s42, s10, 0xffff
	s_bfe_u32 s2, s10, 0xb0005
	s_lshl_b32 s50, s42, 2
	s_cmpk_gt_u32 s36, 0x300
	v_cvt_f32_u32_e32 v1, s50
	s_cselect_b32 s51, -1, 0
	s_cmp_gt_u32 s42, 31
	v_cvt_f32_u32_e32 v2, s42
	s_cselect_b32 s52, -1, 0
	v_rcp_iflag_f32_e32 v1, v1
	s_add_i32 s53, s42, -1
	v_lshlrev_b32_e32 v18, 2, v0
	s_add_i32 s9, s53, s36
	s_cmp_lt_u32 s13, s4
	v_rcp_iflag_f32_e32 v2, v2
	s_cselect_b32 s4, 12, 18
	v_mov_b32_e32 v9, 0
	s_add_u32 s38, s6, s4
	s_addc_u32 s39, s7, 0
	s_waitcnt_depctr 0xfff
	v_mul_f32_e32 v1, 0x4f7ffffe, v1
	s_add_i32 s4, s2, -1
	s_bfe_u32 s54, s42, 0x30005
	s_cmp_gt_u32 s4, 6
	v_mad_u64_u32 v[12:13], null, s30, v18, s[30:31]
	v_mul_f32_e32 v2, 0x4f7ffffe, v2
	v_cvt_u32_f32_e32 v1, v1
	s_cselect_b32 s55, -1, 0
	s_and_b32 s56, s2, 0x7f8
	s_cmp_lg_u32 s54, 0
	v_cvt_u32_f32_e32 v2, v2
	v_readfirstlane_b32 s2, v1
	s_cselect_b32 s57, -1, 0
	s_sub_i32 s6, 0, s50
	v_lshrrev_b32_e32 v1, 3, v0
	v_mov_b32_e32 v8, v9
	s_mul_i32 s6, s6, s2
	v_cmp_gt_u32_e64 s4, s36, v0
	s_mul_hi_u32 s6, s2, s6
	v_and_b32_e32 v19, 0x7c, v1
	s_add_i32 s58, s2, s6
	v_cmp_gt_u32_e64 s6, 2, v0
	s_mul_hi_u32 s2, s36, s58
	v_dual_mov_b32 v13, 1.0 :: v_dual_add_nc_u32 v20, 0xc00, v18
	s_mul_i32 s7, s2, s50
	v_cmp_eq_u32_e64 s2, 0, v17
	s_sub_i32 s7, s36, s7
	s_mul_i32 s44, s30, s42
	s_sub_i32 s8, s7, s50
	s_cmp_ge_u32 s7, s50
	s_mov_b32 s70, 30
	s_cselect_b32 s7, s8, s7
	v_readfirstlane_b32 s8, v2
	s_sub_i32 s10, s7, s50
	s_cmp_ge_u32 s7, s50
	v_lshlrev_b64 v[1:2], v17, -1
	s_cselect_b32 s10, s10, s7
	v_lshlrev_b64 v[2:3], 2, v[7:8]
	s_sub_i32 s59, s36, s10
	s_delay_alu instid0(SALU_CYCLE_1)
	v_dual_mov_b32 v30, s37 :: v_dual_add_nc_u32 v21, s59, v0
	s_sub_i32 s7, 0, s42
	v_not_b32_e32 v16, v1
	s_mul_i32 s7, s7, s8
	v_add_co_u32 v5, vcc_lo, s31, v2
	v_mul_lo_u32 v8, v21, s30
	s_mul_hi_u32 s7, s8, s7
	v_add_co_ci_u32_e32 v6, vcc_lo, s33, v3, vcc_lo
	s_add_i32 s60, s8, s7
	v_or_b32_e32 v3, 3, v18
	s_mul_hi_u32 s7, s9, s60
	s_mov_b32 s65, 0
	s_delay_alu instid0(VALU_DEP_3) | instskip(SKIP_3) | instid1(SALU_CYCLE_1)
	v_lshlrev_b64 v[1:2], 2, v[8:9]
	s_mul_i32 s7, s7, s42
	v_mul_lo_u32 v23, s30, v3
	s_sub_i32 s7, s9, s7
                                        ; implicit-def: $sgpr64
                                        ; implicit-def: $sgpr68
                                        ; implicit-def: $sgpr67
                                        ; implicit-def: $sgpr69
                                        ; implicit-def: $sgpr66
                                        ; implicit-def: $sgpr71
                                        ; implicit-def: $sgpr73
                                        ; implicit-def: $sgpr72
                                        ; implicit-def: $sgpr74
                                        ; implicit-def: $sgpr75
	s_sub_i32 s8, s7, s42
	s_delay_alu instid0(VALU_DEP_2)
	v_add_co_u32 v10, vcc_lo, s31, v1
	v_add3_u32 v1, s42, s36, v0
	s_cmp_ge_u32 s7, s42
	v_add_co_ci_u32_e32 v11, vcc_lo, s33, v2, vcc_lo
	s_cselect_b32 s8, s8, s7
	v_or_b32_e32 v2, 2, v18
	v_subrev_nc_u32_e32 v1, s10, v1
	s_sub_i32 s11, s8, s42
	s_cmp_ge_u32 s8, s42
	v_cmp_gt_u32_e64 s7, s59, v18
	s_cselect_b32 s11, s11, s8
	v_mul_lo_u32 v22, s30, v2
	v_mul_lo_u32 v25, s30, v1
	s_sub_i32 s61, s9, s11
	v_cmp_gt_u32_e64 s8, s36, v21
	v_cmp_gt_u32_e64 s9, s61, v0
	s_lshl_b32 s62, s44, 2
	s_lshl_b32 s63, s42, 4
	s_branch .LBB82_6
.LBB82_4:                               ;   in Loop: Header=BB82_6 Depth=1
	s_or_b32 exec_lo, exec_lo, s13
	v_dual_mov_b32 v28, v4 :: v_dual_mov_b32 v29, v3
	v_dual_mov_b32 v30, v31 :: v_dual_mov_b32 v15, v2
	s_and_not1_b32 s13, s75, exec_lo
	s_and_b32 s12, s12, exec_lo
	s_and_not1_b32 s74, s74, exec_lo
	s_or_b32 s75, s13, s12
	s_and_not1_b32 s72, s72, exec_lo
	s_and_not1_b32 s73, s73, exec_lo
	;; [unrolled: 1-line block ×3, first 2 shown]
	s_or_not1_b32 s12, s11, exec_lo
.LBB82_5:                               ;   in Loop: Header=BB82_6 Depth=1
	s_or_b32 exec_lo, exec_lo, s10
	s_delay_alu instid0(SALU_CYCLE_1) | instskip(NEXT) | instid1(SALU_CYCLE_1)
	s_and_b32 s10, exec_lo, s12
	s_or_b32 s43, s10, s43
	s_and_not1_b32 s10, s66, exec_lo
	s_and_b32 s11, s75, exec_lo
	s_and_not1_b32 s12, s69, exec_lo
	s_or_b32 s66, s10, s11
	s_and_b32 s10, s74, exec_lo
	s_and_not1_b32 s11, s67, exec_lo
	s_and_b32 s13, s72, exec_lo
	s_or_b32 s69, s12, s10
	s_or_b32 s67, s11, s13
	s_and_not1_b32 s10, s68, exec_lo
	s_and_b32 s11, s73, exec_lo
	s_and_not1_b32 s12, s64, exec_lo
	s_and_b32 s13, s71, exec_lo
	s_or_b32 s68, s10, s11
	s_or_b32 s64, s12, s13
	s_and_not1_b32 exec_lo, exec_lo, s43
	s_cbranch_execz .LBB82_406
.LBB82_6:                               ; =>This Loop Header: Depth=1
                                        ;     Child Loop BB82_14 Depth 2
                                        ;     Child Loop BB82_29 Depth 2
	;; [unrolled: 1-line block ×24, first 2 shown]
	ds_load_b64 v[1:2], v9 offset:4096
	s_waitcnt lgkmcnt(0)
	v_readfirstlane_b32 s76, v1
	s_delay_alu instid0(VALU_DEP_1)
	s_cmp_lg_u32 s76, 0
	s_cbranch_scc1 .LBB82_36
; %bb.7:                                ;   in Loop: Header=BB82_6 Depth=1
	s_and_b32 vcc_lo, exec_lo, s51
	s_cbranch_vccz .LBB82_22
; %bb.8:                                ;   in Loop: Header=BB82_6 Depth=1
	v_cmp_gt_u32_e32 vcc_lo, 0x301, v2
	s_mov_b32 s76, 0
	s_mov_b32 s10, 0
	s_cbranch_vccz .LBB82_23
; %bb.9:                                ;   in Loop: Header=BB82_6 Depth=1
	v_mov_b32_e32 v1, 0
	s_and_saveexec_b32 s10, s4
	s_cbranch_execz .LBB82_11
; %bb.10:                               ;   in Loop: Header=BB82_6 Depth=1
	global_load_b32 v1, v[5:6], off
.LBB82_11:                              ;   in Loop: Header=BB82_6 Depth=1
	s_or_b32 exec_lo, exec_lo, s10
	s_and_saveexec_b32 s12, s4
	s_cbranch_execz .LBB82_87
; %bb.12:                               ;   in Loop: Header=BB82_6 Depth=1
	global_load_u16 v2, v9, s[38:39]
	v_mov_b32_e32 v4, v0
	s_mov_b32 s13, 0
	s_waitcnt vmcnt(0)
	v_add_nc_u32_e32 v3, v0, v2
	s_delay_alu instid0(VALU_DEP_1)
	v_mul_lo_u32 v8, s30, v3
	v_mul_lo_u32 v3, s30, v2
	s_branch .LBB82_14
.LBB82_13:                              ;   in Loop: Header=BB82_14 Depth=2
	s_or_b32 exec_lo, exec_lo, s11
	s_waitcnt vmcnt(0)
	v_dual_mov_b32 v1, v14 :: v_dual_add_nc_u32 v8, v8, v3
	s_and_not1_b32 exec_lo, exec_lo, s13
	s_cbranch_execz .LBB82_87
.LBB82_14:                              ;   Parent Loop BB82_6 Depth=1
                                        ; =>  This Inner Loop Header: Depth=2
	s_waitcnt lgkmcnt(0)
	v_dual_mov_b32 v31, 0 :: v_dual_add_nc_u32 v4, v4, v2
	v_mov_b32_e32 v14, 0
	s_mov_b32 s11, exec_lo
	s_delay_alu instid0(VALU_DEP_2)
	v_cmp_le_u32_e32 vcc_lo, s36, v4
	v_cmpx_gt_u32_e64 s36, v4
	s_cbranch_execz .LBB82_16
; %bb.15:                               ;   in Loop: Header=BB82_14 Depth=2
	v_lshlrev_b64 v[32:33], 2, v[8:9]
	s_delay_alu instid0(VALU_DEP_1) | instskip(NEXT) | instid1(VALU_DEP_1)
	v_add_co_u32 v32, s10, s31, v32
	v_add_co_ci_u32_e64 v33, s10, s33, v33, s10
	global_load_b32 v14, v[32:33], off
.LBB82_16:                              ;   in Loop: Header=BB82_14 Depth=2
	s_or_b32 exec_lo, exec_lo, s11
	v_cmp_lt_i32_e64 s10, -1, v1
	s_delay_alu instid0(VALU_DEP_1) | instskip(SKIP_1) | instid1(VALU_DEP_2)
	v_cndmask_b32_e64 v32, -1, 0x80000000, s10
	v_cmp_o_f32_e64 s10, v1, v1
	v_xor_b32_e32 v32, v32, v1
	s_delay_alu instid0(VALU_DEP_1) | instskip(NEXT) | instid1(VALU_DEP_1)
	v_cndmask_b32_e64 v32, -1, v32, s10
	v_and_b32_e32 v32, v32, v28
	s_delay_alu instid0(VALU_DEP_1) | instskip(NEXT) | instid1(VALU_DEP_1)
	v_cmp_eq_u32_e64 s10, v32, v29
	s_cmp_lg_u32 s10, 0
	s_cselect_b32 s11, -1, 0
	s_delay_alu instid0(SALU_CYCLE_1) | instskip(NEXT) | instid1(SALU_CYCLE_1)
	s_and_b32 s11, s2, s11
	s_and_saveexec_b32 s14, s11
	s_cbranch_execz .LBB82_20
; %bb.17:                               ;   in Loop: Header=BB82_14 Depth=2
	s_mov_b32 s17, exec_lo
	s_bcnt1_i32_b32 s15, s10
	v_mbcnt_lo_u32_b32 v31, s17, 0
	s_mov_b32 s16, exec_lo
                                        ; implicit-def: $vgpr32
	s_delay_alu instid0(VALU_DEP_1)
	v_cmpx_eq_u32_e32 0, v31
	s_cbranch_execz .LBB82_19
; %bb.18:                               ;   in Loop: Header=BB82_14 Depth=2
	s_bcnt1_i32_b32 s11, s17
	s_delay_alu instid0(SALU_CYCLE_1) | instskip(NEXT) | instid1(SALU_CYCLE_1)
	s_mul_i32 s11, s15, s11
	v_mov_b32_e32 v32, s11
	ds_add_rtn_u32 v32, v9, v32 offset:4104
.LBB82_19:                              ;   in Loop: Header=BB82_14 Depth=2
	s_or_b32 exec_lo, exec_lo, s16
	s_waitcnt lgkmcnt(0)
	v_readfirstlane_b32 s11, v32
	s_delay_alu instid0(VALU_DEP_1)
	v_mad_u32_u24 v31, s15, v31, s11
.LBB82_20:                              ;   in Loop: Header=BB82_14 Depth=2
	s_or_b32 exec_lo, exec_lo, s14
	ds_bpermute_b32 v31, v9, v31
	s_and_b32 s11, exec_lo, vcc_lo
	s_delay_alu instid0(SALU_CYCLE_1)
	s_or_b32 s13, s11, s13
	s_and_saveexec_b32 s11, s10
	s_cbranch_execz .LBB82_13
; %bb.21:                               ;   in Loop: Header=BB82_14 Depth=2
	v_and_b32_e32 v32, s10, v16
	s_delay_alu instid0(VALU_DEP_1) | instskip(NEXT) | instid1(VALU_DEP_1)
	v_bcnt_u32_b32 v32, v32, 0
	v_lshlrev_b32_e32 v32, 2, v32
	s_waitcnt lgkmcnt(0)
	s_delay_alu instid0(VALU_DEP_1)
	v_lshl_add_u32 v31, v31, 2, v32
	ds_store_b32 v31, v1
	s_branch .LBB82_13
.LBB82_22:                              ;   in Loop: Header=BB82_6 Depth=1
	s_mov_b32 s76, -1
	s_mov_b32 s10, 0
.LBB82_23:                              ;   in Loop: Header=BB82_6 Depth=1
	s_and_b32 vcc_lo, exec_lo, s76
	s_cbranch_vccz .LBB82_34
.LBB82_24:                              ;   in Loop: Header=BB82_6 Depth=1
	v_mov_b32_e32 v1, 0
	s_and_saveexec_b32 s10, s4
	s_cbranch_execz .LBB82_26
; %bb.25:                               ;   in Loop: Header=BB82_6 Depth=1
	global_load_b32 v1, v[5:6], off
.LBB82_26:                              ;   in Loop: Header=BB82_6 Depth=1
	s_or_b32 exec_lo, exec_lo, s10
	s_and_saveexec_b32 s11, s4
	s_cbranch_execz .LBB82_31
; %bb.27:                               ;   in Loop: Header=BB82_6 Depth=1
	global_load_u16 v2, v9, s[38:39]
	s_mov_b32 s12, 0
	v_dual_mov_b32 v14, v18 :: v_dual_mov_b32 v31, v0
	s_waitcnt vmcnt(0)
	v_add_nc_u32_e32 v3, v0, v2
	v_lshlrev_b32_e32 v4, 2, v2
	s_delay_alu instid0(VALU_DEP_2)
	v_mul_lo_u32 v8, s30, v3
	v_mul_lo_u32 v3, s30, v2
	s_set_inst_prefetch_distance 0x1
	s_branch .LBB82_29
	.p2align	6
.LBB82_28:                              ;   in Loop: Header=BB82_29 Depth=2
	s_or_b32 exec_lo, exec_lo, s13
	ds_store_b32 v14, v1
	s_waitcnt vmcnt(0)
	v_dual_mov_b32 v1, v32 :: v_dual_add_nc_u32 v14, v14, v4
	v_add_nc_u32_e32 v8, v8, v3
	s_and_b32 s10, exec_lo, vcc_lo
	s_delay_alu instid0(SALU_CYCLE_1) | instskip(NEXT) | instid1(SALU_CYCLE_1)
	s_or_b32 s12, s10, s12
	s_and_not1_b32 exec_lo, exec_lo, s12
	s_cbranch_execz .LBB82_31
.LBB82_29:                              ;   Parent Loop BB82_6 Depth=1
                                        ; =>  This Inner Loop Header: Depth=2
	v_dual_mov_b32 v32, 0 :: v_dual_add_nc_u32 v31, v31, v2
	s_mov_b32 s13, exec_lo
	s_delay_alu instid0(VALU_DEP_1)
	v_cmp_le_u32_e32 vcc_lo, s36, v31
	v_cmpx_gt_u32_e64 s36, v31
	s_cbranch_execz .LBB82_28
; %bb.30:                               ;   in Loop: Header=BB82_29 Depth=2
	v_lshlrev_b64 v[32:33], 2, v[8:9]
	s_delay_alu instid0(VALU_DEP_1) | instskip(NEXT) | instid1(VALU_DEP_1)
	v_add_co_u32 v32, s10, s31, v32
	v_add_co_ci_u32_e64 v33, s10, s33, v33, s10
	global_load_b32 v32, v[32:33], off
	s_branch .LBB82_28
.LBB82_31:                              ;   in Loop: Header=BB82_6 Depth=1
	s_set_inst_prefetch_distance 0x2
	s_or_b32 exec_lo, exec_lo, s11
	s_waitcnt vmcnt(0) lgkmcnt(0)
	s_barrier
	buffer_gl0_inv
	s_and_saveexec_b32 s10, s5
	s_cbranch_execz .LBB82_33
; %bb.32:                               ;   in Loop: Header=BB82_6 Depth=1
	v_mov_b32_e32 v1, s36
	ds_store_b32 v9, v1 offset:4096
.LBB82_33:                              ;   in Loop: Header=BB82_6 Depth=1
	s_or_b32 exec_lo, exec_lo, s10
	s_mov_b32 s10, -1
	s_waitcnt lgkmcnt(0)
	s_barrier
                                        ; implicit-def: $sgpr76
.LBB82_34:                              ;   in Loop: Header=BB82_6 Depth=1
	s_and_b32 vcc_lo, exec_lo, s10
	s_cbranch_vccz .LBB82_36
; %bb.35:                               ;   in Loop: Header=BB82_6 Depth=1
	buffer_gl0_inv
	ds_load_b32 v1, v9 offset:4096
	s_waitcnt lgkmcnt(0)
	v_readfirstlane_b32 s76, v1
.LBB82_36:                              ;   in Loop: Header=BB82_6 Depth=1
	s_delay_alu instid0(VALU_DEP_1)
	s_cmp_lt_i32 s76, 1
	s_cbranch_scc0 .LBB82_40
; %bb.37:                               ;   in Loop: Header=BB82_6 Depth=1
	v_dual_mov_b32 v1, 0 :: v_dual_mov_b32 v2, 0
	v_dual_mov_b32 v3, 0 :: v_dual_mov_b32 v4, 0
	s_mov_b32 s22, 0
	s_and_saveexec_b32 s21, s7
	s_cbranch_execnz .LBB82_41
; %bb.38:                               ;   in Loop: Header=BB82_6 Depth=1
	s_or_b32 exec_lo, exec_lo, s21
	v_mov_b32_e32 v31, 0
	s_and_saveexec_b32 s10, s8
	s_cbranch_execnz .LBB82_44
.LBB82_39:                              ;   in Loop: Header=BB82_6 Depth=1
	s_or_b32 exec_lo, exec_lo, s10
	s_and_saveexec_b32 s14, s8
	s_cbranch_execnz .LBB82_45
	s_branch .LBB82_50
.LBB82_40:                              ;   in Loop: Header=BB82_6 Depth=1
                                        ; implicit-def: $vgpr4
	s_cbranch_execnz .LBB82_51
	s_branch .LBB82_60
.LBB82_41:                              ;   in Loop: Header=BB82_6 Depth=1
	v_mov_b32_e32 v14, v18
	s_and_b32 s23, s70, 0xfe
	s_mov_b32 s24, 0
	s_mov_b32 s25, 0
	;; [unrolled: 1-line block ×5, first 2 shown]
.LBB82_42:                              ;   Parent Loop BB82_6 Depth=1
                                        ; =>  This Inner Loop Header: Depth=2
	v_add_nc_u32_e32 v8, s24, v24
	v_add_nc_u32_e32 v14, s50, v14
	s_delay_alu instid0(VALU_DEP_2) | instskip(SKIP_1) | instid1(VALU_DEP_1)
	v_lshlrev_b64 v[1:2], 2, v[8:9]
	v_add_nc_u32_e32 v8, s24, v12
	v_lshlrev_b64 v[3:4], 2, v[8:9]
	v_add_nc_u32_e32 v8, s24, v22
	s_delay_alu instid0(VALU_DEP_4) | instskip(SKIP_1) | instid1(VALU_DEP_3)
	v_add_co_u32 v1, vcc_lo, s31, v1
	v_add_co_ci_u32_e32 v2, vcc_lo, s33, v2, vcc_lo
	v_lshlrev_b64 v[31:32], 2, v[8:9]
	v_add_nc_u32_e32 v8, s24, v23
	s_add_i32 s24, s24, s62
	global_load_b32 v33, v[1:2], off
	v_add_co_u32 v1, vcc_lo, s31, v3
	v_add_co_ci_u32_e32 v2, vcc_lo, s33, v4, vcc_lo
	v_add_co_u32 v31, vcc_lo, s31, v31
	v_add_co_ci_u32_e32 v32, vcc_lo, s33, v32, vcc_lo
	v_lshlrev_b64 v[3:4], 2, v[8:9]
	s_clause 0x1
	global_load_b32 v8, v[1:2], off
	global_load_b32 v31, v[31:32], off
	v_add_co_u32 v1, vcc_lo, s31, v3
	v_add_co_ci_u32_e32 v2, vcc_lo, s33, v4, vcc_lo
	v_cmp_le_u32_e32 vcc_lo, s59, v14
	global_load_b32 v1, v[1:2], off
	s_waitcnt vmcnt(3)
	v_cmp_lt_i32_e64 s10, -1, v33
	s_delay_alu instid0(VALU_DEP_1) | instskip(SKIP_2) | instid1(VALU_DEP_2)
	v_cndmask_b32_e64 v2, -1, 0x80000000, s10
	s_waitcnt vmcnt(2)
	v_cmp_lt_i32_e64 s10, -1, v8
	v_xor_b32_e32 v2, v2, v33
	s_waitcnt vmcnt(1)
	v_cmp_lt_i32_e64 s11, -1, v31
	s_delay_alu instid0(VALU_DEP_3) | instskip(SKIP_1) | instid1(VALU_DEP_3)
	v_cndmask_b32_e64 v3, -1, 0x80000000, s10
	v_cmp_o_f32_e64 s10, v33, v33
	v_cndmask_b32_e64 v4, -1, 0x80000000, s11
	s_delay_alu instid0(VALU_DEP_3) | instskip(NEXT) | instid1(VALU_DEP_3)
	v_xor_b32_e32 v3, v3, v8
	v_cndmask_b32_e64 v2, -1, v2, s10
	v_cmp_o_f32_e64 s10, v8, v8
	s_delay_alu instid0(VALU_DEP_4)
	v_xor_b32_e32 v4, v4, v31
	s_waitcnt vmcnt(0)
	v_cmp_o_f32_e64 s15, v1, v1
	v_and_b32_e32 v32, v2, v28
	v_cndmask_b32_e64 v3, -1, v3, s10
	v_cmp_lt_i32_e64 s10, -1, v1
	v_bfe_u32 v2, v2, s23, 2
	s_delay_alu instid0(VALU_DEP_2) | instskip(SKIP_1) | instid1(VALU_DEP_3)
	v_cndmask_b32_e64 v8, -1, 0x80000000, s10
	v_cmp_o_f32_e64 s10, v31, v31
	v_cmp_eq_u32_e64 s11, 0, v2
	v_and_b32_e32 v31, v3, v28
	v_bfe_u32 v3, v3, s23, 2
	v_xor_b32_e32 v8, v8, v1
	v_cndmask_b32_e64 v4, -1, v4, s10
	v_cmp_eq_u32_e64 s10, v32, v29
	v_cmp_eq_u32_e64 s12, 1, v2
	;; [unrolled: 1-line block ×4, first 2 shown]
	v_cndmask_b32_e64 v1, -1, v8, s15
	s_and_b32 s11, s10, s11
	v_cmp_eq_u32_e64 s15, v31, v29
	v_cmp_eq_u32_e64 s16, 0, v3
	v_cndmask_b32_e64 v8, 0, 1, s11
	v_cmp_eq_u32_e64 s11, 1, v3
	s_and_b32 s12, s10, s12
	v_and_b32_e32 v2, v4, v28
	v_bfe_u32 v4, v4, s23, 2
	v_cndmask_b32_e64 v31, 0, 1, s12
	v_cmp_eq_u32_e64 s12, 2, v3
	s_and_b32 s13, s10, s13
	s_and_b32 s10, s10, s14
	v_cndmask_b32_e64 v32, 0, 1, s13
	s_and_b32 s16, s15, s16
	s_and_b32 s11, s15, s11
	v_cmp_eq_u32_e64 s13, 3, v3
	v_cndmask_b32_e64 v3, 0, 1, s10
	v_cmp_eq_u32_e64 s10, v2, v29
	v_cmp_eq_u32_e64 s14, 0, v4
	v_cmp_ne_u32_e64 s17, 0, v8
	v_cndmask_b32_e64 v8, 0, 1, s16
	v_cmp_eq_u32_e64 s16, 1, v4
	v_cmp_ne_u32_e64 s18, 0, v31
	v_cndmask_b32_e64 v31, 0, 1, s11
	v_cmp_eq_u32_e64 s11, 2, v4
	s_and_b32 s12, s15, s12
	v_and_b32_e32 v2, v1, v28
	v_bfe_u32 v1, v1, s23, 2
	v_cmp_ne_u32_e64 s19, 0, v32
	v_cndmask_b32_e64 v32, 0, 1, s12
	v_cmp_eq_u32_e64 s12, 3, v4
	s_and_b32 s13, s15, s13
	s_and_b32 s14, s10, s14
	;; [unrolled: 1-line block ×4, first 2 shown]
	v_cmp_ne_u32_e64 s20, 0, v3
	v_cndmask_b32_e64 v3, 0, 1, s13
	v_cmp_eq_u32_e64 s13, v2, v29
	v_cmp_eq_u32_e64 s15, 0, v1
	s_bcnt1_i32_b32 s29, s17
	v_cmp_ne_u32_e64 s17, 0, v8
	v_cndmask_b32_e64 v2, 0, 1, s14
	v_cmp_eq_u32_e64 s14, 1, v1
	v_cndmask_b32_e64 v4, 0, 1, s16
	v_cmp_eq_u32_e64 s16, 2, v1
	v_cndmask_b32_e64 v8, 0, 1, s11
	v_cmp_eq_u32_e64 s11, 3, v1
	s_and_b32 s10, s10, s12
	s_bcnt1_i32_b32 s79, s20
	v_cndmask_b32_e64 v1, 0, 1, s10
	v_cmp_ne_u32_e64 s20, 0, v3
	s_and_b32 s12, s13, s15
	s_and_b32 s14, s13, s14
	;; [unrolled: 1-line block ×4, first 2 shown]
	v_cmp_ne_u32_e64 s10, 0, v2
	v_cndmask_b32_e64 v2, 0, 1, s12
	v_cmp_ne_u32_e64 s12, 0, v4
	v_cndmask_b32_e64 v3, 0, 1, s14
	v_cndmask_b32_e64 v4, 0, 1, s15
	v_cmp_ne_u32_e64 s15, 0, v1
	v_cndmask_b32_e64 v1, 0, 1, s11
	s_bcnt1_i32_b32 s77, s18
	v_cmp_ne_u32_e64 s18, 0, v31
	s_bcnt1_i32_b32 s78, s19
	v_cmp_ne_u32_e64 s19, 0, v32
	s_add_i32 s25, s79, s25
	v_cmp_ne_u32_e64 s14, 0, v8
	s_bcnt1_i32_b32 s16, s20
	s_bcnt1_i32_b32 s20, s10
	s_add_i32 s16, s25, s16
	v_cmp_ne_u32_e64 s10, 0, v2
	s_bcnt1_i32_b32 s25, s12
	v_cmp_ne_u32_e64 s11, 0, v3
	v_cmp_ne_u32_e64 s12, 0, v4
	;; [unrolled: 1-line block ×3, first 2 shown]
	s_add_i32 s28, s29, s28
	s_add_i32 s27, s77, s27
	s_add_i32 s26, s78, s26
	s_bcnt1_i32_b32 s17, s17
	s_bcnt1_i32_b32 s18, s18
	;; [unrolled: 1-line block ×3, first 2 shown]
	s_add_i32 s17, s28, s17
	s_add_i32 s18, s27, s18
	;; [unrolled: 1-line block ×3, first 2 shown]
	s_bcnt1_i32_b32 s14, s14
	s_bcnt1_i32_b32 s15, s15
	s_add_i32 s17, s17, s20
	s_add_i32 s18, s18, s25
	;; [unrolled: 1-line block ×4, first 2 shown]
	s_bcnt1_i32_b32 s10, s10
	s_bcnt1_i32_b32 s11, s11
	;; [unrolled: 1-line block ×4, first 2 shown]
	s_add_i32 s28, s17, s10
	s_add_i32 s27, s18, s11
	;; [unrolled: 1-line block ×3, first 2 shown]
	v_mov_b32_e32 v2, s27
	s_add_i32 s25, s15, s13
	v_mov_b32_e32 v1, s28
	v_dual_mov_b32 v3, s26 :: v_dual_mov_b32 v4, s25
	s_or_b32 s22, vcc_lo, s22
	s_delay_alu instid0(SALU_CYCLE_1)
	s_and_not1_b32 exec_lo, exec_lo, s22
	s_cbranch_execnz .LBB82_42
; %bb.43:                               ;   in Loop: Header=BB82_6 Depth=1
	s_or_b32 exec_lo, exec_lo, s22
	s_delay_alu instid0(SALU_CYCLE_1)
	s_or_b32 exec_lo, exec_lo, s21
	v_mov_b32_e32 v31, 0
	s_and_saveexec_b32 s10, s8
	s_cbranch_execz .LBB82_39
.LBB82_44:                              ;   in Loop: Header=BB82_6 Depth=1
	global_load_b32 v31, v[10:11], off
	s_or_b32 exec_lo, exec_lo, s10
	s_and_saveexec_b32 s14, s8
	s_cbranch_execz .LBB82_50
.LBB82_45:                              ;   in Loop: Header=BB82_6 Depth=1
	v_mov_b32_e32 v8, v25
	v_mov_b32_e32 v14, v21
	s_and_b32 s16, s70, 0xfe
	s_mov_b32 s15, 0
	s_branch .LBB82_47
.LBB82_46:                              ;   in Loop: Header=BB82_47 Depth=2
	s_or_b32 exec_lo, exec_lo, s11
	s_waitcnt vmcnt(0)
	v_cmp_lt_i32_e64 s10, -1, v31
	s_and_b32 s11, exec_lo, vcc_lo
	v_add_nc_u32_e32 v8, s44, v8
	s_or_b32 s15, s11, s15
	s_delay_alu instid0(VALU_DEP_2) | instskip(SKIP_1) | instid1(VALU_DEP_2)
	v_cndmask_b32_e64 v33, -1, 0x80000000, s10
	v_cmp_o_f32_e64 s10, v31, v31
	v_xor_b32_e32 v33, v33, v31
	s_delay_alu instid0(VALU_DEP_1) | instskip(NEXT) | instid1(VALU_DEP_1)
	v_cndmask_b32_e64 v31, -1, v33, s10
	v_and_b32_e32 v33, v31, v28
	v_bfe_u32 v31, v31, s16, 2
	s_delay_alu instid0(VALU_DEP_2) | instskip(NEXT) | instid1(VALU_DEP_2)
	v_cmp_eq_u32_e32 vcc_lo, v33, v29
	v_cmp_eq_u32_e64 s10, 0, v31
	v_cmp_eq_u32_e64 s11, 1, v31
	;; [unrolled: 1-line block ×4, first 2 shown]
	s_delay_alu instid0(VALU_DEP_4) | instskip(NEXT) | instid1(SALU_CYCLE_1)
	s_and_b32 s10, vcc_lo, s10
	v_cndmask_b32_e64 v31, 0, 1, s10
	s_and_b32 s10, vcc_lo, s11
	s_delay_alu instid0(SALU_CYCLE_1) | instskip(SKIP_1) | instid1(SALU_CYCLE_1)
	v_cndmask_b32_e64 v33, 0, 1, s10
	s_and_b32 s10, vcc_lo, s12
	v_cndmask_b32_e64 v34, 0, 1, s10
	s_and_b32 s10, vcc_lo, s13
	v_cmp_ne_u32_e32 vcc_lo, 0, v31
	v_mov_b32_e32 v31, v32
	v_cndmask_b32_e64 v35, 0, 1, s10
	v_cmp_ne_u32_e64 s10, 0, v33
	v_cmp_ne_u32_e64 s11, 0, v34
	s_bcnt1_i32_b32 s13, vcc_lo
	s_delay_alu instid0(VALU_DEP_3) | instskip(NEXT) | instid1(VALU_DEP_3)
	v_cmp_ne_u32_e64 s12, 0, v35
	s_bcnt1_i32_b32 s10, s10
	s_delay_alu instid0(VALU_DEP_2)
	s_bcnt1_i32_b32 s11, s11
	v_add_nc_u32_e32 v1, s13, v1
	v_add_nc_u32_e32 v2, s10, v2
	s_bcnt1_i32_b32 s12, s12
	v_add_nc_u32_e32 v3, s11, v3
	v_add_nc_u32_e32 v4, s12, v4
	s_and_not1_b32 exec_lo, exec_lo, s15
	s_cbranch_execz .LBB82_49
.LBB82_47:                              ;   Parent Loop BB82_6 Depth=1
                                        ; =>  This Inner Loop Header: Depth=2
	s_delay_alu instid0(VALU_DEP_1) | instskip(SKIP_2) | instid1(VALU_DEP_2)
	v_add_nc_u32_e32 v14, s42, v14
	v_mov_b32_e32 v32, 0
	s_mov_b32 s11, exec_lo
	v_cmp_le_u32_e32 vcc_lo, s36, v14
	v_cmpx_gt_u32_e64 s36, v14
	s_cbranch_execz .LBB82_46
; %bb.48:                               ;   in Loop: Header=BB82_47 Depth=2
	v_lshlrev_b64 v[32:33], 2, v[8:9]
	s_delay_alu instid0(VALU_DEP_1) | instskip(NEXT) | instid1(VALU_DEP_1)
	v_add_co_u32 v32, s10, s31, v32
	v_add_co_ci_u32_e64 v33, s10, s33, v33, s10
	global_load_b32 v32, v[32:33], off
	s_branch .LBB82_46
.LBB82_49:                              ;   in Loop: Header=BB82_6 Depth=1
	s_or_b32 exec_lo, exec_lo, s15
.LBB82_50:                              ;   in Loop: Header=BB82_6 Depth=1
	s_delay_alu instid0(SALU_CYCLE_1)
	s_or_b32 exec_lo, exec_lo, s14
	s_branch .LBB82_60
.LBB82_51:                              ;   in Loop: Header=BB82_6 Depth=1
	s_mul_hi_u32 s10, s76, s58
	v_dual_mov_b32 v1, 0 :: v_dual_mov_b32 v2, 0
	s_mul_i32 s10, s10, s50
	v_dual_mov_b32 v3, 0 :: v_dual_mov_b32 v4, 0
	s_sub_i32 s10, s76, s10
	s_mov_b32 s79, 0
	s_sub_i32 s11, s10, s50
	s_cmp_ge_u32 s10, s50
	s_mov_b32 s78, exec_lo
	s_cselect_b32 s10, s11, s10
	s_delay_alu instid0(SALU_CYCLE_1) | instskip(SKIP_2) | instid1(SALU_CYCLE_1)
	s_sub_i32 s11, s10, s50
	s_cmp_ge_u32 s10, s50
	s_cselect_b32 s10, s11, s10
	s_sub_i32 s77, s76, s10
	s_delay_alu instid0(SALU_CYCLE_1)
	v_cmpx_gt_u32_e64 s77, v18
	s_cbranch_execz .LBB82_55
; %bb.52:                               ;   in Loop: Header=BB82_6 Depth=1
	v_mov_b32_e32 v8, v26
	v_mov_b32_e32 v14, v18
	s_and_b32 s80, s70, 0xfe
	s_mov_b32 s81, 0
	s_mov_b32 s82, 0
	;; [unrolled: 1-line block ×4, first 2 shown]
.LBB82_53:                              ;   Parent Loop BB82_6 Depth=1
                                        ; =>  This Inner Loop Header: Depth=2
	ds_load_b128 v[1:4], v8
	s_waitcnt lgkmcnt(0)
	v_cmp_lt_i32_e64 s10, -1, v1
	v_cmp_o_f32_e64 s13, v1, v1
	v_cmp_o_f32_e64 s11, v3, v3
	;; [unrolled: 1-line block ×3, first 2 shown]
	s_waitcnt vmcnt(0)
	v_cndmask_b32_e64 v31, -1, 0x80000000, s10
	v_cmp_lt_i32_e64 s10, -1, v2
	s_delay_alu instid0(VALU_DEP_2) | instskip(NEXT) | instid1(VALU_DEP_2)
	v_xor_b32_e32 v31, v31, v1
	v_cndmask_b32_e64 v32, -1, 0x80000000, s10
	v_cmp_lt_i32_e64 s10, -1, v3
	s_delay_alu instid0(VALU_DEP_3) | instskip(NEXT) | instid1(VALU_DEP_3)
	v_cndmask_b32_e64 v1, -1, v31, s13
	v_xor_b32_e32 v32, v32, v2
	s_delay_alu instid0(VALU_DEP_3) | instskip(SKIP_1) | instid1(VALU_DEP_4)
	v_cndmask_b32_e64 v33, -1, 0x80000000, s10
	v_cmp_lt_i32_e64 s10, -1, v4
	v_and_b32_e32 v31, v1, v28
	v_bfe_u32 v1, v1, s80, 2
	s_delay_alu instid0(VALU_DEP_3) | instskip(SKIP_2) | instid1(VALU_DEP_4)
	v_cndmask_b32_e64 v34, -1, 0x80000000, s10
	v_cmp_o_f32_e64 s10, v2, v2
	v_xor_b32_e32 v2, v33, v3
	v_cmp_eq_u32_e64 s14, 0, v1
	v_cmp_eq_u32_e64 s18, 1, v1
	v_xor_b32_e32 v3, v34, v4
	v_cndmask_b32_e64 v4, -1, v32, s10
	v_cndmask_b32_e64 v2, -1, v2, s11
	v_cmp_eq_u32_e64 s10, v31, v29
	v_cmp_eq_u32_e64 s22, 2, v1
	v_cndmask_b32_e64 v3, -1, v3, s12
	v_and_b32_e32 v32, v4, v28
	v_bfe_u32 v4, v4, s80, 2
	v_and_b32_e32 v33, v2, v28
	v_bfe_u32 v2, v2, s80, 2
	;; [unrolled: 2-line block ×3, first 2 shown]
	v_cmp_eq_u32_e64 s11, v32, v29
	v_cmp_eq_u32_e64 s15, 0, v4
	;; [unrolled: 1-line block ×4, first 2 shown]
	s_and_b32 s14, s10, s14
	v_cmp_eq_u32_e64 s13, v34, v29
	v_cmp_eq_u32_e64 s17, 0, v3
	;; [unrolled: 1-line block ×3, first 2 shown]
	v_cndmask_b32_e64 v1, 0, 1, s14
	s_and_b32 s14, s11, s15
	v_cmp_eq_u32_e64 s20, 1, v2
	v_cmp_eq_u32_e64 s24, 2, v2
	;; [unrolled: 1-line block ×3, first 2 shown]
	v_cndmask_b32_e64 v2, 0, 1, s14
	s_and_b32 s14, s12, s16
	v_cmp_eq_u32_e64 s19, 1, v4
	v_cmp_eq_u32_e64 s21, 1, v3
	;; [unrolled: 1-line block ×4, first 2 shown]
	v_cndmask_b32_e64 v3, 0, 1, s14
	s_and_b32 s14, s13, s17
	v_cmp_eq_u32_e64 s23, 2, v4
	v_cmp_eq_u32_e64 s27, 3, v4
	v_cndmask_b32_e64 v4, 0, 1, s14
	s_and_b32 s14, s10, s18
	s_delay_alu instid0(SALU_CYCLE_1) | instskip(SKIP_1) | instid1(SALU_CYCLE_1)
	v_cndmask_b32_e64 v31, 0, 1, s14
	s_and_b32 s14, s11, s19
	v_cndmask_b32_e64 v32, 0, 1, s14
	s_and_b32 s14, s12, s20
	s_delay_alu instid0(SALU_CYCLE_1) | instskip(SKIP_1) | instid1(VALU_DEP_2)
	v_cndmask_b32_e64 v33, 0, 1, s14
	s_and_b32 s14, s13, s21
	v_cmp_ne_u32_e64 s15, 0, v32
	v_cndmask_b32_e64 v34, 0, 1, s14
	s_and_b32 s14, s10, s22
	s_and_b32 s10, s10, s26
	v_cndmask_b32_e64 v35, 0, 1, s14
	v_cndmask_b32_e64 v39, 0, 1, s10
	s_and_b32 s10, s11, s27
	s_and_b32 s14, s11, s23
	v_cndmask_b32_e64 v40, 0, 1, s10
	s_and_b32 s10, s12, s28
	v_cndmask_b32_e64 v36, 0, 1, s14
	v_cndmask_b32_e64 v41, 0, 1, s10
	s_and_b32 s10, s13, s29
	s_and_b32 s14, s12, s24
	v_cndmask_b32_e64 v42, 0, 1, s10
	v_cmp_ne_u32_e64 s10, 0, v1
	v_cmp_ne_u32_e64 s11, 0, v2
	v_cndmask_b32_e64 v37, 0, 1, s14
	s_and_b32 s14, s13, s25
	v_cmp_ne_u32_e64 s12, 0, v3
	v_cndmask_b32_e64 v38, 0, 1, s14
	v_cmp_ne_u32_e64 s14, 0, v31
	v_cmp_ne_u32_e64 s18, 0, v35
	;; [unrolled: 1-line block ×3, first 2 shown]
	s_bcnt1_i32_b32 s10, s10
	v_cmp_ne_u32_e64 s13, 0, v4
	v_cmp_ne_u32_e64 s19, 0, v36
	;; [unrolled: 1-line block ×3, first 2 shown]
	s_bcnt1_i32_b32 s11, s11
	s_add_i32 s10, s10, s84
	v_cmp_ne_u32_e64 s16, 0, v33
	v_cmp_ne_u32_e64 s20, 0, v37
	;; [unrolled: 1-line block ×3, first 2 shown]
	s_bcnt1_i32_b32 s12, s12
	s_add_i32 s10, s10, s11
	s_bcnt1_i32_b32 s14, s14
	s_bcnt1_i32_b32 s18, s18
	;; [unrolled: 1-line block ×3, first 2 shown]
	v_cmp_ne_u32_e64 s17, 0, v34
	v_cmp_ne_u32_e64 s21, 0, v38
	;; [unrolled: 1-line block ×3, first 2 shown]
	s_bcnt1_i32_b32 s13, s13
	s_add_i32 s10, s10, s12
	s_bcnt1_i32_b32 s15, s15
	s_bcnt1_i32_b32 s19, s19
	s_bcnt1_i32_b32 s23, s23
	s_add_i32 s14, s14, s83
	s_add_i32 s18, s18, s82
	;; [unrolled: 1-line block ×4, first 2 shown]
	s_delay_alu instid0(SALU_CYCLE_1)
	v_dual_mov_b32 v1, s84 :: v_dual_add_nc_u32 v14, s50, v14
	s_bcnt1_i32_b32 s16, s16
	s_bcnt1_i32_b32 s20, s20
	;; [unrolled: 1-line block ×3, first 2 shown]
	s_add_i32 s11, s14, s15
	s_add_i32 s14, s18, s19
	;; [unrolled: 1-line block ×3, first 2 shown]
	s_bcnt1_i32_b32 s17, s17
	s_bcnt1_i32_b32 s21, s21
	;; [unrolled: 1-line block ×3, first 2 shown]
	s_add_i32 s11, s11, s16
	s_add_i32 s12, s14, s20
	;; [unrolled: 1-line block ×3, first 2 shown]
	v_cmp_le_u32_e32 vcc_lo, s77, v14
	s_add_i32 s83, s11, s17
	s_add_i32 s82, s12, s21
	s_add_i32 s81, s14, s25
	v_dual_mov_b32 v3, s82 :: v_dual_add_nc_u32 v8, s63, v8
	v_mov_b32_e32 v2, s83
	v_mov_b32_e32 v4, s81
	s_or_b32 s79, vcc_lo, s79
	s_delay_alu instid0(SALU_CYCLE_1)
	s_and_not1_b32 exec_lo, exec_lo, s79
	s_cbranch_execnz .LBB82_53
; %bb.54:                               ;   in Loop: Header=BB82_6 Depth=1
	s_or_b32 exec_lo, exec_lo, s79
.LBB82_55:                              ;   in Loop: Header=BB82_6 Depth=1
	s_delay_alu instid0(SALU_CYCLE_1) | instskip(SKIP_2) | instid1(VALU_DEP_1)
	s_or_b32 exec_lo, exec_lo, s78
	v_add_nc_u32_e32 v8, s77, v0
	s_mov_b32 s15, exec_lo
	v_cmpx_gt_u32_e64 s76, v8
	s_cbranch_execz .LBB82_59
; %bb.56:                               ;   in Loop: Header=BB82_6 Depth=1
	v_lshlrev_b32_e32 v14, 2, v8
	s_and_b32 s17, s70, 0xfe
	s_mov_b32 s16, 0
.LBB82_57:                              ;   Parent Loop BB82_6 Depth=1
                                        ; =>  This Inner Loop Header: Depth=2
	s_waitcnt vmcnt(0)
	ds_load_b32 v31, v14
	v_add_nc_u32_e32 v8, s42, v8
	v_add_nc_u32_e32 v14, s50, v14
	s_delay_alu instid0(VALU_DEP_2) | instskip(SKIP_2) | instid1(VALU_DEP_1)
	v_cmp_le_u32_e32 vcc_lo, s76, v8
	s_waitcnt lgkmcnt(0)
	v_cmp_lt_i32_e64 s10, -1, v31
	v_cndmask_b32_e64 v32, -1, 0x80000000, s10
	v_cmp_o_f32_e64 s10, v31, v31
	s_delay_alu instid0(VALU_DEP_2) | instskip(NEXT) | instid1(VALU_DEP_1)
	v_xor_b32_e32 v32, v32, v31
	v_cndmask_b32_e64 v31, -1, v32, s10
	s_delay_alu instid0(VALU_DEP_1) | instskip(SKIP_1) | instid1(VALU_DEP_2)
	v_and_b32_e32 v32, v31, v28
	v_bfe_u32 v31, v31, s17, 2
	v_cmp_eq_u32_e64 s10, v32, v29
	s_delay_alu instid0(VALU_DEP_2) | instskip(SKIP_3) | instid1(VALU_DEP_4)
	v_cmp_eq_u32_e64 s11, 0, v31
	v_cmp_eq_u32_e64 s12, 1, v31
	v_cmp_eq_u32_e64 s13, 2, v31
	v_cmp_eq_u32_e64 s14, 3, v31
	s_and_b32 s11, s10, s11
	s_delay_alu instid0(SALU_CYCLE_1) | instskip(SKIP_1) | instid1(SALU_CYCLE_1)
	v_cndmask_b32_e64 v31, 0, 1, s11
	s_and_b32 s11, s10, s12
	v_cndmask_b32_e64 v32, 0, 1, s11
	s_and_b32 s11, s10, s13
	s_and_b32 s10, s10, s14
	v_cndmask_b32_e64 v33, 0, 1, s11
	v_cndmask_b32_e64 v34, 0, 1, s10
	v_cmp_ne_u32_e64 s10, 0, v31
	v_cmp_ne_u32_e64 s11, 0, v32
	s_delay_alu instid0(VALU_DEP_4) | instskip(NEXT) | instid1(VALU_DEP_4)
	v_cmp_ne_u32_e64 s12, 0, v33
	v_cmp_ne_u32_e64 s13, 0, v34
	s_delay_alu instid0(VALU_DEP_4) | instskip(NEXT) | instid1(VALU_DEP_3)
	s_bcnt1_i32_b32 s10, s10
	s_bcnt1_i32_b32 s11, s11
	v_add_nc_u32_e32 v1, s10, v1
	s_bcnt1_i32_b32 s12, s12
	s_bcnt1_i32_b32 s13, s13
	v_add_nc_u32_e32 v2, s11, v2
	v_add_nc_u32_e32 v3, s12, v3
	;; [unrolled: 1-line block ×3, first 2 shown]
	s_or_b32 s16, vcc_lo, s16
	s_delay_alu instid0(SALU_CYCLE_1)
	s_and_not1_b32 exec_lo, exec_lo, s16
	s_cbranch_execnz .LBB82_57
; %bb.58:                               ;   in Loop: Header=BB82_6 Depth=1
	s_or_b32 exec_lo, exec_lo, s16
.LBB82_59:                              ;   in Loop: Header=BB82_6 Depth=1
	s_delay_alu instid0(SALU_CYCLE_1)
	s_or_b32 exec_lo, exec_lo, s15
.LBB82_60:                              ;   in Loop: Header=BB82_6 Depth=1
	s_lshl_b32 s10, s65, 7
	s_and_saveexec_b32 s11, s2
	s_cbranch_execz .LBB82_62
; %bb.61:                               ;   in Loop: Header=BB82_6 Depth=1
	v_or_b32_e32 v8, s10, v19
	s_delay_alu instid0(VALU_DEP_1)
	v_lshlrev_b32_e32 v8, 2, v8
	ds_store_b128 v8, v[1:4] offset:3072
.LBB82_62:                              ;   in Loop: Header=BB82_6 Depth=1
	s_or_b32 exec_lo, exec_lo, s11
	s_waitcnt vmcnt(0) lgkmcnt(0)
	s_barrier
	buffer_gl0_inv
	s_and_saveexec_b32 s11, s49
	s_cbranch_execz .LBB82_72
; %bb.63:                               ;   in Loop: Header=BB82_6 Depth=1
	v_mov_b32_e32 v1, 0
	s_and_not1_b32 vcc_lo, exec_lo, s52
	s_cbranch_vccnz .LBB82_71
; %bb.64:                               ;   in Loop: Header=BB82_6 Depth=1
	v_mov_b32_e32 v1, 0
	s_and_not1_b32 vcc_lo, exec_lo, s55
	s_mov_b32 s12, 0
	s_cbranch_vccnz .LBB82_68
; %bb.65:                               ;   in Loop: Header=BB82_6 Depth=1
	v_lshl_add_u32 v2, s65, 9, v27
	v_mov_b32_e32 v1, 0
	.p2align	6
.LBB82_66:                              ;   Parent Loop BB82_6 Depth=1
                                        ; =>  This Inner Loop Header: Depth=2
	ds_load_2addr_b32 v[3:4], v2 offset1:4
	ds_load_2addr_b32 v[31:32], v2 offset0:8 offset1:12
	ds_load_2addr_b32 v[33:34], v2 offset0:16 offset1:20
	;; [unrolled: 1-line block ×3, first 2 shown]
	v_add_nc_u32_e32 v2, 0x80, v2
	s_add_i32 s12, s12, 8
	s_delay_alu instid0(SALU_CYCLE_1) | instskip(SKIP_3) | instid1(VALU_DEP_1)
	s_cmp_eq_u32 s56, s12
	s_waitcnt lgkmcnt(3)
	v_add3_u32 v1, v3, v1, v4
	s_waitcnt lgkmcnt(2)
	v_add3_u32 v1, v31, v1, v32
	s_waitcnt lgkmcnt(1)
	s_delay_alu instid0(VALU_DEP_1) | instskip(SKIP_1) | instid1(VALU_DEP_1)
	v_add3_u32 v1, v33, v1, v34
	s_waitcnt lgkmcnt(0)
	v_add3_u32 v1, v35, v1, v36
	s_cbranch_scc0 .LBB82_66
; %bb.67:                               ;   in Loop: Header=BB82_6 Depth=1
	s_mov_b32 s12, s56
.LBB82_68:                              ;   in Loop: Header=BB82_6 Depth=1
	s_and_not1_b32 vcc_lo, exec_lo, s57
	s_cbranch_vccnz .LBB82_71
; %bb.69:                               ;   in Loop: Header=BB82_6 Depth=1
	s_lshl_b32 s13, s65, 9
	s_lshl_b32 s12, s12, 4
	s_delay_alu instid0(SALU_CYCLE_1)
	v_add3_u32 v2, s13, s12, v27
	s_mov_b32 s12, s54
.LBB82_70:                              ;   Parent Loop BB82_6 Depth=1
                                        ; =>  This Inner Loop Header: Depth=2
	ds_load_b32 v3, v2
	v_add_nc_u32_e32 v2, 16, v2
	s_add_i32 s12, s12, -1
	s_delay_alu instid0(SALU_CYCLE_1)
	s_cmp_lg_u32 s12, 0
	s_waitcnt lgkmcnt(0)
	v_add_nc_u32_e32 v1, v3, v1
	s_cbranch_scc1 .LBB82_70
.LBB82_71:                              ;   in Loop: Header=BB82_6 Depth=1
	v_add_lshl_u32 v2, s10, v17, 2
	ds_store_b32 v2, v1 offset:3072
.LBB82_72:                              ;   in Loop: Header=BB82_6 Depth=1
	s_or_b32 exec_lo, exec_lo, s11
	s_lshl_b32 s10, s10, 2
	s_waitcnt lgkmcnt(0)
	v_mov_b32_e32 v1, s10
	s_barrier
	buffer_gl0_inv
	s_and_b32 s17, s70, 0xfe
	v_cmp_eq_u32_e64 s10, 1, v30
	ds_load_b128 v[1:4], v1 offset:3072
	s_lshl_b32 s13, 3, s17
	s_and_not1_b32 vcc_lo, exec_lo, s48
	s_not_b32 s14, s13
	s_waitcnt lgkmcnt(0)
	v_readfirstlane_b32 s12, v1
	v_readfirstlane_b32 s16, v2
	;; [unrolled: 1-line block ×4, first 2 shown]
	s_cbranch_vccnz .LBB82_85
; %bb.73:                               ;   in Loop: Header=BB82_6 Depth=1
	s_cmp_eq_u32 s12, 1
	v_dual_mov_b32 v3, v29 :: v_dual_mov_b32 v4, v28
	v_mov_b32_e32 v2, v15
	s_cselect_b32 s11, -1, 0
	s_mov_b32 s26, -1
	s_and_b32 s25, s11, s10
                                        ; implicit-def: $sgpr15
                                        ; implicit-def: $sgpr22
                                        ; implicit-def: $sgpr21
	s_delay_alu instid0(SALU_CYCLE_1)
	s_and_saveexec_b32 s20, s25
	s_cbranch_execz .LBB82_104
; %bb.74:                               ;   in Loop: Header=BB82_6 Depth=1
	ds_load_b32 v1, v9 offset:4096
	s_waitcnt lgkmcnt(0)
	s_barrier
	buffer_gl0_inv
	v_readfirstlane_b32 s15, v1
	s_and_saveexec_b32 s11, s6
	s_cbranch_execz .LBB82_76
; %bb.75:                               ;   in Loop: Header=BB82_6 Depth=1
	ds_store_b32 v20, v9
.LBB82_76:                              ;   in Loop: Header=BB82_6 Depth=1
	s_or_b32 exec_lo, exec_lo, s11
	v_and_b32_e32 v3, s14, v29
	v_or_b32_e32 v4, s13, v28
	s_cmp_eq_u32 s15, 0
	s_waitcnt lgkmcnt(0)
	s_barrier
	buffer_gl0_inv
	s_cbranch_scc1 .LBB82_90
; %bb.77:                               ;   in Loop: Header=BB82_6 Depth=1
	s_add_i32 s11, s15, s53
                                        ; implicit-def: $vgpr2
	s_delay_alu instid0(SALU_CYCLE_1) | instskip(NEXT) | instid1(SALU_CYCLE_1)
	s_mul_hi_u32 s21, s11, s60
	s_mul_i32 s21, s21, s42
	s_delay_alu instid0(SALU_CYCLE_1) | instskip(NEXT) | instid1(SALU_CYCLE_1)
	s_sub_i32 s21, s11, s21
	s_sub_i32 s22, s21, s42
	s_cmp_ge_u32 s21, s42
	s_cselect_b32 s21, s22, s21
	s_delay_alu instid0(SALU_CYCLE_1) | instskip(SKIP_2) | instid1(SALU_CYCLE_1)
	s_sub_i32 s22, s21, s42
	s_cmp_ge_u32 s21, s42
	s_cselect_b32 s21, s22, s21
	s_sub_i32 s22, s11, s21
	s_mov_b32 s11, 0
	s_mov_b32 s21, exec_lo
	v_cmpx_gt_u32_e64 s22, v0
	s_cbranch_execz .LBB82_92
; %bb.78:                               ;   in Loop: Header=BB82_6 Depth=1
	v_dual_mov_b32 v8, v18 :: v_dual_mov_b32 v31, v0
	s_mov_b32 s23, 0
                                        ; implicit-def: $sgpr24
	s_set_inst_prefetch_distance 0x1
	s_branch .LBB82_80
	.p2align	6
.LBB82_79:                              ;   in Loop: Header=BB82_80 Depth=2
	s_or_b32 exec_lo, exec_lo, s11
	s_waitcnt lgkmcnt(0)
	s_barrier
	buffer_gl0_inv
	ds_load_b64 v[1:2], v9 offset:3072
	v_add_nc_u32_e32 v31, s42, v31
	v_add_nc_u32_e32 v8, s50, v8
	s_waitcnt lgkmcnt(0)
	s_barrier
	buffer_gl0_inv
	v_cmp_le_u32_e32 vcc_lo, s22, v31
	v_cmp_neq_f32_e64 s11, 0, v1
	s_delay_alu instid0(VALU_DEP_1) | instskip(NEXT) | instid1(SALU_CYCLE_1)
	s_or_b32 s26, vcc_lo, s11
	s_and_b32 s26, exec_lo, s26
	s_delay_alu instid0(SALU_CYCLE_1) | instskip(SKIP_2) | instid1(SALU_CYCLE_1)
	s_or_b32 s23, s26, s23
	s_and_not1_b32 s24, s24, exec_lo
	s_and_b32 s11, s11, exec_lo
	s_or_b32 s24, s24, s11
	s_and_not1_b32 exec_lo, exec_lo, s23
	s_cbranch_execz .LBB82_91
.LBB82_80:                              ;   Parent Loop BB82_6 Depth=1
                                        ; =>  This Inner Loop Header: Depth=2
	s_delay_alu instid0(VALU_DEP_1)
	v_cmp_gt_u32_e32 vcc_lo, s15, v31
	v_mov_b32_e32 v14, 0
	s_and_saveexec_b32 s11, vcc_lo
	s_cbranch_execz .LBB82_82
; %bb.81:                               ;   in Loop: Header=BB82_80 Depth=2
	ds_load_b32 v14, v8
.LBB82_82:                              ;   in Loop: Header=BB82_80 Depth=2
	s_or_b32 exec_lo, exec_lo, s11
	s_and_saveexec_b32 s11, vcc_lo
	s_cbranch_execz .LBB82_79
; %bb.83:                               ;   in Loop: Header=BB82_80 Depth=2
	s_waitcnt lgkmcnt(0)
	v_cmp_lt_i32_e32 vcc_lo, -1, v14
	v_cndmask_b32_e64 v1, -1, 0x80000000, vcc_lo
	v_cmp_o_f32_e32 vcc_lo, v14, v14
	s_delay_alu instid0(VALU_DEP_2) | instskip(NEXT) | instid1(VALU_DEP_1)
	v_xor_b32_e32 v1, v1, v14
	v_cndmask_b32_e32 v1, -1, v1, vcc_lo
	s_delay_alu instid0(VALU_DEP_1) | instskip(NEXT) | instid1(VALU_DEP_1)
	v_and_b32_e32 v1, v1, v4
	v_cmp_eq_u32_e32 vcc_lo, v1, v3
	s_and_b32 exec_lo, exec_lo, vcc_lo
	s_cbranch_execz .LBB82_79
; %bb.84:                               ;   in Loop: Header=BB82_80 Depth=2
	ds_store_b64 v9, v[13:14] offset:3072
	s_branch .LBB82_79
.LBB82_85:                              ;   in Loop: Header=BB82_6 Depth=1
	s_mov_b32 s20, 0
	s_mov_b32 s11, 0
                                        ; implicit-def: $sgpr21
                                        ; implicit-def: $sgpr22
                                        ; implicit-def: $sgpr15
                                        ; implicit-def: $vgpr1
                                        ; implicit-def: $vgpr31
                                        ; implicit-def: $vgpr3
                                        ; implicit-def: $vgpr4
                                        ; implicit-def: $vgpr2
	s_cbranch_execnz .LBB82_240
.LBB82_86:                              ;   in Loop: Header=BB82_6 Depth=1
	s_mov_b32 s23, s15
	s_mov_b32 s24, s15
	s_and_saveexec_b32 s10, s20
	s_cbranch_execnz .LBB82_402
	s_branch .LBB82_403
.LBB82_87:                              ;   in Loop: Header=BB82_6 Depth=1
	s_or_b32 exec_lo, exec_lo, s12
	s_waitcnt vmcnt(0) lgkmcnt(0)
	s_barrier
	buffer_gl0_inv
	s_and_saveexec_b32 s10, s5
	s_cbranch_execz .LBB82_89
; %bb.88:                               ;   in Loop: Header=BB82_6 Depth=1
	ds_load_b32 v1, v9 offset:4104
	s_waitcnt lgkmcnt(0)
	ds_store_b32 v9, v1 offset:4096
.LBB82_89:                              ;   in Loop: Header=BB82_6 Depth=1
	s_or_b32 exec_lo, exec_lo, s10
	s_waitcnt lgkmcnt(0)
	s_mov_b32 s10, -1
	s_barrier
	s_and_b32 vcc_lo, exec_lo, s76
	s_cbranch_vccnz .LBB82_24
	s_branch .LBB82_34
.LBB82_90:                              ;   in Loop: Header=BB82_6 Depth=1
	s_mov_b32 s15, -1
	s_mov_b32 s11, 0
                                        ; implicit-def: $sgpr21
                                        ; implicit-def: $vgpr2
	s_mov_b32 s22, s15
	s_cbranch_execnz .LBB82_93
	s_branch .LBB82_103
.LBB82_91:                              ;   in Loop: Header=BB82_6 Depth=1
	s_set_inst_prefetch_distance 0x2
	s_or_b32 exec_lo, exec_lo, s23
	s_delay_alu instid0(SALU_CYCLE_1)
	s_and_b32 s11, s24, exec_lo
.LBB82_92:                              ;   in Loop: Header=BB82_6 Depth=1
	s_or_b32 exec_lo, exec_lo, s21
	s_mov_b32 s21, -1
	s_mov_b32 s15, 0
	s_delay_alu instid0(SALU_CYCLE_1)
	s_mov_b32 s22, s15
	s_branch .LBB82_103
.LBB82_93:                              ;   in Loop: Header=BB82_6 Depth=1
	s_mov_b32 s11, 0
                                        ; implicit-def: $vgpr2
	s_and_saveexec_b32 s15, s9
	s_cbranch_execz .LBB82_102
; %bb.94:                               ;   in Loop: Header=BB82_6 Depth=1
	v_dual_mov_b32 v8, v7 :: v_dual_mov_b32 v31, v0
	s_mov_b32 s21, 0
                                        ; implicit-def: $sgpr22
	s_set_inst_prefetch_distance 0x1
	s_branch .LBB82_96
	.p2align	6
.LBB82_95:                              ;   in Loop: Header=BB82_96 Depth=2
	s_or_b32 exec_lo, exec_lo, s11
	s_waitcnt vmcnt(0) lgkmcnt(0)
	s_barrier
	buffer_gl0_inv
	ds_load_b64 v[1:2], v9 offset:3072
	v_add_nc_u32_e32 v31, s42, v31
	v_add_nc_u32_e32 v8, s44, v8
	s_waitcnt lgkmcnt(0)
	s_barrier
	buffer_gl0_inv
	v_cmp_le_u32_e32 vcc_lo, s61, v31
	v_cmp_neq_f32_e64 s11, 0, v1
	s_delay_alu instid0(VALU_DEP_1) | instskip(NEXT) | instid1(SALU_CYCLE_1)
	s_or_b32 s23, vcc_lo, s11
	s_and_b32 s23, exec_lo, s23
	s_delay_alu instid0(SALU_CYCLE_1) | instskip(SKIP_2) | instid1(SALU_CYCLE_1)
	s_or_b32 s21, s23, s21
	s_and_not1_b32 s22, s22, exec_lo
	s_and_b32 s11, s11, exec_lo
	s_or_b32 s22, s22, s11
	s_and_not1_b32 exec_lo, exec_lo, s21
	s_cbranch_execz .LBB82_101
.LBB82_96:                              ;   Parent Loop BB82_6 Depth=1
                                        ; =>  This Inner Loop Header: Depth=2
	s_delay_alu instid0(VALU_DEP_1)
	v_cmp_gt_u32_e32 vcc_lo, s36, v31
	v_mov_b32_e32 v14, 0
	s_and_saveexec_b32 s23, vcc_lo
	s_cbranch_execz .LBB82_98
; %bb.97:                               ;   in Loop: Header=BB82_96 Depth=2
	v_lshlrev_b64 v[1:2], 2, v[8:9]
	s_delay_alu instid0(VALU_DEP_1) | instskip(NEXT) | instid1(VALU_DEP_1)
	v_add_co_u32 v1, s11, s31, v1
	v_add_co_ci_u32_e64 v2, s11, s33, v2, s11
	global_load_b32 v14, v[1:2], off
.LBB82_98:                              ;   in Loop: Header=BB82_96 Depth=2
	s_or_b32 exec_lo, exec_lo, s23
	s_and_saveexec_b32 s11, vcc_lo
	s_cbranch_execz .LBB82_95
; %bb.99:                               ;   in Loop: Header=BB82_96 Depth=2
	s_waitcnt vmcnt(0)
	v_cmp_lt_i32_e32 vcc_lo, -1, v14
	v_cndmask_b32_e64 v1, -1, 0x80000000, vcc_lo
	v_cmp_o_f32_e32 vcc_lo, v14, v14
	s_delay_alu instid0(VALU_DEP_2) | instskip(NEXT) | instid1(VALU_DEP_1)
	v_xor_b32_e32 v1, v1, v14
	v_cndmask_b32_e32 v1, -1, v1, vcc_lo
	s_delay_alu instid0(VALU_DEP_1) | instskip(NEXT) | instid1(VALU_DEP_1)
	v_and_b32_e32 v1, v1, v4
	v_cmp_eq_u32_e32 vcc_lo, v1, v3
	s_and_b32 exec_lo, exec_lo, vcc_lo
	s_cbranch_execz .LBB82_95
; %bb.100:                              ;   in Loop: Header=BB82_96 Depth=2
	ds_store_b64 v9, v[13:14] offset:3072
	s_branch .LBB82_95
.LBB82_101:                             ;   in Loop: Header=BB82_6 Depth=1
	s_set_inst_prefetch_distance 0x2
	s_or_b32 exec_lo, exec_lo, s21
	s_delay_alu instid0(SALU_CYCLE_1)
	s_and_b32 s11, s22, exec_lo
.LBB82_102:                             ;   in Loop: Header=BB82_6 Depth=1
	s_or_b32 exec_lo, exec_lo, s15
	s_mov_b32 s22, -1
	s_mov_b32 s15, 0
	s_mov_b32 s21, 0
.LBB82_103:                             ;   in Loop: Header=BB82_6 Depth=1
	s_or_not1_b32 s26, s11, exec_lo
.LBB82_104:                             ;   in Loop: Header=BB82_6 Depth=1
	s_or_b32 exec_lo, exec_lo, s20
	s_mov_b32 s23, 0
	s_mov_b32 s20, 0
	;; [unrolled: 1-line block ×3, first 2 shown]
                                        ; implicit-def: $vgpr1
                                        ; implicit-def: $vgpr31
	s_and_saveexec_b32 s24, s26
	s_cbranch_execz .LBB82_239
; %bb.105:                              ;   in Loop: Header=BB82_6 Depth=1
	v_mov_b32_e32 v31, 1
	v_mov_b32_e32 v1, 1
	s_xor_b32 s25, s25, -1
	s_delay_alu instid0(SALU_CYCLE_1)
	s_and_saveexec_b32 s11, s25
	s_cbranch_execz .LBB82_115
; %bb.106:                              ;   in Loop: Header=BB82_6 Depth=1
	s_mov_b32 s25, exec_lo
                                        ; implicit-def: $sgpr26
                                        ; implicit-def: $sgpr20
	v_cmpx_ge_u32_e64 s12, v30
	s_xor_b32 s25, exec_lo, s25
	s_cbranch_execz .LBB82_112
; %bb.107:                              ;   in Loop: Header=BB82_6 Depth=1
	ds_load_b32 v1, v9 offset:4096
	s_waitcnt lgkmcnt(0)
	v_cmp_ne_u32_e32 vcc_lo, 0, v1
	s_cbranch_vccnz .LBB82_111
; %bb.108:                              ;   in Loop: Header=BB82_6 Depth=1
	s_and_saveexec_b32 s20, s5
	s_cbranch_execz .LBB82_110
; %bb.109:                              ;   in Loop: Header=BB82_6 Depth=1
	v_mov_b32_e32 v1, s12
	ds_store_b32 v9, v1 offset:4100
.LBB82_110:                             ;   in Loop: Header=BB82_6 Depth=1
	s_or_b32 exec_lo, exec_lo, s20
	s_waitcnt lgkmcnt(0)
	s_barrier
	buffer_gl0_inv
.LBB82_111:                             ;   in Loop: Header=BB82_6 Depth=1
	v_and_b32_e32 v3, s14, v3
	v_or_b32_e32 v4, s13, v4
	s_mov_b32 s20, 0
	s_mov_b32 s26, 8
.LBB82_112:                             ;   in Loop: Header=BB82_6 Depth=1
	s_or_saveexec_b32 s25, s25
	v_mov_b32_e32 v1, s26
	v_mov_b32_e32 v31, v30
	s_xor_b32 exec_lo, exec_lo, s25
; %bb.113:                              ;   in Loop: Header=BB82_6 Depth=1
	v_subrev_nc_u32_e32 v31, s12, v30
	v_mov_b32_e32 v1, 0
	s_or_b32 s20, s20, exec_lo
; %bb.114:                              ;   in Loop: Header=BB82_6 Depth=1
	s_or_b32 exec_lo, exec_lo, s25
	s_delay_alu instid0(SALU_CYCLE_1)
	s_and_b32 s20, s20, exec_lo
.LBB82_115:                             ;   in Loop: Header=BB82_6 Depth=1
	s_or_b32 exec_lo, exec_lo, s11
	s_mov_b32 s11, -1
                                        ; implicit-def: $sgpr25
                                        ; implicit-def: $sgpr27
                                        ; implicit-def: $sgpr28
	s_and_saveexec_b32 s26, s20
	s_delay_alu instid0(SALU_CYCLE_1)
	s_xor_b32 s20, exec_lo, s26
	s_cbranch_execz .LBB82_236
; %bb.116:                              ;   in Loop: Header=BB82_6 Depth=1
	v_cmp_eq_u32_e32 vcc_lo, 1, v31
	s_cmp_eq_u32 s16, 1
                                        ; implicit-def: $sgpr25
                                        ; implicit-def: $sgpr27
                                        ; implicit-def: $sgpr26
	s_cselect_b32 s11, -1, 0
	s_delay_alu instid0(SALU_CYCLE_1)
	s_and_b32 s29, s11, vcc_lo
	s_mov_b32 s11, -1
	s_and_saveexec_b32 s28, s29
	s_cbranch_execz .LBB82_142
; %bb.117:                              ;   in Loop: Header=BB82_6 Depth=1
	ds_load_b32 v1, v9 offset:4096
	s_waitcnt lgkmcnt(0)
	s_barrier
	buffer_gl0_inv
	v_readfirstlane_b32 s25, v1
	s_and_saveexec_b32 s11, s6
	s_cbranch_execz .LBB82_119
; %bb.118:                              ;   in Loop: Header=BB82_6 Depth=1
	ds_store_b32 v20, v9
.LBB82_119:                             ;   in Loop: Header=BB82_6 Depth=1
	s_or_b32 exec_lo, exec_lo, s11
	s_lshl_b32 s11, 1, s17
	v_or_b32_e32 v4, s13, v4
	v_and_or_b32 v3, v3, s14, s11
	s_cmp_eq_u32 s25, 0
	s_waitcnt lgkmcnt(0)
	s_barrier
	buffer_gl0_inv
	s_cbranch_scc1 .LBB82_128
; %bb.120:                              ;   in Loop: Header=BB82_6 Depth=1
	s_add_i32 s11, s25, s53
                                        ; implicit-def: $vgpr2
	s_delay_alu instid0(SALU_CYCLE_1) | instskip(NEXT) | instid1(SALU_CYCLE_1)
	s_mul_hi_u32 s26, s11, s60
	s_mul_i32 s26, s26, s42
	s_delay_alu instid0(SALU_CYCLE_1) | instskip(NEXT) | instid1(SALU_CYCLE_1)
	s_sub_i32 s26, s11, s26
	s_sub_i32 s27, s26, s42
	s_cmp_ge_u32 s26, s42
	s_cselect_b32 s26, s27, s26
	s_delay_alu instid0(SALU_CYCLE_1) | instskip(SKIP_2) | instid1(SALU_CYCLE_1)
	s_sub_i32 s27, s26, s42
	s_cmp_ge_u32 s26, s42
	s_cselect_b32 s26, s27, s26
	s_sub_i32 s27, s11, s26
	s_mov_b32 s11, 0
	s_mov_b32 s26, exec_lo
	v_cmpx_gt_u32_e64 s27, v0
	s_cbranch_execz .LBB82_130
; %bb.121:                              ;   in Loop: Header=BB82_6 Depth=1
	v_mov_b32_e32 v8, v18
	v_mov_b32_e32 v32, v0
	s_mov_b32 s76, 0
                                        ; implicit-def: $sgpr77
	s_set_inst_prefetch_distance 0x1
	s_branch .LBB82_123
	.p2align	6
.LBB82_122:                             ;   in Loop: Header=BB82_123 Depth=2
	s_or_b32 exec_lo, exec_lo, s11
	s_waitcnt lgkmcnt(0)
	s_barrier
	buffer_gl0_inv
	ds_load_b64 v[1:2], v9 offset:3072
	v_add_nc_u32_e32 v32, s42, v32
	v_add_nc_u32_e32 v8, s50, v8
	s_waitcnt lgkmcnt(0)
	s_barrier
	buffer_gl0_inv
	v_cmp_le_u32_e32 vcc_lo, s27, v32
	v_cmp_neq_f32_e64 s11, 0, v1
	s_delay_alu instid0(VALU_DEP_1) | instskip(NEXT) | instid1(SALU_CYCLE_1)
	s_or_b32 s78, vcc_lo, s11
	s_and_b32 s78, exec_lo, s78
	s_delay_alu instid0(SALU_CYCLE_1) | instskip(SKIP_2) | instid1(SALU_CYCLE_1)
	s_or_b32 s76, s78, s76
	s_and_not1_b32 s77, s77, exec_lo
	s_and_b32 s11, s11, exec_lo
	s_or_b32 s77, s77, s11
	s_and_not1_b32 exec_lo, exec_lo, s76
	s_cbranch_execz .LBB82_129
.LBB82_123:                             ;   Parent Loop BB82_6 Depth=1
                                        ; =>  This Inner Loop Header: Depth=2
	s_delay_alu instid0(VALU_DEP_1)
	v_cmp_gt_u32_e32 vcc_lo, s25, v32
	v_mov_b32_e32 v14, 0
	s_and_saveexec_b32 s11, vcc_lo
	s_cbranch_execz .LBB82_125
; %bb.124:                              ;   in Loop: Header=BB82_123 Depth=2
	ds_load_b32 v14, v8
.LBB82_125:                             ;   in Loop: Header=BB82_123 Depth=2
	s_or_b32 exec_lo, exec_lo, s11
	s_and_saveexec_b32 s11, vcc_lo
	s_cbranch_execz .LBB82_122
; %bb.126:                              ;   in Loop: Header=BB82_123 Depth=2
	s_waitcnt lgkmcnt(0)
	v_cmp_lt_i32_e32 vcc_lo, -1, v14
	v_cndmask_b32_e64 v1, -1, 0x80000000, vcc_lo
	v_cmp_o_f32_e32 vcc_lo, v14, v14
	s_delay_alu instid0(VALU_DEP_2) | instskip(NEXT) | instid1(VALU_DEP_1)
	v_xor_b32_e32 v1, v1, v14
	v_cndmask_b32_e32 v1, -1, v1, vcc_lo
	s_delay_alu instid0(VALU_DEP_1) | instskip(NEXT) | instid1(VALU_DEP_1)
	v_and_b32_e32 v1, v1, v4
	v_cmp_eq_u32_e32 vcc_lo, v1, v3
	s_and_b32 exec_lo, exec_lo, vcc_lo
	s_cbranch_execz .LBB82_122
; %bb.127:                              ;   in Loop: Header=BB82_123 Depth=2
	ds_store_b64 v9, v[13:14] offset:3072
	s_branch .LBB82_122
.LBB82_128:                             ;   in Loop: Header=BB82_6 Depth=1
	s_mov_b32 s25, -1
	s_mov_b32 s11, 0
                                        ; implicit-def: $sgpr26
                                        ; implicit-def: $vgpr2
	s_mov_b32 s27, s25
	s_cbranch_execnz .LBB82_131
	s_branch .LBB82_141
.LBB82_129:                             ;   in Loop: Header=BB82_6 Depth=1
	s_set_inst_prefetch_distance 0x2
	s_or_b32 exec_lo, exec_lo, s76
	s_delay_alu instid0(SALU_CYCLE_1)
	s_and_b32 s11, s77, exec_lo
.LBB82_130:                             ;   in Loop: Header=BB82_6 Depth=1
	s_or_b32 exec_lo, exec_lo, s26
	s_mov_b32 s26, -1
	s_mov_b32 s25, 0
	s_delay_alu instid0(SALU_CYCLE_1)
	s_mov_b32 s27, s25
	s_branch .LBB82_141
.LBB82_131:                             ;   in Loop: Header=BB82_6 Depth=1
	s_mov_b32 s11, 0
                                        ; implicit-def: $vgpr2
	s_and_saveexec_b32 s25, s9
	s_cbranch_execz .LBB82_140
; %bb.132:                              ;   in Loop: Header=BB82_6 Depth=1
	v_mov_b32_e32 v8, v7
	v_mov_b32_e32 v32, v0
	s_mov_b32 s26, 0
                                        ; implicit-def: $sgpr27
	s_set_inst_prefetch_distance 0x1
	s_branch .LBB82_134
	.p2align	6
.LBB82_133:                             ;   in Loop: Header=BB82_134 Depth=2
	s_or_b32 exec_lo, exec_lo, s11
	s_waitcnt vmcnt(0) lgkmcnt(0)
	s_barrier
	buffer_gl0_inv
	ds_load_b64 v[1:2], v9 offset:3072
	v_add_nc_u32_e32 v32, s42, v32
	v_add_nc_u32_e32 v8, s44, v8
	s_waitcnt lgkmcnt(0)
	s_barrier
	buffer_gl0_inv
	v_cmp_le_u32_e32 vcc_lo, s61, v32
	v_cmp_neq_f32_e64 s11, 0, v1
	s_delay_alu instid0(VALU_DEP_1) | instskip(NEXT) | instid1(SALU_CYCLE_1)
	s_or_b32 s76, vcc_lo, s11
	s_and_b32 s76, exec_lo, s76
	s_delay_alu instid0(SALU_CYCLE_1) | instskip(SKIP_2) | instid1(SALU_CYCLE_1)
	s_or_b32 s26, s76, s26
	s_and_not1_b32 s27, s27, exec_lo
	s_and_b32 s11, s11, exec_lo
	s_or_b32 s27, s27, s11
	s_and_not1_b32 exec_lo, exec_lo, s26
	s_cbranch_execz .LBB82_139
.LBB82_134:                             ;   Parent Loop BB82_6 Depth=1
                                        ; =>  This Inner Loop Header: Depth=2
	s_delay_alu instid0(VALU_DEP_1)
	v_cmp_gt_u32_e32 vcc_lo, s36, v32
	v_mov_b32_e32 v14, 0
	s_and_saveexec_b32 s76, vcc_lo
	s_cbranch_execz .LBB82_136
; %bb.135:                              ;   in Loop: Header=BB82_134 Depth=2
	v_lshlrev_b64 v[1:2], 2, v[8:9]
	s_delay_alu instid0(VALU_DEP_1) | instskip(NEXT) | instid1(VALU_DEP_1)
	v_add_co_u32 v1, s11, s31, v1
	v_add_co_ci_u32_e64 v2, s11, s33, v2, s11
	global_load_b32 v14, v[1:2], off
.LBB82_136:                             ;   in Loop: Header=BB82_134 Depth=2
	s_or_b32 exec_lo, exec_lo, s76
	s_and_saveexec_b32 s11, vcc_lo
	s_cbranch_execz .LBB82_133
; %bb.137:                              ;   in Loop: Header=BB82_134 Depth=2
	s_waitcnt vmcnt(0)
	v_cmp_lt_i32_e32 vcc_lo, -1, v14
	v_cndmask_b32_e64 v1, -1, 0x80000000, vcc_lo
	v_cmp_o_f32_e32 vcc_lo, v14, v14
	s_delay_alu instid0(VALU_DEP_2) | instskip(NEXT) | instid1(VALU_DEP_1)
	v_xor_b32_e32 v1, v1, v14
	v_cndmask_b32_e32 v1, -1, v1, vcc_lo
	s_delay_alu instid0(VALU_DEP_1) | instskip(NEXT) | instid1(VALU_DEP_1)
	v_and_b32_e32 v1, v1, v4
	v_cmp_eq_u32_e32 vcc_lo, v1, v3
	s_and_b32 exec_lo, exec_lo, vcc_lo
	s_cbranch_execz .LBB82_133
; %bb.138:                              ;   in Loop: Header=BB82_134 Depth=2
	ds_store_b64 v9, v[13:14] offset:3072
	s_branch .LBB82_133
.LBB82_139:                             ;   in Loop: Header=BB82_6 Depth=1
	s_set_inst_prefetch_distance 0x2
	s_or_b32 exec_lo, exec_lo, s26
	s_delay_alu instid0(SALU_CYCLE_1)
	s_and_b32 s11, s27, exec_lo
.LBB82_140:                             ;   in Loop: Header=BB82_6 Depth=1
	s_or_b32 exec_lo, exec_lo, s25
	s_mov_b32 s27, -1
	s_mov_b32 s25, 0
	s_mov_b32 s26, 0
.LBB82_141:                             ;   in Loop: Header=BB82_6 Depth=1
	s_or_not1_b32 s11, s11, exec_lo
.LBB82_142:                             ;   in Loop: Header=BB82_6 Depth=1
	s_or_b32 exec_lo, exec_lo, s28
	s_mov_b32 s76, 0
                                        ; implicit-def: $vgpr1
	s_and_saveexec_b32 s28, s11
	s_cbranch_execz .LBB82_235
; %bb.143:                              ;   in Loop: Header=BB82_6 Depth=1
	v_dual_mov_b32 v32, 1 :: v_dual_mov_b32 v1, 1
	s_xor_b32 s29, s29, -1
	s_mov_b32 s77, 0
	s_and_saveexec_b32 s11, s29
	s_cbranch_execz .LBB82_153
; %bb.144:                              ;   in Loop: Header=BB82_6 Depth=1
	s_mov_b32 s76, exec_lo
                                        ; implicit-def: $sgpr77
                                        ; implicit-def: $sgpr29
	v_cmpx_ge_u32_e64 s16, v31
	s_xor_b32 s76, exec_lo, s76
	s_cbranch_execz .LBB82_150
; %bb.145:                              ;   in Loop: Header=BB82_6 Depth=1
	ds_load_b32 v1, v9 offset:4096
	s_waitcnt lgkmcnt(0)
	v_cmp_ne_u32_e32 vcc_lo, 0, v1
	s_cbranch_vccnz .LBB82_149
; %bb.146:                              ;   in Loop: Header=BB82_6 Depth=1
	s_and_saveexec_b32 s29, s5
	s_cbranch_execz .LBB82_148
; %bb.147:                              ;   in Loop: Header=BB82_6 Depth=1
	v_mov_b32_e32 v1, s16
	ds_store_b32 v9, v1 offset:4100
.LBB82_148:                             ;   in Loop: Header=BB82_6 Depth=1
	s_or_b32 exec_lo, exec_lo, s29
	s_waitcnt lgkmcnt(0)
	s_barrier
	buffer_gl0_inv
.LBB82_149:                             ;   in Loop: Header=BB82_6 Depth=1
	s_lshl_b32 s29, 1, s17
	v_or_b32_e32 v4, s13, v4
	v_and_or_b32 v3, v3, s14, s29
	s_mov_b32 s29, 0
	s_mov_b32 s77, 8
.LBB82_150:                             ;   in Loop: Header=BB82_6 Depth=1
	s_or_saveexec_b32 s76, s76
	v_mov_b32_e32 v1, s77
	s_xor_b32 exec_lo, exec_lo, s76
; %bb.151:                              ;   in Loop: Header=BB82_6 Depth=1
	v_subrev_nc_u32_e32 v31, s16, v31
	v_mov_b32_e32 v1, 0
	s_or_b32 s29, s29, exec_lo
; %bb.152:                              ;   in Loop: Header=BB82_6 Depth=1
	s_or_b32 exec_lo, exec_lo, s76
	s_delay_alu instid0(VALU_DEP_2)
	v_mov_b32_e32 v32, v31
	s_and_b32 s77, s29, exec_lo
.LBB82_153:                             ;   in Loop: Header=BB82_6 Depth=1
	s_or_b32 exec_lo, exec_lo, s11
	s_mov_b32 s11, -1
                                        ; implicit-def: $sgpr76
                                        ; implicit-def: $sgpr78
                                        ; implicit-def: $sgpr79
	s_and_saveexec_b32 s29, s77
	s_cbranch_execz .LBB82_234
; %bb.154:                              ;   in Loop: Header=BB82_6 Depth=1
	v_cmp_eq_u32_e32 vcc_lo, 1, v32
	s_cmp_eq_u32 s18, 1
                                        ; implicit-def: $sgpr76
                                        ; implicit-def: $sgpr78
                                        ; implicit-def: $sgpr77
	s_cselect_b32 s11, -1, 0
	s_delay_alu instid0(SALU_CYCLE_1)
	s_and_b32 s80, s11, vcc_lo
	s_mov_b32 s11, -1
	s_and_saveexec_b32 s79, s80
	s_cbranch_execz .LBB82_180
; %bb.155:                              ;   in Loop: Header=BB82_6 Depth=1
	ds_load_b32 v1, v9 offset:4096
	s_waitcnt lgkmcnt(0)
	s_barrier
	buffer_gl0_inv
	v_readfirstlane_b32 s76, v1
	s_and_saveexec_b32 s11, s6
	s_cbranch_execz .LBB82_157
; %bb.156:                              ;   in Loop: Header=BB82_6 Depth=1
	ds_store_b32 v20, v9
.LBB82_157:                             ;   in Loop: Header=BB82_6 Depth=1
	s_or_b32 exec_lo, exec_lo, s11
	s_lshl_b32 s11, 2, s17
	v_or_b32_e32 v4, s13, v4
	v_and_or_b32 v3, v3, s14, s11
	s_cmp_eq_u32 s76, 0
	s_waitcnt lgkmcnt(0)
	s_barrier
	buffer_gl0_inv
	s_cbranch_scc1 .LBB82_166
; %bb.158:                              ;   in Loop: Header=BB82_6 Depth=1
	s_add_i32 s11, s76, s53
                                        ; implicit-def: $vgpr2
	s_delay_alu instid0(SALU_CYCLE_1) | instskip(NEXT) | instid1(SALU_CYCLE_1)
	s_mul_hi_u32 s77, s11, s60
	s_mul_i32 s77, s77, s42
	s_delay_alu instid0(SALU_CYCLE_1) | instskip(NEXT) | instid1(SALU_CYCLE_1)
	s_sub_i32 s77, s11, s77
	s_sub_i32 s78, s77, s42
	s_cmp_ge_u32 s77, s42
	s_cselect_b32 s77, s78, s77
	s_delay_alu instid0(SALU_CYCLE_1) | instskip(SKIP_2) | instid1(SALU_CYCLE_1)
	s_sub_i32 s78, s77, s42
	s_cmp_ge_u32 s77, s42
	s_cselect_b32 s77, s78, s77
	s_sub_i32 s78, s11, s77
	s_mov_b32 s11, 0
	s_mov_b32 s77, exec_lo
	v_cmpx_gt_u32_e64 s78, v0
	s_cbranch_execz .LBB82_168
; %bb.159:                              ;   in Loop: Header=BB82_6 Depth=1
	v_dual_mov_b32 v8, v18 :: v_dual_mov_b32 v31, v0
	s_mov_b32 s81, 0
                                        ; implicit-def: $sgpr82
	s_set_inst_prefetch_distance 0x1
	s_branch .LBB82_161
	.p2align	6
.LBB82_160:                             ;   in Loop: Header=BB82_161 Depth=2
	s_or_b32 exec_lo, exec_lo, s11
	s_waitcnt lgkmcnt(0)
	s_barrier
	buffer_gl0_inv
	ds_load_b64 v[1:2], v9 offset:3072
	v_add_nc_u32_e32 v31, s42, v31
	v_add_nc_u32_e32 v8, s50, v8
	s_waitcnt lgkmcnt(0)
	s_barrier
	buffer_gl0_inv
	v_cmp_le_u32_e32 vcc_lo, s78, v31
	v_cmp_neq_f32_e64 s11, 0, v1
	s_delay_alu instid0(VALU_DEP_1) | instskip(NEXT) | instid1(SALU_CYCLE_1)
	s_or_b32 s83, vcc_lo, s11
	s_and_b32 s83, exec_lo, s83
	s_delay_alu instid0(SALU_CYCLE_1) | instskip(SKIP_2) | instid1(SALU_CYCLE_1)
	s_or_b32 s81, s83, s81
	s_and_not1_b32 s82, s82, exec_lo
	s_and_b32 s11, s11, exec_lo
	s_or_b32 s82, s82, s11
	s_and_not1_b32 exec_lo, exec_lo, s81
	s_cbranch_execz .LBB82_167
.LBB82_161:                             ;   Parent Loop BB82_6 Depth=1
                                        ; =>  This Inner Loop Header: Depth=2
	s_delay_alu instid0(VALU_DEP_1)
	v_cmp_gt_u32_e32 vcc_lo, s76, v31
	v_mov_b32_e32 v14, 0
	s_and_saveexec_b32 s11, vcc_lo
	s_cbranch_execz .LBB82_163
; %bb.162:                              ;   in Loop: Header=BB82_161 Depth=2
	ds_load_b32 v14, v8
.LBB82_163:                             ;   in Loop: Header=BB82_161 Depth=2
	s_or_b32 exec_lo, exec_lo, s11
	s_and_saveexec_b32 s11, vcc_lo
	s_cbranch_execz .LBB82_160
; %bb.164:                              ;   in Loop: Header=BB82_161 Depth=2
	s_waitcnt lgkmcnt(0)
	v_cmp_lt_i32_e32 vcc_lo, -1, v14
	v_cndmask_b32_e64 v1, -1, 0x80000000, vcc_lo
	v_cmp_o_f32_e32 vcc_lo, v14, v14
	s_delay_alu instid0(VALU_DEP_2) | instskip(NEXT) | instid1(VALU_DEP_1)
	v_xor_b32_e32 v1, v1, v14
	v_cndmask_b32_e32 v1, -1, v1, vcc_lo
	s_delay_alu instid0(VALU_DEP_1) | instskip(NEXT) | instid1(VALU_DEP_1)
	v_and_b32_e32 v1, v1, v4
	v_cmp_eq_u32_e32 vcc_lo, v1, v3
	s_and_b32 exec_lo, exec_lo, vcc_lo
	s_cbranch_execz .LBB82_160
; %bb.165:                              ;   in Loop: Header=BB82_161 Depth=2
	ds_store_b64 v9, v[13:14] offset:3072
	s_branch .LBB82_160
.LBB82_166:                             ;   in Loop: Header=BB82_6 Depth=1
	s_mov_b32 s76, -1
	s_mov_b32 s11, 0
                                        ; implicit-def: $sgpr77
                                        ; implicit-def: $vgpr2
	s_mov_b32 s78, s76
	s_cbranch_execnz .LBB82_169
	s_branch .LBB82_179
.LBB82_167:                             ;   in Loop: Header=BB82_6 Depth=1
	s_set_inst_prefetch_distance 0x2
	s_or_b32 exec_lo, exec_lo, s81
	s_delay_alu instid0(SALU_CYCLE_1)
	s_and_b32 s11, s82, exec_lo
.LBB82_168:                             ;   in Loop: Header=BB82_6 Depth=1
	s_or_b32 exec_lo, exec_lo, s77
	s_mov_b32 s77, -1
	s_mov_b32 s76, 0
	s_delay_alu instid0(SALU_CYCLE_1)
	s_mov_b32 s78, s76
	s_branch .LBB82_179
.LBB82_169:                             ;   in Loop: Header=BB82_6 Depth=1
	s_mov_b32 s11, 0
                                        ; implicit-def: $vgpr2
	s_and_saveexec_b32 s76, s9
	s_cbranch_execz .LBB82_178
; %bb.170:                              ;   in Loop: Header=BB82_6 Depth=1
	v_dual_mov_b32 v8, v7 :: v_dual_mov_b32 v31, v0
	s_mov_b32 s77, 0
                                        ; implicit-def: $sgpr78
	s_set_inst_prefetch_distance 0x1
	s_branch .LBB82_172
	.p2align	6
.LBB82_171:                             ;   in Loop: Header=BB82_172 Depth=2
	s_or_b32 exec_lo, exec_lo, s11
	s_waitcnt vmcnt(0) lgkmcnt(0)
	s_barrier
	buffer_gl0_inv
	ds_load_b64 v[1:2], v9 offset:3072
	v_add_nc_u32_e32 v31, s42, v31
	v_add_nc_u32_e32 v8, s44, v8
	s_waitcnt lgkmcnt(0)
	s_barrier
	buffer_gl0_inv
	v_cmp_le_u32_e32 vcc_lo, s61, v31
	v_cmp_neq_f32_e64 s11, 0, v1
	s_delay_alu instid0(VALU_DEP_1) | instskip(NEXT) | instid1(SALU_CYCLE_1)
	s_or_b32 s81, vcc_lo, s11
	s_and_b32 s81, exec_lo, s81
	s_delay_alu instid0(SALU_CYCLE_1) | instskip(SKIP_2) | instid1(SALU_CYCLE_1)
	s_or_b32 s77, s81, s77
	s_and_not1_b32 s78, s78, exec_lo
	s_and_b32 s11, s11, exec_lo
	s_or_b32 s78, s78, s11
	s_and_not1_b32 exec_lo, exec_lo, s77
	s_cbranch_execz .LBB82_177
.LBB82_172:                             ;   Parent Loop BB82_6 Depth=1
                                        ; =>  This Inner Loop Header: Depth=2
	s_delay_alu instid0(VALU_DEP_1)
	v_cmp_gt_u32_e32 vcc_lo, s36, v31
	v_mov_b32_e32 v14, 0
	s_and_saveexec_b32 s81, vcc_lo
	s_cbranch_execz .LBB82_174
; %bb.173:                              ;   in Loop: Header=BB82_172 Depth=2
	v_lshlrev_b64 v[1:2], 2, v[8:9]
	s_delay_alu instid0(VALU_DEP_1) | instskip(NEXT) | instid1(VALU_DEP_1)
	v_add_co_u32 v1, s11, s31, v1
	v_add_co_ci_u32_e64 v2, s11, s33, v2, s11
	global_load_b32 v14, v[1:2], off
.LBB82_174:                             ;   in Loop: Header=BB82_172 Depth=2
	s_or_b32 exec_lo, exec_lo, s81
	s_and_saveexec_b32 s11, vcc_lo
	s_cbranch_execz .LBB82_171
; %bb.175:                              ;   in Loop: Header=BB82_172 Depth=2
	s_waitcnt vmcnt(0)
	v_cmp_lt_i32_e32 vcc_lo, -1, v14
	v_cndmask_b32_e64 v1, -1, 0x80000000, vcc_lo
	v_cmp_o_f32_e32 vcc_lo, v14, v14
	s_delay_alu instid0(VALU_DEP_2) | instskip(NEXT) | instid1(VALU_DEP_1)
	v_xor_b32_e32 v1, v1, v14
	v_cndmask_b32_e32 v1, -1, v1, vcc_lo
	s_delay_alu instid0(VALU_DEP_1) | instskip(NEXT) | instid1(VALU_DEP_1)
	v_and_b32_e32 v1, v1, v4
	v_cmp_eq_u32_e32 vcc_lo, v1, v3
	s_and_b32 exec_lo, exec_lo, vcc_lo
	s_cbranch_execz .LBB82_171
; %bb.176:                              ;   in Loop: Header=BB82_172 Depth=2
	ds_store_b64 v9, v[13:14] offset:3072
	s_branch .LBB82_171
.LBB82_177:                             ;   in Loop: Header=BB82_6 Depth=1
	s_set_inst_prefetch_distance 0x2
	s_or_b32 exec_lo, exec_lo, s77
	s_delay_alu instid0(SALU_CYCLE_1)
	s_and_b32 s11, s78, exec_lo
.LBB82_178:                             ;   in Loop: Header=BB82_6 Depth=1
	s_or_b32 exec_lo, exec_lo, s76
	s_mov_b32 s78, -1
	s_mov_b32 s76, 0
	s_mov_b32 s77, 0
.LBB82_179:                             ;   in Loop: Header=BB82_6 Depth=1
	s_or_not1_b32 s11, s11, exec_lo
.LBB82_180:                             ;   in Loop: Header=BB82_6 Depth=1
	s_or_b32 exec_lo, exec_lo, s79
	s_mov_b32 s81, 0
                                        ; implicit-def: $vgpr1
	s_and_saveexec_b32 s79, s11
	s_cbranch_execz .LBB82_233
; %bb.181:                              ;   in Loop: Header=BB82_6 Depth=1
	v_mov_b32_e32 v31, 1
	v_mov_b32_e32 v1, 1
	s_xor_b32 s80, s80, -1
	s_mov_b32 s82, 0
	s_and_saveexec_b32 s11, s80
	s_cbranch_execz .LBB82_191
; %bb.182:                              ;   in Loop: Header=BB82_6 Depth=1
	s_mov_b32 s81, exec_lo
                                        ; implicit-def: $sgpr82
                                        ; implicit-def: $sgpr80
	v_cmpx_ge_u32_e64 s18, v32
	s_xor_b32 s81, exec_lo, s81
	s_cbranch_execz .LBB82_188
; %bb.183:                              ;   in Loop: Header=BB82_6 Depth=1
	ds_load_b32 v1, v9 offset:4096
	s_waitcnt lgkmcnt(0)
	v_cmp_ne_u32_e32 vcc_lo, 0, v1
	s_cbranch_vccnz .LBB82_187
; %bb.184:                              ;   in Loop: Header=BB82_6 Depth=1
	s_and_saveexec_b32 s80, s5
	s_cbranch_execz .LBB82_186
; %bb.185:                              ;   in Loop: Header=BB82_6 Depth=1
	v_mov_b32_e32 v1, s18
	ds_store_b32 v9, v1 offset:4100
.LBB82_186:                             ;   in Loop: Header=BB82_6 Depth=1
	s_or_b32 exec_lo, exec_lo, s80
	s_waitcnt lgkmcnt(0)
	s_barrier
	buffer_gl0_inv
.LBB82_187:                             ;   in Loop: Header=BB82_6 Depth=1
	s_lshl_b32 s80, 2, s17
	v_or_b32_e32 v4, s13, v4
	v_and_or_b32 v3, v3, s14, s80
	s_mov_b32 s80, 0
	s_mov_b32 s82, 8
.LBB82_188:                             ;   in Loop: Header=BB82_6 Depth=1
	s_or_saveexec_b32 s81, s81
	v_mov_b32_e32 v1, s82
	s_xor_b32 exec_lo, exec_lo, s81
; %bb.189:                              ;   in Loop: Header=BB82_6 Depth=1
	v_subrev_nc_u32_e32 v32, s18, v32
	v_mov_b32_e32 v1, 0
	s_or_b32 s80, s80, exec_lo
; %bb.190:                              ;   in Loop: Header=BB82_6 Depth=1
	s_or_b32 exec_lo, exec_lo, s81
	s_delay_alu instid0(VALU_DEP_2)
	v_mov_b32_e32 v31, v32
	s_and_b32 s82, s80, exec_lo
.LBB82_191:                             ;   in Loop: Header=BB82_6 Depth=1
	s_or_b32 exec_lo, exec_lo, s11
	s_mov_b32 s81, -1
                                        ; implicit-def: $sgpr11
                                        ; implicit-def: $sgpr84
                                        ; implicit-def: $sgpr83
	s_and_saveexec_b32 s80, s82
	s_cbranch_execz .LBB82_232
; %bb.192:                              ;   in Loop: Header=BB82_6 Depth=1
	v_cmp_eq_u32_e32 vcc_lo, 1, v31
	s_cmp_eq_u32 s19, 1
	s_mov_b32 s85, -1
	s_cselect_b32 s11, -1, 0
                                        ; implicit-def: $sgpr84
                                        ; implicit-def: $sgpr83
	s_delay_alu instid0(SALU_CYCLE_1) | instskip(NEXT) | instid1(SALU_CYCLE_1)
	s_and_b32 s81, s11, vcc_lo
                                        ; implicit-def: $sgpr11
	s_and_saveexec_b32 s82, s81
	s_cbranch_execz .LBB82_219
; %bb.193:                              ;   in Loop: Header=BB82_6 Depth=1
	ds_load_b32 v1, v9 offset:4096
	s_waitcnt lgkmcnt(0)
	s_barrier
	buffer_gl0_inv
	v_readfirstlane_b32 s83, v1
	s_and_saveexec_b32 s11, s6
	s_cbranch_execz .LBB82_195
; %bb.194:                              ;   in Loop: Header=BB82_6 Depth=1
	ds_store_b32 v20, v9
.LBB82_195:                             ;   in Loop: Header=BB82_6 Depth=1
	s_or_b32 exec_lo, exec_lo, s11
	v_or_b32_e32 v3, s13, v3
	v_or_b32_e32 v4, s13, v4
	s_cmp_eq_u32 s83, 0
	s_waitcnt lgkmcnt(0)
	s_barrier
	buffer_gl0_inv
	s_cbranch_scc1 .LBB82_204
; %bb.196:                              ;   in Loop: Header=BB82_6 Depth=1
	s_add_i32 s11, s83, s53
                                        ; implicit-def: $vgpr2
	s_delay_alu instid0(SALU_CYCLE_1) | instskip(NEXT) | instid1(SALU_CYCLE_1)
	s_mul_hi_u32 s84, s11, s60
	s_mul_i32 s84, s84, s42
	s_delay_alu instid0(SALU_CYCLE_1) | instskip(NEXT) | instid1(SALU_CYCLE_1)
	s_sub_i32 s84, s11, s84
	s_sub_i32 s85, s84, s42
	s_cmp_ge_u32 s84, s42
	s_cselect_b32 s84, s85, s84
	s_delay_alu instid0(SALU_CYCLE_1)
	s_sub_i32 s85, s84, s42
	s_cmp_ge_u32 s84, s42
	s_cselect_b32 s84, s85, s84
	s_mov_b32 s85, 0
	s_sub_i32 s86, s11, s84
	s_mov_b32 s84, exec_lo
	v_cmpx_gt_u32_e64 s86, v0
	s_cbranch_execz .LBB82_206
; %bb.197:                              ;   in Loop: Header=BB82_6 Depth=1
	v_mov_b32_e32 v8, v18
	v_mov_b32_e32 v32, v0
                                        ; implicit-def: $sgpr87
	s_set_inst_prefetch_distance 0x1
	s_branch .LBB82_199
	.p2align	6
.LBB82_198:                             ;   in Loop: Header=BB82_199 Depth=2
	s_or_b32 exec_lo, exec_lo, s11
	s_waitcnt lgkmcnt(0)
	s_barrier
	buffer_gl0_inv
	ds_load_b64 v[1:2], v9 offset:3072
	v_add_nc_u32_e32 v32, s42, v32
	v_add_nc_u32_e32 v8, s50, v8
	s_waitcnt lgkmcnt(0)
	s_barrier
	buffer_gl0_inv
	v_cmp_le_u32_e32 vcc_lo, s86, v32
	v_cmp_neq_f32_e64 s11, 0, v1
	s_delay_alu instid0(VALU_DEP_1) | instskip(NEXT) | instid1(SALU_CYCLE_1)
	s_or_b32 s88, vcc_lo, s11
	s_and_b32 s88, exec_lo, s88
	s_delay_alu instid0(SALU_CYCLE_1) | instskip(SKIP_2) | instid1(SALU_CYCLE_1)
	s_or_b32 s85, s88, s85
	s_and_not1_b32 s87, s87, exec_lo
	s_and_b32 s11, s11, exec_lo
	s_or_b32 s87, s87, s11
	s_and_not1_b32 exec_lo, exec_lo, s85
	s_cbranch_execz .LBB82_205
.LBB82_199:                             ;   Parent Loop BB82_6 Depth=1
                                        ; =>  This Inner Loop Header: Depth=2
	s_delay_alu instid0(VALU_DEP_1)
	v_cmp_gt_u32_e32 vcc_lo, s83, v32
	v_mov_b32_e32 v14, 0
	s_and_saveexec_b32 s11, vcc_lo
	s_cbranch_execz .LBB82_201
; %bb.200:                              ;   in Loop: Header=BB82_199 Depth=2
	ds_load_b32 v14, v8
.LBB82_201:                             ;   in Loop: Header=BB82_199 Depth=2
	s_or_b32 exec_lo, exec_lo, s11
	s_and_saveexec_b32 s11, vcc_lo
	s_cbranch_execz .LBB82_198
; %bb.202:                              ;   in Loop: Header=BB82_199 Depth=2
	s_waitcnt lgkmcnt(0)
	v_cmp_lt_i32_e32 vcc_lo, -1, v14
	v_cndmask_b32_e64 v1, -1, 0x80000000, vcc_lo
	v_cmp_o_f32_e32 vcc_lo, v14, v14
	s_delay_alu instid0(VALU_DEP_2) | instskip(NEXT) | instid1(VALU_DEP_1)
	v_xor_b32_e32 v1, v1, v14
	v_cndmask_b32_e32 v1, -1, v1, vcc_lo
	s_delay_alu instid0(VALU_DEP_1) | instskip(NEXT) | instid1(VALU_DEP_1)
	v_and_b32_e32 v1, v1, v4
	v_cmp_eq_u32_e32 vcc_lo, v1, v3
	s_and_b32 exec_lo, exec_lo, vcc_lo
	s_cbranch_execz .LBB82_198
; %bb.203:                              ;   in Loop: Header=BB82_199 Depth=2
	ds_store_b64 v9, v[13:14] offset:3072
	s_branch .LBB82_198
.LBB82_204:                             ;   in Loop: Header=BB82_6 Depth=1
	s_mov_b32 s11, -1
	s_mov_b32 s85, 0
                                        ; implicit-def: $sgpr83
                                        ; implicit-def: $vgpr2
	s_branch .LBB82_207
.LBB82_205:                             ;   in Loop: Header=BB82_6 Depth=1
	s_set_inst_prefetch_distance 0x2
	s_or_b32 exec_lo, exec_lo, s85
	s_delay_alu instid0(SALU_CYCLE_1)
	s_and_b32 s85, s87, exec_lo
.LBB82_206:                             ;   in Loop: Header=BB82_6 Depth=1
	s_or_b32 exec_lo, exec_lo, s84
	s_mov_b32 s83, -1
	s_mov_b32 s11, 0
.LBB82_207:                             ;   in Loop: Header=BB82_6 Depth=1
	s_delay_alu instid0(SALU_CYCLE_1)
	s_and_b32 vcc_lo, exec_lo, s11
	s_mov_b32 s84, s11
	s_cbranch_vccz .LBB82_218
; %bb.208:                              ;   in Loop: Header=BB82_6 Depth=1
	s_mov_b32 s85, 0
                                        ; implicit-def: $vgpr2
	s_and_saveexec_b32 s83, s9
	s_cbranch_execz .LBB82_217
; %bb.209:                              ;   in Loop: Header=BB82_6 Depth=1
	v_mov_b32_e32 v8, v7
	v_mov_b32_e32 v32, v0
	s_mov_b32 s84, 0
                                        ; implicit-def: $sgpr85
	s_set_inst_prefetch_distance 0x1
	s_branch .LBB82_211
	.p2align	6
.LBB82_210:                             ;   in Loop: Header=BB82_211 Depth=2
	s_or_b32 exec_lo, exec_lo, s11
	s_waitcnt vmcnt(0) lgkmcnt(0)
	s_barrier
	buffer_gl0_inv
	ds_load_b64 v[1:2], v9 offset:3072
	v_add_nc_u32_e32 v32, s42, v32
	v_add_nc_u32_e32 v8, s44, v8
	s_waitcnt lgkmcnt(0)
	s_barrier
	buffer_gl0_inv
	v_cmp_le_u32_e32 vcc_lo, s61, v32
	v_cmp_neq_f32_e64 s11, 0, v1
	s_delay_alu instid0(VALU_DEP_1) | instskip(NEXT) | instid1(SALU_CYCLE_1)
	s_or_b32 s86, vcc_lo, s11
	s_and_b32 s86, exec_lo, s86
	s_delay_alu instid0(SALU_CYCLE_1) | instskip(SKIP_2) | instid1(SALU_CYCLE_1)
	s_or_b32 s84, s86, s84
	s_and_not1_b32 s85, s85, exec_lo
	s_and_b32 s11, s11, exec_lo
	s_or_b32 s85, s85, s11
	s_and_not1_b32 exec_lo, exec_lo, s84
	s_cbranch_execz .LBB82_216
.LBB82_211:                             ;   Parent Loop BB82_6 Depth=1
                                        ; =>  This Inner Loop Header: Depth=2
	s_delay_alu instid0(VALU_DEP_1)
	v_cmp_gt_u32_e32 vcc_lo, s36, v32
	v_mov_b32_e32 v14, 0
	s_and_saveexec_b32 s86, vcc_lo
	s_cbranch_execz .LBB82_213
; %bb.212:                              ;   in Loop: Header=BB82_211 Depth=2
	v_lshlrev_b64 v[1:2], 2, v[8:9]
	s_delay_alu instid0(VALU_DEP_1) | instskip(NEXT) | instid1(VALU_DEP_1)
	v_add_co_u32 v1, s11, s31, v1
	v_add_co_ci_u32_e64 v2, s11, s33, v2, s11
	global_load_b32 v14, v[1:2], off
.LBB82_213:                             ;   in Loop: Header=BB82_211 Depth=2
	s_or_b32 exec_lo, exec_lo, s86
	s_and_saveexec_b32 s11, vcc_lo
	s_cbranch_execz .LBB82_210
; %bb.214:                              ;   in Loop: Header=BB82_211 Depth=2
	s_waitcnt vmcnt(0)
	v_cmp_lt_i32_e32 vcc_lo, -1, v14
	v_cndmask_b32_e64 v1, -1, 0x80000000, vcc_lo
	v_cmp_o_f32_e32 vcc_lo, v14, v14
	s_delay_alu instid0(VALU_DEP_2) | instskip(NEXT) | instid1(VALU_DEP_1)
	v_xor_b32_e32 v1, v1, v14
	v_cndmask_b32_e32 v1, -1, v1, vcc_lo
	s_delay_alu instid0(VALU_DEP_1) | instskip(NEXT) | instid1(VALU_DEP_1)
	v_and_b32_e32 v1, v1, v4
	v_cmp_eq_u32_e32 vcc_lo, v1, v3
	s_and_b32 exec_lo, exec_lo, vcc_lo
	s_cbranch_execz .LBB82_210
; %bb.215:                              ;   in Loop: Header=BB82_211 Depth=2
	ds_store_b64 v9, v[13:14] offset:3072
	s_branch .LBB82_210
.LBB82_216:                             ;   in Loop: Header=BB82_6 Depth=1
	s_set_inst_prefetch_distance 0x2
	s_or_b32 exec_lo, exec_lo, s84
	s_delay_alu instid0(SALU_CYCLE_1)
	s_and_b32 s85, s85, exec_lo
.LBB82_217:                             ;   in Loop: Header=BB82_6 Depth=1
	s_or_b32 exec_lo, exec_lo, s83
	s_mov_b32 s84, -1
	s_mov_b32 s11, 0
	s_mov_b32 s83, 0
.LBB82_218:                             ;   in Loop: Header=BB82_6 Depth=1
	s_or_not1_b32 s85, s85, exec_lo
.LBB82_219:                             ;   in Loop: Header=BB82_6 Depth=1
	s_or_b32 exec_lo, exec_lo, s82
	s_mov_b32 s86, 0
                                        ; implicit-def: $vgpr1
                                        ; implicit-def: $vgpr8
	s_and_saveexec_b32 s82, s85
	s_cbranch_execz .LBB82_231
; %bb.220:                              ;   in Loop: Header=BB82_6 Depth=1
	v_dual_mov_b32 v1, 1 :: v_dual_mov_b32 v8, 1
	s_xor_b32 s85, s81, -1
	s_delay_alu instid0(SALU_CYCLE_1)
	s_and_saveexec_b32 s81, s85
	s_cbranch_execz .LBB82_230
; %bb.221:                              ;   in Loop: Header=BB82_6 Depth=1
	s_mov_b32 s85, exec_lo
                                        ; implicit-def: $sgpr86
	v_cmpx_ge_u32_e64 s19, v31
	s_xor_b32 s85, exec_lo, s85
	s_cbranch_execz .LBB82_227
; %bb.222:                              ;   in Loop: Header=BB82_6 Depth=1
	ds_load_b32 v1, v9 offset:4096
	s_waitcnt lgkmcnt(0)
	v_cmp_ne_u32_e32 vcc_lo, 0, v1
	s_cbranch_vccnz .LBB82_226
; %bb.223:                              ;   in Loop: Header=BB82_6 Depth=1
	s_and_saveexec_b32 s86, s5
	s_cbranch_execz .LBB82_225
; %bb.224:                              ;   in Loop: Header=BB82_6 Depth=1
	v_mov_b32_e32 v1, s19
	ds_store_b32 v9, v1 offset:4100
.LBB82_225:                             ;   in Loop: Header=BB82_6 Depth=1
	s_or_b32 exec_lo, exec_lo, s86
	s_waitcnt lgkmcnt(0)
	s_barrier
	buffer_gl0_inv
.LBB82_226:                             ;   in Loop: Header=BB82_6 Depth=1
	v_or_b32_e32 v3, s13, v3
	v_or_b32_e32 v4, s13, v4
	s_mov_b32 s86, 8
.LBB82_227:                             ;   in Loop: Header=BB82_6 Depth=1
	s_or_saveexec_b32 s85, s85
	v_mov_b32_e32 v1, s86
	s_xor_b32 exec_lo, exec_lo, s85
; %bb.228:                              ;   in Loop: Header=BB82_6 Depth=1
	v_subrev_nc_u32_e32 v31, s19, v31
	v_mov_b32_e32 v1, 8
; %bb.229:                              ;   in Loop: Header=BB82_6 Depth=1
	s_or_b32 exec_lo, exec_lo, s85
	s_delay_alu instid0(VALU_DEP_2)
	v_mov_b32_e32 v8, v31
.LBB82_230:                             ;   in Loop: Header=BB82_6 Depth=1
	s_or_b32 exec_lo, exec_lo, s81
	s_delay_alu instid0(SALU_CYCLE_1)
	s_mov_b32 s86, exec_lo
.LBB82_231:                             ;   in Loop: Header=BB82_6 Depth=1
	s_or_b32 exec_lo, exec_lo, s82
	s_delay_alu instid0(VALU_DEP_1)
	v_mov_b32_e32 v31, v8
	s_or_not1_b32 s81, s86, exec_lo
.LBB82_232:                             ;   in Loop: Header=BB82_6 Depth=1
	s_or_b32 exec_lo, exec_lo, s80
	s_delay_alu instid0(SALU_CYCLE_1)
	s_and_not1_b32 s76, s76, exec_lo
	s_and_b32 s11, s11, exec_lo
	v_mov_b32_e32 v32, v31
	s_or_b32 s76, s76, s11
	s_and_not1_b32 s11, s78, exec_lo
	s_and_b32 s78, s84, exec_lo
	s_and_not1_b32 s77, s77, exec_lo
	s_and_b32 s80, s83, exec_lo
	s_or_b32 s78, s11, s78
	s_or_b32 s77, s77, s80
	s_and_b32 s81, s81, exec_lo
.LBB82_233:                             ;   in Loop: Header=BB82_6 Depth=1
	s_or_b32 exec_lo, exec_lo, s79
	s_delay_alu instid0(SALU_CYCLE_1)
	s_and_b32 s79, s76, exec_lo
	s_and_b32 s78, s78, exec_lo
	;; [unrolled: 1-line block ×3, first 2 shown]
	s_or_not1_b32 s11, s81, exec_lo
.LBB82_234:                             ;   in Loop: Header=BB82_6 Depth=1
	s_or_b32 exec_lo, exec_lo, s29
	s_delay_alu instid0(SALU_CYCLE_1)
	s_and_not1_b32 s25, s25, exec_lo
	s_and_b32 s29, s79, exec_lo
	v_mov_b32_e32 v31, v32
	s_or_b32 s25, s25, s29
	s_and_not1_b32 s27, s27, exec_lo
	s_and_b32 s29, s78, exec_lo
	s_and_not1_b32 s26, s26, exec_lo
	s_and_b32 s76, s76, exec_lo
	s_or_b32 s27, s27, s29
	s_or_b32 s26, s26, s76
	s_and_b32 s76, s11, exec_lo
.LBB82_235:                             ;   in Loop: Header=BB82_6 Depth=1
	s_or_b32 exec_lo, exec_lo, s28
	s_delay_alu instid0(SALU_CYCLE_1)
	s_and_b32 s28, s25, exec_lo
	s_and_b32 s27, s27, exec_lo
	;; [unrolled: 1-line block ×3, first 2 shown]
	s_or_not1_b32 s11, s76, exec_lo
.LBB82_236:                             ;   in Loop: Header=BB82_6 Depth=1
	s_or_b32 exec_lo, exec_lo, s20
	s_mov_b32 s20, 0
	s_mov_b32 s26, 0
	s_and_saveexec_b32 s29, s11
	s_delay_alu instid0(SALU_CYCLE_1)
	s_xor_b32 s29, exec_lo, s29
; %bb.237:                              ;   in Loop: Header=BB82_6 Depth=1
	v_cmp_ne_u32_e32 vcc_lo, 8, v1
	v_cmp_eq_u32_e64 s11, 8, v1
	s_and_not1_b32 s28, s28, exec_lo
	s_and_not1_b32 s27, s27, exec_lo
	;; [unrolled: 1-line block ×3, first 2 shown]
	s_and_b32 s26, vcc_lo, exec_lo
	s_and_b32 s20, s11, exec_lo
; %bb.238:                              ;   in Loop: Header=BB82_6 Depth=1
	s_or_b32 exec_lo, exec_lo, s29
	s_delay_alu instid0(SALU_CYCLE_1)
	s_and_not1_b32 s11, s15, exec_lo
	s_and_b32 s15, s28, exec_lo
	s_and_not1_b32 s21, s21, exec_lo
	s_or_b32 s15, s11, s15
	s_and_not1_b32 s11, s22, exec_lo
	s_and_b32 s22, s27, exec_lo
	s_and_b32 s25, s25, exec_lo
	s_or_b32 s22, s11, s22
	s_or_b32 s21, s21, s25
	s_and_b32 s11, s26, exec_lo
	s_and_b32 s20, s20, exec_lo
.LBB82_239:                             ;   in Loop: Header=BB82_6 Depth=1
	s_or_b32 exec_lo, exec_lo, s24
	s_delay_alu instid0(SALU_CYCLE_1)
	s_and_b32 vcc_lo, exec_lo, s23
	s_cbranch_vccz .LBB82_86
.LBB82_240:                             ;   in Loop: Header=BB82_6 Depth=1
	s_cmp_eq_u32 s19, 1
                                        ; implicit-def: $sgpr23
                                        ; implicit-def: $sgpr24
	s_cselect_b32 s15, -1, 0
	s_delay_alu instid0(SALU_CYCLE_1)
	s_and_b32 s22, s15, s10
	s_mov_b32 s10, -1
                                        ; implicit-def: $sgpr15
	s_and_saveexec_b32 s21, s22
	s_cbranch_execz .LBB82_266
; %bb.241:                              ;   in Loop: Header=BB82_6 Depth=1
	ds_load_b32 v1, v9 offset:4096
	s_waitcnt lgkmcnt(0)
	s_barrier
	buffer_gl0_inv
	v_readfirstlane_b32 s15, v1
	s_and_saveexec_b32 s10, s6
	s_cbranch_execz .LBB82_243
; %bb.242:                              ;   in Loop: Header=BB82_6 Depth=1
	ds_store_b32 v20, v9
.LBB82_243:                             ;   in Loop: Header=BB82_6 Depth=1
	s_or_b32 exec_lo, exec_lo, s10
	v_or_b32_e32 v29, s13, v29
	v_or_b32_e32 v28, s13, v28
	s_cmp_eq_u32 s15, 0
	s_waitcnt lgkmcnt(0)
	s_barrier
	buffer_gl0_inv
	s_cbranch_scc1 .LBB82_252
; %bb.244:                              ;   in Loop: Header=BB82_6 Depth=1
	s_add_i32 s10, s15, s53
                                        ; implicit-def: $vgpr15
	s_delay_alu instid0(SALU_CYCLE_1) | instskip(NEXT) | instid1(SALU_CYCLE_1)
	s_mul_hi_u32 s23, s10, s60
	s_mul_i32 s23, s23, s42
	s_delay_alu instid0(SALU_CYCLE_1) | instskip(NEXT) | instid1(SALU_CYCLE_1)
	s_sub_i32 s23, s10, s23
	s_sub_i32 s24, s23, s42
	s_cmp_ge_u32 s23, s42
	s_cselect_b32 s23, s24, s23
	s_delay_alu instid0(SALU_CYCLE_1) | instskip(SKIP_2) | instid1(SALU_CYCLE_1)
	s_sub_i32 s24, s23, s42
	s_cmp_ge_u32 s23, s42
	s_cselect_b32 s23, s24, s23
	s_sub_i32 s24, s10, s23
	s_mov_b32 s10, 0
	s_mov_b32 s23, exec_lo
	v_cmpx_gt_u32_e64 s24, v0
	s_cbranch_execz .LBB82_254
; %bb.245:                              ;   in Loop: Header=BB82_6 Depth=1
	v_dual_mov_b32 v1, v18 :: v_dual_mov_b32 v2, v0
	s_mov_b32 s25, 0
                                        ; implicit-def: $sgpr26
	s_set_inst_prefetch_distance 0x1
	s_branch .LBB82_247
	.p2align	6
.LBB82_246:                             ;   in Loop: Header=BB82_247 Depth=2
	s_or_b32 exec_lo, exec_lo, s10
	s_waitcnt lgkmcnt(0)
	s_barrier
	buffer_gl0_inv
	ds_load_b64 v[14:15], v9 offset:3072
	v_add_nc_u32_e32 v2, s42, v2
	v_add_nc_u32_e32 v1, s50, v1
	s_waitcnt lgkmcnt(0)
	s_barrier
	buffer_gl0_inv
	v_cmp_le_u32_e32 vcc_lo, s24, v2
	v_cmp_neq_f32_e64 s10, 0, v14
	s_delay_alu instid0(VALU_DEP_1) | instskip(NEXT) | instid1(SALU_CYCLE_1)
	s_or_b32 s27, vcc_lo, s10
	s_and_b32 s27, exec_lo, s27
	s_delay_alu instid0(SALU_CYCLE_1) | instskip(SKIP_2) | instid1(SALU_CYCLE_1)
	s_or_b32 s25, s27, s25
	s_and_not1_b32 s26, s26, exec_lo
	s_and_b32 s10, s10, exec_lo
	s_or_b32 s26, s26, s10
	s_and_not1_b32 exec_lo, exec_lo, s25
	s_cbranch_execz .LBB82_253
.LBB82_247:                             ;   Parent Loop BB82_6 Depth=1
                                        ; =>  This Inner Loop Header: Depth=2
	s_delay_alu instid0(VALU_DEP_1)
	v_cmp_gt_u32_e32 vcc_lo, s15, v2
	v_mov_b32_e32 v14, 0
	s_and_saveexec_b32 s10, vcc_lo
	s_cbranch_execz .LBB82_249
; %bb.248:                              ;   in Loop: Header=BB82_247 Depth=2
	ds_load_b32 v14, v1
.LBB82_249:                             ;   in Loop: Header=BB82_247 Depth=2
	s_or_b32 exec_lo, exec_lo, s10
	s_and_saveexec_b32 s10, vcc_lo
	s_cbranch_execz .LBB82_246
; %bb.250:                              ;   in Loop: Header=BB82_247 Depth=2
	s_waitcnt lgkmcnt(0)
	v_cmp_lt_i32_e32 vcc_lo, -1, v14
	v_cndmask_b32_e64 v3, -1, 0x80000000, vcc_lo
	v_cmp_o_f32_e32 vcc_lo, v14, v14
	s_delay_alu instid0(VALU_DEP_2) | instskip(NEXT) | instid1(VALU_DEP_1)
	v_xor_b32_e32 v3, v3, v14
	v_cndmask_b32_e32 v3, -1, v3, vcc_lo
	s_delay_alu instid0(VALU_DEP_1) | instskip(NEXT) | instid1(VALU_DEP_1)
	v_and_b32_e32 v3, v3, v28
	v_cmp_eq_u32_e32 vcc_lo, v3, v29
	s_and_b32 exec_lo, exec_lo, vcc_lo
	s_cbranch_execz .LBB82_246
; %bb.251:                              ;   in Loop: Header=BB82_247 Depth=2
	ds_store_b64 v9, v[13:14] offset:3072
	s_branch .LBB82_246
.LBB82_252:                             ;   in Loop: Header=BB82_6 Depth=1
	s_mov_b32 s23, -1
	s_mov_b32 s10, 0
                                        ; implicit-def: $sgpr24
                                        ; implicit-def: $vgpr15
	s_mov_b32 s15, s23
	s_cbranch_execnz .LBB82_255
	s_branch .LBB82_265
.LBB82_253:                             ;   in Loop: Header=BB82_6 Depth=1
	s_set_inst_prefetch_distance 0x2
	s_or_b32 exec_lo, exec_lo, s25
	s_delay_alu instid0(SALU_CYCLE_1)
	s_and_b32 s10, s26, exec_lo
.LBB82_254:                             ;   in Loop: Header=BB82_6 Depth=1
	s_or_b32 exec_lo, exec_lo, s23
	s_mov_b32 s23, 0
	s_mov_b32 s24, -1
	s_mov_b32 s15, s23
	s_branch .LBB82_265
.LBB82_255:                             ;   in Loop: Header=BB82_6 Depth=1
	s_mov_b32 s10, 0
                                        ; implicit-def: $vgpr15
	s_and_saveexec_b32 s15, s9
	s_cbranch_execz .LBB82_264
; %bb.256:                              ;   in Loop: Header=BB82_6 Depth=1
	v_dual_mov_b32 v8, v7 :: v_dual_mov_b32 v1, v0
	s_mov_b32 s23, 0
                                        ; implicit-def: $sgpr24
	s_set_inst_prefetch_distance 0x1
	s_branch .LBB82_258
	.p2align	6
.LBB82_257:                             ;   in Loop: Header=BB82_258 Depth=2
	s_or_b32 exec_lo, exec_lo, s10
	s_waitcnt vmcnt(0) lgkmcnt(0)
	s_barrier
	buffer_gl0_inv
	ds_load_b64 v[14:15], v9 offset:3072
	v_add_nc_u32_e32 v1, s42, v1
	v_add_nc_u32_e32 v8, s44, v8
	s_waitcnt lgkmcnt(0)
	s_barrier
	buffer_gl0_inv
	v_cmp_le_u32_e32 vcc_lo, s61, v1
	v_cmp_neq_f32_e64 s10, 0, v14
	s_delay_alu instid0(VALU_DEP_1) | instskip(NEXT) | instid1(SALU_CYCLE_1)
	s_or_b32 s25, vcc_lo, s10
	s_and_b32 s25, exec_lo, s25
	s_delay_alu instid0(SALU_CYCLE_1) | instskip(SKIP_2) | instid1(SALU_CYCLE_1)
	s_or_b32 s23, s25, s23
	s_and_not1_b32 s24, s24, exec_lo
	s_and_b32 s10, s10, exec_lo
	s_or_b32 s24, s24, s10
	s_and_not1_b32 exec_lo, exec_lo, s23
	s_cbranch_execz .LBB82_263
.LBB82_258:                             ;   Parent Loop BB82_6 Depth=1
                                        ; =>  This Inner Loop Header: Depth=2
	s_delay_alu instid0(VALU_DEP_1)
	v_cmp_gt_u32_e32 vcc_lo, s36, v1
	v_mov_b32_e32 v14, 0
	s_and_saveexec_b32 s25, vcc_lo
	s_cbranch_execz .LBB82_260
; %bb.259:                              ;   in Loop: Header=BB82_258 Depth=2
	v_lshlrev_b64 v[2:3], 2, v[8:9]
	s_delay_alu instid0(VALU_DEP_1) | instskip(NEXT) | instid1(VALU_DEP_1)
	v_add_co_u32 v2, s10, s31, v2
	v_add_co_ci_u32_e64 v3, s10, s33, v3, s10
	global_load_b32 v14, v[2:3], off
.LBB82_260:                             ;   in Loop: Header=BB82_258 Depth=2
	s_or_b32 exec_lo, exec_lo, s25
	s_and_saveexec_b32 s10, vcc_lo
	s_cbranch_execz .LBB82_257
; %bb.261:                              ;   in Loop: Header=BB82_258 Depth=2
	s_waitcnt vmcnt(0)
	v_cmp_lt_i32_e32 vcc_lo, -1, v14
	v_cndmask_b32_e64 v2, -1, 0x80000000, vcc_lo
	v_cmp_o_f32_e32 vcc_lo, v14, v14
	s_delay_alu instid0(VALU_DEP_2) | instskip(NEXT) | instid1(VALU_DEP_1)
	v_xor_b32_e32 v2, v2, v14
	v_cndmask_b32_e32 v2, -1, v2, vcc_lo
	s_delay_alu instid0(VALU_DEP_1) | instskip(NEXT) | instid1(VALU_DEP_1)
	v_and_b32_e32 v2, v2, v28
	v_cmp_eq_u32_e32 vcc_lo, v2, v29
	s_and_b32 exec_lo, exec_lo, vcc_lo
	s_cbranch_execz .LBB82_257
; %bb.262:                              ;   in Loop: Header=BB82_258 Depth=2
	ds_store_b64 v9, v[13:14] offset:3072
	s_branch .LBB82_257
.LBB82_263:                             ;   in Loop: Header=BB82_6 Depth=1
	s_set_inst_prefetch_distance 0x2
	s_or_b32 exec_lo, exec_lo, s23
	s_delay_alu instid0(SALU_CYCLE_1)
	s_and_b32 s10, s24, exec_lo
.LBB82_264:                             ;   in Loop: Header=BB82_6 Depth=1
	s_or_b32 exec_lo, exec_lo, s15
	s_mov_b32 s24, 0
	s_mov_b32 s23, -1
	s_mov_b32 s15, 0
.LBB82_265:                             ;   in Loop: Header=BB82_6 Depth=1
	s_or_not1_b32 s10, s10, exec_lo
.LBB82_266:                             ;   in Loop: Header=BB82_6 Depth=1
	s_or_b32 exec_lo, exec_lo, s21
                                        ; implicit-def: $vgpr1
                                        ; implicit-def: $vgpr31
                                        ; implicit-def: $vgpr3
                                        ; implicit-def: $vgpr4
                                        ; implicit-def: $vgpr2
	s_and_saveexec_b32 s21, s10
	s_cbranch_execz .LBB82_401
; %bb.267:                              ;   in Loop: Header=BB82_6 Depth=1
	v_mov_b32_e32 v31, 1
	v_mov_b32_e32 v1, 1
	s_xor_b32 s22, s22, -1
	s_mov_b32 s28, 0
	s_and_saveexec_b32 s10, s22
	s_cbranch_execz .LBB82_277
; %bb.268:                              ;   in Loop: Header=BB82_6 Depth=1
	s_mov_b32 s25, exec_lo
                                        ; implicit-def: $sgpr26
                                        ; implicit-def: $sgpr22
	v_cmpx_ge_u32_e64 s19, v30
	s_xor_b32 s25, exec_lo, s25
	s_cbranch_execz .LBB82_274
; %bb.269:                              ;   in Loop: Header=BB82_6 Depth=1
	ds_load_b32 v1, v9 offset:4096
	s_waitcnt lgkmcnt(0)
	v_cmp_ne_u32_e32 vcc_lo, 0, v1
	s_cbranch_vccnz .LBB82_273
; %bb.270:                              ;   in Loop: Header=BB82_6 Depth=1
	s_and_saveexec_b32 s22, s5
	s_cbranch_execz .LBB82_272
; %bb.271:                              ;   in Loop: Header=BB82_6 Depth=1
	v_mov_b32_e32 v1, s19
	ds_store_b32 v9, v1 offset:4100
.LBB82_272:                             ;   in Loop: Header=BB82_6 Depth=1
	s_or_b32 exec_lo, exec_lo, s22
	s_waitcnt lgkmcnt(0)
	s_barrier
	buffer_gl0_inv
.LBB82_273:                             ;   in Loop: Header=BB82_6 Depth=1
	v_or_b32_e32 v29, s13, v29
	v_or_b32_e32 v28, s13, v28
	s_mov_b32 s22, 0
	s_mov_b32 s26, 5
.LBB82_274:                             ;   in Loop: Header=BB82_6 Depth=1
	s_or_saveexec_b32 s25, s25
	v_mov_b32_e32 v1, s26
	s_xor_b32 exec_lo, exec_lo, s25
; %bb.275:                              ;   in Loop: Header=BB82_6 Depth=1
	v_subrev_nc_u32_e32 v30, s19, v30
	v_mov_b32_e32 v1, 0
	s_or_b32 s22, s22, exec_lo
; %bb.276:                              ;   in Loop: Header=BB82_6 Depth=1
	s_or_b32 exec_lo, exec_lo, s25
	s_delay_alu instid0(VALU_DEP_2)
	v_mov_b32_e32 v31, v30
	s_and_b32 s28, s22, exec_lo
.LBB82_277:                             ;   in Loop: Header=BB82_6 Depth=1
	s_or_b32 exec_lo, exec_lo, s10
	s_mov_b32 s26, -1
                                        ; implicit-def: $sgpr22
                                        ; implicit-def: $sgpr25
                                        ; implicit-def: $sgpr27
	s_and_saveexec_b32 s10, s28
	s_delay_alu instid0(SALU_CYCLE_1)
	s_xor_b32 s19, exec_lo, s10
	s_cbranch_execz .LBB82_398
; %bb.278:                              ;   in Loop: Header=BB82_6 Depth=1
	v_cmp_eq_u32_e32 vcc_lo, 1, v31
	s_cmp_eq_u32 s18, 1
                                        ; implicit-def: $sgpr22
                                        ; implicit-def: $sgpr25
                                        ; implicit-def: $sgpr26
	s_cselect_b32 s10, -1, 0
	s_delay_alu instid0(SALU_CYCLE_1)
	s_and_b32 s28, s10, vcc_lo
	s_mov_b32 s10, -1
	s_and_saveexec_b32 s27, s28
	s_cbranch_execz .LBB82_304
; %bb.279:                              ;   in Loop: Header=BB82_6 Depth=1
	ds_load_b32 v1, v9 offset:4096
	s_waitcnt lgkmcnt(0)
	s_barrier
	buffer_gl0_inv
	v_readfirstlane_b32 s22, v1
	s_and_saveexec_b32 s10, s6
	s_cbranch_execz .LBB82_281
; %bb.280:                              ;   in Loop: Header=BB82_6 Depth=1
	ds_store_b32 v20, v9
.LBB82_281:                             ;   in Loop: Header=BB82_6 Depth=1
	s_or_b32 exec_lo, exec_lo, s10
	s_lshl_b32 s10, 2, s17
	v_or_b32_e32 v28, s13, v28
	v_and_or_b32 v29, v29, s14, s10
	s_cmp_eq_u32 s22, 0
	s_waitcnt lgkmcnt(0)
	s_barrier
	buffer_gl0_inv
	s_cbranch_scc1 .LBB82_290
; %bb.282:                              ;   in Loop: Header=BB82_6 Depth=1
	s_add_i32 s10, s22, s53
                                        ; implicit-def: $vgpr15
	s_delay_alu instid0(SALU_CYCLE_1) | instskip(NEXT) | instid1(SALU_CYCLE_1)
	s_mul_hi_u32 s25, s10, s60
	s_mul_i32 s25, s25, s42
	s_delay_alu instid0(SALU_CYCLE_1) | instskip(NEXT) | instid1(SALU_CYCLE_1)
	s_sub_i32 s25, s10, s25
	s_sub_i32 s26, s25, s42
	s_cmp_ge_u32 s25, s42
	s_cselect_b32 s25, s26, s25
	s_delay_alu instid0(SALU_CYCLE_1) | instskip(SKIP_2) | instid1(SALU_CYCLE_1)
	s_sub_i32 s26, s25, s42
	s_cmp_ge_u32 s25, s42
	s_cselect_b32 s25, s26, s25
	s_sub_i32 s26, s10, s25
	s_mov_b32 s10, 0
	s_mov_b32 s25, exec_lo
	v_cmpx_gt_u32_e64 s26, v0
	s_cbranch_execz .LBB82_292
; %bb.283:                              ;   in Loop: Header=BB82_6 Depth=1
	v_dual_mov_b32 v1, v18 :: v_dual_mov_b32 v2, v0
	s_mov_b32 s29, 0
                                        ; implicit-def: $sgpr76
	s_set_inst_prefetch_distance 0x1
	s_branch .LBB82_285
	.p2align	6
.LBB82_284:                             ;   in Loop: Header=BB82_285 Depth=2
	s_or_b32 exec_lo, exec_lo, s10
	s_waitcnt lgkmcnt(0)
	s_barrier
	buffer_gl0_inv
	ds_load_b64 v[14:15], v9 offset:3072
	v_add_nc_u32_e32 v2, s42, v2
	v_add_nc_u32_e32 v1, s50, v1
	s_waitcnt lgkmcnt(0)
	s_barrier
	buffer_gl0_inv
	v_cmp_le_u32_e32 vcc_lo, s26, v2
	v_cmp_neq_f32_e64 s10, 0, v14
	s_delay_alu instid0(VALU_DEP_1) | instskip(NEXT) | instid1(SALU_CYCLE_1)
	s_or_b32 s77, vcc_lo, s10
	s_and_b32 s77, exec_lo, s77
	s_delay_alu instid0(SALU_CYCLE_1) | instskip(SKIP_2) | instid1(SALU_CYCLE_1)
	s_or_b32 s29, s77, s29
	s_and_not1_b32 s76, s76, exec_lo
	s_and_b32 s10, s10, exec_lo
	s_or_b32 s76, s76, s10
	s_and_not1_b32 exec_lo, exec_lo, s29
	s_cbranch_execz .LBB82_291
.LBB82_285:                             ;   Parent Loop BB82_6 Depth=1
                                        ; =>  This Inner Loop Header: Depth=2
	s_delay_alu instid0(VALU_DEP_1)
	v_cmp_gt_u32_e32 vcc_lo, s22, v2
	v_mov_b32_e32 v14, 0
	s_and_saveexec_b32 s10, vcc_lo
	s_cbranch_execz .LBB82_287
; %bb.286:                              ;   in Loop: Header=BB82_285 Depth=2
	ds_load_b32 v14, v1
.LBB82_287:                             ;   in Loop: Header=BB82_285 Depth=2
	s_or_b32 exec_lo, exec_lo, s10
	s_and_saveexec_b32 s10, vcc_lo
	s_cbranch_execz .LBB82_284
; %bb.288:                              ;   in Loop: Header=BB82_285 Depth=2
	s_waitcnt lgkmcnt(0)
	v_cmp_lt_i32_e32 vcc_lo, -1, v14
	v_cndmask_b32_e64 v3, -1, 0x80000000, vcc_lo
	v_cmp_o_f32_e32 vcc_lo, v14, v14
	s_delay_alu instid0(VALU_DEP_2) | instskip(NEXT) | instid1(VALU_DEP_1)
	v_xor_b32_e32 v3, v3, v14
	v_cndmask_b32_e32 v3, -1, v3, vcc_lo
	s_delay_alu instid0(VALU_DEP_1) | instskip(NEXT) | instid1(VALU_DEP_1)
	v_and_b32_e32 v3, v3, v28
	v_cmp_eq_u32_e32 vcc_lo, v3, v29
	s_and_b32 exec_lo, exec_lo, vcc_lo
	s_cbranch_execz .LBB82_284
; %bb.289:                              ;   in Loop: Header=BB82_285 Depth=2
	ds_store_b64 v9, v[13:14] offset:3072
	s_branch .LBB82_284
.LBB82_290:                             ;   in Loop: Header=BB82_6 Depth=1
	s_mov_b32 s22, -1
	s_mov_b32 s10, 0
                                        ; implicit-def: $sgpr25
                                        ; implicit-def: $vgpr15
	s_mov_b32 s26, s22
	s_cbranch_execnz .LBB82_293
	s_branch .LBB82_303
.LBB82_291:                             ;   in Loop: Header=BB82_6 Depth=1
	s_set_inst_prefetch_distance 0x2
	s_or_b32 exec_lo, exec_lo, s29
	s_delay_alu instid0(SALU_CYCLE_1)
	s_and_b32 s10, s76, exec_lo
.LBB82_292:                             ;   in Loop: Header=BB82_6 Depth=1
	s_or_b32 exec_lo, exec_lo, s25
	s_mov_b32 s22, 0
	s_mov_b32 s25, -1
	s_mov_b32 s26, s22
	s_branch .LBB82_303
.LBB82_293:                             ;   in Loop: Header=BB82_6 Depth=1
	s_mov_b32 s10, 0
                                        ; implicit-def: $vgpr15
	s_and_saveexec_b32 s22, s9
	s_cbranch_execz .LBB82_302
; %bb.294:                              ;   in Loop: Header=BB82_6 Depth=1
	v_dual_mov_b32 v8, v7 :: v_dual_mov_b32 v1, v0
	s_mov_b32 s25, 0
                                        ; implicit-def: $sgpr26
	s_set_inst_prefetch_distance 0x1
	s_branch .LBB82_296
	.p2align	6
.LBB82_295:                             ;   in Loop: Header=BB82_296 Depth=2
	s_or_b32 exec_lo, exec_lo, s10
	s_waitcnt vmcnt(0) lgkmcnt(0)
	s_barrier
	buffer_gl0_inv
	ds_load_b64 v[14:15], v9 offset:3072
	v_add_nc_u32_e32 v1, s42, v1
	v_add_nc_u32_e32 v8, s44, v8
	s_waitcnt lgkmcnt(0)
	s_barrier
	buffer_gl0_inv
	v_cmp_le_u32_e32 vcc_lo, s61, v1
	v_cmp_neq_f32_e64 s10, 0, v14
	s_delay_alu instid0(VALU_DEP_1) | instskip(NEXT) | instid1(SALU_CYCLE_1)
	s_or_b32 s29, vcc_lo, s10
	s_and_b32 s29, exec_lo, s29
	s_delay_alu instid0(SALU_CYCLE_1) | instskip(SKIP_2) | instid1(SALU_CYCLE_1)
	s_or_b32 s25, s29, s25
	s_and_not1_b32 s26, s26, exec_lo
	s_and_b32 s10, s10, exec_lo
	s_or_b32 s26, s26, s10
	s_and_not1_b32 exec_lo, exec_lo, s25
	s_cbranch_execz .LBB82_301
.LBB82_296:                             ;   Parent Loop BB82_6 Depth=1
                                        ; =>  This Inner Loop Header: Depth=2
	s_delay_alu instid0(VALU_DEP_1)
	v_cmp_gt_u32_e32 vcc_lo, s36, v1
	v_mov_b32_e32 v14, 0
	s_and_saveexec_b32 s29, vcc_lo
	s_cbranch_execz .LBB82_298
; %bb.297:                              ;   in Loop: Header=BB82_296 Depth=2
	v_lshlrev_b64 v[2:3], 2, v[8:9]
	s_delay_alu instid0(VALU_DEP_1) | instskip(NEXT) | instid1(VALU_DEP_1)
	v_add_co_u32 v2, s10, s31, v2
	v_add_co_ci_u32_e64 v3, s10, s33, v3, s10
	global_load_b32 v14, v[2:3], off
.LBB82_298:                             ;   in Loop: Header=BB82_296 Depth=2
	s_or_b32 exec_lo, exec_lo, s29
	s_and_saveexec_b32 s10, vcc_lo
	s_cbranch_execz .LBB82_295
; %bb.299:                              ;   in Loop: Header=BB82_296 Depth=2
	s_waitcnt vmcnt(0)
	v_cmp_lt_i32_e32 vcc_lo, -1, v14
	v_cndmask_b32_e64 v2, -1, 0x80000000, vcc_lo
	v_cmp_o_f32_e32 vcc_lo, v14, v14
	s_delay_alu instid0(VALU_DEP_2) | instskip(NEXT) | instid1(VALU_DEP_1)
	v_xor_b32_e32 v2, v2, v14
	v_cndmask_b32_e32 v2, -1, v2, vcc_lo
	s_delay_alu instid0(VALU_DEP_1) | instskip(NEXT) | instid1(VALU_DEP_1)
	v_and_b32_e32 v2, v2, v28
	v_cmp_eq_u32_e32 vcc_lo, v2, v29
	s_and_b32 exec_lo, exec_lo, vcc_lo
	s_cbranch_execz .LBB82_295
; %bb.300:                              ;   in Loop: Header=BB82_296 Depth=2
	ds_store_b64 v9, v[13:14] offset:3072
	s_branch .LBB82_295
.LBB82_301:                             ;   in Loop: Header=BB82_6 Depth=1
	s_set_inst_prefetch_distance 0x2
	s_or_b32 exec_lo, exec_lo, s25
	s_delay_alu instid0(SALU_CYCLE_1)
	s_and_b32 s10, s26, exec_lo
.LBB82_302:                             ;   in Loop: Header=BB82_6 Depth=1
	s_or_b32 exec_lo, exec_lo, s22
	s_mov_b32 s25, 0
	s_mov_b32 s22, -1
	s_mov_b32 s26, 0
.LBB82_303:                             ;   in Loop: Header=BB82_6 Depth=1
	s_or_not1_b32 s10, s10, exec_lo
.LBB82_304:                             ;   in Loop: Header=BB82_6 Depth=1
	s_or_b32 exec_lo, exec_lo, s27
	s_mov_b32 s29, 0
                                        ; implicit-def: $vgpr1
	s_and_saveexec_b32 s27, s10
	s_cbranch_execz .LBB82_397
; %bb.305:                              ;   in Loop: Header=BB82_6 Depth=1
	v_dual_mov_b32 v2, 1 :: v_dual_mov_b32 v1, 1
	s_xor_b32 s28, s28, -1
	s_mov_b32 s76, 0
	s_and_saveexec_b32 s10, s28
	s_cbranch_execz .LBB82_315
; %bb.306:                              ;   in Loop: Header=BB82_6 Depth=1
	s_mov_b32 s29, exec_lo
                                        ; implicit-def: $sgpr76
                                        ; implicit-def: $sgpr28
	v_cmpx_ge_u32_e64 s18, v31
	s_xor_b32 s29, exec_lo, s29
	s_cbranch_execz .LBB82_312
; %bb.307:                              ;   in Loop: Header=BB82_6 Depth=1
	ds_load_b32 v1, v9 offset:4096
	s_waitcnt lgkmcnt(0)
	v_cmp_ne_u32_e32 vcc_lo, 0, v1
	s_cbranch_vccnz .LBB82_311
; %bb.308:                              ;   in Loop: Header=BB82_6 Depth=1
	s_and_saveexec_b32 s28, s5
	s_cbranch_execz .LBB82_310
; %bb.309:                              ;   in Loop: Header=BB82_6 Depth=1
	v_mov_b32_e32 v1, s18
	ds_store_b32 v9, v1 offset:4100
.LBB82_310:                             ;   in Loop: Header=BB82_6 Depth=1
	s_or_b32 exec_lo, exec_lo, s28
	s_waitcnt lgkmcnt(0)
	s_barrier
	buffer_gl0_inv
.LBB82_311:                             ;   in Loop: Header=BB82_6 Depth=1
	s_lshl_b32 s28, 2, s17
	v_or_b32_e32 v28, s13, v28
	v_and_or_b32 v29, v29, s14, s28
	s_mov_b32 s28, 0
	s_mov_b32 s76, 5
.LBB82_312:                             ;   in Loop: Header=BB82_6 Depth=1
	s_or_saveexec_b32 s29, s29
	v_mov_b32_e32 v1, s76
	s_xor_b32 exec_lo, exec_lo, s29
; %bb.313:                              ;   in Loop: Header=BB82_6 Depth=1
	v_subrev_nc_u32_e32 v31, s18, v31
	v_mov_b32_e32 v1, 0
	s_or_b32 s28, s28, exec_lo
; %bb.314:                              ;   in Loop: Header=BB82_6 Depth=1
	s_or_b32 exec_lo, exec_lo, s29
	s_delay_alu instid0(VALU_DEP_2)
	v_mov_b32_e32 v2, v31
	s_and_b32 s76, s28, exec_lo
.LBB82_315:                             ;   in Loop: Header=BB82_6 Depth=1
	s_or_b32 exec_lo, exec_lo, s10
	s_mov_b32 s10, -1
                                        ; implicit-def: $sgpr28
                                        ; implicit-def: $sgpr29
                                        ; implicit-def: $sgpr77
	s_and_saveexec_b32 s18, s76
	s_cbranch_execz .LBB82_396
; %bb.316:                              ;   in Loop: Header=BB82_6 Depth=1
	v_cmp_eq_u32_e32 vcc_lo, 1, v2
	s_cmp_eq_u32 s16, 1
                                        ; implicit-def: $sgpr28
                                        ; implicit-def: $sgpr29
                                        ; implicit-def: $sgpr76
	s_cselect_b32 s10, -1, 0
	s_delay_alu instid0(SALU_CYCLE_1)
	s_and_b32 s78, s10, vcc_lo
	s_mov_b32 s10, -1
	s_and_saveexec_b32 s77, s78
	s_cbranch_execz .LBB82_342
; %bb.317:                              ;   in Loop: Header=BB82_6 Depth=1
	ds_load_b32 v1, v9 offset:4096
	s_waitcnt lgkmcnt(0)
	s_barrier
	buffer_gl0_inv
	v_readfirstlane_b32 s28, v1
	s_and_saveexec_b32 s10, s6
	s_cbranch_execz .LBB82_319
; %bb.318:                              ;   in Loop: Header=BB82_6 Depth=1
	ds_store_b32 v20, v9
.LBB82_319:                             ;   in Loop: Header=BB82_6 Depth=1
	s_or_b32 exec_lo, exec_lo, s10
	s_lshl_b32 s10, 1, s17
	v_or_b32_e32 v28, s13, v28
	v_and_or_b32 v29, v29, s14, s10
	s_cmp_eq_u32 s28, 0
	s_waitcnt lgkmcnt(0)
	s_barrier
	buffer_gl0_inv
	s_cbranch_scc1 .LBB82_328
; %bb.320:                              ;   in Loop: Header=BB82_6 Depth=1
	s_add_i32 s10, s28, s53
                                        ; implicit-def: $vgpr15
	s_delay_alu instid0(SALU_CYCLE_1) | instskip(NEXT) | instid1(SALU_CYCLE_1)
	s_mul_hi_u32 s29, s10, s60
	s_mul_i32 s29, s29, s42
	s_delay_alu instid0(SALU_CYCLE_1) | instskip(NEXT) | instid1(SALU_CYCLE_1)
	s_sub_i32 s29, s10, s29
	s_sub_i32 s76, s29, s42
	s_cmp_ge_u32 s29, s42
	s_cselect_b32 s29, s76, s29
	s_delay_alu instid0(SALU_CYCLE_1) | instskip(SKIP_2) | instid1(SALU_CYCLE_1)
	s_sub_i32 s76, s29, s42
	s_cmp_ge_u32 s29, s42
	s_cselect_b32 s29, s76, s29
	s_sub_i32 s76, s10, s29
	s_mov_b32 s10, 0
	s_mov_b32 s29, exec_lo
	v_cmpx_gt_u32_e64 s76, v0
	s_cbranch_execz .LBB82_330
; %bb.321:                              ;   in Loop: Header=BB82_6 Depth=1
	v_mov_b32_e32 v1, v18
	v_mov_b32_e32 v3, v0
	s_mov_b32 s79, 0
                                        ; implicit-def: $sgpr80
	s_set_inst_prefetch_distance 0x1
	s_branch .LBB82_323
	.p2align	6
.LBB82_322:                             ;   in Loop: Header=BB82_323 Depth=2
	s_or_b32 exec_lo, exec_lo, s10
	s_waitcnt lgkmcnt(0)
	s_barrier
	buffer_gl0_inv
	ds_load_b64 v[14:15], v9 offset:3072
	v_add_nc_u32_e32 v3, s42, v3
	v_add_nc_u32_e32 v1, s50, v1
	s_waitcnt lgkmcnt(0)
	s_barrier
	buffer_gl0_inv
	v_cmp_le_u32_e32 vcc_lo, s76, v3
	v_cmp_neq_f32_e64 s10, 0, v14
	s_delay_alu instid0(VALU_DEP_1) | instskip(NEXT) | instid1(SALU_CYCLE_1)
	s_or_b32 s81, vcc_lo, s10
	s_and_b32 s81, exec_lo, s81
	s_delay_alu instid0(SALU_CYCLE_1) | instskip(SKIP_2) | instid1(SALU_CYCLE_1)
	s_or_b32 s79, s81, s79
	s_and_not1_b32 s80, s80, exec_lo
	s_and_b32 s10, s10, exec_lo
	s_or_b32 s80, s80, s10
	s_and_not1_b32 exec_lo, exec_lo, s79
	s_cbranch_execz .LBB82_329
.LBB82_323:                             ;   Parent Loop BB82_6 Depth=1
                                        ; =>  This Inner Loop Header: Depth=2
	s_delay_alu instid0(VALU_DEP_1)
	v_cmp_gt_u32_e32 vcc_lo, s28, v3
	v_mov_b32_e32 v14, 0
	s_and_saveexec_b32 s10, vcc_lo
	s_cbranch_execz .LBB82_325
; %bb.324:                              ;   in Loop: Header=BB82_323 Depth=2
	ds_load_b32 v14, v1
.LBB82_325:                             ;   in Loop: Header=BB82_323 Depth=2
	s_or_b32 exec_lo, exec_lo, s10
	s_and_saveexec_b32 s10, vcc_lo
	s_cbranch_execz .LBB82_322
; %bb.326:                              ;   in Loop: Header=BB82_323 Depth=2
	s_waitcnt lgkmcnt(0)
	v_cmp_lt_i32_e32 vcc_lo, -1, v14
	v_cndmask_b32_e64 v4, -1, 0x80000000, vcc_lo
	v_cmp_o_f32_e32 vcc_lo, v14, v14
	s_delay_alu instid0(VALU_DEP_2) | instskip(NEXT) | instid1(VALU_DEP_1)
	v_xor_b32_e32 v4, v4, v14
	v_cndmask_b32_e32 v4, -1, v4, vcc_lo
	s_delay_alu instid0(VALU_DEP_1) | instskip(NEXT) | instid1(VALU_DEP_1)
	v_and_b32_e32 v4, v4, v28
	v_cmp_eq_u32_e32 vcc_lo, v4, v29
	s_and_b32 exec_lo, exec_lo, vcc_lo
	s_cbranch_execz .LBB82_322
; %bb.327:                              ;   in Loop: Header=BB82_323 Depth=2
	ds_store_b64 v9, v[13:14] offset:3072
	s_branch .LBB82_322
.LBB82_328:                             ;   in Loop: Header=BB82_6 Depth=1
	s_mov_b32 s28, -1
	s_mov_b32 s10, 0
                                        ; implicit-def: $sgpr29
                                        ; implicit-def: $vgpr15
	s_mov_b32 s76, s28
	s_cbranch_execnz .LBB82_331
	s_branch .LBB82_341
.LBB82_329:                             ;   in Loop: Header=BB82_6 Depth=1
	s_set_inst_prefetch_distance 0x2
	s_or_b32 exec_lo, exec_lo, s79
	s_delay_alu instid0(SALU_CYCLE_1)
	s_and_b32 s10, s80, exec_lo
.LBB82_330:                             ;   in Loop: Header=BB82_6 Depth=1
	s_or_b32 exec_lo, exec_lo, s29
	s_mov_b32 s28, 0
	s_mov_b32 s29, -1
	s_mov_b32 s76, s28
	s_branch .LBB82_341
.LBB82_331:                             ;   in Loop: Header=BB82_6 Depth=1
	s_mov_b32 s10, 0
                                        ; implicit-def: $vgpr15
	s_and_saveexec_b32 s28, s9
	s_cbranch_execz .LBB82_340
; %bb.332:                              ;   in Loop: Header=BB82_6 Depth=1
	v_dual_mov_b32 v8, v7 :: v_dual_mov_b32 v1, v0
	s_mov_b32 s29, 0
                                        ; implicit-def: $sgpr76
	s_set_inst_prefetch_distance 0x1
	s_branch .LBB82_334
	.p2align	6
.LBB82_333:                             ;   in Loop: Header=BB82_334 Depth=2
	s_or_b32 exec_lo, exec_lo, s10
	s_waitcnt vmcnt(0) lgkmcnt(0)
	s_barrier
	buffer_gl0_inv
	ds_load_b64 v[14:15], v9 offset:3072
	v_add_nc_u32_e32 v1, s42, v1
	v_add_nc_u32_e32 v8, s44, v8
	s_waitcnt lgkmcnt(0)
	s_barrier
	buffer_gl0_inv
	v_cmp_le_u32_e32 vcc_lo, s61, v1
	v_cmp_neq_f32_e64 s10, 0, v14
	s_delay_alu instid0(VALU_DEP_1) | instskip(NEXT) | instid1(SALU_CYCLE_1)
	s_or_b32 s79, vcc_lo, s10
	s_and_b32 s79, exec_lo, s79
	s_delay_alu instid0(SALU_CYCLE_1) | instskip(SKIP_2) | instid1(SALU_CYCLE_1)
	s_or_b32 s29, s79, s29
	s_and_not1_b32 s76, s76, exec_lo
	s_and_b32 s10, s10, exec_lo
	s_or_b32 s76, s76, s10
	s_and_not1_b32 exec_lo, exec_lo, s29
	s_cbranch_execz .LBB82_339
.LBB82_334:                             ;   Parent Loop BB82_6 Depth=1
                                        ; =>  This Inner Loop Header: Depth=2
	s_delay_alu instid0(VALU_DEP_1)
	v_cmp_gt_u32_e32 vcc_lo, s36, v1
	v_mov_b32_e32 v14, 0
	s_and_saveexec_b32 s79, vcc_lo
	s_cbranch_execz .LBB82_336
; %bb.335:                              ;   in Loop: Header=BB82_334 Depth=2
	v_lshlrev_b64 v[3:4], 2, v[8:9]
	s_delay_alu instid0(VALU_DEP_1) | instskip(NEXT) | instid1(VALU_DEP_1)
	v_add_co_u32 v3, s10, s31, v3
	v_add_co_ci_u32_e64 v4, s10, s33, v4, s10
	global_load_b32 v14, v[3:4], off
.LBB82_336:                             ;   in Loop: Header=BB82_334 Depth=2
	s_or_b32 exec_lo, exec_lo, s79
	s_and_saveexec_b32 s10, vcc_lo
	s_cbranch_execz .LBB82_333
; %bb.337:                              ;   in Loop: Header=BB82_334 Depth=2
	s_waitcnt vmcnt(0)
	v_cmp_lt_i32_e32 vcc_lo, -1, v14
	v_cndmask_b32_e64 v3, -1, 0x80000000, vcc_lo
	v_cmp_o_f32_e32 vcc_lo, v14, v14
	s_delay_alu instid0(VALU_DEP_2) | instskip(NEXT) | instid1(VALU_DEP_1)
	v_xor_b32_e32 v3, v3, v14
	v_cndmask_b32_e32 v3, -1, v3, vcc_lo
	s_delay_alu instid0(VALU_DEP_1) | instskip(NEXT) | instid1(VALU_DEP_1)
	v_and_b32_e32 v3, v3, v28
	v_cmp_eq_u32_e32 vcc_lo, v3, v29
	s_and_b32 exec_lo, exec_lo, vcc_lo
	s_cbranch_execz .LBB82_333
; %bb.338:                              ;   in Loop: Header=BB82_334 Depth=2
	ds_store_b64 v9, v[13:14] offset:3072
	s_branch .LBB82_333
.LBB82_339:                             ;   in Loop: Header=BB82_6 Depth=1
	s_set_inst_prefetch_distance 0x2
	s_or_b32 exec_lo, exec_lo, s29
	s_delay_alu instid0(SALU_CYCLE_1)
	s_and_b32 s10, s76, exec_lo
.LBB82_340:                             ;   in Loop: Header=BB82_6 Depth=1
	s_or_b32 exec_lo, exec_lo, s28
	s_mov_b32 s29, 0
	s_mov_b32 s28, -1
	s_mov_b32 s76, 0
.LBB82_341:                             ;   in Loop: Header=BB82_6 Depth=1
	s_or_not1_b32 s10, s10, exec_lo
.LBB82_342:                             ;   in Loop: Header=BB82_6 Depth=1
	s_or_b32 exec_lo, exec_lo, s77
	s_mov_b32 s79, 0
                                        ; implicit-def: $vgpr1
	s_and_saveexec_b32 s77, s10
	s_cbranch_execz .LBB82_395
; %bb.343:                              ;   in Loop: Header=BB82_6 Depth=1
	v_mov_b32_e32 v3, 1
	v_mov_b32_e32 v1, 1
	s_xor_b32 s79, s78, -1
	s_mov_b32 s78, 0
	s_and_saveexec_b32 s10, s79
	s_cbranch_execz .LBB82_353
; %bb.344:                              ;   in Loop: Header=BB82_6 Depth=1
	s_mov_b32 s79, exec_lo
                                        ; implicit-def: $sgpr80
                                        ; implicit-def: $sgpr78
	v_cmpx_ge_u32_e64 s16, v2
	s_xor_b32 s79, exec_lo, s79
	s_cbranch_execz .LBB82_350
; %bb.345:                              ;   in Loop: Header=BB82_6 Depth=1
	ds_load_b32 v1, v9 offset:4096
	s_waitcnt lgkmcnt(0)
	v_cmp_ne_u32_e32 vcc_lo, 0, v1
	s_cbranch_vccnz .LBB82_349
; %bb.346:                              ;   in Loop: Header=BB82_6 Depth=1
	s_and_saveexec_b32 s78, s5
	s_cbranch_execz .LBB82_348
; %bb.347:                              ;   in Loop: Header=BB82_6 Depth=1
	v_mov_b32_e32 v1, s16
	ds_store_b32 v9, v1 offset:4100
.LBB82_348:                             ;   in Loop: Header=BB82_6 Depth=1
	s_or_b32 exec_lo, exec_lo, s78
	s_waitcnt lgkmcnt(0)
	s_barrier
	buffer_gl0_inv
.LBB82_349:                             ;   in Loop: Header=BB82_6 Depth=1
	s_lshl_b32 s17, 1, s17
	v_or_b32_e32 v28, s13, v28
	v_and_or_b32 v29, v29, s14, s17
	s_mov_b32 s78, 0
	s_mov_b32 s80, 5
.LBB82_350:                             ;   in Loop: Header=BB82_6 Depth=1
	s_or_saveexec_b32 s17, s79
	v_mov_b32_e32 v1, s80
	s_xor_b32 exec_lo, exec_lo, s17
; %bb.351:                              ;   in Loop: Header=BB82_6 Depth=1
	v_subrev_nc_u32_e32 v2, s16, v2
	v_mov_b32_e32 v1, 0
	s_or_b32 s78, s78, exec_lo
; %bb.352:                              ;   in Loop: Header=BB82_6 Depth=1
	s_or_b32 exec_lo, exec_lo, s17
	s_delay_alu instid0(VALU_DEP_2)
	v_mov_b32_e32 v3, v2
	s_and_b32 s78, s78, exec_lo
.LBB82_353:                             ;   in Loop: Header=BB82_6 Depth=1
	s_or_b32 exec_lo, exec_lo, s10
	s_mov_b32 s17, -1
                                        ; implicit-def: $sgpr10
                                        ; implicit-def: $sgpr79
                                        ; implicit-def: $sgpr80
	s_and_saveexec_b32 s16, s78
	s_cbranch_execz .LBB82_394
; %bb.354:                              ;   in Loop: Header=BB82_6 Depth=1
	v_cmp_eq_u32_e32 vcc_lo, 1, v3
	s_cmp_eq_u32 s12, 1
	s_mov_b32 s81, -1
	s_cselect_b32 s10, -1, 0
                                        ; implicit-def: $sgpr79
                                        ; implicit-def: $sgpr80
	s_delay_alu instid0(SALU_CYCLE_1) | instskip(NEXT) | instid1(SALU_CYCLE_1)
	s_and_b32 s17, s10, vcc_lo
                                        ; implicit-def: $sgpr10
	s_and_saveexec_b32 s78, s17
	s_cbranch_execz .LBB82_381
; %bb.355:                              ;   in Loop: Header=BB82_6 Depth=1
	ds_load_b32 v1, v9 offset:4096
	s_waitcnt lgkmcnt(0)
	s_barrier
	buffer_gl0_inv
	v_readfirstlane_b32 s79, v1
	s_and_saveexec_b32 s10, s6
	s_cbranch_execz .LBB82_357
; %bb.356:                              ;   in Loop: Header=BB82_6 Depth=1
	ds_store_b32 v20, v9
.LBB82_357:                             ;   in Loop: Header=BB82_6 Depth=1
	s_or_b32 exec_lo, exec_lo, s10
	v_and_b32_e32 v29, s14, v29
	v_or_b32_e32 v28, s13, v28
	s_cmp_eq_u32 s79, 0
	s_waitcnt lgkmcnt(0)
	s_barrier
	buffer_gl0_inv
	s_cbranch_scc1 .LBB82_366
; %bb.358:                              ;   in Loop: Header=BB82_6 Depth=1
	s_add_i32 s10, s79, s53
                                        ; implicit-def: $vgpr15
	s_delay_alu instid0(SALU_CYCLE_1) | instskip(NEXT) | instid1(SALU_CYCLE_1)
	s_mul_hi_u32 s80, s10, s60
	s_mul_i32 s80, s80, s42
	s_delay_alu instid0(SALU_CYCLE_1) | instskip(NEXT) | instid1(SALU_CYCLE_1)
	s_sub_i32 s80, s10, s80
	s_sub_i32 s81, s80, s42
	s_cmp_ge_u32 s80, s42
	s_cselect_b32 s80, s81, s80
	s_delay_alu instid0(SALU_CYCLE_1)
	s_sub_i32 s81, s80, s42
	s_cmp_ge_u32 s80, s42
	s_cselect_b32 s80, s81, s80
	s_mov_b32 s81, 0
	s_sub_i32 s82, s10, s80
	s_mov_b32 s80, exec_lo
	v_cmpx_gt_u32_e64 s82, v0
	s_cbranch_execz .LBB82_368
; %bb.359:                              ;   in Loop: Header=BB82_6 Depth=1
	v_dual_mov_b32 v1, v18 :: v_dual_mov_b32 v2, v0
                                        ; implicit-def: $sgpr83
	s_set_inst_prefetch_distance 0x1
	s_branch .LBB82_361
	.p2align	6
.LBB82_360:                             ;   in Loop: Header=BB82_361 Depth=2
	s_or_b32 exec_lo, exec_lo, s10
	s_waitcnt lgkmcnt(0)
	s_barrier
	buffer_gl0_inv
	ds_load_b64 v[14:15], v9 offset:3072
	v_add_nc_u32_e32 v2, s42, v2
	v_add_nc_u32_e32 v1, s50, v1
	s_waitcnt lgkmcnt(0)
	s_barrier
	buffer_gl0_inv
	v_cmp_le_u32_e32 vcc_lo, s82, v2
	v_cmp_neq_f32_e64 s10, 0, v14
	s_delay_alu instid0(VALU_DEP_1) | instskip(NEXT) | instid1(SALU_CYCLE_1)
	s_or_b32 s84, vcc_lo, s10
	s_and_b32 s84, exec_lo, s84
	s_delay_alu instid0(SALU_CYCLE_1) | instskip(SKIP_2) | instid1(SALU_CYCLE_1)
	s_or_b32 s81, s84, s81
	s_and_not1_b32 s83, s83, exec_lo
	s_and_b32 s10, s10, exec_lo
	s_or_b32 s83, s83, s10
	s_and_not1_b32 exec_lo, exec_lo, s81
	s_cbranch_execz .LBB82_367
.LBB82_361:                             ;   Parent Loop BB82_6 Depth=1
                                        ; =>  This Inner Loop Header: Depth=2
	s_delay_alu instid0(VALU_DEP_1)
	v_cmp_gt_u32_e32 vcc_lo, s79, v2
	v_mov_b32_e32 v14, 0
	s_and_saveexec_b32 s10, vcc_lo
	s_cbranch_execz .LBB82_363
; %bb.362:                              ;   in Loop: Header=BB82_361 Depth=2
	ds_load_b32 v14, v1
.LBB82_363:                             ;   in Loop: Header=BB82_361 Depth=2
	s_or_b32 exec_lo, exec_lo, s10
	s_and_saveexec_b32 s10, vcc_lo
	s_cbranch_execz .LBB82_360
; %bb.364:                              ;   in Loop: Header=BB82_361 Depth=2
	s_waitcnt lgkmcnt(0)
	v_cmp_lt_i32_e32 vcc_lo, -1, v14
	v_cndmask_b32_e64 v4, -1, 0x80000000, vcc_lo
	v_cmp_o_f32_e32 vcc_lo, v14, v14
	s_delay_alu instid0(VALU_DEP_2) | instskip(NEXT) | instid1(VALU_DEP_1)
	v_xor_b32_e32 v4, v4, v14
	v_cndmask_b32_e32 v4, -1, v4, vcc_lo
	s_delay_alu instid0(VALU_DEP_1) | instskip(NEXT) | instid1(VALU_DEP_1)
	v_and_b32_e32 v4, v4, v28
	v_cmp_eq_u32_e32 vcc_lo, v4, v29
	s_and_b32 exec_lo, exec_lo, vcc_lo
	s_cbranch_execz .LBB82_360
; %bb.365:                              ;   in Loop: Header=BB82_361 Depth=2
	ds_store_b64 v9, v[13:14] offset:3072
	s_branch .LBB82_360
.LBB82_366:                             ;   in Loop: Header=BB82_6 Depth=1
	s_mov_b32 s10, -1
	s_mov_b32 s81, 0
                                        ; implicit-def: $sgpr79
                                        ; implicit-def: $vgpr15
	s_branch .LBB82_369
.LBB82_367:                             ;   in Loop: Header=BB82_6 Depth=1
	s_set_inst_prefetch_distance 0x2
	s_or_b32 exec_lo, exec_lo, s81
	s_delay_alu instid0(SALU_CYCLE_1)
	s_and_b32 s81, s83, exec_lo
.LBB82_368:                             ;   in Loop: Header=BB82_6 Depth=1
	s_or_b32 exec_lo, exec_lo, s80
	s_mov_b32 s10, 0
	s_mov_b32 s79, -1
.LBB82_369:                             ;   in Loop: Header=BB82_6 Depth=1
	s_and_b32 vcc_lo, exec_lo, s10
	s_mov_b32 s80, s10
	s_cbranch_vccz .LBB82_380
; %bb.370:                              ;   in Loop: Header=BB82_6 Depth=1
	s_mov_b32 s81, 0
                                        ; implicit-def: $vgpr15
	s_and_saveexec_b32 s79, s9
	s_cbranch_execz .LBB82_379
; %bb.371:                              ;   in Loop: Header=BB82_6 Depth=1
	v_dual_mov_b32 v8, v7 :: v_dual_mov_b32 v1, v0
	s_mov_b32 s80, 0
                                        ; implicit-def: $sgpr81
	s_set_inst_prefetch_distance 0x1
	s_branch .LBB82_373
	.p2align	6
.LBB82_372:                             ;   in Loop: Header=BB82_373 Depth=2
	s_or_b32 exec_lo, exec_lo, s10
	s_waitcnt vmcnt(0) lgkmcnt(0)
	s_barrier
	buffer_gl0_inv
	ds_load_b64 v[14:15], v9 offset:3072
	v_add_nc_u32_e32 v1, s42, v1
	v_add_nc_u32_e32 v8, s44, v8
	s_waitcnt lgkmcnt(0)
	s_barrier
	buffer_gl0_inv
	v_cmp_le_u32_e32 vcc_lo, s61, v1
	v_cmp_neq_f32_e64 s10, 0, v14
	s_delay_alu instid0(VALU_DEP_1) | instskip(NEXT) | instid1(SALU_CYCLE_1)
	s_or_b32 s82, vcc_lo, s10
	s_and_b32 s82, exec_lo, s82
	s_delay_alu instid0(SALU_CYCLE_1) | instskip(SKIP_2) | instid1(SALU_CYCLE_1)
	s_or_b32 s80, s82, s80
	s_and_not1_b32 s81, s81, exec_lo
	s_and_b32 s10, s10, exec_lo
	s_or_b32 s81, s81, s10
	s_and_not1_b32 exec_lo, exec_lo, s80
	s_cbranch_execz .LBB82_378
.LBB82_373:                             ;   Parent Loop BB82_6 Depth=1
                                        ; =>  This Inner Loop Header: Depth=2
	s_delay_alu instid0(VALU_DEP_1)
	v_cmp_gt_u32_e32 vcc_lo, s36, v1
	v_mov_b32_e32 v14, 0
	s_and_saveexec_b32 s82, vcc_lo
	s_cbranch_execz .LBB82_375
; %bb.374:                              ;   in Loop: Header=BB82_373 Depth=2
	v_lshlrev_b64 v[14:15], 2, v[8:9]
	s_delay_alu instid0(VALU_DEP_1) | instskip(NEXT) | instid1(VALU_DEP_1)
	v_add_co_u32 v14, s10, s31, v14
	v_add_co_ci_u32_e64 v15, s10, s33, v15, s10
	global_load_b32 v14, v[14:15], off
.LBB82_375:                             ;   in Loop: Header=BB82_373 Depth=2
	s_or_b32 exec_lo, exec_lo, s82
	s_and_saveexec_b32 s10, vcc_lo
	s_cbranch_execz .LBB82_372
; %bb.376:                              ;   in Loop: Header=BB82_373 Depth=2
	s_waitcnt vmcnt(0)
	v_cmp_lt_i32_e32 vcc_lo, -1, v14
	v_cndmask_b32_e64 v2, -1, 0x80000000, vcc_lo
	v_cmp_o_f32_e32 vcc_lo, v14, v14
	s_delay_alu instid0(VALU_DEP_2) | instskip(NEXT) | instid1(VALU_DEP_1)
	v_xor_b32_e32 v2, v2, v14
	v_cndmask_b32_e32 v2, -1, v2, vcc_lo
	s_delay_alu instid0(VALU_DEP_1) | instskip(NEXT) | instid1(VALU_DEP_1)
	v_and_b32_e32 v2, v2, v28
	v_cmp_eq_u32_e32 vcc_lo, v2, v29
	s_and_b32 exec_lo, exec_lo, vcc_lo
	s_cbranch_execz .LBB82_372
; %bb.377:                              ;   in Loop: Header=BB82_373 Depth=2
	ds_store_b64 v9, v[13:14] offset:3072
	s_branch .LBB82_372
.LBB82_378:                             ;   in Loop: Header=BB82_6 Depth=1
	s_set_inst_prefetch_distance 0x2
	s_or_b32 exec_lo, exec_lo, s80
	s_delay_alu instid0(SALU_CYCLE_1)
	s_and_b32 s81, s81, exec_lo
.LBB82_379:                             ;   in Loop: Header=BB82_6 Depth=1
	s_or_b32 exec_lo, exec_lo, s79
	s_mov_b32 s79, 0
	s_mov_b32 s10, -1
	s_mov_b32 s80, 0
.LBB82_380:                             ;   in Loop: Header=BB82_6 Depth=1
	s_or_not1_b32 s81, s81, exec_lo
.LBB82_381:                             ;   in Loop: Header=BB82_6 Depth=1
	s_or_b32 exec_lo, exec_lo, s78
	s_mov_b32 s82, 0
                                        ; implicit-def: $vgpr1
                                        ; implicit-def: $vgpr2
	s_and_saveexec_b32 s78, s81
	s_cbranch_execz .LBB82_393
; %bb.382:                              ;   in Loop: Header=BB82_6 Depth=1
	v_dual_mov_b32 v1, 1 :: v_dual_mov_b32 v2, 1
	s_xor_b32 s81, s17, -1
	s_delay_alu instid0(SALU_CYCLE_1)
	s_and_saveexec_b32 s17, s81
	s_cbranch_execz .LBB82_392
; %bb.383:                              ;   in Loop: Header=BB82_6 Depth=1
	s_mov_b32 s81, exec_lo
                                        ; implicit-def: $sgpr82
	v_cmpx_ge_u32_e64 s12, v3
	s_xor_b32 s81, exec_lo, s81
	s_cbranch_execz .LBB82_389
; %bb.384:                              ;   in Loop: Header=BB82_6 Depth=1
	ds_load_b32 v1, v9 offset:4096
	s_waitcnt lgkmcnt(0)
	v_cmp_ne_u32_e32 vcc_lo, 0, v1
	s_cbranch_vccnz .LBB82_388
; %bb.385:                              ;   in Loop: Header=BB82_6 Depth=1
	s_and_saveexec_b32 s82, s5
	s_cbranch_execz .LBB82_387
; %bb.386:                              ;   in Loop: Header=BB82_6 Depth=1
	v_mov_b32_e32 v1, s12
	ds_store_b32 v9, v1 offset:4100
.LBB82_387:                             ;   in Loop: Header=BB82_6 Depth=1
	s_or_b32 exec_lo, exec_lo, s82
	s_waitcnt lgkmcnt(0)
	s_barrier
	buffer_gl0_inv
.LBB82_388:                             ;   in Loop: Header=BB82_6 Depth=1
	v_and_b32_e32 v29, s14, v29
	v_or_b32_e32 v28, s13, v28
	s_mov_b32 s82, 5
.LBB82_389:                             ;   in Loop: Header=BB82_6 Depth=1
	s_or_saveexec_b32 s13, s81
	v_mov_b32_e32 v1, s82
	s_xor_b32 exec_lo, exec_lo, s13
; %bb.390:                              ;   in Loop: Header=BB82_6 Depth=1
	v_subrev_nc_u32_e32 v3, s12, v3
	v_mov_b32_e32 v1, 5
; %bb.391:                              ;   in Loop: Header=BB82_6 Depth=1
	s_or_b32 exec_lo, exec_lo, s13
	s_delay_alu instid0(VALU_DEP_2)
	v_mov_b32_e32 v2, v3
.LBB82_392:                             ;   in Loop: Header=BB82_6 Depth=1
	s_or_b32 exec_lo, exec_lo, s17
	s_delay_alu instid0(SALU_CYCLE_1)
	s_mov_b32 s82, exec_lo
.LBB82_393:                             ;   in Loop: Header=BB82_6 Depth=1
	s_or_b32 exec_lo, exec_lo, s78
	s_delay_alu instid0(VALU_DEP_1)
	v_mov_b32_e32 v3, v2
	s_or_not1_b32 s17, s82, exec_lo
.LBB82_394:                             ;   in Loop: Header=BB82_6 Depth=1
	s_or_b32 exec_lo, exec_lo, s16
	s_delay_alu instid0(SALU_CYCLE_1)
	s_and_not1_b32 s12, s28, exec_lo
	s_and_b32 s10, s10, exec_lo
	s_and_not1_b32 s13, s76, exec_lo
	s_or_b32 s28, s12, s10
	s_and_not1_b32 s10, s29, exec_lo
	s_and_b32 s12, s79, exec_lo
	s_and_b32 s14, s80, exec_lo
	v_mov_b32_e32 v2, v3
	s_or_b32 s29, s10, s12
	s_or_b32 s76, s13, s14
	s_and_b32 s79, s17, exec_lo
.LBB82_395:                             ;   in Loop: Header=BB82_6 Depth=1
	s_or_b32 exec_lo, exec_lo, s77
	s_delay_alu instid0(SALU_CYCLE_1)
	s_and_b32 s77, s28, exec_lo
	s_and_b32 s29, s29, exec_lo
	s_and_b32 s28, s76, exec_lo
	s_or_not1_b32 s10, s79, exec_lo
.LBB82_396:                             ;   in Loop: Header=BB82_6 Depth=1
	s_or_b32 exec_lo, exec_lo, s18
	s_delay_alu instid0(SALU_CYCLE_1)
	s_and_not1_b32 s12, s22, exec_lo
	s_and_b32 s13, s77, exec_lo
	s_and_not1_b32 s14, s26, exec_lo
	s_or_b32 s22, s12, s13
	s_and_not1_b32 s12, s25, exec_lo
	s_and_b32 s13, s29, exec_lo
	s_and_b32 s16, s28, exec_lo
	v_mov_b32_e32 v31, v2
	s_or_b32 s25, s12, s13
	s_or_b32 s26, s14, s16
	s_and_b32 s29, s10, exec_lo
.LBB82_397:                             ;   in Loop: Header=BB82_6 Depth=1
	s_or_b32 exec_lo, exec_lo, s27
	s_delay_alu instid0(SALU_CYCLE_1)
	s_and_b32 s27, s22, exec_lo
	s_and_b32 s25, s25, exec_lo
	s_and_b32 s22, s26, exec_lo
	s_or_not1_b32 s26, s29, exec_lo
.LBB82_398:                             ;   in Loop: Header=BB82_6 Depth=1
	s_or_b32 exec_lo, exec_lo, s19
	s_mov_b32 s10, s20
	s_mov_b32 s12, s11
	s_and_saveexec_b32 s13, s26
; %bb.399:                              ;   in Loop: Header=BB82_6 Depth=1
	v_cmp_eq_u32_e32 vcc_lo, 5, v1
	v_cmp_ne_u32_e64 s10, 5, v1
	s_and_not1_b32 s12, s11, exec_lo
	s_and_not1_b32 s14, s20, exec_lo
	;; [unrolled: 1-line block ×3, first 2 shown]
	s_and_b32 s16, vcc_lo, exec_lo
	s_and_b32 s10, s10, exec_lo
	s_and_not1_b32 s25, s25, exec_lo
	s_and_not1_b32 s22, s22, exec_lo
	s_or_b32 s12, s12, s10
	s_or_b32 s10, s14, s16
; %bb.400:                              ;   in Loop: Header=BB82_6 Depth=1
	s_or_b32 exec_lo, exec_lo, s13
	s_delay_alu instid0(SALU_CYCLE_1)
	s_and_not1_b32 s13, s23, exec_lo
	s_and_b32 s14, s27, exec_lo
	v_dual_mov_b32 v3, v29 :: v_dual_mov_b32 v4, v28
	s_or_b32 s23, s13, s14
	s_and_not1_b32 s13, s24, exec_lo
	s_and_b32 s14, s25, exec_lo
	v_mov_b32_e32 v2, v15
	s_and_not1_b32 s15, s15, exec_lo
	s_and_b32 s16, s22, exec_lo
	s_or_b32 s24, s13, s14
	s_and_not1_b32 s11, s11, exec_lo
	s_and_b32 s12, s12, exec_lo
	s_and_not1_b32 s13, s20, exec_lo
	s_and_b32 s10, s10, exec_lo
	s_or_b32 s15, s15, s16
	s_or_b32 s11, s11, s12
	;; [unrolled: 1-line block ×3, first 2 shown]
.LBB82_401:                             ;   in Loop: Header=BB82_6 Depth=1
	s_or_b32 exec_lo, exec_lo, s21
	s_mov_b32 s22, s15
	s_mov_b32 s21, s15
	s_and_saveexec_b32 s10, s20
.LBB82_402:                             ;   in Loop: Header=BB82_6 Depth=1
	v_mov_b32_e32 v1, 0
	s_and_not1_b32 s15, s15, exec_lo
	s_and_not1_b32 s23, s23, exec_lo
	;; [unrolled: 1-line block ×5, first 2 shown]
	s_or_b32 s11, s11, exec_lo
.LBB82_403:                             ;   in Loop: Header=BB82_6 Depth=1
	s_or_b32 exec_lo, exec_lo, s10
	s_delay_alu instid0(SALU_CYCLE_1)
	s_and_not1_b32 s10, s75, exec_lo
	s_and_b32 s13, s15, exec_lo
	s_and_not1_b32 s14, s72, exec_lo
	s_or_b32 s75, s10, s13
	s_and_not1_b32 s10, s74, exec_lo
	s_and_b32 s13, s23, exec_lo
	s_and_b32 s15, s24, exec_lo
	s_or_b32 s74, s10, s13
	s_or_b32 s72, s14, s15
	s_and_not1_b32 s10, s73, exec_lo
	s_and_b32 s13, s22, exec_lo
	s_and_not1_b32 s14, s71, exec_lo
	s_and_b32 s15, s21, exec_lo
	s_mov_b32 s12, -1
	s_or_b32 s73, s10, s13
	s_or_b32 s71, s14, s15
                                        ; implicit-def: $vgpr28
                                        ; implicit-def: $vgpr29
                                        ; implicit-def: $vgpr30
                                        ; implicit-def: $vgpr15
	s_and_saveexec_b32 s10, s11
	s_delay_alu instid0(SALU_CYCLE_1)
	s_xor_b32 s10, exec_lo, s10
	s_cbranch_execz .LBB82_5
; %bb.404:                              ;   in Loop: Header=BB82_6 Depth=1
	s_mov_b32 s11, -1
	s_mov_b32 s13, exec_lo
	v_cmpx_eq_u32_e32 0, v1
	s_cbranch_execz .LBB82_4
; %bb.405:                              ;   in Loop: Header=BB82_6 Depth=1
	s_xor_b32 s65, s65, 1
	s_add_i32 s14, s70, -2
	s_cmp_eq_u32 s70, 0
	s_mov_b32 s70, s14
	s_cselect_b32 s11, -1, 0
	s_xor_b32 s12, exec_lo, -1
	s_or_not1_b32 s11, s11, exec_lo
	s_branch .LBB82_4
.LBB82_406:
	s_or_b32 exec_lo, exec_lo, s43
	s_xor_b32 s9, s69, -1
	s_xor_b32 s12, s67, -1
	;; [unrolled: 1-line block ×5, first 2 shown]
	s_mov_b32 s7, 0
	s_and_saveexec_b32 s8, s6
	s_delay_alu instid0(SALU_CYCLE_1)
	s_xor_b32 s6, exec_lo, s8
	s_cbranch_execz .LBB82_465
; %bb.407:
	s_mov_b32 s8, 0
	s_and_saveexec_b32 s7, s11
	s_delay_alu instid0(SALU_CYCLE_1)
	s_xor_b32 s7, exec_lo, s7
	s_cbranch_execz .LBB82_463
; %bb.408:
	;; [unrolled: 6-line block ×3, first 2 shown]
	s_and_saveexec_b32 s12, s9
	s_delay_alu instid0(SALU_CYCLE_1)
	s_xor_b32 s9, exec_lo, s12
	s_cbranch_execz .LBB82_459
; %bb.410:
	s_and_saveexec_b32 s11, s10
	s_delay_alu instid0(SALU_CYCLE_1)
	s_xor_b32 s10, exec_lo, s11
; %bb.411:
	v_cmp_lt_i32_e32 vcc_lo, -1, v3
	v_cndmask_b32_e64 v1, 0x80000000, -1, vcc_lo
	s_delay_alu instid0(VALU_DEP_1)
	v_xor_b32_e32 v2, v1, v3
; %bb.412:
	s_or_b32 exec_lo, exec_lo, s10
	s_and_saveexec_b32 s10, s5
	s_cbranch_execz .LBB82_414
; %bb.413:
	v_mov_b32_e32 v1, 0
	ds_store_b32 v1, v1 offset:4108
.LBB82_414:
	s_or_b32 exec_lo, exec_lo, s10
	v_mov_b32_e32 v1, 0
	s_waitcnt lgkmcnt(0)
	s_barrier
	buffer_gl0_inv
	s_and_saveexec_b32 s5, s4
	s_cbranch_execz .LBB82_416
; %bb.415:
	global_load_b32 v1, v[5:6], off
.LBB82_416:
	s_or_b32 exec_lo, exec_lo, s5
	v_cmp_lt_i32_e32 vcc_lo, -1, v2
	s_clause 0x1
	s_load_b32 s5, s[0:1], 0x1c8
	s_load_b32 s10, s[0:1], 0x2a8
	s_mul_i32 s0, s47, s45
	s_mov_b32 s1, 0
	s_add_i32 s11, s36, 31
	v_cndmask_b32_e64 v3, -1, 0x80000000, vcc_lo
	v_cmp_o_f32_e32 vcc_lo, v2, v2
	s_lshl_b64 s[12:13], s[0:1], 2
	s_and_not1_b32 s11, s11, 31
	s_mul_i32 s14, s46, s45
	v_xor_b32_e32 v3, v3, v2
	s_mov_b32 s15, s1
	s_add_u32 s12, s40, s12
	s_addc_u32 s13, s41, s13
	s_lshl_b64 s[14:15], s[14:15], 3
	v_cndmask_b32_e32 v9, -1, v3, vcc_lo
	v_add_nc_u32_e32 v3, s42, v0
	s_add_u32 s14, s34, s14
	s_mov_b32 s18, -1
	s_addc_u32 s15, s35, s15
	s_mov_b32 s16, 0
	v_mul_lo_u32 v2, s30, v3
	s_mov_b32 s17, exec_lo
	v_cmpx_gt_u32_e64 s11, v0
	s_cbranch_execz .LBB82_434
; %bb.417:
	v_mul_lo_u32 v3, s30, v3
	v_dual_mov_b32 v4, 0 :: v_dual_mov_b32 v7, v0
                                        ; implicit-def: $sgpr18
                                        ; implicit-def: $vgpr11
	s_branch .LBB82_419
.LBB82_418:                             ;   in Loop: Header=BB82_419 Depth=1
	s_or_b32 exec_lo, exec_lo, s19
	s_xor_b32 s19, s21, -1
	s_and_b32 s0, exec_lo, s0
	s_waitcnt vmcnt(0)
	v_mov_b32_e32 v1, v12
	s_or_b32 s16, s0, s16
	v_mov_b32_e32 v7, v10
	s_and_not1_b32 s0, s18, exec_lo
	s_and_b32 s18, s19, exec_lo
	s_delay_alu instid0(SALU_CYCLE_1)
	s_or_b32 s18, s0, s18
	s_and_not1_b32 exec_lo, exec_lo, s16
	s_cbranch_execz .LBB82_433
.LBB82_419:                             ; =>This Inner Loop Header: Depth=1
	s_delay_alu instid0(VALU_DEP_1) | instskip(SKIP_2) | instid1(VALU_DEP_2)
	v_add_nc_u32_e32 v10, s42, v7
	v_mov_b32_e32 v12, 0
	s_mov_b32 s0, exec_lo
	v_cmpx_gt_u32_e64 s36, v10
	s_cbranch_execz .LBB82_421
; %bb.420:                              ;   in Loop: Header=BB82_419 Depth=1
	v_lshlrev_b64 v[12:13], 2, v[3:4]
	s_delay_alu instid0(VALU_DEP_1) | instskip(NEXT) | instid1(VALU_DEP_2)
	v_add_co_u32 v12, vcc_lo, s31, v12
	v_add_co_ci_u32_e32 v13, vcc_lo, s33, v13, vcc_lo
	global_load_b32 v12, v[12:13], off
.LBB82_421:                             ;   in Loop: Header=BB82_419 Depth=1
	s_or_b32 exec_lo, exec_lo, s0
	s_mov_b32 s19, 0
	s_mov_b32 s0, exec_lo
	v_cmpx_gt_u32_e64 s36, v7
	s_cbranch_execz .LBB82_423
; %bb.422:                              ;   in Loop: Header=BB82_419 Depth=1
	s_waitcnt vmcnt(0)
	v_cmp_lt_i32_e32 vcc_lo, -1, v1
	v_cndmask_b32_e64 v8, -1, 0x80000000, vcc_lo
	v_cmp_o_f32_e32 vcc_lo, v1, v1
	s_delay_alu instid0(VALU_DEP_2) | instskip(NEXT) | instid1(VALU_DEP_1)
	v_xor_b32_e32 v8, v8, v1
	v_cndmask_b32_e32 v8, -1, v8, vcc_lo
	s_delay_alu instid0(VALU_DEP_1) | instskip(SKIP_3) | instid1(VALU_DEP_1)
	v_cmp_gt_u32_e32 vcc_lo, v8, v9
	v_cndmask_b32_e64 v13, 0, 1, vcc_lo
	v_cmp_lt_u32_e32 vcc_lo, v8, v9
	v_cndmask_b32_e64 v8, 0, 1, vcc_lo
	v_cndmask_b32_e64 v8, v8, v13, s3
	s_delay_alu instid0(VALU_DEP_1) | instskip(NEXT) | instid1(VALU_DEP_1)
	v_and_b32_e32 v8, 1, v8
	v_cmp_eq_u32_e32 vcc_lo, 1, v8
	s_and_b32 s19, vcc_lo, exec_lo
.LBB82_423:                             ;   in Loop: Header=BB82_419 Depth=1
	s_or_b32 exec_lo, exec_lo, s0
	v_cndmask_b32_e64 v8, 0, 1, s19
	s_delay_alu instid0(VALU_DEP_1) | instskip(SKIP_2) | instid1(SALU_CYCLE_1)
	v_cmp_ne_u32_e32 vcc_lo, 0, v8
	s_cmp_lg_u32 vcc_lo, 0
	s_cselect_b32 s0, -1, 0
	s_and_b32 s0, s2, s0
	s_delay_alu instid0(SALU_CYCLE_1)
	s_and_saveexec_b32 s20, s0
	s_cbranch_execz .LBB82_427
; %bb.424:                              ;   in Loop: Header=BB82_419 Depth=1
	s_mov_b32 s23, exec_lo
	s_bcnt1_i32_b32 s21, vcc_lo
	v_mbcnt_lo_u32_b32 v8, s23, 0
	s_mov_b32 s22, exec_lo
                                        ; implicit-def: $vgpr11
	s_delay_alu instid0(VALU_DEP_1)
	v_cmpx_eq_u32_e32 0, v8
	s_cbranch_execz .LBB82_426
; %bb.425:                              ;   in Loop: Header=BB82_419 Depth=1
	s_bcnt1_i32_b32 s0, s23
	s_delay_alu instid0(SALU_CYCLE_1)
	s_mul_i32 s0, s21, s0
	s_waitcnt lgkmcnt(0)
	v_mov_b32_e32 v11, s0
	ds_add_rtn_u32 v11, v4, v11 offset:4108
.LBB82_426:                             ;   in Loop: Header=BB82_419 Depth=1
	s_or_b32 exec_lo, exec_lo, s22
	s_waitcnt lgkmcnt(0)
	v_readfirstlane_b32 s0, v11
	s_delay_alu instid0(VALU_DEP_1)
	v_mad_u32_u24 v11, s21, v8, s0
.LBB82_427:                             ;   in Loop: Header=BB82_419 Depth=1
	s_or_b32 exec_lo, exec_lo, s20
	s_waitcnt lgkmcnt(0)
	ds_bpermute_b32 v11, v4, v11
	s_mov_b32 s0, -1
	s_mov_b32 s22, -1
                                        ; implicit-def: $sgpr21
	s_and_saveexec_b32 s20, s19
	s_cbranch_execz .LBB82_431
; %bb.428:                              ;   in Loop: Header=BB82_419 Depth=1
	v_and_b32_e32 v8, vcc_lo, v16
	s_mov_b32 s19, 0
	s_mov_b32 s21, exec_lo
	s_waitcnt lgkmcnt(0)
	s_delay_alu instid0(VALU_DEP_1) | instskip(NEXT) | instid1(VALU_DEP_1)
	v_bcnt_u32_b32 v8, v8, v11
	v_cmpx_gt_u32_e64 s37, v8
	s_cbranch_execz .LBB82_430
; %bb.429:                              ;   in Loop: Header=BB82_419 Depth=1
	v_mul_lo_u32 v13, v8, s5
	v_mov_b32_e32 v14, v4
	v_mul_lo_u32 v17, v8, s10
	v_mov_b32_e32 v18, v4
	v_mov_b32_e32 v8, v4
	s_mov_b32 s19, exec_lo
	v_lshlrev_b64 v[13:14], 2, v[13:14]
	s_delay_alu instid0(VALU_DEP_3) | instskip(NEXT) | instid1(VALU_DEP_2)
	v_lshlrev_b64 v[17:18], 3, v[17:18]
	v_add_co_u32 v13, vcc_lo, s12, v13
	s_delay_alu instid0(VALU_DEP_3) | instskip(NEXT) | instid1(VALU_DEP_3)
	v_add_co_ci_u32_e32 v14, vcc_lo, s13, v14, vcc_lo
	v_add_co_u32 v17, vcc_lo, s14, v17
	s_delay_alu instid0(VALU_DEP_4)
	v_add_co_ci_u32_e32 v18, vcc_lo, s15, v18, vcc_lo
	s_waitcnt vmcnt(0)
	global_store_b32 v[13:14], v1, off
	global_store_b64 v[17:18], v[7:8], off
.LBB82_430:                             ;   in Loop: Header=BB82_419 Depth=1
	s_or_b32 exec_lo, exec_lo, s21
	s_mov_b32 s21, -1
	s_or_not1_b32 s22, s19, exec_lo
.LBB82_431:                             ;   in Loop: Header=BB82_419 Depth=1
	s_or_b32 exec_lo, exec_lo, s20
	s_and_saveexec_b32 s19, s22
	s_cbranch_execz .LBB82_418
; %bb.432:                              ;   in Loop: Header=BB82_419 Depth=1
	v_cmp_le_u32_e32 vcc_lo, s11, v10
	v_add_nc_u32_e32 v3, s44, v3
	s_and_not1_b32 s21, s21, exec_lo
	s_or_not1_b32 s0, vcc_lo, exec_lo
	s_branch .LBB82_418
.LBB82_433:
	s_or_b32 exec_lo, exec_lo, s16
	s_delay_alu instid0(SALU_CYCLE_1)
	s_mov_b32 s16, exec_lo
	s_or_not1_b32 s18, s18, exec_lo
.LBB82_434:
	s_or_b32 exec_lo, exec_lo, s17
	s_and_saveexec_b32 s3, s18
	s_cbranch_execz .LBB82_457
; %bb.435:
	v_mov_b32_e32 v3, 0
	v_mov_b32_e32 v7, 0
	s_waitcnt vmcnt(0) lgkmcnt(0)
	s_waitcnt_vscnt null, 0x0
	s_barrier
	buffer_gl0_inv
	s_and_saveexec_b32 s0, s4
	s_cbranch_execz .LBB82_437
; %bb.436:
	global_load_b32 v7, v[5:6], off
.LBB82_437:
	s_or_b32 exec_lo, exec_lo, s0
	s_mov_b32 s4, 0
                                        ; implicit-def: $sgpr1
                                        ; implicit-def: $sgpr17
                                        ; implicit-def: $sgpr18
                                        ; implicit-def: $vgpr4
	s_branch .LBB82_440
.LBB82_438:                             ;   in Loop: Header=BB82_440 Depth=1
	s_or_b32 exec_lo, exec_lo, s21
	v_mov_b32_e32 v0, v5
	v_mov_b32_e32 v7, v1
	s_and_not1_b32 s0, s18, exec_lo
	s_and_b32 s18, s23, exec_lo
	s_and_not1_b32 s17, s17, exec_lo
	s_and_b32 s20, s20, exec_lo
	s_or_b32 s18, s0, s18
	s_or_b32 s17, s17, s20
.LBB82_439:                             ;   in Loop: Header=BB82_440 Depth=1
	s_or_b32 exec_lo, exec_lo, s19
	s_xor_b32 s0, s18, -1
	s_and_b32 s19, exec_lo, s17
	s_delay_alu instid0(SALU_CYCLE_1) | instskip(SKIP_2) | instid1(SALU_CYCLE_1)
	s_or_b32 s4, s19, s4
	s_and_not1_b32 s1, s1, exec_lo
	s_and_b32 s0, s0, exec_lo
	s_or_b32 s1, s1, s0
	s_and_not1_b32 exec_lo, exec_lo, s4
	s_cbranch_execz .LBB82_455
.LBB82_440:                             ; =>This Inner Loop Header: Depth=1
	s_or_b32 s18, s18, exec_lo
	s_or_b32 s17, s17, exec_lo
	s_mov_b32 s19, exec_lo
	v_cmpx_gt_u32_e64 s11, v0
	s_cbranch_execz .LBB82_439
; %bb.441:                              ;   in Loop: Header=BB82_440 Depth=1
	v_dual_mov_b32 v6, 0 :: v_dual_add_nc_u32 v5, s42, v0
	s_mov_b32 s0, exec_lo
	s_delay_alu instid0(VALU_DEP_1)
	v_cmpx_gt_u32_e64 s36, v5
	s_cbranch_execz .LBB82_443
; %bb.442:                              ;   in Loop: Header=BB82_440 Depth=1
	v_lshlrev_b64 v[10:11], 2, v[2:3]
	s_delay_alu instid0(VALU_DEP_1) | instskip(NEXT) | instid1(VALU_DEP_2)
	v_add_co_u32 v10, vcc_lo, s31, v10
	v_add_co_ci_u32_e32 v11, vcc_lo, s33, v11, vcc_lo
	global_load_b32 v6, v[10:11], off
.LBB82_443:                             ;   in Loop: Header=BB82_440 Depth=1
	s_or_b32 exec_lo, exec_lo, s0
	s_waitcnt vmcnt(0)
	v_cmp_lt_i32_e32 vcc_lo, -1, v7
	v_cndmask_b32_e64 v1, -1, 0x80000000, vcc_lo
	v_cmp_o_f32_e32 vcc_lo, v7, v7
	s_delay_alu instid0(VALU_DEP_2) | instskip(NEXT) | instid1(VALU_DEP_1)
	v_xor_b32_e32 v1, v1, v7
	v_cndmask_b32_e32 v1, -1, v1, vcc_lo
	v_cmp_gt_u32_e32 vcc_lo, s36, v0
	s_delay_alu instid0(VALU_DEP_2) | instskip(NEXT) | instid1(VALU_DEP_1)
	v_cmp_eq_u32_e64 s0, v1, v9
	s_and_b32 s21, vcc_lo, s0
	s_delay_alu instid0(SALU_CYCLE_1) | instskip(NEXT) | instid1(VALU_DEP_1)
	v_cndmask_b32_e64 v1, 0, 1, s21
	v_cmp_ne_u32_e32 vcc_lo, 0, v1
	s_cmp_lg_u32 vcc_lo, 0
	s_cselect_b32 s0, -1, 0
	s_delay_alu instid0(SALU_CYCLE_1) | instskip(NEXT) | instid1(SALU_CYCLE_1)
	s_and_b32 s0, s2, s0
	s_and_saveexec_b32 s20, s0
	s_cbranch_execz .LBB82_447
; %bb.444:                              ;   in Loop: Header=BB82_440 Depth=1
	s_mov_b32 s24, exec_lo
	s_bcnt1_i32_b32 s22, vcc_lo
	v_mbcnt_lo_u32_b32 v1, s24, 0
	s_mov_b32 s23, exec_lo
                                        ; implicit-def: $vgpr4
	s_delay_alu instid0(VALU_DEP_1)
	v_cmpx_eq_u32_e32 0, v1
	s_cbranch_execz .LBB82_446
; %bb.445:                              ;   in Loop: Header=BB82_440 Depth=1
	s_bcnt1_i32_b32 s0, s24
	s_delay_alu instid0(SALU_CYCLE_1) | instskip(NEXT) | instid1(SALU_CYCLE_1)
	s_mul_i32 s0, s22, s0
	v_mov_b32_e32 v4, s0
	ds_add_rtn_u32 v4, v3, v4 offset:4108
.LBB82_446:                             ;   in Loop: Header=BB82_440 Depth=1
	s_or_b32 exec_lo, exec_lo, s23
	s_waitcnt lgkmcnt(0)
	v_readfirstlane_b32 s0, v4
	s_delay_alu instid0(VALU_DEP_1)
	v_mad_u32_u24 v4, s22, v1, s0
.LBB82_447:                             ;   in Loop: Header=BB82_440 Depth=1
	s_or_b32 exec_lo, exec_lo, s20
	ds_bpermute_b32 v4, v3, v4
	s_cmp_eq_u32 vcc_lo, 0
	s_mov_b32 s20, -1
	s_cselect_b32 s22, -1, 0
	s_mov_b32 s23, -1
	s_waitcnt lgkmcnt(0)
	v_cmp_gt_u32_e64 s0, s37, v4
	s_delay_alu instid0(VALU_DEP_1) | instskip(SKIP_3) | instid1(SALU_CYCLE_1)
	s_or_b32 s0, s22, s0
	s_mov_b32 s22, -1
	v_cndmask_b32_e64 v1, v7, v6, s0
	s_and_b32 s24, s21, s0
	s_and_saveexec_b32 s21, s24
	s_cbranch_execz .LBB82_453
; %bb.448:                              ;   in Loop: Header=BB82_440 Depth=1
	v_and_b32_e32 v1, vcc_lo, v16
	v_sub_nc_u32_e32 v8, s37, v4
	s_mov_b32 s24, -1
	s_mov_b32 s23, exec_lo
	s_delay_alu instid0(VALU_DEP_2) | instskip(NEXT) | instid1(VALU_DEP_1)
	v_bcnt_u32_b32 v1, v1, 0
	v_cmp_le_u32_e64 s22, v8, v1
	v_cmpx_gt_u32_e64 v8, v1
	s_cbranch_execz .LBB82_452
; %bb.449:                              ;   in Loop: Header=BB82_440 Depth=1
	v_add_nc_u32_e32 v1, v4, v1
	s_delay_alu instid0(VALU_DEP_3) | instskip(SKIP_1) | instid1(VALU_DEP_1)
	s_mov_b32 s25, s22
	s_mov_b32 s24, exec_lo
	v_cmpx_gt_u32_e64 s37, v1
	s_cbranch_execz .LBB82_451
; %bb.450:                              ;   in Loop: Header=BB82_440 Depth=1
	v_mul_lo_u32 v10, v1, s5
	v_mov_b32_e32 v11, v3
	v_mul_lo_u32 v12, v1, s10
	v_mov_b32_e32 v13, v3
	v_mov_b32_e32 v1, v3
	s_or_b32 s25, s22, exec_lo
	v_lshlrev_b64 v[10:11], 2, v[10:11]
	s_delay_alu instid0(VALU_DEP_3) | instskip(NEXT) | instid1(VALU_DEP_2)
	v_lshlrev_b64 v[12:13], 3, v[12:13]
	v_add_co_u32 v10, vcc_lo, s12, v10
	s_delay_alu instid0(VALU_DEP_3) | instskip(NEXT) | instid1(VALU_DEP_3)
	v_add_co_ci_u32_e32 v11, vcc_lo, s13, v11, vcc_lo
	v_add_co_u32 v12, vcc_lo, s14, v12
	s_delay_alu instid0(VALU_DEP_4)
	v_add_co_ci_u32_e32 v13, vcc_lo, s15, v13, vcc_lo
	global_store_b32 v[10:11], v7, off
	global_store_b64 v[12:13], v[0:1], off
.LBB82_451:                             ;   in Loop: Header=BB82_440 Depth=1
	s_or_b32 exec_lo, exec_lo, s24
	s_delay_alu instid0(SALU_CYCLE_1)
	s_and_not1_b32 s22, s22, exec_lo
	s_and_b32 s25, s25, exec_lo
	s_xor_b32 s24, exec_lo, -1
	s_or_b32 s22, s22, s25
.LBB82_452:                             ;   in Loop: Header=BB82_440 Depth=1
	s_or_b32 exec_lo, exec_lo, s23
	v_mov_b32_e32 v1, v6
	s_or_not1_b32 s23, s24, exec_lo
	s_or_b32 s0, s0, exec_lo
	s_or_not1_b32 s22, s22, exec_lo
.LBB82_453:                             ;   in Loop: Header=BB82_440 Depth=1
	s_or_b32 exec_lo, exec_lo, s21
	s_and_saveexec_b32 s21, s22
	s_cbranch_execz .LBB82_438
; %bb.454:                              ;   in Loop: Header=BB82_440 Depth=1
	v_add_nc_u32_e32 v2, s44, v2
	s_xor_b32 s0, s0, -1
	s_or_b32 s23, s23, exec_lo
	s_or_not1_b32 s20, s0, exec_lo
	s_branch .LBB82_438
.LBB82_455:
	s_or_b32 exec_lo, exec_lo, s4
	s_mov_b32 s0, 0
	s_and_saveexec_b32 s2, s1
	s_delay_alu instid0(SALU_CYCLE_1)
	s_xor_b32 s1, exec_lo, s2
	s_cbranch_execnz .LBB82_487
.LBB82_456:
	s_or_b32 exec_lo, exec_lo, s1
	s_delay_alu instid0(SALU_CYCLE_1)
	s_and_b32 s1, s0, exec_lo
	s_and_not1_b32 s16, s16, exec_lo
.LBB82_457:
	s_or_b32 exec_lo, exec_lo, s3
	s_and_saveexec_b32 s0, s16
	s_delay_alu instid0(SALU_CYCLE_1)
	s_xor_b32 s0, exec_lo, s0
	s_cbranch_execnz .LBB82_483
.LBB82_458:
	s_or_b32 exec_lo, exec_lo, s0
	s_delay_alu instid0(SALU_CYCLE_1)
	s_and_b32 s11, s1, exec_lo
.LBB82_459:
	s_and_not1_saveexec_b32 s0, s9
	s_cbranch_execnz .LBB82_479
.LBB82_460:
	s_or_b32 exec_lo, exec_lo, s0
	s_delay_alu instid0(SALU_CYCLE_1)
	s_and_b32 s11, s11, exec_lo
.LBB82_461:
	s_and_not1_saveexec_b32 s0, s8
	s_cbranch_execnz .LBB82_475
.LBB82_462:
	s_or_b32 exec_lo, exec_lo, s0
	s_delay_alu instid0(SALU_CYCLE_1)
	s_and_b32 s8, s11, exec_lo
.LBB82_463:
	s_and_not1_saveexec_b32 s0, s7
	s_cbranch_execnz .LBB82_471
.LBB82_464:
	s_or_b32 exec_lo, exec_lo, s0
	s_delay_alu instid0(SALU_CYCLE_1)
	s_and_b32 s7, s8, exec_lo
.LBB82_465:
	s_and_not1_saveexec_b32 s0, s6
	s_cbranch_execnz .LBB82_469
; %bb.466:
	s_or_b32 exec_lo, exec_lo, s0
	s_and_saveexec_b32 s0, s7
.LBB82_467:
	; divergent unreachable
.LBB82_468:
	s_nop 0
	s_sendmsg sendmsg(MSG_DEALLOC_VGPRS)
	s_endpgm
.LBB82_469:
	s_cbranch_execnz .LBB82_473
; %bb.470:
	s_or_b32 s7, s7, exec_lo
	s_or_b32 exec_lo, exec_lo, s0
	s_and_saveexec_b32 s0, s7
	s_cbranch_execnz .LBB82_467
	s_branch .LBB82_468
.LBB82_471:
	s_cbranch_execnz .LBB82_477
; %bb.472:
	s_or_b32 s8, s8, exec_lo
	s_branch .LBB82_464
.LBB82_473:
	s_trap 2
	s_sendmsg_rtn_b32 s0, sendmsg(MSG_RTN_GET_DOORBELL)
	s_mov_b32 ttmp2, m0
	s_waitcnt lgkmcnt(0)
	s_and_b32 s0, s0, 0x3ff
	s_delay_alu instid0(SALU_CYCLE_1) | instskip(NEXT) | instid1(SALU_CYCLE_1)
	s_bitset1_b32 s0, 10
	s_mov_b32 m0, s0
	s_sendmsg sendmsg(MSG_INTERRUPT)
	s_mov_b32 m0, ttmp2
.LBB82_474:                             ; =>This Inner Loop Header: Depth=1
	s_sethalt 5
	s_branch .LBB82_474
.LBB82_475:
	s_cbranch_execnz .LBB82_481
; %bb.476:
	s_or_b32 s11, s11, exec_lo
	s_branch .LBB82_462
.LBB82_477:
	s_trap 2
	s_sendmsg_rtn_b32 s0, sendmsg(MSG_RTN_GET_DOORBELL)
	s_mov_b32 ttmp2, m0
	s_waitcnt lgkmcnt(0)
	s_and_b32 s0, s0, 0x3ff
	s_delay_alu instid0(SALU_CYCLE_1) | instskip(NEXT) | instid1(SALU_CYCLE_1)
	s_bitset1_b32 s0, 10
	s_mov_b32 m0, s0
	s_sendmsg sendmsg(MSG_INTERRUPT)
	s_mov_b32 m0, ttmp2
.LBB82_478:                             ; =>This Inner Loop Header: Depth=1
	s_sethalt 5
	s_branch .LBB82_478
.LBB82_479:
	s_cbranch_execnz .LBB82_485
; %bb.480:
	s_or_b32 s11, s11, exec_lo
	s_branch .LBB82_460
.LBB82_481:
	s_trap 2
	s_sendmsg_rtn_b32 s0, sendmsg(MSG_RTN_GET_DOORBELL)
	s_mov_b32 ttmp2, m0
	s_waitcnt lgkmcnt(0)
	s_and_b32 s0, s0, 0x3ff
	s_delay_alu instid0(SALU_CYCLE_1) | instskip(NEXT) | instid1(SALU_CYCLE_1)
	s_bitset1_b32 s0, 10
	s_mov_b32 m0, s0
	s_sendmsg sendmsg(MSG_INTERRUPT)
	s_mov_b32 m0, ttmp2
.LBB82_482:                             ; =>This Inner Loop Header: Depth=1
	s_sethalt 5
	s_branch .LBB82_482
.LBB82_483:
	s_cbranch_execnz .LBB82_489
; %bb.484:
	s_or_b32 s1, s1, exec_lo
	s_branch .LBB82_458
.LBB82_485:
	s_trap 2
	s_sendmsg_rtn_b32 s0, sendmsg(MSG_RTN_GET_DOORBELL)
	s_mov_b32 ttmp2, m0
	s_waitcnt lgkmcnt(0)
	s_and_b32 s0, s0, 0x3ff
	s_delay_alu instid0(SALU_CYCLE_1) | instskip(NEXT) | instid1(SALU_CYCLE_1)
	s_bitset1_b32 s0, 10
	s_mov_b32 m0, s0
	s_sendmsg sendmsg(MSG_INTERRUPT)
	s_mov_b32 m0, ttmp2
.LBB82_486:                             ; =>This Inner Loop Header: Depth=1
	s_sethalt 5
	s_branch .LBB82_486
.LBB82_487:
	s_cbranch_execnz .LBB82_491
; %bb.488:
	s_mov_b32 s0, exec_lo
	s_branch .LBB82_456
.LBB82_489:
	s_trap 2
	s_sendmsg_rtn_b32 s0, sendmsg(MSG_RTN_GET_DOORBELL)
	s_mov_b32 ttmp2, m0
	s_waitcnt lgkmcnt(0)
	s_and_b32 s0, s0, 0x3ff
	s_delay_alu instid0(SALU_CYCLE_1) | instskip(NEXT) | instid1(SALU_CYCLE_1)
	s_bitset1_b32 s0, 10
	s_mov_b32 m0, s0
	s_sendmsg sendmsg(MSG_INTERRUPT)
	s_mov_b32 m0, ttmp2
.LBB82_490:                             ; =>This Inner Loop Header: Depth=1
	s_sethalt 5
	s_branch .LBB82_490
.LBB82_491:
	s_trap 2
	s_sendmsg_rtn_b32 s0, sendmsg(MSG_RTN_GET_DOORBELL)
	s_mov_b32 ttmp2, m0
	s_waitcnt lgkmcnt(0)
	s_and_b32 s0, s0, 0x3ff
	s_delay_alu instid0(SALU_CYCLE_1) | instskip(NEXT) | instid1(SALU_CYCLE_1)
	s_bitset1_b32 s0, 10
	s_mov_b32 m0, s0
	s_sendmsg sendmsg(MSG_INTERRUPT)
	s_mov_b32 m0, ttmp2
.LBB82_492:                             ; =>This Inner Loop Header: Depth=1
	s_sethalt 5
	s_branch .LBB82_492
	.section	.rodata,"a",@progbits
	.p2align	6, 0x0
	.amdhsa_kernel _ZN2at6native6sbtopk10gatherTopKIfjLi1ELb0EEEvNS_4cuda6detail10TensorInfoIKT_T0_EES8_S8_bS8_S8_NS5_IS6_S8_EES8_NS5_IlS8_EES8_PS6_
		.amdhsa_group_segment_fixed_size 4112
		.amdhsa_private_segment_fixed_size 0
		.amdhsa_kernarg_size 952
		.amdhsa_user_sgpr_count 13
		.amdhsa_user_sgpr_dispatch_ptr 0
		.amdhsa_user_sgpr_queue_ptr 0
		.amdhsa_user_sgpr_kernarg_segment_ptr 1
		.amdhsa_user_sgpr_dispatch_id 0
		.amdhsa_user_sgpr_private_segment_size 0
		.amdhsa_wavefront_size32 1
		.amdhsa_uses_dynamic_stack 0
		.amdhsa_enable_private_segment 0
		.amdhsa_system_sgpr_workgroup_id_x 1
		.amdhsa_system_sgpr_workgroup_id_y 1
		.amdhsa_system_sgpr_workgroup_id_z 1
		.amdhsa_system_sgpr_workgroup_info 0
		.amdhsa_system_vgpr_workitem_id 0
		.amdhsa_next_free_vgpr 43
		.amdhsa_next_free_sgpr 89
		.amdhsa_reserve_vcc 1
		.amdhsa_float_round_mode_32 0
		.amdhsa_float_round_mode_16_64 0
		.amdhsa_float_denorm_mode_32 3
		.amdhsa_float_denorm_mode_16_64 3
		.amdhsa_dx10_clamp 1
		.amdhsa_ieee_mode 1
		.amdhsa_fp16_overflow 0
		.amdhsa_workgroup_processor_mode 1
		.amdhsa_memory_ordered 1
		.amdhsa_forward_progress 0
		.amdhsa_shared_vgpr_count 0
		.amdhsa_exception_fp_ieee_invalid_op 0
		.amdhsa_exception_fp_denorm_src 0
		.amdhsa_exception_fp_ieee_div_zero 0
		.amdhsa_exception_fp_ieee_overflow 0
		.amdhsa_exception_fp_ieee_underflow 0
		.amdhsa_exception_fp_ieee_inexact 0
		.amdhsa_exception_int_div_zero 0
	.end_amdhsa_kernel
	.section	.text._ZN2at6native6sbtopk10gatherTopKIfjLi1ELb0EEEvNS_4cuda6detail10TensorInfoIKT_T0_EES8_S8_bS8_S8_NS5_IS6_S8_EES8_NS5_IlS8_EES8_PS6_,"axG",@progbits,_ZN2at6native6sbtopk10gatherTopKIfjLi1ELb0EEEvNS_4cuda6detail10TensorInfoIKT_T0_EES8_S8_bS8_S8_NS5_IS6_S8_EES8_NS5_IlS8_EES8_PS6_,comdat
.Lfunc_end82:
	.size	_ZN2at6native6sbtopk10gatherTopKIfjLi1ELb0EEEvNS_4cuda6detail10TensorInfoIKT_T0_EES8_S8_bS8_S8_NS5_IS6_S8_EES8_NS5_IlS8_EES8_PS6_, .Lfunc_end82-_ZN2at6native6sbtopk10gatherTopKIfjLi1ELb0EEEvNS_4cuda6detail10TensorInfoIKT_T0_EES8_S8_bS8_S8_NS5_IS6_S8_EES8_NS5_IlS8_EES8_PS6_
                                        ; -- End function
	.section	.AMDGPU.csdata,"",@progbits
; Kernel info:
; codeLenInByte = 16036
; NumSgprs: 91
; NumVgprs: 43
; ScratchSize: 0
; MemoryBound: 0
; FloatMode: 240
; IeeeMode: 1
; LDSByteSize: 4112 bytes/workgroup (compile time only)
; SGPRBlocks: 11
; VGPRBlocks: 5
; NumSGPRsForWavesPerEU: 91
; NumVGPRsForWavesPerEU: 43
; Occupancy: 16
; WaveLimiterHint : 1
; COMPUTE_PGM_RSRC2:SCRATCH_EN: 0
; COMPUTE_PGM_RSRC2:USER_SGPR: 13
; COMPUTE_PGM_RSRC2:TRAP_HANDLER: 0
; COMPUTE_PGM_RSRC2:TGID_X_EN: 1
; COMPUTE_PGM_RSRC2:TGID_Y_EN: 1
; COMPUTE_PGM_RSRC2:TGID_Z_EN: 1
; COMPUTE_PGM_RSRC2:TIDIG_COMP_CNT: 0
	.section	.text._ZN2at6native6mbtopk23computeBlockDigitCountsIfjjLi2EEEvNS_4cuda6detail10TensorInfoIKT_T0_EEjPjjS8_iijT1_PSB_Ps,"axG",@progbits,_ZN2at6native6mbtopk23computeBlockDigitCountsIfjjLi2EEEvNS_4cuda6detail10TensorInfoIKT_T0_EEjPjjS8_iijT1_PSB_Ps,comdat
	.protected	_ZN2at6native6mbtopk23computeBlockDigitCountsIfjjLi2EEEvNS_4cuda6detail10TensorInfoIKT_T0_EEjPjjS8_iijT1_PSB_Ps ; -- Begin function _ZN2at6native6mbtopk23computeBlockDigitCountsIfjjLi2EEEvNS_4cuda6detail10TensorInfoIKT_T0_EEjPjjS8_iijT1_PSB_Ps
	.globl	_ZN2at6native6mbtopk23computeBlockDigitCountsIfjjLi2EEEvNS_4cuda6detail10TensorInfoIKT_T0_EEjPjjS8_iijT1_PSB_Ps
	.p2align	8
	.type	_ZN2at6native6mbtopk23computeBlockDigitCountsIfjjLi2EEEvNS_4cuda6detail10TensorInfoIKT_T0_EEjPjjS8_iijT1_PSB_Ps,@function
_ZN2at6native6mbtopk23computeBlockDigitCountsIfjjLi2EEEvNS_4cuda6detail10TensorInfoIKT_T0_EEjPjjS8_iijT1_PSB_Ps: ; @_ZN2at6native6mbtopk23computeBlockDigitCountsIfjjLi2EEEvNS_4cuda6detail10TensorInfoIKT_T0_EEjPjjS8_iijT1_PSB_Ps
; %bb.0:
	s_clause 0x2
	s_load_b64 s[2:3], s[0:1], 0xf8
	s_load_b128 s[8:11], s[0:1], 0xe8
	s_load_b64 s[4:5], s[0:1], 0x110
	s_waitcnt lgkmcnt(0)
	v_cvt_f32_u32_e32 v1, s2
	s_sub_i32 s7, 0, s2
	s_mul_i32 s5, s5, s15
	s_delay_alu instid0(SALU_CYCLE_1) | instskip(NEXT) | instid1(VALU_DEP_1)
	s_add_i32 s5, s5, s14
	v_rcp_iflag_f32_e32 v1, v1
	s_mul_i32 s16, s5, s4
	s_delay_alu instid0(SALU_CYCLE_1) | instskip(SKIP_3) | instid1(VALU_DEP_1)
	s_add_i32 s16, s16, s13
	s_mov_b32 s13, 0
	s_waitcnt_depctr 0xfff
	v_mul_f32_e32 v1, 0x4f7ffffe, v1
	v_cvt_u32_f32_e32 v1, v1
	s_delay_alu instid0(VALU_DEP_1) | instskip(NEXT) | instid1(VALU_DEP_1)
	v_readfirstlane_b32 s6, v1
	s_mul_i32 s7, s7, s6
	s_delay_alu instid0(SALU_CYCLE_1) | instskip(NEXT) | instid1(SALU_CYCLE_1)
	s_mul_hi_u32 s4, s6, s7
	s_add_i32 s6, s6, s4
	s_delay_alu instid0(SALU_CYCLE_1) | instskip(NEXT) | instid1(SALU_CYCLE_1)
	s_mul_hi_u32 s4, s16, s6
	s_mul_i32 s5, s4, s2
	s_add_i32 s6, s4, 1
	s_sub_i32 s5, s16, s5
	s_delay_alu instid0(SALU_CYCLE_1)
	s_sub_i32 s7, s5, s2
	s_cmp_ge_u32 s5, s2
	s_cselect_b32 s4, s6, s4
	s_cselect_b32 s5, s7, s5
	s_add_i32 s6, s4, 1
	s_cmp_ge_u32 s5, s2
	s_cselect_b32 s12, s6, s4
	s_delay_alu instid0(SALU_CYCLE_1)
	s_cmp_ge_u32 s12, s8
	s_cbranch_scc1 .LBB83_29
; %bb.1:
	s_clause 0x1
	s_load_b32 s17, s[0:1], 0xc
	s_load_b128 s[4:7], s[0:1], 0x100
	s_lshl_b64 s[14:15], s[12:13], 2
	v_cmp_gt_u32_e32 vcc_lo, 0x100, v0
	v_lshlrev_b32_e32 v3, 2, v0
	s_waitcnt lgkmcnt(0)
	v_cvt_f32_u32_e32 v1, s17
	s_add_u32 s14, s4, s14
	s_addc_u32 s15, s5, s15
	s_delay_alu instid0(VALU_DEP_1) | instskip(SKIP_2) | instid1(VALU_DEP_1)
	v_rcp_iflag_f32_e32 v1, v1
	s_waitcnt_depctr 0xfff
	v_mul_f32_e32 v1, 0x4f7ffffe, v1
	v_cvt_u32_f32_e32 v1, v1
	s_delay_alu instid0(VALU_DEP_1)
	v_readfirstlane_b32 s18, v1
	s_and_saveexec_b32 s4, vcc_lo
	s_cbranch_execz .LBB83_3
; %bb.2:
	v_mov_b32_e32 v1, 0
	ds_store_b32 v3, v1
.LBB83_3:
	s_or_b32 exec_lo, exec_lo, s4
	s_load_b32 s8, s[0:1], 0xd8
	s_mul_i32 s4, s12, s2
	s_waitcnt lgkmcnt(0)
	s_sub_i32 s4, s16, s4
	s_barrier
	s_mul_i32 s5, s11, s4
	s_add_i32 s4, s4, 1
	s_lshl_b32 s13, s5, 8
	buffer_gl0_inv
	s_sub_i32 s5, s8, s13
	s_delay_alu instid0(SALU_CYCLE_1) | instskip(SKIP_3) | instid1(VALU_DEP_1)
	s_add_u32 s5, s5, 0xff
	s_addc_u32 s19, 0, 0
	s_cmp_lt_u32 s4, s2
	v_alignbit_b32 v1, s19, s5, 8
	v_readfirstlane_b32 s5, v1
	s_delay_alu instid0(VALU_DEP_1)
	s_cselect_b32 s11, s11, s5
	s_mov_b32 s5, 0
	s_cmp_lt_i32 s11, 1
	s_cbranch_scc1 .LBB83_25
; %bb.4:
	s_sub_i32 s2, 0, s17
	s_load_b64 s[20:21], s[0:1], 0x0
	s_mul_i32 s2, s2, s18
	s_delay_alu instid0(SALU_CYCLE_1) | instskip(NEXT) | instid1(SALU_CYCLE_1)
	s_mul_hi_u32 s2, s18, s2
	s_add_i32 s2, s18, s2
	s_load_b64 s[18:19], s[0:1], 0x6c
	s_mul_hi_u32 s2, s12, s2
	s_load_b32 s1, s[14:15], 0x0
	s_mul_i32 s4, s2, s17
	s_delay_alu instid0(SALU_CYCLE_1)
	s_sub_i32 s0, s12, s4
	s_add_i32 s4, s2, 1
	s_sub_i32 s22, s0, s17
	s_cmp_ge_u32 s0, s17
	s_cselect_b32 s2, s4, s2
	s_cselect_b32 s0, s22, s0
	s_add_i32 s4, s2, 1
	s_cmp_ge_u32 s0, s17
	s_cselect_b32 s0, s4, s2
	s_delay_alu instid0(SALU_CYCLE_1) | instskip(NEXT) | instid1(SALU_CYCLE_1)
	s_mul_i32 s2, s0, s17
	s_sub_i32 s2, s12, s2
	s_waitcnt lgkmcnt(0)
	s_mul_i32 s0, s0, s18
	s_mul_i32 s2, s2, s19
	s_delay_alu instid0(SALU_CYCLE_1) | instskip(NEXT) | instid1(SALU_CYCLE_1)
	s_add_i32 s4, s0, s2
	s_lshl_b64 s[14:15], s[4:5], 2
	s_delay_alu instid0(SALU_CYCLE_1)
	s_add_u32 s2, s20, s14
	s_addc_u32 s4, s21, s15
	s_and_b32 s10, s10, 0xff
	s_cmp_lt_u32 s11, 4
	s_cbranch_scc1 .LBB83_19
; %bb.5:
	v_add_nc_u32_e32 v1, s13, v0
	s_and_b32 s5, s11, 0x7ffffffc
	s_lshl_b32 s12, s9, 10
	s_mov_b32 s14, 0
	s_mov_b32 s15, 0
	v_dual_mov_b32 v9, 1 :: v_dual_add_nc_u32 v2, 0x200, v1
	s_delay_alu instid0(VALU_DEP_1) | instskip(SKIP_4) | instid1(VALU_DEP_3)
	v_mul_lo_u32 v6, s9, v2
	v_mov_b32_e32 v2, 0
	v_add_nc_u32_e32 v4, 0x300, v1
	v_add_nc_u32_e32 v7, 0x100, v1
	v_mul_lo_u32 v8, s9, v1
	v_mul_lo_u32 v5, s9, v4
	s_delay_alu instid0(VALU_DEP_3)
	v_mul_lo_u32 v7, s9, v7
	s_branch .LBB83_7
.LBB83_6:                               ;   in Loop: Header=BB83_7 Depth=1
	s_or_b32 exec_lo, exec_lo, s17
	v_add_nc_u32_e32 v4, 0x400, v4
	s_add_i32 s15, s15, 4
	s_add_i32 s14, s14, s12
	s_cmp_eq_u32 s5, s15
	s_cbranch_scc1 .LBB83_19
.LBB83_7:                               ; =>This Inner Loop Header: Depth=1
	v_add_nc_u32_e32 v1, 0xfffffd00, v4
	s_mov_b32 s17, exec_lo
	s_delay_alu instid0(VALU_DEP_1)
	v_cmpx_gt_u32_e64 s8, v1
	s_cbranch_execz .LBB83_10
; %bb.8:                                ;   in Loop: Header=BB83_7 Depth=1
	v_add_nc_u32_e32 v1, s14, v8
	s_delay_alu instid0(VALU_DEP_1) | instskip(NEXT) | instid1(VALU_DEP_1)
	v_lshlrev_b64 v[10:11], 2, v[1:2]
	v_add_co_u32 v10, s0, s2, v10
	s_delay_alu instid0(VALU_DEP_1) | instskip(SKIP_3) | instid1(VALU_DEP_1)
	v_add_co_ci_u32_e64 v11, s0, s4, v11, s0
	global_load_b32 v1, v[10:11], off
	s_waitcnt vmcnt(0)
	v_cmp_lt_i32_e64 s0, -1, v1
	v_cndmask_b32_e64 v10, -1, 0x80000000, s0
	v_cmp_o_f32_e64 s0, v1, v1
	s_delay_alu instid0(VALU_DEP_2) | instskip(NEXT) | instid1(VALU_DEP_1)
	v_xor_b32_e32 v10, v10, v1
	v_cndmask_b32_e64 v1, -1, v10, s0
	s_delay_alu instid0(VALU_DEP_1) | instskip(NEXT) | instid1(VALU_DEP_1)
	v_xor_b32_e32 v10, s1, v1
	v_and_b32_e32 v10, s3, v10
	s_delay_alu instid0(VALU_DEP_1) | instskip(NEXT) | instid1(VALU_DEP_1)
	v_cmp_eq_u32_e64 s0, 0, v10
	s_and_b32 exec_lo, exec_lo, s0
	s_cbranch_execz .LBB83_10
; %bb.9:                                ;   in Loop: Header=BB83_7 Depth=1
	v_bfe_u32 v1, v1, s10, 8
	s_delay_alu instid0(VALU_DEP_1)
	v_lshlrev_b32_e32 v1, 2, v1
	ds_add_u32 v1, v9
.LBB83_10:                              ;   in Loop: Header=BB83_7 Depth=1
	s_or_b32 exec_lo, exec_lo, s17
	v_add_nc_u32_e32 v1, 0xfffffe00, v4
	s_mov_b32 s17, exec_lo
	s_delay_alu instid0(VALU_DEP_1)
	v_cmpx_gt_u32_e64 s8, v1
	s_cbranch_execz .LBB83_13
; %bb.11:                               ;   in Loop: Header=BB83_7 Depth=1
	v_add_nc_u32_e32 v1, s14, v7
	s_delay_alu instid0(VALU_DEP_1) | instskip(NEXT) | instid1(VALU_DEP_1)
	v_lshlrev_b64 v[10:11], 2, v[1:2]
	v_add_co_u32 v10, s0, s2, v10
	s_delay_alu instid0(VALU_DEP_1) | instskip(SKIP_3) | instid1(VALU_DEP_1)
	v_add_co_ci_u32_e64 v11, s0, s4, v11, s0
	global_load_b32 v1, v[10:11], off
	s_waitcnt vmcnt(0)
	v_cmp_lt_i32_e64 s0, -1, v1
	v_cndmask_b32_e64 v10, -1, 0x80000000, s0
	v_cmp_o_f32_e64 s0, v1, v1
	s_delay_alu instid0(VALU_DEP_2) | instskip(NEXT) | instid1(VALU_DEP_1)
	v_xor_b32_e32 v10, v10, v1
	v_cndmask_b32_e64 v1, -1, v10, s0
	s_delay_alu instid0(VALU_DEP_1) | instskip(NEXT) | instid1(VALU_DEP_1)
	v_xor_b32_e32 v10, s1, v1
	v_and_b32_e32 v10, s3, v10
	s_delay_alu instid0(VALU_DEP_1) | instskip(NEXT) | instid1(VALU_DEP_1)
	v_cmp_eq_u32_e64 s0, 0, v10
	s_and_b32 exec_lo, exec_lo, s0
	s_cbranch_execz .LBB83_13
; %bb.12:                               ;   in Loop: Header=BB83_7 Depth=1
	v_bfe_u32 v1, v1, s10, 8
	s_delay_alu instid0(VALU_DEP_1)
	v_lshlrev_b32_e32 v1, 2, v1
	ds_add_u32 v1, v9
.LBB83_13:                              ;   in Loop: Header=BB83_7 Depth=1
	s_or_b32 exec_lo, exec_lo, s17
	v_add_nc_u32_e32 v1, 0xffffff00, v4
	s_mov_b32 s17, exec_lo
	s_delay_alu instid0(VALU_DEP_1)
	v_cmpx_gt_u32_e64 s8, v1
	s_cbranch_execz .LBB83_16
; %bb.14:                               ;   in Loop: Header=BB83_7 Depth=1
	v_add_nc_u32_e32 v1, s14, v6
	s_delay_alu instid0(VALU_DEP_1) | instskip(NEXT) | instid1(VALU_DEP_1)
	v_lshlrev_b64 v[10:11], 2, v[1:2]
	v_add_co_u32 v10, s0, s2, v10
	s_delay_alu instid0(VALU_DEP_1) | instskip(SKIP_3) | instid1(VALU_DEP_1)
	v_add_co_ci_u32_e64 v11, s0, s4, v11, s0
	global_load_b32 v1, v[10:11], off
	s_waitcnt vmcnt(0)
	v_cmp_lt_i32_e64 s0, -1, v1
	v_cndmask_b32_e64 v10, -1, 0x80000000, s0
	v_cmp_o_f32_e64 s0, v1, v1
	s_delay_alu instid0(VALU_DEP_2) | instskip(NEXT) | instid1(VALU_DEP_1)
	v_xor_b32_e32 v10, v10, v1
	v_cndmask_b32_e64 v1, -1, v10, s0
	s_delay_alu instid0(VALU_DEP_1) | instskip(NEXT) | instid1(VALU_DEP_1)
	v_xor_b32_e32 v10, s1, v1
	v_and_b32_e32 v10, s3, v10
	s_delay_alu instid0(VALU_DEP_1) | instskip(NEXT) | instid1(VALU_DEP_1)
	v_cmp_eq_u32_e64 s0, 0, v10
	s_and_b32 exec_lo, exec_lo, s0
	s_cbranch_execz .LBB83_16
; %bb.15:                               ;   in Loop: Header=BB83_7 Depth=1
	v_bfe_u32 v1, v1, s10, 8
	s_delay_alu instid0(VALU_DEP_1)
	v_lshlrev_b32_e32 v1, 2, v1
	ds_add_u32 v1, v9
.LBB83_16:                              ;   in Loop: Header=BB83_7 Depth=1
	s_or_b32 exec_lo, exec_lo, s17
	s_delay_alu instid0(SALU_CYCLE_1)
	s_mov_b32 s17, exec_lo
	v_cmpx_gt_u32_e64 s8, v4
	s_cbranch_execz .LBB83_6
; %bb.17:                               ;   in Loop: Header=BB83_7 Depth=1
	v_add_nc_u32_e32 v1, s14, v5
	s_delay_alu instid0(VALU_DEP_1) | instskip(NEXT) | instid1(VALU_DEP_1)
	v_lshlrev_b64 v[10:11], 2, v[1:2]
	v_add_co_u32 v10, s0, s2, v10
	s_delay_alu instid0(VALU_DEP_1) | instskip(SKIP_3) | instid1(VALU_DEP_1)
	v_add_co_ci_u32_e64 v11, s0, s4, v11, s0
	global_load_b32 v1, v[10:11], off
	s_waitcnt vmcnt(0)
	v_cmp_lt_i32_e64 s0, -1, v1
	v_cndmask_b32_e64 v10, -1, 0x80000000, s0
	v_cmp_o_f32_e64 s0, v1, v1
	s_delay_alu instid0(VALU_DEP_2) | instskip(NEXT) | instid1(VALU_DEP_1)
	v_xor_b32_e32 v10, v10, v1
	v_cndmask_b32_e64 v1, -1, v10, s0
	s_delay_alu instid0(VALU_DEP_1) | instskip(NEXT) | instid1(VALU_DEP_1)
	v_xor_b32_e32 v10, s1, v1
	v_and_b32_e32 v10, s3, v10
	s_delay_alu instid0(VALU_DEP_1) | instskip(NEXT) | instid1(VALU_DEP_1)
	v_cmp_eq_u32_e64 s0, 0, v10
	s_and_b32 exec_lo, exec_lo, s0
	s_cbranch_execz .LBB83_6
; %bb.18:                               ;   in Loop: Header=BB83_7 Depth=1
	v_bfe_u32 v1, v1, s10, 8
	s_delay_alu instid0(VALU_DEP_1)
	v_lshlrev_b32_e32 v1, 2, v1
	ds_add_u32 v1, v9
	s_branch .LBB83_6
.LBB83_19:
	s_and_b32 s11, s11, 3
	s_delay_alu instid0(SALU_CYCLE_1)
	s_cmp_eq_u32 s11, 0
	s_cbranch_scc1 .LBB83_25
; %bb.20:
	s_lshl_b32 s0, s5, 8
	v_dual_mov_b32 v2, 0 :: v_dual_mov_b32 v5, 1
	v_add3_u32 v4, s0, s13, v0
	s_lshl_b32 s5, s9, 8
	s_delay_alu instid0(VALU_DEP_1)
	v_mul_lo_u32 v1, s9, v4
	s_set_inst_prefetch_distance 0x1
	s_branch .LBB83_22
	.p2align	6
.LBB83_21:                              ;   in Loop: Header=BB83_22 Depth=1
	s_or_b32 exec_lo, exec_lo, s9
	s_delay_alu instid0(VALU_DEP_2) | instskip(SKIP_2) | instid1(SALU_CYCLE_1)
	v_add_nc_u32_e32 v1, s5, v1
	v_add_nc_u32_e32 v4, 0x100, v4
	s_add_i32 s11, s11, -1
	s_cmp_lg_u32 s11, 0
	s_cbranch_scc0 .LBB83_25
.LBB83_22:                              ; =>This Inner Loop Header: Depth=1
	s_mov_b32 s9, exec_lo
	v_cmpx_gt_u32_e64 s8, v4
	s_cbranch_execz .LBB83_21
; %bb.23:                               ;   in Loop: Header=BB83_22 Depth=1
	s_delay_alu instid0(VALU_DEP_2) | instskip(NEXT) | instid1(VALU_DEP_1)
	v_lshlrev_b64 v[6:7], 2, v[1:2]
	v_add_co_u32 v6, s0, s2, v6
	s_delay_alu instid0(VALU_DEP_1) | instskip(SKIP_3) | instid1(VALU_DEP_1)
	v_add_co_ci_u32_e64 v7, s0, s4, v7, s0
	global_load_b32 v6, v[6:7], off
	s_waitcnt vmcnt(0)
	v_cmp_lt_i32_e64 s0, -1, v6
	v_cndmask_b32_e64 v7, -1, 0x80000000, s0
	v_cmp_o_f32_e64 s0, v6, v6
	s_delay_alu instid0(VALU_DEP_2) | instskip(NEXT) | instid1(VALU_DEP_1)
	v_xor_b32_e32 v7, v7, v6
	v_cndmask_b32_e64 v6, -1, v7, s0
	s_delay_alu instid0(VALU_DEP_1) | instskip(NEXT) | instid1(VALU_DEP_1)
	v_xor_b32_e32 v7, s1, v6
	v_and_b32_e32 v7, s3, v7
	s_delay_alu instid0(VALU_DEP_1) | instskip(NEXT) | instid1(VALU_DEP_1)
	v_cmp_eq_u32_e64 s0, 0, v7
	s_and_b32 exec_lo, exec_lo, s0
	s_cbranch_execz .LBB83_21
; %bb.24:                               ;   in Loop: Header=BB83_22 Depth=1
	v_bfe_u32 v6, v6, s10, 8
	s_delay_alu instid0(VALU_DEP_1)
	v_lshlrev_b32_e32 v6, 2, v6
	ds_add_u32 v6, v5
	s_branch .LBB83_21
.LBB83_25:
	s_set_inst_prefetch_distance 0x2
	v_mov_b32_e32 v1, 0
	s_waitcnt lgkmcnt(0)
	s_barrier
	buffer_gl0_inv
	s_and_saveexec_b32 s0, vcc_lo
	s_cbranch_execz .LBB83_27
; %bb.26:
	ds_load_b32 v1, v3
.LBB83_27:
	s_or_b32 exec_lo, exec_lo, s0
	s_and_saveexec_b32 s0, vcc_lo
	s_cbranch_execz .LBB83_29
; %bb.28:
	v_lshl_or_b32 v2, s16, 8, v0
	v_mov_b32_e32 v3, 0
	s_delay_alu instid0(VALU_DEP_1) | instskip(NEXT) | instid1(VALU_DEP_1)
	v_lshlrev_b64 v[2:3], 1, v[2:3]
	v_add_co_u32 v2, vcc_lo, s6, v2
	s_delay_alu instid0(VALU_DEP_2)
	v_add_co_ci_u32_e32 v3, vcc_lo, s7, v3, vcc_lo
	s_waitcnt lgkmcnt(0)
	global_store_b16 v[2:3], v1, off
.LBB83_29:
	s_nop 0
	s_sendmsg sendmsg(MSG_DEALLOC_VGPRS)
	s_endpgm
	.section	.rodata,"a",@progbits
	.p2align	6, 0x0
	.amdhsa_kernel _ZN2at6native6mbtopk23computeBlockDigitCountsIfjjLi2EEEvNS_4cuda6detail10TensorInfoIKT_T0_EEjPjjS8_iijT1_PSB_Ps
		.amdhsa_group_segment_fixed_size 1024
		.amdhsa_private_segment_fixed_size 0
		.amdhsa_kernarg_size 528
		.amdhsa_user_sgpr_count 13
		.amdhsa_user_sgpr_dispatch_ptr 0
		.amdhsa_user_sgpr_queue_ptr 0
		.amdhsa_user_sgpr_kernarg_segment_ptr 1
		.amdhsa_user_sgpr_dispatch_id 0
		.amdhsa_user_sgpr_private_segment_size 0
		.amdhsa_wavefront_size32 1
		.amdhsa_uses_dynamic_stack 0
		.amdhsa_enable_private_segment 0
		.amdhsa_system_sgpr_workgroup_id_x 1
		.amdhsa_system_sgpr_workgroup_id_y 1
		.amdhsa_system_sgpr_workgroup_id_z 1
		.amdhsa_system_sgpr_workgroup_info 0
		.amdhsa_system_vgpr_workitem_id 0
		.amdhsa_next_free_vgpr 12
		.amdhsa_next_free_sgpr 23
		.amdhsa_reserve_vcc 1
		.amdhsa_float_round_mode_32 0
		.amdhsa_float_round_mode_16_64 0
		.amdhsa_float_denorm_mode_32 3
		.amdhsa_float_denorm_mode_16_64 3
		.amdhsa_dx10_clamp 1
		.amdhsa_ieee_mode 1
		.amdhsa_fp16_overflow 0
		.amdhsa_workgroup_processor_mode 1
		.amdhsa_memory_ordered 1
		.amdhsa_forward_progress 0
		.amdhsa_shared_vgpr_count 0
		.amdhsa_exception_fp_ieee_invalid_op 0
		.amdhsa_exception_fp_denorm_src 0
		.amdhsa_exception_fp_ieee_div_zero 0
		.amdhsa_exception_fp_ieee_overflow 0
		.amdhsa_exception_fp_ieee_underflow 0
		.amdhsa_exception_fp_ieee_inexact 0
		.amdhsa_exception_int_div_zero 0
	.end_amdhsa_kernel
	.section	.text._ZN2at6native6mbtopk23computeBlockDigitCountsIfjjLi2EEEvNS_4cuda6detail10TensorInfoIKT_T0_EEjPjjS8_iijT1_PSB_Ps,"axG",@progbits,_ZN2at6native6mbtopk23computeBlockDigitCountsIfjjLi2EEEvNS_4cuda6detail10TensorInfoIKT_T0_EEjPjjS8_iijT1_PSB_Ps,comdat
.Lfunc_end83:
	.size	_ZN2at6native6mbtopk23computeBlockDigitCountsIfjjLi2EEEvNS_4cuda6detail10TensorInfoIKT_T0_EEjPjjS8_iijT1_PSB_Ps, .Lfunc_end83-_ZN2at6native6mbtopk23computeBlockDigitCountsIfjjLi2EEEvNS_4cuda6detail10TensorInfoIKT_T0_EEjPjjS8_iijT1_PSB_Ps
                                        ; -- End function
	.section	.AMDGPU.csdata,"",@progbits
; Kernel info:
; codeLenInByte = 1752
; NumSgprs: 25
; NumVgprs: 12
; ScratchSize: 0
; MemoryBound: 0
; FloatMode: 240
; IeeeMode: 1
; LDSByteSize: 1024 bytes/workgroup (compile time only)
; SGPRBlocks: 3
; VGPRBlocks: 1
; NumSGPRsForWavesPerEU: 25
; NumVGPRsForWavesPerEU: 12
; Occupancy: 16
; WaveLimiterHint : 1
; COMPUTE_PGM_RSRC2:SCRATCH_EN: 0
; COMPUTE_PGM_RSRC2:USER_SGPR: 13
; COMPUTE_PGM_RSRC2:TRAP_HANDLER: 0
; COMPUTE_PGM_RSRC2:TGID_X_EN: 1
; COMPUTE_PGM_RSRC2:TGID_Y_EN: 1
; COMPUTE_PGM_RSRC2:TGID_Z_EN: 1
; COMPUTE_PGM_RSRC2:TIDIG_COMP_CNT: 0
	.section	.text._ZN2at6native6mbtopk10gatherTopKIfjLi2EEEvNS_4cuda6detail10TensorInfoIKT_T0_EES8_S8_bjS8_NS5_IS6_S8_EES8_NS5_IlS8_EES8_jjPS6_PjSD_j,"axG",@progbits,_ZN2at6native6mbtopk10gatherTopKIfjLi2EEEvNS_4cuda6detail10TensorInfoIKT_T0_EES8_S8_bjS8_NS5_IS6_S8_EES8_NS5_IlS8_EES8_jjPS6_PjSD_j,comdat
	.protected	_ZN2at6native6mbtopk10gatherTopKIfjLi2EEEvNS_4cuda6detail10TensorInfoIKT_T0_EES8_S8_bjS8_NS5_IS6_S8_EES8_NS5_IlS8_EES8_jjPS6_PjSD_j ; -- Begin function _ZN2at6native6mbtopk10gatherTopKIfjLi2EEEvNS_4cuda6detail10TensorInfoIKT_T0_EES8_S8_bjS8_NS5_IS6_S8_EES8_NS5_IlS8_EES8_jjPS6_PjSD_j
	.globl	_ZN2at6native6mbtopk10gatherTopKIfjLi2EEEvNS_4cuda6detail10TensorInfoIKT_T0_EES8_S8_bjS8_NS5_IS6_S8_EES8_NS5_IlS8_EES8_jjPS6_PjSD_j
	.p2align	8
	.type	_ZN2at6native6mbtopk10gatherTopKIfjLi2EEEvNS_4cuda6detail10TensorInfoIKT_T0_EES8_S8_bjS8_NS5_IS6_S8_EES8_NS5_IlS8_EES8_jjPS6_PjSD_j,@function
_ZN2at6native6mbtopk10gatherTopKIfjLi2EEEvNS_4cuda6detail10TensorInfoIKT_T0_EES8_S8_bjS8_NS5_IS6_S8_EES8_NS5_IlS8_EES8_jjPS6_PjSD_j: ; @_ZN2at6native6mbtopk10gatherTopKIfjLi2EEEvNS_4cuda6detail10TensorInfoIKT_T0_EES8_S8_bjS8_NS5_IS6_S8_EES8_NS5_IlS8_EES8_jjPS6_PjSD_j
; %bb.0:
	s_clause 0x1
	s_load_b64 s[2:3], s[0:1], 0x2d8
	s_load_b32 s4, s[0:1], 0x2d0
	s_waitcnt lgkmcnt(0)
	s_mul_i32 s3, s3, s15
	s_delay_alu instid0(SALU_CYCLE_1) | instskip(NEXT) | instid1(SALU_CYCLE_1)
	s_add_i32 s3, s3, s14
	s_mul_i32 s2, s3, s2
	s_delay_alu instid0(SALU_CYCLE_1) | instskip(NEXT) | instid1(SALU_CYCLE_1)
	s_add_i32 s2, s2, s13
	s_cmp_ge_u32 s2, s4
	s_cbranch_scc1 .LBB84_40
; %bb.1:
	s_clause 0x3
	s_load_b256 s[4:11], s[0:1], 0x2a8
	s_load_b32 s37, s[0:1], 0xc
	s_load_b32 s36, s[0:1], 0xfc
	;; [unrolled: 1-line block ×3, first 2 shown]
	s_mov_b32 s23, 0
	s_clause 0x4
	s_load_b64 s[18:19], s[0:1], 0xf0
	s_load_b64 s[28:29], s[0:1], 0x6c
	;; [unrolled: 1-line block ×5, first 2 shown]
	s_waitcnt lgkmcnt(0)
	v_cvt_f32_u32_e32 v1, s6
	v_cvt_f32_u32_e32 v2, s37
	;; [unrolled: 1-line block ×4, first 2 shown]
	s_sub_i32 s7, 0, s6
	v_rcp_iflag_f32_e32 v1, v1
	v_rcp_iflag_f32_e32 v2, v2
	;; [unrolled: 1-line block ×4, first 2 shown]
	v_mul_f32_e32 v1, 0x4f7ffffe, v1
	s_delay_alu instid0(VALU_DEP_1) | instskip(NEXT) | instid1(VALU_DEP_1)
	v_cvt_u32_f32_e32 v1, v1
	v_readfirstlane_b32 s3, v1
	s_waitcnt_depctr 0xfff
	v_dual_mul_f32 v1, 0x4f7ffffe, v2 :: v_dual_mul_f32 v2, 0x4f7ffffe, v3
	v_mul_f32_e32 v3, 0x4f7ffffe, v4
	s_mul_i32 s7, s7, s3
	s_delay_alu instid0(VALU_DEP_2)
	v_cvt_u32_f32_e32 v1, v1
	s_mul_hi_u32 s7, s3, s7
	v_cvt_u32_f32_e32 v2, v2
	s_add_i32 s3, s3, s7
	v_cvt_u32_f32_e32 v3, v3
	s_mul_hi_u32 s3, s2, s3
	v_readfirstlane_b32 s13, v1
	s_mul_i32 s7, s3, s6
	s_add_i32 s12, s3, 1
	s_sub_i32 s7, s2, s7
	v_readfirstlane_b32 s26, v2
	s_sub_i32 s14, s7, s6
	s_cmp_ge_u32 s7, s6
	v_readfirstlane_b32 s27, v3
	s_cselect_b32 s3, s12, s3
	s_cselect_b32 s7, s14, s7
	s_add_i32 s12, s3, 1
	s_cmp_ge_u32 s7, s6
	s_cselect_b32 s22, s12, s3
	s_sub_i32 s3, 0, s37
	s_sub_i32 s7, 0, s36
	;; [unrolled: 1-line block ×3, first 2 shown]
	s_mul_i32 s12, s22, s6
	s_mul_i32 s3, s3, s13
	;; [unrolled: 1-line block ×4, first 2 shown]
	s_sub_i32 s7, s2, s12
	s_mul_hi_u32 s2, s13, s3
	s_mul_hi_u32 s3, s26, s30
	;; [unrolled: 1-line block ×3, first 2 shown]
	s_lshl_b64 s[14:15], s[22:23], 2
	s_add_i32 s13, s13, s2
	s_add_i32 s31, s26, s3
	;; [unrolled: 1-line block ×3, first 2 shown]
	s_add_u32 s2, s8, s14
	s_addc_u32 s3, s9, s15
	s_load_b64 s[26:27], s[0:1], 0x23c
	s_load_b32 s38, s[2:3], 0x0
	v_cmp_ne_u32_e64 s2, 0, v0
	v_cmp_eq_u32_e64 s3, 0, v0
	s_mul_hi_u32 s41, s22, s13
	s_mul_hi_u32 s40, s22, s31
	;; [unrolled: 1-line block ×3, first 2 shown]
	s_delay_alu instid0(VALU_DEP_1)
	s_and_saveexec_b32 s42, s3
	s_cbranch_execz .LBB84_17
; %bb.2:
	s_load_b64 s[8:9], s[0:1], 0x2c8
	s_mov_b32 s13, s23
	s_delay_alu instid0(SALU_CYCLE_1) | instskip(NEXT) | instid1(SALU_CYCLE_1)
	s_lshl_b64 s[30:31], s[12:13], 2
	s_add_u32 s12, s10, s30
	s_addc_u32 s13, s11, s31
	s_waitcnt lgkmcnt(0)
	s_add_u32 s14, s8, s30
	s_addc_u32 s15, s9, s31
	s_cmp_lt_u32 s6, 4
	s_cbranch_scc1 .LBB84_14
; %bb.3:
	s_mov_b32 s43, s23
	s_mov_b32 s44, s23
	;; [unrolled: 1-line block ×3, first 2 shown]
.LBB84_4:                               ; =>This Inner Loop Header: Depth=1
	s_add_u32 s12, s10, s30
	s_addc_u32 s13, s11, s31
	s_add_u32 s34, s8, s30
	s_load_b128 s[12:15], s[12:13], 0x0
	s_addc_u32 s35, s9, s31
	s_cmp_ge_u32 s45, s7
	s_cbranch_scc0 .LBB84_11
; %bb.5:                                ;   in Loop: Header=BB84_4 Depth=1
	s_add_i32 s46, s45, 1
	s_delay_alu instid0(SALU_CYCLE_1)
	s_cmp_ge_u32 s46, s7
	s_cbranch_scc0 .LBB84_12
.LBB84_6:                               ;   in Loop: Header=BB84_4 Depth=1
	s_add_i32 s46, s46, 1
	s_delay_alu instid0(SALU_CYCLE_1)
	s_cmp_ge_u32 s46, s7
	s_cbranch_scc0 .LBB84_13
.LBB84_7:                               ;   in Loop: Header=BB84_4 Depth=1
	s_add_i32 s46, s46, 1
	s_delay_alu instid0(SALU_CYCLE_1)
	s_cmp_ge_u32 s46, s7
	s_cbranch_scc1 .LBB84_9
.LBB84_8:                               ;   in Loop: Header=BB84_4 Depth=1
	s_load_b32 s34, s[34:35], 0xc
	s_waitcnt lgkmcnt(0)
	s_add_i32 s23, s23, s15
	s_add_i32 s43, s34, s43
.LBB84_9:                               ;   in Loop: Header=BB84_4 Depth=1
	s_waitcnt lgkmcnt(0)
	s_add_i32 s12, s12, s44
	s_delay_alu instid0(SALU_CYCLE_1) | instskip(NEXT) | instid1(SALU_CYCLE_1)
	s_add_i32 s12, s12, s13
	s_add_i32 s12, s12, s14
	s_delay_alu instid0(SALU_CYCLE_1)
	s_add_i32 s44, s12, s15
	s_add_u32 s10, s10, 16
	s_addc_u32 s11, s11, 0
	s_add_u32 s8, s8, 16
	s_addc_u32 s9, s9, 0
	s_add_i32 s35, s46, 4
	s_add_u32 s14, s8, s30
	s_addc_u32 s15, s9, s31
	s_add_u32 s12, s10, s30
	s_addc_u32 s13, s11, s31
	s_add_i32 s34, s46, 1
	s_cmp_ge_u32 s35, s6
	s_cbranch_scc1 .LBB84_15
; %bb.10:                               ;   in Loop: Header=BB84_4 Depth=1
	s_mov_b32 s45, s34
	s_branch .LBB84_4
.LBB84_11:                              ;   in Loop: Header=BB84_4 Depth=1
	s_load_b32 s46, s[34:35], 0x0
	s_waitcnt lgkmcnt(0)
	s_add_i32 s23, s12, s23
	s_add_i32 s43, s46, s43
	;; [unrolled: 1-line block ×3, first 2 shown]
	s_delay_alu instid0(SALU_CYCLE_1)
	s_cmp_ge_u32 s46, s7
	s_cbranch_scc1 .LBB84_6
.LBB84_12:                              ;   in Loop: Header=BB84_4 Depth=1
	s_load_b32 s47, s[34:35], 0x4
	s_waitcnt lgkmcnt(0)
	s_add_i32 s23, s23, s13
	s_add_i32 s43, s47, s43
	;; [unrolled: 1-line block ×3, first 2 shown]
	s_delay_alu instid0(SALU_CYCLE_1)
	s_cmp_ge_u32 s46, s7
	s_cbranch_scc1 .LBB84_7
.LBB84_13:                              ;   in Loop: Header=BB84_4 Depth=1
	s_load_b32 s47, s[34:35], 0x8
	s_waitcnt lgkmcnt(0)
	s_add_i32 s23, s23, s14
	s_add_i32 s43, s47, s43
	;; [unrolled: 1-line block ×3, first 2 shown]
	s_delay_alu instid0(SALU_CYCLE_1)
	s_cmp_ge_u32 s46, s7
	s_cbranch_scc0 .LBB84_8
	s_branch .LBB84_9
.LBB84_14:
	s_mov_b32 s43, 0
	s_mov_b32 s44, 0
	;; [unrolled: 1-line block ×3, first 2 shown]
	s_delay_alu instid0(SALU_CYCLE_1)
	s_cmp_ge_u32 s8, s6
	s_cbranch_scc0 .LBB84_38
	s_branch .LBB84_16
.LBB84_15:
	s_add_i32 s8, s45, 4
	s_delay_alu instid0(SALU_CYCLE_1)
	s_cmp_ge_u32 s8, s6
	s_cbranch_scc0 .LBB84_38
.LBB84_16:
	v_dual_mov_b32 v1, s43 :: v_dual_mov_b32 v2, s44
	v_dual_mov_b32 v3, s23 :: v_dual_mov_b32 v4, 0
	ds_store_b96 v4, v[1:3] offset:1056
.LBB84_17:
	s_or_b32 exec_lo, exec_lo, s42
	s_load_b128 s[8:11], s[0:1], 0xd8
	s_waitcnt lgkmcnt(0)
	s_mul_i32 s11, s5, s7
	s_add_i32 s7, s7, 1
	s_lshl_b32 s23, s11, 8
	s_barrier
	buffer_gl0_inv
	s_sub_i32 s11, s8, s23
	s_delay_alu instid0(SALU_CYCLE_1) | instskip(SKIP_4) | instid1(VALU_DEP_1)
	s_add_u32 s11, s11, 0xff
	s_addc_u32 s12, 0, 0
	s_cmp_lt_u32 s7, s6
	v_alignbit_b32 v1, s12, s11, 8
	s_mov_b32 s7, 0
	v_readfirstlane_b32 s11, v1
	s_delay_alu instid0(VALU_DEP_1) | instskip(NEXT) | instid1(SALU_CYCLE_1)
	s_cselect_b32 s5, s5, s11
	s_cmp_eq_u32 s5, 0
	s_cbranch_scc1 .LBB84_40
; %bb.18:
	s_mul_i32 s6, s41, s37
	s_add_i32 s11, s41, 1
	s_sub_i32 s6, s22, s6
	v_mov_b32_e32 v5, 0
	s_sub_i32 s12, s6, s37
	s_cmp_ge_u32 s6, s37
	v_lshrrev_b32_e32 v4, 5, v0
	s_cselect_b32 s11, s11, s41
	s_cselect_b32 s6, s12, s6
	s_add_i32 s12, s11, 1
	s_cmp_ge_u32 s6, s37
	s_mul_i32 s6, s40, s36
	s_cselect_b32 s11, s12, s11
	s_sub_i32 s12, s22, s6
	s_mul_i32 s6, s11, s37
	s_mul_i32 s11, s11, s28
	s_sub_i32 s6, s22, s6
	s_add_i32 s13, s40, 1
	s_mul_i32 s6, s6, s29
	s_sub_i32 s14, s12, s36
	s_add_i32 s6, s11, s6
	s_cmp_ge_u32 s12, s36
	ds_load_b96 v[1:3], v5 offset:1056
	s_cselect_b32 s11, s13, s40
	s_cselect_b32 s12, s14, s12
	s_add_i32 s13, s11, 1
	s_cmp_ge_u32 s12, s36
	s_mul_i32 s12, s39, s33
	s_cselect_b32 s11, s13, s11
	s_sub_i32 s13, s22, s12
	s_mul_i32 s12, s11, s36
	s_mul_i32 s11, s11, s24
	s_sub_i32 s12, s22, s12
	s_add_i32 s14, s39, 1
	s_mul_i32 s12, s12, s25
	s_sub_i32 s15, s13, s33
	s_add_i32 s12, s11, s12
	s_cmp_ge_u32 s13, s33
	s_mov_b32 s25, s7
	s_cselect_b32 s11, s14, s39
	s_cselect_b32 s13, s15, s13
	s_add_i32 s14, s11, 1
	s_waitcnt lgkmcnt(0)
	v_add_nc_u32_e32 v6, v1, v2
	s_cmp_ge_u32 s13, s33
	s_mov_b32 s13, s7
	s_cselect_b32 s11, s14, s11
	v_add_nc_u32_e32 v9, -1, v0
	s_mul_i32 s14, s11, s33
	s_mul_i32 s11, s11, s26
	s_sub_i32 s14, s22, s14
	v_add_lshl_u32 v7, v4, v0, 2
	s_mul_i32 s22, s14, s27
	s_lshl_b64 s[14:15], s[6:7], 2
	s_add_i32 s24, s11, s22
	s_add_u32 s6, s20, s14
	s_addc_u32 s11, s21, s15
	s_lshl_b64 s[12:13], s[12:13], 2
	v_lshlrev_b32_e32 v2, 3, v0
	s_add_u32 s7, s18, s12
	s_addc_u32 s12, s19, s13
	s_lshl_b64 s[14:15], s[24:25], 3
	v_cmp_o_f32_e64 s18, s38, s38
	s_add_u32 s13, s16, s14
	s_addc_u32 s14, s17, s15
	s_clause 0x1
	s_load_b32 s17, s[0:1], 0xe8
	s_load_b32 s15, s[0:1], 0x1c8
	s_cmp_gt_i32 s38, -1
	v_lshrrev_b32_e32 v4, 2, v0
	v_add_nc_u32_e32 v1, s23, v0
	s_cselect_b32 s0, 0x80000000, -1
	v_lshrrev_b32_e32 v10, 5, v9
	s_xor_b32 s0, s0, s38
	v_mbcnt_lo_u32_b32 v8, -1, 0
	s_and_b32 s1, s18, exec_lo
	s_cselect_b32 s16, s0, -1
	v_cmp_gt_u32_e64 s0, 32, v0
	v_add_lshl_u32 v0, v4, v2, 2
	v_add_lshl_u32 v9, v10, v9, 2
	v_and_b32_e32 v10, 15, v8
	v_bfe_i32 v11, v8, 4, 1
	v_add_nc_u32_e32 v12, -1, v8
	s_bitcmp1_b32 s10, 0
                                        ; implicit-def: $vgpr13
	s_cselect_b32 s1, -1, 0
	s_waitcnt lgkmcnt(0)
	v_mul_lo_u32 v4, s17, v1
	s_lshl_b32 s10, s17, 8
	s_branch .LBB84_21
.LBB84_19:                              ;   in Loop: Header=BB84_21 Depth=1
	s_or_b32 exec_lo, exec_lo, s17
	v_add_nc_u32_e32 v6, v16, v6
.LBB84_20:                              ;   in Loop: Header=BB84_21 Depth=1
	v_add_nc_u32_e32 v3, v15, v3
	v_add_nc_u32_e32 v4, s10, v4
	;; [unrolled: 1-line block ×3, first 2 shown]
	s_add_i32 s5, s5, -1
	s_delay_alu instid0(SALU_CYCLE_1)
	s_cmp_lg_u32 s5, 0
	s_cbranch_scc0 .LBB84_40
.LBB84_21:                              ; =>This Inner Loop Header: Depth=1
	v_mov_b32_e32 v2, 0
	v_mov_b32_e32 v14, 0
	s_mov_b32 s17, exec_lo
	v_cmpx_gt_u32_e64 s8, v1
	s_cbranch_execz .LBB84_23
; %bb.22:                               ;   in Loop: Header=BB84_21 Depth=1
	v_lshlrev_b64 v[13:14], 2, v[4:5]
	s_delay_alu instid0(VALU_DEP_1) | instskip(NEXT) | instid1(VALU_DEP_2)
	v_add_co_u32 v13, vcc_lo, s6, v13
	v_add_co_ci_u32_e32 v14, vcc_lo, s11, v14, vcc_lo
	global_load_b32 v13, v[13:14], off
	s_waitcnt vmcnt(0)
	v_cmp_lt_i32_e32 vcc_lo, -1, v13
	v_cndmask_b32_e64 v2, -1, 0x80000000, vcc_lo
	v_cmp_o_f32_e32 vcc_lo, v13, v13
	s_delay_alu instid0(VALU_DEP_2) | instskip(NEXT) | instid1(VALU_DEP_1)
	v_xor_b32_e32 v2, v2, v13
	v_cndmask_b32_e32 v14, -1, v2, vcc_lo
	s_delay_alu instid0(VALU_DEP_1) | instskip(SKIP_4) | instid1(VALU_DEP_2)
	v_cmp_lt_u32_e32 vcc_lo, s16, v14
	v_cndmask_b32_e64 v2, 0, 1, vcc_lo
	v_cmp_gt_u32_e32 vcc_lo, s16, v14
	v_cndmask_b32_e64 v15, 0, 1, vcc_lo
	v_cmp_eq_u32_e32 vcc_lo, s16, v14
	v_cndmask_b32_e64 v2, v15, v2, s1
	v_cndmask_b32_e64 v14, 0, 1, vcc_lo
	s_delay_alu instid0(VALU_DEP_2)
	v_and_b32_e32 v2, 1, v2
.LBB84_23:                              ;   in Loop: Header=BB84_21 Depth=1
	s_or_b32 exec_lo, exec_lo, s17
	ds_store_b32 v7, v2
	s_waitcnt lgkmcnt(0)
	s_waitcnt_vscnt null, 0x0
	s_barrier
	buffer_gl0_inv
	s_and_saveexec_b32 s17, s0
	s_cbranch_execz .LBB84_25
; %bb.24:                               ;   in Loop: Header=BB84_21 Depth=1
	ds_load_2addr_b32 v[15:16], v0 offset1:1
	ds_load_2addr_b32 v[17:18], v0 offset0:2 offset1:3
	ds_load_2addr_b32 v[19:20], v0 offset0:4 offset1:5
	ds_load_2addr_b32 v[21:22], v0 offset0:6 offset1:7
	v_cmp_ne_u32_e32 vcc_lo, 0, v10
	; wave barrier
	s_waitcnt lgkmcnt(3)
	v_add_nc_u32_e32 v16, v16, v15
	s_waitcnt lgkmcnt(2)
	s_delay_alu instid0(VALU_DEP_1) | instskip(SKIP_1) | instid1(VALU_DEP_1)
	v_add3_u32 v16, v16, v17, v18
	s_waitcnt lgkmcnt(1)
	v_add3_u32 v16, v16, v19, v20
	s_waitcnt lgkmcnt(0)
	s_delay_alu instid0(VALU_DEP_1) | instskip(NEXT) | instid1(VALU_DEP_1)
	v_add3_u32 v16, v16, v21, v22
	v_mov_b32_dpp v17, v16 row_shr:1 row_mask:0xf bank_mask:0xf
	s_delay_alu instid0(VALU_DEP_1) | instskip(SKIP_1) | instid1(VALU_DEP_2)
	v_cndmask_b32_e32 v17, 0, v17, vcc_lo
	v_cmp_lt_u32_e32 vcc_lo, 1, v10
	v_add_nc_u32_e32 v16, v17, v16
	s_delay_alu instid0(VALU_DEP_1) | instskip(NEXT) | instid1(VALU_DEP_1)
	v_mov_b32_dpp v17, v16 row_shr:2 row_mask:0xf bank_mask:0xf
	v_cndmask_b32_e32 v17, 0, v17, vcc_lo
	v_cmp_lt_u32_e32 vcc_lo, 3, v10
	s_delay_alu instid0(VALU_DEP_2) | instskip(NEXT) | instid1(VALU_DEP_1)
	v_add_nc_u32_e32 v16, v16, v17
	v_mov_b32_dpp v17, v16 row_shr:4 row_mask:0xf bank_mask:0xf
	s_delay_alu instid0(VALU_DEP_1) | instskip(SKIP_1) | instid1(VALU_DEP_2)
	v_cndmask_b32_e32 v17, 0, v17, vcc_lo
	v_cmp_lt_u32_e32 vcc_lo, 7, v10
	v_add_nc_u32_e32 v16, v16, v17
	s_delay_alu instid0(VALU_DEP_1) | instskip(NEXT) | instid1(VALU_DEP_1)
	v_mov_b32_dpp v17, v16 row_shr:8 row_mask:0xf bank_mask:0xf
	v_cndmask_b32_e32 v17, 0, v17, vcc_lo
	v_cmp_gt_i32_e32 vcc_lo, 0, v12
	v_cndmask_b32_e32 v18, v12, v8, vcc_lo
	s_delay_alu instid0(VALU_DEP_1) | instskip(NEXT) | instid1(VALU_DEP_4)
	v_lshlrev_b32_e32 v18, 2, v18
	v_add_nc_u32_e32 v16, v16, v17
	ds_swizzle_b32 v17, v16 offset:swizzle(BROADCAST,32,15)
	s_waitcnt lgkmcnt(0)
	v_and_b32_e32 v17, v11, v17
	s_delay_alu instid0(VALU_DEP_1) | instskip(SKIP_3) | instid1(VALU_DEP_1)
	v_add_nc_u32_e32 v16, v16, v17
	ds_bpermute_b32 v16, v18, v16
	s_waitcnt lgkmcnt(0)
	v_add_nc_u32_e32 v15, v16, v15
	v_cndmask_b32_e64 v21, v15, v2, s3
	ds_store_b32 v0, v21
	; wave barrier
	ds_load_2addr_b32 v[15:16], v0 offset0:1 offset1:2
	ds_load_2addr_b32 v[17:18], v0 offset0:3 offset1:4
	;; [unrolled: 1-line block ×3, first 2 shown]
	ds_load_b32 v22, v0 offset:28
	s_waitcnt lgkmcnt(3)
	v_add_nc_u32_e32 v15, v15, v21
	s_delay_alu instid0(VALU_DEP_1) | instskip(SKIP_1) | instid1(VALU_DEP_1)
	v_add_nc_u32_e32 v16, v16, v15
	s_waitcnt lgkmcnt(2)
	v_add_nc_u32_e32 v17, v17, v16
	s_delay_alu instid0(VALU_DEP_1) | instskip(SKIP_1) | instid1(VALU_DEP_1)
	v_add_nc_u32_e32 v18, v18, v17
	;; [unrolled: 4-line block ×3, first 2 shown]
	s_waitcnt lgkmcnt(0)
	v_add_nc_u32_e32 v21, v22, v20
	ds_store_2addr_b32 v0, v15, v16 offset0:1 offset1:2
	ds_store_2addr_b32 v0, v17, v18 offset0:3 offset1:4
	;; [unrolled: 1-line block ×3, first 2 shown]
	ds_store_b32 v0, v21 offset:28
.LBB84_25:                              ;   in Loop: Header=BB84_21 Depth=1
	s_or_b32 exec_lo, exec_lo, s17
	v_mov_b32_e32 v16, 0
	s_waitcnt lgkmcnt(0)
	s_barrier
	buffer_gl0_inv
	s_and_saveexec_b32 s17, s2
	s_cbranch_execz .LBB84_27
; %bb.26:                               ;   in Loop: Header=BB84_21 Depth=1
	ds_load_b32 v16, v9
.LBB84_27:                              ;   in Loop: Header=BB84_21 Depth=1
	s_or_b32 exec_lo, exec_lo, s17
	ds_load_b32 v15, v5 offset:1048
	s_mov_b32 s17, exec_lo
	s_waitcnt lgkmcnt(0)
	s_barrier
	buffer_gl0_inv
	v_cmpx_ne_u32_e32 0, v2
	s_cbranch_execz .LBB84_29
; %bb.28:                               ;   in Loop: Header=BB84_21 Depth=1
	v_dual_mov_b32 v17, v5 :: v_dual_add_nc_u32 v2, v16, v3
	v_mov_b32_e32 v19, v5
	s_delay_alu instid0(VALU_DEP_2) | instskip(SKIP_2) | instid1(VALU_DEP_3)
	v_mul_lo_u32 v16, v2, s15
	v_mul_lo_u32 v18, v2, s4
	v_mov_b32_e32 v2, v5
	v_lshlrev_b64 v[16:17], 2, v[16:17]
	s_delay_alu instid0(VALU_DEP_3) | instskip(NEXT) | instid1(VALU_DEP_2)
	v_lshlrev_b64 v[18:19], 3, v[18:19]
	v_add_co_u32 v16, vcc_lo, s7, v16
	s_delay_alu instid0(VALU_DEP_3) | instskip(NEXT) | instid1(VALU_DEP_3)
	v_add_co_ci_u32_e32 v17, vcc_lo, s12, v17, vcc_lo
	v_add_co_u32 v18, vcc_lo, s13, v18
	s_delay_alu instid0(VALU_DEP_4)
	v_add_co_ci_u32_e32 v19, vcc_lo, s14, v19, vcc_lo
	global_store_b32 v[16:17], v13, off
	global_store_b64 v[18:19], v[1:2], off
.LBB84_29:                              ;   in Loop: Header=BB84_21 Depth=1
	s_or_b32 exec_lo, exec_lo, s17
	v_cmp_le_u32_e32 vcc_lo, s9, v6
	s_cbranch_vccnz .LBB84_20
; %bb.30:                               ;   in Loop: Header=BB84_21 Depth=1
	ds_store_b32 v7, v14
	s_waitcnt lgkmcnt(0)
	s_waitcnt_vscnt null, 0x0
	s_barrier
	buffer_gl0_inv
	s_and_saveexec_b32 s17, s0
	s_cbranch_execz .LBB84_32
; %bb.31:                               ;   in Loop: Header=BB84_21 Depth=1
	ds_load_2addr_b32 v[16:17], v0 offset1:1
	ds_load_2addr_b32 v[18:19], v0 offset0:2 offset1:3
	ds_load_2addr_b32 v[20:21], v0 offset0:4 offset1:5
	;; [unrolled: 1-line block ×3, first 2 shown]
	v_cmp_ne_u32_e32 vcc_lo, 0, v10
	; wave barrier
	s_waitcnt lgkmcnt(3)
	v_add_nc_u32_e32 v2, v17, v16
	s_waitcnt lgkmcnt(2)
	s_delay_alu instid0(VALU_DEP_1) | instskip(SKIP_1) | instid1(VALU_DEP_1)
	v_add3_u32 v2, v2, v18, v19
	s_waitcnt lgkmcnt(1)
	v_add3_u32 v2, v2, v20, v21
	s_waitcnt lgkmcnt(0)
	s_delay_alu instid0(VALU_DEP_1) | instskip(NEXT) | instid1(VALU_DEP_1)
	v_add3_u32 v2, v2, v22, v23
	v_mov_b32_dpp v17, v2 row_shr:1 row_mask:0xf bank_mask:0xf
	s_delay_alu instid0(VALU_DEP_1) | instskip(SKIP_1) | instid1(VALU_DEP_2)
	v_cndmask_b32_e32 v17, 0, v17, vcc_lo
	v_cmp_lt_u32_e32 vcc_lo, 1, v10
	v_add_nc_u32_e32 v2, v17, v2
	s_delay_alu instid0(VALU_DEP_1) | instskip(NEXT) | instid1(VALU_DEP_1)
	v_mov_b32_dpp v17, v2 row_shr:2 row_mask:0xf bank_mask:0xf
	v_cndmask_b32_e32 v17, 0, v17, vcc_lo
	v_cmp_lt_u32_e32 vcc_lo, 3, v10
	s_delay_alu instid0(VALU_DEP_2) | instskip(NEXT) | instid1(VALU_DEP_1)
	v_add_nc_u32_e32 v2, v2, v17
	v_mov_b32_dpp v17, v2 row_shr:4 row_mask:0xf bank_mask:0xf
	s_delay_alu instid0(VALU_DEP_1) | instskip(SKIP_1) | instid1(VALU_DEP_2)
	v_cndmask_b32_e32 v17, 0, v17, vcc_lo
	v_cmp_lt_u32_e32 vcc_lo, 7, v10
	v_add_nc_u32_e32 v2, v2, v17
	s_delay_alu instid0(VALU_DEP_1) | instskip(NEXT) | instid1(VALU_DEP_1)
	v_mov_b32_dpp v17, v2 row_shr:8 row_mask:0xf bank_mask:0xf
	v_cndmask_b32_e32 v17, 0, v17, vcc_lo
	v_cmp_gt_i32_e32 vcc_lo, 0, v12
	v_cndmask_b32_e32 v18, v12, v8, vcc_lo
	s_delay_alu instid0(VALU_DEP_1) | instskip(NEXT) | instid1(VALU_DEP_4)
	v_lshlrev_b32_e32 v18, 2, v18
	v_add_nc_u32_e32 v2, v2, v17
	ds_swizzle_b32 v17, v2 offset:swizzle(BROADCAST,32,15)
	s_waitcnt lgkmcnt(0)
	v_and_b32_e32 v17, v11, v17
	s_delay_alu instid0(VALU_DEP_1) | instskip(SKIP_3) | instid1(VALU_DEP_1)
	v_add_nc_u32_e32 v2, v2, v17
	ds_bpermute_b32 v2, v18, v2
	s_waitcnt lgkmcnt(0)
	v_add_nc_u32_e32 v2, v2, v16
	v_cndmask_b32_e64 v2, v2, v14, s3
	ds_store_b32 v0, v2
	; wave barrier
	ds_load_2addr_b32 v[16:17], v0 offset0:1 offset1:2
	ds_load_2addr_b32 v[18:19], v0 offset0:3 offset1:4
	;; [unrolled: 1-line block ×3, first 2 shown]
	ds_load_b32 v22, v0 offset:28
	s_waitcnt lgkmcnt(3)
	v_add_nc_u32_e32 v2, v16, v2
	s_delay_alu instid0(VALU_DEP_1) | instskip(SKIP_1) | instid1(VALU_DEP_1)
	v_add_nc_u32_e32 v16, v17, v2
	s_waitcnt lgkmcnt(2)
	v_add_nc_u32_e32 v17, v18, v16
	s_delay_alu instid0(VALU_DEP_1) | instskip(SKIP_1) | instid1(VALU_DEP_1)
	v_add_nc_u32_e32 v18, v19, v17
	;; [unrolled: 4-line block ×3, first 2 shown]
	s_waitcnt lgkmcnt(0)
	v_add_nc_u32_e32 v21, v22, v20
	ds_store_2addr_b32 v0, v2, v16 offset0:1 offset1:2
	ds_store_2addr_b32 v0, v17, v18 offset0:3 offset1:4
	;; [unrolled: 1-line block ×3, first 2 shown]
	ds_store_b32 v0, v21 offset:28
.LBB84_32:                              ;   in Loop: Header=BB84_21 Depth=1
	s_or_b32 exec_lo, exec_lo, s17
	v_mov_b32_e32 v2, 0
	s_waitcnt lgkmcnt(0)
	s_barrier
	buffer_gl0_inv
	s_and_saveexec_b32 s17, s2
	s_cbranch_execz .LBB84_34
; %bb.33:                               ;   in Loop: Header=BB84_21 Depth=1
	ds_load_b32 v2, v9
.LBB84_34:                              ;   in Loop: Header=BB84_21 Depth=1
	s_or_b32 exec_lo, exec_lo, s17
	ds_load_b32 v16, v5 offset:1048
	s_mov_b32 s17, exec_lo
	s_waitcnt lgkmcnt(0)
	s_barrier
	buffer_gl0_inv
	v_cmpx_ne_u32_e32 0, v14
	s_cbranch_execz .LBB84_19
; %bb.35:                               ;   in Loop: Header=BB84_21 Depth=1
	v_add_nc_u32_e32 v2, v2, v6
	s_delay_alu instid0(VALU_DEP_1)
	v_cmp_gt_u32_e32 vcc_lo, s9, v2
	s_and_b32 exec_lo, exec_lo, vcc_lo
	s_cbranch_execz .LBB84_19
; %bb.36:                               ;   in Loop: Header=BB84_21 Depth=1
	v_mul_lo_u32 v17, v2, s15
	v_mov_b32_e32 v18, v5
	v_mul_lo_u32 v19, v2, s4
	v_mov_b32_e32 v20, v5
	v_mov_b32_e32 v2, v5
	s_delay_alu instid0(VALU_DEP_4) | instskip(NEXT) | instid1(VALU_DEP_3)
	v_lshlrev_b64 v[17:18], 2, v[17:18]
	v_lshlrev_b64 v[19:20], 3, v[19:20]
	s_delay_alu instid0(VALU_DEP_2) | instskip(NEXT) | instid1(VALU_DEP_3)
	v_add_co_u32 v17, vcc_lo, s7, v17
	v_add_co_ci_u32_e32 v18, vcc_lo, s12, v18, vcc_lo
	s_delay_alu instid0(VALU_DEP_3) | instskip(NEXT) | instid1(VALU_DEP_4)
	v_add_co_u32 v19, vcc_lo, s13, v19
	v_add_co_ci_u32_e32 v20, vcc_lo, s14, v20, vcc_lo
	global_store_b32 v[17:18], v13, off
	global_store_b64 v[19:20], v[1:2], off
	s_branch .LBB84_19
	.p2align	6
.LBB84_37:                              ;   in Loop: Header=BB84_38 Depth=1
	s_add_u32 s12, s12, 4
	s_addc_u32 s13, s13, 0
	s_waitcnt lgkmcnt(0)
	s_add_i32 s44, s9, s44
	s_add_u32 s14, s14, 4
	s_addc_u32 s15, s15, 0
	s_add_i32 s8, s8, 1
	s_delay_alu instid0(SALU_CYCLE_1)
	s_cmp_lt_u32 s8, s6
	s_cbranch_scc0 .LBB84_16
.LBB84_38:                              ; =>This Inner Loop Header: Depth=1
	s_load_b32 s9, s[12:13], 0x0
	s_cmp_ge_u32 s8, s7
	s_cbranch_scc1 .LBB84_37
; %bb.39:                               ;   in Loop: Header=BB84_38 Depth=1
	s_load_b32 s10, s[14:15], 0x0
	s_waitcnt lgkmcnt(0)
	s_add_i32 s23, s9, s23
	s_add_i32 s43, s10, s43
	s_branch .LBB84_37
.LBB84_40:
	s_nop 0
	s_sendmsg sendmsg(MSG_DEALLOC_VGPRS)
	s_endpgm
	.section	.rodata,"a",@progbits
	.p2align	6, 0x0
	.amdhsa_kernel _ZN2at6native6mbtopk10gatherTopKIfjLi2EEEvNS_4cuda6detail10TensorInfoIKT_T0_EES8_S8_bjS8_NS5_IS6_S8_EES8_NS5_IlS8_EES8_jjPS6_PjSD_j
		.amdhsa_group_segment_fixed_size 1068
		.amdhsa_private_segment_fixed_size 0
		.amdhsa_kernarg_size 984
		.amdhsa_user_sgpr_count 13
		.amdhsa_user_sgpr_dispatch_ptr 0
		.amdhsa_user_sgpr_queue_ptr 0
		.amdhsa_user_sgpr_kernarg_segment_ptr 1
		.amdhsa_user_sgpr_dispatch_id 0
		.amdhsa_user_sgpr_private_segment_size 0
		.amdhsa_wavefront_size32 1
		.amdhsa_uses_dynamic_stack 0
		.amdhsa_enable_private_segment 0
		.amdhsa_system_sgpr_workgroup_id_x 1
		.amdhsa_system_sgpr_workgroup_id_y 1
		.amdhsa_system_sgpr_workgroup_id_z 1
		.amdhsa_system_sgpr_workgroup_info 0
		.amdhsa_system_vgpr_workitem_id 0
		.amdhsa_next_free_vgpr 24
		.amdhsa_next_free_sgpr 48
		.amdhsa_reserve_vcc 1
		.amdhsa_float_round_mode_32 0
		.amdhsa_float_round_mode_16_64 0
		.amdhsa_float_denorm_mode_32 3
		.amdhsa_float_denorm_mode_16_64 3
		.amdhsa_dx10_clamp 1
		.amdhsa_ieee_mode 1
		.amdhsa_fp16_overflow 0
		.amdhsa_workgroup_processor_mode 1
		.amdhsa_memory_ordered 1
		.amdhsa_forward_progress 0
		.amdhsa_shared_vgpr_count 0
		.amdhsa_exception_fp_ieee_invalid_op 0
		.amdhsa_exception_fp_denorm_src 0
		.amdhsa_exception_fp_ieee_div_zero 0
		.amdhsa_exception_fp_ieee_overflow 0
		.amdhsa_exception_fp_ieee_underflow 0
		.amdhsa_exception_fp_ieee_inexact 0
		.amdhsa_exception_int_div_zero 0
	.end_amdhsa_kernel
	.section	.text._ZN2at6native6mbtopk10gatherTopKIfjLi2EEEvNS_4cuda6detail10TensorInfoIKT_T0_EES8_S8_bjS8_NS5_IS6_S8_EES8_NS5_IlS8_EES8_jjPS6_PjSD_j,"axG",@progbits,_ZN2at6native6mbtopk10gatherTopKIfjLi2EEEvNS_4cuda6detail10TensorInfoIKT_T0_EES8_S8_bjS8_NS5_IS6_S8_EES8_NS5_IlS8_EES8_jjPS6_PjSD_j,comdat
.Lfunc_end84:
	.size	_ZN2at6native6mbtopk10gatherTopKIfjLi2EEEvNS_4cuda6detail10TensorInfoIKT_T0_EES8_S8_bjS8_NS5_IS6_S8_EES8_NS5_IlS8_EES8_jjPS6_PjSD_j, .Lfunc_end84-_ZN2at6native6mbtopk10gatherTopKIfjLi2EEEvNS_4cuda6detail10TensorInfoIKT_T0_EES8_S8_bjS8_NS5_IS6_S8_EES8_NS5_IlS8_EES8_jjPS6_PjSD_j
                                        ; -- End function
	.section	.AMDGPU.csdata,"",@progbits
; Kernel info:
; codeLenInByte = 2860
; NumSgprs: 50
; NumVgprs: 24
; ScratchSize: 0
; MemoryBound: 0
; FloatMode: 240
; IeeeMode: 1
; LDSByteSize: 1068 bytes/workgroup (compile time only)
; SGPRBlocks: 6
; VGPRBlocks: 2
; NumSGPRsForWavesPerEU: 50
; NumVGPRsForWavesPerEU: 24
; Occupancy: 16
; WaveLimiterHint : 1
; COMPUTE_PGM_RSRC2:SCRATCH_EN: 0
; COMPUTE_PGM_RSRC2:USER_SGPR: 13
; COMPUTE_PGM_RSRC2:TRAP_HANDLER: 0
; COMPUTE_PGM_RSRC2:TGID_X_EN: 1
; COMPUTE_PGM_RSRC2:TGID_Y_EN: 1
; COMPUTE_PGM_RSRC2:TGID_Z_EN: 1
; COMPUTE_PGM_RSRC2:TIDIG_COMP_CNT: 0
	.section	.text._ZN2at6native6sbtopk10gatherTopKIfjLi2ELb0EEEvNS_4cuda6detail10TensorInfoIKT_T0_EES8_S8_bS8_S8_NS5_IS6_S8_EES8_NS5_IlS8_EES8_PS6_,"axG",@progbits,_ZN2at6native6sbtopk10gatherTopKIfjLi2ELb0EEEvNS_4cuda6detail10TensorInfoIKT_T0_EES8_S8_bS8_S8_NS5_IS6_S8_EES8_NS5_IlS8_EES8_PS6_,comdat
	.protected	_ZN2at6native6sbtopk10gatherTopKIfjLi2ELb0EEEvNS_4cuda6detail10TensorInfoIKT_T0_EES8_S8_bS8_S8_NS5_IS6_S8_EES8_NS5_IlS8_EES8_PS6_ ; -- Begin function _ZN2at6native6sbtopk10gatherTopKIfjLi2ELb0EEEvNS_4cuda6detail10TensorInfoIKT_T0_EES8_S8_bS8_S8_NS5_IS6_S8_EES8_NS5_IlS8_EES8_PS6_
	.globl	_ZN2at6native6sbtopk10gatherTopKIfjLi2ELb0EEEvNS_4cuda6detail10TensorInfoIKT_T0_EES8_S8_bS8_S8_NS5_IS6_S8_EES8_NS5_IlS8_EES8_PS6_
	.p2align	8
	.type	_ZN2at6native6sbtopk10gatherTopKIfjLi2ELb0EEEvNS_4cuda6detail10TensorInfoIKT_T0_EES8_S8_bS8_S8_NS5_IS6_S8_EES8_NS5_IlS8_EES8_PS6_,@function
_ZN2at6native6sbtopk10gatherTopKIfjLi2ELb0EEEvNS_4cuda6detail10TensorInfoIKT_T0_EES8_S8_bS8_S8_NS5_IS6_S8_EES8_NS5_IlS8_EES8_PS6_: ; @_ZN2at6native6sbtopk10gatherTopKIfjLi2ELb0EEEvNS_4cuda6detail10TensorInfoIKT_T0_EES8_S8_bS8_S8_NS5_IS6_S8_EES8_NS5_IlS8_EES8_PS6_
; %bb.0:
	s_clause 0x1
	s_load_b64 s[4:5], s[0:1], 0x2b8
	s_load_b128 s[36:39], s[0:1], 0xd8
	s_add_u32 s6, s0, 0x2b8
	s_addc_u32 s7, s1, 0
	s_waitcnt lgkmcnt(0)
	s_mul_i32 s2, s5, s15
	s_delay_alu instid0(SALU_CYCLE_1) | instskip(NEXT) | instid1(SALU_CYCLE_1)
	s_add_i32 s2, s2, s14
	s_mul_i32 s49, s2, s4
	s_delay_alu instid0(SALU_CYCLE_1) | instskip(NEXT) | instid1(SALU_CYCLE_1)
	s_add_i32 s49, s49, s13
	s_cmp_ge_u32 s49, s39
	s_cbranch_scc1 .LBB85_468
; %bb.1:
	s_clause 0x9
	s_load_b32 s10, s[0:1], 0xc
	s_load_b32 s51, s[0:1], 0xfc
	;; [unrolled: 1-line block ×3, first 2 shown]
	s_load_b64 s[30:31], s[0:1], 0xf0
	s_load_b64 s[42:43], s[0:1], 0x23c
	;; [unrolled: 1-line block ×4, first 2 shown]
	s_load_b32 s34, s[0:1], 0xe8
	s_load_b64 s[2:3], s[0:1], 0x6c
	s_load_b64 s[8:9], s[0:1], 0x0
	v_cmp_eq_u32_e64 s5, 0, v0
	s_mov_b32 s47, 0
	s_waitcnt lgkmcnt(0)
	v_cvt_f32_u32_e32 v1, s10
	v_cvt_f32_u32_e32 v2, s51
	;; [unrolled: 1-line block ×3, first 2 shown]
	s_sub_i32 s11, 0, s10
	s_sub_i32 s16, 0, s51
	v_rcp_iflag_f32_e32 v1, v1
	v_rcp_iflag_f32_e32 v2, v2
	;; [unrolled: 1-line block ×3, first 2 shown]
	s_sub_i32 s17, 0, s50
	s_waitcnt_depctr 0xfff
	v_dual_mul_f32 v1, 0x4f7ffffe, v1 :: v_dual_mul_f32 v2, 0x4f7ffffe, v2
	v_mul_f32_e32 v3, 0x4f7ffffe, v3
	s_delay_alu instid0(VALU_DEP_2) | instskip(NEXT) | instid1(VALU_DEP_3)
	v_cvt_u32_f32_e32 v1, v1
	v_cvt_u32_f32_e32 v2, v2
	s_delay_alu instid0(VALU_DEP_3) | instskip(NEXT) | instid1(VALU_DEP_3)
	v_cvt_u32_f32_e32 v3, v3
	v_readfirstlane_b32 s12, v1
	s_delay_alu instid0(VALU_DEP_3) | instskip(NEXT) | instid1(VALU_DEP_3)
	v_readfirstlane_b32 s14, v2
	v_readfirstlane_b32 s15, v3
	s_delay_alu instid0(VALU_DEP_3) | instskip(NEXT) | instid1(VALU_DEP_2)
	s_mul_i32 s11, s11, s12
	s_mul_i32 s16, s16, s14
	s_delay_alu instid0(VALU_DEP_1)
	s_mul_i32 s17, s17, s15
	s_mul_hi_u32 s11, s12, s11
	s_mul_hi_u32 s16, s14, s16
	;; [unrolled: 1-line block ×3, first 2 shown]
	s_add_i32 s12, s12, s11
	s_add_i32 s14, s14, s16
	;; [unrolled: 1-line block ×3, first 2 shown]
	s_mul_hi_u32 s11, s49, s12
	s_mul_hi_u32 s53, s49, s14
	;; [unrolled: 1-line block ×3, first 2 shown]
	s_and_saveexec_b32 s12, s5
	s_cbranch_execz .LBB85_3
; %bb.2:
	v_dual_mov_b32 v1, 0 :: v_dual_mov_b32 v2, s36
	s_delay_alu instid0(VALU_DEP_1)
	v_mov_b32_e32 v3, v1
	ds_store_b96 v1, v[1:3] offset:4096
.LBB85_3:
	s_or_b32 exec_lo, exec_lo, s12
	s_mul_i32 s12, s11, s10
	s_add_i32 s14, s11, 1
	s_sub_i32 s12, s49, s12
	s_waitcnt lgkmcnt(0)
	s_sub_i32 s15, s12, s10
	s_cmp_ge_u32 s12, s10
	s_barrier
	s_cselect_b32 s11, s14, s11
	s_cselect_b32 s12, s15, s12
	buffer_gl0_inv
	s_load_b32 s15, s[6:7], 0xc
	s_add_i32 s14, s11, 1
	s_cmp_ge_u32 s12, s10
	v_mbcnt_lo_u32_b32 v17, -1, 0
	s_cselect_b32 s11, s14, s11
	v_cmp_gt_u32_e32 vcc_lo, 32, v0
	s_mul_i32 s10, s11, s10
	s_mul_i32 s2, s11, s2
	s_sub_i32 s10, s49, s10
	v_mul_lo_u32 v9, v0, s34
	s_mul_i32 s10, s10, s3
	v_dual_mov_b32 v29, 0 :: v_dual_lshlrev_b32 v26, 4, v0
	s_add_i32 s46, s2, s10
	v_cmp_gt_i32_e64 s2, 4, v17
	s_lshl_b64 s[10:11], s[46:47], 2
	v_lshl_or_b32 v27, v17, 2, 0xc00
	s_add_u32 s33, s8, s10
	s_addc_u32 s35, s9, s11
	s_bitcmp1_b32 s38, 0
	v_dual_mov_b32 v15, 0 :: v_dual_lshlrev_b32 v24, 2, v9
	s_cselect_b32 s3, -1, 0
	s_waitcnt lgkmcnt(0)
	s_and_b32 s46, s15, 0xffff
	s_bfe_u32 s8, s15, 0xb0005
	s_lshl_b32 s55, s46, 2
	s_and_b32 s54, vcc_lo, s2
	v_cvt_f32_u32_e32 v1, s55
	s_xor_b32 s56, s3, -1
	s_cmpk_gt_u32 s36, 0x300
	v_cvt_f32_u32_e32 v2, s46
	s_cselect_b32 s57, -1, 0
	v_rcp_iflag_f32_e32 v1, v1
	s_cmp_gt_u32 s46, 31
	v_lshlrev_b32_e32 v18, 2, v0
	s_cselect_b32 s58, -1, 0
	s_add_i32 s59, s46, -1
	v_mov_b32_e32 v30, s37
	s_add_i32 s9, s59, s36
	s_cmp_lt_u32 s13, s4
	v_mov_b32_e32 v28, 0
	s_cselect_b32 s2, 12, 18
	s_waitcnt_depctr 0xfff
	v_mul_f32_e32 v1, 0x4f7ffffe, v1
	s_add_u32 s38, s6, s2
	s_addc_u32 s39, s7, 0
	s_add_i32 s2, s8, -1
	s_bfe_u32 s60, s46, 0x30005
	v_cvt_u32_f32_e32 v1, v1
	s_cmp_gt_u32 s2, 6
	v_mad_u64_u32 v[12:13], null, s34, v18, s[34:35]
	s_cselect_b32 s61, -1, 0
	s_and_b32 s62, s8, 0x7f8
	v_readfirstlane_b32 s2, v1
	s_cmp_lg_u32 s60, 0
	v_rcp_iflag_f32_e32 v1, v2
	s_cselect_b32 s63, -1, 0
	s_sub_i32 s4, 0, s55
	v_mov_b32_e32 v8, 0
	s_mul_i32 s6, s4, s2
	v_cmp_gt_u32_e64 s4, s36, v0
	s_mul_hi_u32 s6, s2, s6
	v_add_nc_u32_e32 v21, 0xc00, v18
	s_add_i32 s64, s2, s6
	v_cmp_eq_u32_e64 s2, 0, v17
	s_mul_hi_u32 s6, s36, s64
	s_waitcnt_depctr 0xfff
	v_mul_f32_e32 v3, 0x4f7ffffe, v1
	s_mul_i32 s6, s6, s55
	s_mul_i32 s48, s34, s46
	s_sub_i32 s6, s36, s6
	s_mov_b32 s76, 30
	s_sub_i32 s7, s6, s55
	s_cmp_ge_u32 s6, s55
	v_cvt_u32_f32_e32 v3, v3
	s_cselect_b32 s6, s7, s6
	s_mov_b32 s71, 0
	s_sub_i32 s7, s6, s55
	s_cmp_ge_u32 s6, s55
	v_readfirstlane_b32 s8, v3
	s_cselect_b32 s10, s7, s6
	s_sub_i32 s6, 0, s46
	s_sub_i32 s65, s36, s10
	s_delay_alu instid0(SALU_CYCLE_1) | instskip(SKIP_3) | instid1(VALU_DEP_2)
	v_dual_mov_b32 v10, v8 :: v_dual_add_nc_u32 v19, s65, v0
	s_mul_i32 s6, s6, s8
	v_or_b32_e32 v3, 3, v18
	s_mul_hi_u32 s6, s8, s6
	v_lshlrev_b64 v[1:2], 2, v[9:10]
	v_mul_lo_u32 v7, v19, s34
	s_add_i32 s66, s8, s6
	v_mul_lo_u32 v23, s34, v3
	s_mul_hi_u32 s6, s9, s66
	v_mov_b32_e32 v13, 1.0
	v_add_co_u32 v5, vcc_lo, s33, v1
	v_lshrrev_b32_e32 v1, 3, v0
	v_add_co_ci_u32_e32 v6, vcc_lo, s35, v2, vcc_lo
	s_mul_i32 s7, s6, s46
	v_cmp_gt_u32_e64 s6, 2, v0
	s_delay_alu instid0(VALU_DEP_3) | instskip(SKIP_2) | instid1(SALU_CYCLE_1)
	v_and_b32_e32 v20, 0x7c, v1
	v_lshlrev_b64 v[1:2], v17, -1
	s_sub_i32 s7, s9, s7
                                        ; implicit-def: $sgpr70
                                        ; implicit-def: $sgpr74
                                        ; implicit-def: $sgpr73
                                        ; implicit-def: $sgpr75
                                        ; implicit-def: $sgpr72
                                        ; implicit-def: $sgpr77
                                        ; implicit-def: $sgpr79
                                        ; implicit-def: $sgpr78
                                        ; implicit-def: $sgpr80
                                        ; implicit-def: $sgpr81
	s_sub_i32 s8, s7, s46
	s_cmp_ge_u32 s7, s46
	s_delay_alu instid0(VALU_DEP_1)
	v_not_b32_e32 v16, v1
	v_lshlrev_b64 v[1:2], 2, v[7:8]
	s_cselect_b32 s8, s8, s7
	v_cmp_gt_u32_e64 s7, s65, v18
	s_sub_i32 s11, s8, s46
	s_cmp_ge_u32 s8, s46
	s_delay_alu instid0(VALU_DEP_2) | instskip(SKIP_4) | instid1(VALU_DEP_3)
	v_add_co_u32 v10, vcc_lo, s33, v1
	v_add3_u32 v1, s46, s36, v0
	v_add_co_ci_u32_e32 v11, vcc_lo, s35, v2, vcc_lo
	v_or_b32_e32 v2, 2, v18
	s_cselect_b32 s11, s11, s8
	v_subrev_nc_u32_e32 v1, s10, v1
	s_sub_i32 s67, s9, s11
	v_cmp_gt_u32_e64 s8, s36, v19
	v_mul_lo_u32 v22, s34, v2
	v_cmp_gt_u32_e64 s9, s67, v0
	v_mul_lo_u32 v25, s34, v1
	s_lshl_b32 s68, s48, 2
	s_lshl_b32 s69, s46, 4
	s_branch .LBB85_6
.LBB85_4:                               ;   in Loop: Header=BB85_6 Depth=1
	s_or_b32 exec_lo, exec_lo, s13
	v_dual_mov_b32 v28, v4 :: v_dual_mov_b32 v29, v3
	v_dual_mov_b32 v30, v31 :: v_dual_mov_b32 v15, v2
	s_and_not1_b32 s13, s81, exec_lo
	s_and_b32 s12, s12, exec_lo
	s_and_not1_b32 s80, s80, exec_lo
	s_or_b32 s81, s13, s12
	s_and_not1_b32 s78, s78, exec_lo
	s_and_not1_b32 s79, s79, exec_lo
	;; [unrolled: 1-line block ×3, first 2 shown]
	s_or_not1_b32 s12, s11, exec_lo
.LBB85_5:                               ;   in Loop: Header=BB85_6 Depth=1
	s_or_b32 exec_lo, exec_lo, s10
	s_delay_alu instid0(SALU_CYCLE_1) | instskip(NEXT) | instid1(SALU_CYCLE_1)
	s_and_b32 s10, exec_lo, s12
	s_or_b32 s47, s10, s47
	s_and_not1_b32 s10, s72, exec_lo
	s_and_b32 s11, s81, exec_lo
	s_and_not1_b32 s12, s75, exec_lo
	s_or_b32 s72, s10, s11
	s_and_b32 s10, s80, exec_lo
	s_and_not1_b32 s11, s73, exec_lo
	s_and_b32 s13, s78, exec_lo
	s_or_b32 s75, s12, s10
	s_or_b32 s73, s11, s13
	s_and_not1_b32 s10, s74, exec_lo
	s_and_b32 s11, s79, exec_lo
	s_and_not1_b32 s12, s70, exec_lo
	s_and_b32 s13, s77, exec_lo
	s_or_b32 s74, s10, s11
	s_or_b32 s70, s12, s13
	s_and_not1_b32 exec_lo, exec_lo, s47
	s_cbranch_execz .LBB85_406
.LBB85_6:                               ; =>This Loop Header: Depth=1
                                        ;     Child Loop BB85_14 Depth 2
                                        ;     Child Loop BB85_29 Depth 2
	;; [unrolled: 1-line block ×24, first 2 shown]
	ds_load_b64 v[1:2], v8 offset:4096
	s_waitcnt lgkmcnt(0)
	v_readfirstlane_b32 s82, v1
	s_delay_alu instid0(VALU_DEP_1)
	s_cmp_lg_u32 s82, 0
	s_cbranch_scc1 .LBB85_36
; %bb.7:                                ;   in Loop: Header=BB85_6 Depth=1
	s_and_b32 vcc_lo, exec_lo, s57
	s_cbranch_vccz .LBB85_22
; %bb.8:                                ;   in Loop: Header=BB85_6 Depth=1
	v_cmp_gt_u32_e32 vcc_lo, 0x301, v2
	s_mov_b32 s82, 0
	s_mov_b32 s10, 0
	s_cbranch_vccz .LBB85_23
; %bb.9:                                ;   in Loop: Header=BB85_6 Depth=1
	v_mov_b32_e32 v1, 0
	s_and_saveexec_b32 s10, s4
	s_cbranch_execz .LBB85_11
; %bb.10:                               ;   in Loop: Header=BB85_6 Depth=1
	global_load_b32 v1, v[5:6], off
.LBB85_11:                              ;   in Loop: Header=BB85_6 Depth=1
	s_or_b32 exec_lo, exec_lo, s10
	s_and_saveexec_b32 s12, s4
	s_cbranch_execz .LBB85_87
; %bb.12:                               ;   in Loop: Header=BB85_6 Depth=1
	global_load_u16 v2, v8, s[38:39]
	v_mov_b32_e32 v4, v0
	s_mov_b32 s13, 0
	s_waitcnt vmcnt(0)
	v_add_nc_u32_e32 v3, v0, v2
	s_delay_alu instid0(VALU_DEP_1)
	v_mul_lo_u32 v7, s34, v3
	v_mul_lo_u32 v3, s34, v2
	s_branch .LBB85_14
.LBB85_13:                              ;   in Loop: Header=BB85_14 Depth=2
	s_or_b32 exec_lo, exec_lo, s11
	v_add_nc_u32_e32 v7, v7, v3
	s_waitcnt vmcnt(0)
	v_mov_b32_e32 v1, v14
	s_and_not1_b32 exec_lo, exec_lo, s13
	s_cbranch_execz .LBB85_87
.LBB85_14:                              ;   Parent Loop BB85_6 Depth=1
                                        ; =>  This Inner Loop Header: Depth=2
	s_waitcnt lgkmcnt(0)
	v_dual_mov_b32 v31, 0 :: v_dual_add_nc_u32 v4, v4, v2
	v_mov_b32_e32 v14, 0
	s_mov_b32 s11, exec_lo
	s_delay_alu instid0(VALU_DEP_2)
	v_cmp_le_u32_e32 vcc_lo, s36, v4
	v_cmpx_gt_u32_e64 s36, v4
	s_cbranch_execz .LBB85_16
; %bb.15:                               ;   in Loop: Header=BB85_14 Depth=2
	v_lshlrev_b64 v[32:33], 2, v[7:8]
	s_delay_alu instid0(VALU_DEP_1) | instskip(NEXT) | instid1(VALU_DEP_1)
	v_add_co_u32 v32, s10, s33, v32
	v_add_co_ci_u32_e64 v33, s10, s35, v33, s10
	global_load_b32 v14, v[32:33], off
.LBB85_16:                              ;   in Loop: Header=BB85_14 Depth=2
	s_or_b32 exec_lo, exec_lo, s11
	v_cmp_lt_i32_e64 s10, -1, v1
	s_delay_alu instid0(VALU_DEP_1) | instskip(SKIP_1) | instid1(VALU_DEP_2)
	v_cndmask_b32_e64 v32, -1, 0x80000000, s10
	v_cmp_o_f32_e64 s10, v1, v1
	v_xor_b32_e32 v32, v32, v1
	s_delay_alu instid0(VALU_DEP_1) | instskip(NEXT) | instid1(VALU_DEP_1)
	v_cndmask_b32_e64 v32, -1, v32, s10
	v_and_b32_e32 v32, v32, v28
	s_delay_alu instid0(VALU_DEP_1) | instskip(NEXT) | instid1(VALU_DEP_1)
	v_cmp_eq_u32_e64 s10, v32, v29
	s_cmp_lg_u32 s10, 0
	s_cselect_b32 s11, -1, 0
	s_delay_alu instid0(SALU_CYCLE_1) | instskip(NEXT) | instid1(SALU_CYCLE_1)
	s_and_b32 s11, s2, s11
	s_and_saveexec_b32 s14, s11
	s_cbranch_execz .LBB85_20
; %bb.17:                               ;   in Loop: Header=BB85_14 Depth=2
	s_mov_b32 s17, exec_lo
	s_bcnt1_i32_b32 s15, s10
	v_mbcnt_lo_u32_b32 v31, s17, 0
	s_mov_b32 s16, exec_lo
                                        ; implicit-def: $vgpr32
	s_delay_alu instid0(VALU_DEP_1)
	v_cmpx_eq_u32_e32 0, v31
	s_cbranch_execz .LBB85_19
; %bb.18:                               ;   in Loop: Header=BB85_14 Depth=2
	s_bcnt1_i32_b32 s11, s17
	s_delay_alu instid0(SALU_CYCLE_1) | instskip(NEXT) | instid1(SALU_CYCLE_1)
	s_mul_i32 s11, s15, s11
	v_mov_b32_e32 v32, s11
	ds_add_rtn_u32 v32, v8, v32 offset:4104
.LBB85_19:                              ;   in Loop: Header=BB85_14 Depth=2
	s_or_b32 exec_lo, exec_lo, s16
	s_waitcnt lgkmcnt(0)
	v_readfirstlane_b32 s11, v32
	s_delay_alu instid0(VALU_DEP_1)
	v_mad_u32_u24 v31, s15, v31, s11
.LBB85_20:                              ;   in Loop: Header=BB85_14 Depth=2
	s_or_b32 exec_lo, exec_lo, s14
	ds_bpermute_b32 v31, v8, v31
	s_and_b32 s11, exec_lo, vcc_lo
	s_delay_alu instid0(SALU_CYCLE_1)
	s_or_b32 s13, s11, s13
	s_and_saveexec_b32 s11, s10
	s_cbranch_execz .LBB85_13
; %bb.21:                               ;   in Loop: Header=BB85_14 Depth=2
	v_and_b32_e32 v32, s10, v16
	s_delay_alu instid0(VALU_DEP_1) | instskip(NEXT) | instid1(VALU_DEP_1)
	v_bcnt_u32_b32 v32, v32, 0
	v_lshlrev_b32_e32 v32, 2, v32
	s_waitcnt lgkmcnt(0)
	s_delay_alu instid0(VALU_DEP_1)
	v_lshl_add_u32 v31, v31, 2, v32
	ds_store_b32 v31, v1
	s_branch .LBB85_13
.LBB85_22:                              ;   in Loop: Header=BB85_6 Depth=1
	s_mov_b32 s82, -1
	s_mov_b32 s10, 0
.LBB85_23:                              ;   in Loop: Header=BB85_6 Depth=1
	s_and_b32 vcc_lo, exec_lo, s82
	s_cbranch_vccz .LBB85_34
.LBB85_24:                              ;   in Loop: Header=BB85_6 Depth=1
	v_mov_b32_e32 v1, 0
	s_and_saveexec_b32 s10, s4
	s_cbranch_execz .LBB85_26
; %bb.25:                               ;   in Loop: Header=BB85_6 Depth=1
	global_load_b32 v1, v[5:6], off
.LBB85_26:                              ;   in Loop: Header=BB85_6 Depth=1
	s_or_b32 exec_lo, exec_lo, s10
	s_and_saveexec_b32 s11, s4
	s_cbranch_execz .LBB85_31
; %bb.27:                               ;   in Loop: Header=BB85_6 Depth=1
	global_load_u16 v2, v8, s[38:39]
	s_mov_b32 s12, 0
	v_dual_mov_b32 v14, v18 :: v_dual_mov_b32 v31, v0
	s_waitcnt vmcnt(0)
	v_add_nc_u32_e32 v3, v0, v2
	v_lshlrev_b32_e32 v4, 2, v2
	s_delay_alu instid0(VALU_DEP_2)
	v_mul_lo_u32 v7, s34, v3
	v_mul_lo_u32 v3, s34, v2
	s_set_inst_prefetch_distance 0x1
	s_branch .LBB85_29
	.p2align	6
.LBB85_28:                              ;   in Loop: Header=BB85_29 Depth=2
	s_or_b32 exec_lo, exec_lo, s13
	ds_store_b32 v14, v1
	s_waitcnt vmcnt(0)
	v_dual_mov_b32 v1, v32 :: v_dual_add_nc_u32 v14, v14, v4
	v_add_nc_u32_e32 v7, v7, v3
	s_and_b32 s10, exec_lo, vcc_lo
	s_delay_alu instid0(SALU_CYCLE_1) | instskip(NEXT) | instid1(SALU_CYCLE_1)
	s_or_b32 s12, s10, s12
	s_and_not1_b32 exec_lo, exec_lo, s12
	s_cbranch_execz .LBB85_31
.LBB85_29:                              ;   Parent Loop BB85_6 Depth=1
                                        ; =>  This Inner Loop Header: Depth=2
	v_dual_mov_b32 v32, 0 :: v_dual_add_nc_u32 v31, v31, v2
	s_mov_b32 s13, exec_lo
	s_delay_alu instid0(VALU_DEP_1)
	v_cmp_le_u32_e32 vcc_lo, s36, v31
	v_cmpx_gt_u32_e64 s36, v31
	s_cbranch_execz .LBB85_28
; %bb.30:                               ;   in Loop: Header=BB85_29 Depth=2
	v_lshlrev_b64 v[32:33], 2, v[7:8]
	s_delay_alu instid0(VALU_DEP_1) | instskip(NEXT) | instid1(VALU_DEP_1)
	v_add_co_u32 v32, s10, s33, v32
	v_add_co_ci_u32_e64 v33, s10, s35, v33, s10
	global_load_b32 v32, v[32:33], off
	s_branch .LBB85_28
.LBB85_31:                              ;   in Loop: Header=BB85_6 Depth=1
	s_set_inst_prefetch_distance 0x2
	s_or_b32 exec_lo, exec_lo, s11
	s_waitcnt vmcnt(0) lgkmcnt(0)
	s_barrier
	buffer_gl0_inv
	s_and_saveexec_b32 s10, s5
	s_cbranch_execz .LBB85_33
; %bb.32:                               ;   in Loop: Header=BB85_6 Depth=1
	v_mov_b32_e32 v1, s36
	ds_store_b32 v8, v1 offset:4096
.LBB85_33:                              ;   in Loop: Header=BB85_6 Depth=1
	s_or_b32 exec_lo, exec_lo, s10
	s_mov_b32 s10, -1
	s_waitcnt lgkmcnt(0)
	s_barrier
                                        ; implicit-def: $sgpr82
.LBB85_34:                              ;   in Loop: Header=BB85_6 Depth=1
	s_and_b32 vcc_lo, exec_lo, s10
	s_cbranch_vccz .LBB85_36
; %bb.35:                               ;   in Loop: Header=BB85_6 Depth=1
	buffer_gl0_inv
	ds_load_b32 v1, v8 offset:4096
	s_waitcnt lgkmcnt(0)
	v_readfirstlane_b32 s82, v1
.LBB85_36:                              ;   in Loop: Header=BB85_6 Depth=1
	s_delay_alu instid0(VALU_DEP_1)
	s_cmp_lt_i32 s82, 1
	s_cbranch_scc0 .LBB85_40
; %bb.37:                               ;   in Loop: Header=BB85_6 Depth=1
	v_dual_mov_b32 v1, 0 :: v_dual_mov_b32 v2, 0
	v_dual_mov_b32 v3, 0 :: v_dual_mov_b32 v4, 0
	s_mov_b32 s22, 0
	s_and_saveexec_b32 s21, s7
	s_cbranch_execnz .LBB85_41
; %bb.38:                               ;   in Loop: Header=BB85_6 Depth=1
	s_or_b32 exec_lo, exec_lo, s21
	v_mov_b32_e32 v31, 0
	s_and_saveexec_b32 s10, s8
	s_cbranch_execnz .LBB85_44
.LBB85_39:                              ;   in Loop: Header=BB85_6 Depth=1
	s_or_b32 exec_lo, exec_lo, s10
	s_and_saveexec_b32 s14, s8
	s_cbranch_execnz .LBB85_45
	s_branch .LBB85_50
.LBB85_40:                              ;   in Loop: Header=BB85_6 Depth=1
                                        ; implicit-def: $vgpr4
	s_cbranch_execnz .LBB85_51
	s_branch .LBB85_60
.LBB85_41:                              ;   in Loop: Header=BB85_6 Depth=1
	v_mov_b32_e32 v14, v18
	s_and_b32 s23, s76, 0xfe
	s_mov_b32 s24, 0
	s_mov_b32 s25, 0
	;; [unrolled: 1-line block ×5, first 2 shown]
.LBB85_42:                              ;   Parent Loop BB85_6 Depth=1
                                        ; =>  This Inner Loop Header: Depth=2
	v_add_nc_u32_e32 v7, s24, v24
	s_delay_alu instid0(VALU_DEP_1) | instskip(SKIP_1) | instid1(VALU_DEP_1)
	v_lshlrev_b64 v[1:2], 2, v[7:8]
	v_add_nc_u32_e32 v7, s24, v12
	v_lshlrev_b64 v[3:4], 2, v[7:8]
	v_add_nc_u32_e32 v7, s24, v22
	s_delay_alu instid0(VALU_DEP_4) | instskip(SKIP_1) | instid1(VALU_DEP_3)
	v_add_co_u32 v1, vcc_lo, s33, v1
	v_add_co_ci_u32_e32 v2, vcc_lo, s35, v2, vcc_lo
	v_lshlrev_b64 v[31:32], 2, v[7:8]
	v_add_nc_u32_e32 v7, s24, v23
	s_add_i32 s24, s24, s68
	global_load_b32 v33, v[1:2], off
	v_add_co_u32 v1, vcc_lo, s33, v3
	v_add_co_ci_u32_e32 v2, vcc_lo, s35, v4, vcc_lo
	v_add_co_u32 v31, vcc_lo, s33, v31
	v_add_co_ci_u32_e32 v32, vcc_lo, s35, v32, vcc_lo
	v_lshlrev_b64 v[3:4], 2, v[7:8]
	s_clause 0x1
	global_load_b32 v7, v[1:2], off
	global_load_b32 v31, v[31:32], off
	v_add_co_u32 v1, vcc_lo, s33, v3
	v_add_co_ci_u32_e32 v2, vcc_lo, s35, v4, vcc_lo
	global_load_b32 v1, v[1:2], off
	s_waitcnt vmcnt(3)
	v_cmp_lt_i32_e64 s10, -1, v33
	s_delay_alu instid0(VALU_DEP_1) | instskip(SKIP_2) | instid1(VALU_DEP_2)
	v_cndmask_b32_e64 v2, -1, 0x80000000, s10
	s_waitcnt vmcnt(2)
	v_cmp_lt_i32_e64 s10, -1, v7
	v_xor_b32_e32 v2, v2, v33
	s_waitcnt vmcnt(1)
	v_cmp_lt_i32_e64 s11, -1, v31
	s_delay_alu instid0(VALU_DEP_3) | instskip(SKIP_1) | instid1(VALU_DEP_3)
	v_cndmask_b32_e64 v3, -1, 0x80000000, s10
	v_cmp_o_f32_e64 s10, v33, v33
	v_cndmask_b32_e64 v4, -1, 0x80000000, s11
	s_delay_alu instid0(VALU_DEP_3) | instskip(NEXT) | instid1(VALU_DEP_3)
	v_xor_b32_e32 v3, v3, v7
	v_cndmask_b32_e64 v2, -1, v2, s10
	v_cmp_o_f32_e64 s10, v7, v7
	s_delay_alu instid0(VALU_DEP_4)
	v_xor_b32_e32 v4, v4, v31
	s_waitcnt vmcnt(0)
	v_cmp_o_f32_e64 s15, v1, v1
	v_and_b32_e32 v32, v2, v28
	v_cndmask_b32_e64 v3, -1, v3, s10
	v_cmp_lt_i32_e64 s10, -1, v1
	v_bfe_u32 v2, v2, s23, 2
	s_delay_alu instid0(VALU_DEP_2) | instskip(SKIP_1) | instid1(VALU_DEP_3)
	v_cndmask_b32_e64 v7, -1, 0x80000000, s10
	v_cmp_o_f32_e64 s10, v31, v31
	v_cmp_eq_u32_e64 s11, 0, v2
	v_and_b32_e32 v31, v3, v28
	v_bfe_u32 v3, v3, s23, 2
	v_xor_b32_e32 v7, v7, v1
	v_cndmask_b32_e64 v4, -1, v4, s10
	v_cmp_eq_u32_e64 s10, v32, v29
	v_cmp_eq_u32_e64 s12, 1, v2
	;; [unrolled: 1-line block ×4, first 2 shown]
	v_cndmask_b32_e64 v1, -1, v7, s15
	s_and_b32 s11, s10, s11
	v_and_b32_e32 v2, v4, v28
	v_bfe_u32 v4, v4, s23, 2
	v_cmp_eq_u32_e64 s15, v31, v29
	v_cmp_eq_u32_e64 s16, 0, v3
	v_cndmask_b32_e64 v7, 0, 1, s11
	v_cmp_eq_u32_e64 s11, 1, v3
	s_and_b32 s12, s10, s12
	s_and_b32 s13, s10, s13
	v_cndmask_b32_e64 v31, 0, 1, s12
	v_cmp_eq_u32_e64 s12, 2, v3
	v_cndmask_b32_e64 v32, 0, 1, s13
	v_cmp_eq_u32_e64 s13, 3, v3
	s_and_b32 s10, s10, s14
	v_cmp_eq_u32_e64 s14, 0, v4
	v_cndmask_b32_e64 v3, 0, 1, s10
	v_cmp_eq_u32_e64 s10, v2, v29
	v_and_b32_e32 v2, v1, v28
	v_bfe_u32 v1, v1, s23, 2
	s_and_b32 s16, s15, s16
	s_and_b32 s11, s15, s11
	v_cmp_ne_u32_e64 s17, 0, v7
	v_cndmask_b32_e64 v7, 0, 1, s16
	v_cmp_eq_u32_e64 s16, 1, v4
	v_cmp_ne_u32_e64 s18, 0, v31
	v_cndmask_b32_e64 v31, 0, 1, s11
	v_cmp_eq_u32_e64 s11, 2, v4
	s_and_b32 s12, s15, s12
	s_and_b32 s13, s15, s13
	v_cmp_ne_u32_e64 s19, 0, v32
	v_cndmask_b32_e64 v32, 0, 1, s12
	v_cmp_eq_u32_e64 s12, 3, v4
	v_cmp_ne_u32_e64 s20, 0, v3
	v_cndmask_b32_e64 v3, 0, 1, s13
	v_cmp_eq_u32_e64 s13, v2, v29
	v_cmp_eq_u32_e64 s15, 0, v1
	s_and_b32 s14, s10, s14
	s_and_b32 s16, s10, s16
	v_cndmask_b32_e64 v2, 0, 1, s14
	s_and_b32 s11, s10, s11
	s_bcnt1_i32_b32 s29, s17
	v_cmp_ne_u32_e64 s17, 0, v7
	v_cmp_eq_u32_e64 s14, 1, v1
	v_cndmask_b32_e64 v4, 0, 1, s16
	v_cmp_eq_u32_e64 s16, 2, v1
	v_cndmask_b32_e64 v7, 0, 1, s11
	v_cmp_eq_u32_e64 s11, 3, v1
	s_and_b32 s10, s10, s12
	s_and_b32 s12, s13, s15
	s_bcnt1_i32_b32 s85, s20
	v_cmp_ne_u32_e64 s20, 0, v3
	v_cndmask_b32_e64 v1, 0, 1, s10
	v_cmp_ne_u32_e64 s10, 0, v2
	v_cndmask_b32_e64 v2, 0, 1, s12
	s_and_b32 s14, s13, s14
	s_and_b32 s15, s13, s16
	;; [unrolled: 1-line block ×3, first 2 shown]
	v_cmp_ne_u32_e64 s12, 0, v4
	v_cndmask_b32_e64 v3, 0, 1, s14
	v_cndmask_b32_e64 v4, 0, 1, s15
	s_bcnt1_i32_b32 s16, s20
	v_cmp_ne_u32_e64 s15, 0, v1
	v_cndmask_b32_e64 v1, 0, 1, s11
	s_bcnt1_i32_b32 s20, s10
	v_cmp_ne_u32_e64 s10, 0, v2
	s_bcnt1_i32_b32 s83, s18
	v_cmp_ne_u32_e64 s18, 0, v31
	;; [unrolled: 2-line block ×3, first 2 shown]
	s_add_i32 s28, s29, s28
	s_bcnt1_i32_b32 s17, s17
	s_add_i32 s25, s85, s25
	v_cmp_ne_u32_e64 s14, 0, v7
	s_add_i32 s17, s28, s17
	s_add_i32 s16, s25, s16
	s_bcnt1_i32_b32 s25, s12
	v_cmp_ne_u32_e64 s11, 0, v3
	v_cmp_ne_u32_e64 s12, 0, v4
	;; [unrolled: 1-line block ×3, first 2 shown]
	s_add_i32 s17, s17, s20
	s_bcnt1_i32_b32 s10, s10
	s_add_i32 s27, s83, s27
	s_add_i32 s26, s84, s26
	s_bcnt1_i32_b32 s18, s18
	s_bcnt1_i32_b32 s19, s19
	s_add_i32 s28, s17, s10
	s_delay_alu instid0(SALU_CYCLE_1)
	v_dual_mov_b32 v1, s28 :: v_dual_add_nc_u32 v14, s55, v14
	s_add_i32 s18, s27, s18
	s_add_i32 s19, s26, s19
	s_bcnt1_i32_b32 s14, s14
	s_bcnt1_i32_b32 s15, s15
	s_add_i32 s18, s18, s25
	s_add_i32 s14, s19, s14
	s_add_i32 s15, s16, s15
	s_bcnt1_i32_b32 s11, s11
	s_bcnt1_i32_b32 s12, s12
	;; [unrolled: 1-line block ×3, first 2 shown]
	v_cmp_le_u32_e32 vcc_lo, s65, v14
	s_add_i32 s27, s18, s11
	s_add_i32 s26, s14, s12
	;; [unrolled: 1-line block ×3, first 2 shown]
	v_dual_mov_b32 v2, s27 :: v_dual_mov_b32 v3, s26
	v_mov_b32_e32 v4, s25
	s_or_b32 s22, vcc_lo, s22
	s_delay_alu instid0(SALU_CYCLE_1)
	s_and_not1_b32 exec_lo, exec_lo, s22
	s_cbranch_execnz .LBB85_42
; %bb.43:                               ;   in Loop: Header=BB85_6 Depth=1
	s_or_b32 exec_lo, exec_lo, s22
	s_delay_alu instid0(SALU_CYCLE_1)
	s_or_b32 exec_lo, exec_lo, s21
	v_mov_b32_e32 v31, 0
	s_and_saveexec_b32 s10, s8
	s_cbranch_execz .LBB85_39
.LBB85_44:                              ;   in Loop: Header=BB85_6 Depth=1
	global_load_b32 v31, v[10:11], off
	s_or_b32 exec_lo, exec_lo, s10
	s_and_saveexec_b32 s14, s8
	s_cbranch_execz .LBB85_50
.LBB85_45:                              ;   in Loop: Header=BB85_6 Depth=1
	v_dual_mov_b32 v7, v25 :: v_dual_mov_b32 v14, v19
	s_and_b32 s16, s76, 0xfe
	s_mov_b32 s15, 0
	s_branch .LBB85_47
.LBB85_46:                              ;   in Loop: Header=BB85_47 Depth=2
	s_or_b32 exec_lo, exec_lo, s11
	s_waitcnt vmcnt(0)
	v_cmp_lt_i32_e64 s10, -1, v31
	s_and_b32 s11, exec_lo, vcc_lo
	v_add_nc_u32_e32 v7, s48, v7
	s_or_b32 s15, s11, s15
	s_delay_alu instid0(VALU_DEP_2) | instskip(SKIP_1) | instid1(VALU_DEP_2)
	v_cndmask_b32_e64 v33, -1, 0x80000000, s10
	v_cmp_o_f32_e64 s10, v31, v31
	v_xor_b32_e32 v33, v33, v31
	s_delay_alu instid0(VALU_DEP_1) | instskip(NEXT) | instid1(VALU_DEP_1)
	v_cndmask_b32_e64 v31, -1, v33, s10
	v_and_b32_e32 v33, v31, v28
	v_bfe_u32 v31, v31, s16, 2
	s_delay_alu instid0(VALU_DEP_2) | instskip(NEXT) | instid1(VALU_DEP_2)
	v_cmp_eq_u32_e32 vcc_lo, v33, v29
	v_cmp_eq_u32_e64 s10, 0, v31
	v_cmp_eq_u32_e64 s11, 1, v31
	;; [unrolled: 1-line block ×4, first 2 shown]
	s_delay_alu instid0(VALU_DEP_4) | instskip(NEXT) | instid1(SALU_CYCLE_1)
	s_and_b32 s10, vcc_lo, s10
	v_cndmask_b32_e64 v31, 0, 1, s10
	s_and_b32 s10, vcc_lo, s11
	s_delay_alu instid0(SALU_CYCLE_1) | instskip(SKIP_1) | instid1(SALU_CYCLE_1)
	v_cndmask_b32_e64 v33, 0, 1, s10
	s_and_b32 s10, vcc_lo, s12
	v_cndmask_b32_e64 v34, 0, 1, s10
	s_and_b32 s10, vcc_lo, s13
	v_cmp_ne_u32_e32 vcc_lo, 0, v31
	v_cndmask_b32_e64 v35, 0, 1, s10
	v_cmp_ne_u32_e64 s10, 0, v33
	v_cmp_ne_u32_e64 s11, 0, v34
	v_mov_b32_e32 v31, v32
	s_bcnt1_i32_b32 s13, vcc_lo
	v_cmp_ne_u32_e64 s12, 0, v35
	s_bcnt1_i32_b32 s10, s10
	s_bcnt1_i32_b32 s11, s11
	v_add_nc_u32_e32 v1, s13, v1
	v_add_nc_u32_e32 v2, s10, v2
	s_bcnt1_i32_b32 s12, s12
	v_add_nc_u32_e32 v3, s11, v3
	v_add_nc_u32_e32 v4, s12, v4
	s_and_not1_b32 exec_lo, exec_lo, s15
	s_cbranch_execz .LBB85_49
.LBB85_47:                              ;   Parent Loop BB85_6 Depth=1
                                        ; =>  This Inner Loop Header: Depth=2
	s_delay_alu instid0(VALU_DEP_1) | instskip(SKIP_2) | instid1(VALU_DEP_2)
	v_add_nc_u32_e32 v14, s46, v14
	v_mov_b32_e32 v32, 0
	s_mov_b32 s11, exec_lo
	v_cmp_le_u32_e32 vcc_lo, s36, v14
	v_cmpx_gt_u32_e64 s36, v14
	s_cbranch_execz .LBB85_46
; %bb.48:                               ;   in Loop: Header=BB85_47 Depth=2
	v_lshlrev_b64 v[32:33], 2, v[7:8]
	s_delay_alu instid0(VALU_DEP_1) | instskip(NEXT) | instid1(VALU_DEP_1)
	v_add_co_u32 v32, s10, s33, v32
	v_add_co_ci_u32_e64 v33, s10, s35, v33, s10
	global_load_b32 v32, v[32:33], off
	s_branch .LBB85_46
.LBB85_49:                              ;   in Loop: Header=BB85_6 Depth=1
	s_or_b32 exec_lo, exec_lo, s15
.LBB85_50:                              ;   in Loop: Header=BB85_6 Depth=1
	s_delay_alu instid0(SALU_CYCLE_1)
	s_or_b32 exec_lo, exec_lo, s14
	s_branch .LBB85_60
.LBB85_51:                              ;   in Loop: Header=BB85_6 Depth=1
	s_mul_hi_u32 s10, s82, s64
	v_dual_mov_b32 v1, 0 :: v_dual_mov_b32 v2, 0
	s_mul_i32 s10, s10, s55
	v_dual_mov_b32 v3, 0 :: v_dual_mov_b32 v4, 0
	s_sub_i32 s10, s82, s10
	s_mov_b32 s85, 0
	s_sub_i32 s11, s10, s55
	s_cmp_ge_u32 s10, s55
	s_mov_b32 s84, exec_lo
	s_cselect_b32 s10, s11, s10
	s_delay_alu instid0(SALU_CYCLE_1) | instskip(SKIP_2) | instid1(SALU_CYCLE_1)
	s_sub_i32 s11, s10, s55
	s_cmp_ge_u32 s10, s55
	s_cselect_b32 s10, s11, s10
	s_sub_i32 s83, s82, s10
	s_delay_alu instid0(SALU_CYCLE_1)
	v_cmpx_gt_u32_e64 s83, v18
	s_cbranch_execz .LBB85_55
; %bb.52:                               ;   in Loop: Header=BB85_6 Depth=1
	v_mov_b32_e32 v7, v26
	v_mov_b32_e32 v14, v18
	s_and_b32 s86, s76, 0xfe
	s_mov_b32 s87, 0
	s_mov_b32 s88, 0
	;; [unrolled: 1-line block ×4, first 2 shown]
.LBB85_53:                              ;   Parent Loop BB85_6 Depth=1
                                        ; =>  This Inner Loop Header: Depth=2
	ds_load_b128 v[1:4], v7
	s_waitcnt lgkmcnt(0)
	v_cmp_lt_i32_e64 s10, -1, v1
	v_cmp_o_f32_e64 s13, v1, v1
	v_cmp_o_f32_e64 s11, v3, v3
	;; [unrolled: 1-line block ×3, first 2 shown]
	s_waitcnt vmcnt(0)
	v_cndmask_b32_e64 v31, -1, 0x80000000, s10
	v_cmp_lt_i32_e64 s10, -1, v2
	s_delay_alu instid0(VALU_DEP_2) | instskip(NEXT) | instid1(VALU_DEP_2)
	v_xor_b32_e32 v31, v31, v1
	v_cndmask_b32_e64 v32, -1, 0x80000000, s10
	v_cmp_lt_i32_e64 s10, -1, v3
	s_delay_alu instid0(VALU_DEP_3) | instskip(NEXT) | instid1(VALU_DEP_3)
	v_cndmask_b32_e64 v1, -1, v31, s13
	v_xor_b32_e32 v32, v32, v2
	s_delay_alu instid0(VALU_DEP_3) | instskip(SKIP_1) | instid1(VALU_DEP_4)
	v_cndmask_b32_e64 v33, -1, 0x80000000, s10
	v_cmp_lt_i32_e64 s10, -1, v4
	v_and_b32_e32 v31, v1, v28
	v_bfe_u32 v1, v1, s86, 2
	s_delay_alu instid0(VALU_DEP_3) | instskip(SKIP_2) | instid1(VALU_DEP_4)
	v_cndmask_b32_e64 v34, -1, 0x80000000, s10
	v_cmp_o_f32_e64 s10, v2, v2
	v_xor_b32_e32 v2, v33, v3
	v_cmp_eq_u32_e64 s14, 0, v1
	v_cmp_eq_u32_e64 s18, 1, v1
	v_xor_b32_e32 v3, v34, v4
	v_cndmask_b32_e64 v4, -1, v32, s10
	v_cndmask_b32_e64 v2, -1, v2, s11
	v_cmp_eq_u32_e64 s10, v31, v29
	v_cmp_eq_u32_e64 s22, 2, v1
	v_cndmask_b32_e64 v3, -1, v3, s12
	v_and_b32_e32 v32, v4, v28
	v_bfe_u32 v4, v4, s86, 2
	v_and_b32_e32 v33, v2, v28
	v_bfe_u32 v2, v2, s86, 2
	;; [unrolled: 2-line block ×3, first 2 shown]
	v_cmp_eq_u32_e64 s11, v32, v29
	v_cmp_eq_u32_e64 s15, 0, v4
	;; [unrolled: 1-line block ×4, first 2 shown]
	s_and_b32 s14, s10, s14
	v_cmp_eq_u32_e64 s13, v34, v29
	v_cmp_eq_u32_e64 s17, 0, v3
	;; [unrolled: 1-line block ×3, first 2 shown]
	v_cndmask_b32_e64 v1, 0, 1, s14
	s_and_b32 s14, s11, s15
	v_cmp_eq_u32_e64 s20, 1, v2
	v_cmp_eq_u32_e64 s24, 2, v2
	;; [unrolled: 1-line block ×3, first 2 shown]
	v_cndmask_b32_e64 v2, 0, 1, s14
	s_and_b32 s14, s12, s16
	v_cmp_eq_u32_e64 s19, 1, v4
	v_cmp_eq_u32_e64 s21, 1, v3
	;; [unrolled: 1-line block ×4, first 2 shown]
	v_cndmask_b32_e64 v3, 0, 1, s14
	s_and_b32 s14, s13, s17
	v_cmp_eq_u32_e64 s23, 2, v4
	v_cmp_eq_u32_e64 s27, 3, v4
	v_cndmask_b32_e64 v4, 0, 1, s14
	s_and_b32 s14, s10, s18
	s_delay_alu instid0(SALU_CYCLE_1) | instskip(SKIP_1) | instid1(SALU_CYCLE_1)
	v_cndmask_b32_e64 v31, 0, 1, s14
	s_and_b32 s14, s11, s19
	v_cndmask_b32_e64 v32, 0, 1, s14
	s_and_b32 s14, s12, s20
	s_delay_alu instid0(SALU_CYCLE_1) | instskip(SKIP_1) | instid1(VALU_DEP_2)
	v_cndmask_b32_e64 v33, 0, 1, s14
	s_and_b32 s14, s13, s21
	v_cmp_ne_u32_e64 s15, 0, v32
	v_cndmask_b32_e64 v34, 0, 1, s14
	s_and_b32 s14, s10, s22
	s_and_b32 s10, s10, s26
	v_cndmask_b32_e64 v35, 0, 1, s14
	v_cndmask_b32_e64 v39, 0, 1, s10
	s_and_b32 s10, s11, s27
	s_and_b32 s14, s11, s23
	v_cndmask_b32_e64 v40, 0, 1, s10
	s_and_b32 s10, s12, s28
	v_cndmask_b32_e64 v36, 0, 1, s14
	v_cndmask_b32_e64 v41, 0, 1, s10
	s_and_b32 s10, s13, s29
	s_and_b32 s14, s12, s24
	v_cndmask_b32_e64 v42, 0, 1, s10
	v_cmp_ne_u32_e64 s10, 0, v1
	v_cmp_ne_u32_e64 s11, 0, v2
	v_cndmask_b32_e64 v37, 0, 1, s14
	s_and_b32 s14, s13, s25
	v_cmp_ne_u32_e64 s12, 0, v3
	v_cndmask_b32_e64 v38, 0, 1, s14
	v_cmp_ne_u32_e64 s14, 0, v31
	v_cmp_ne_u32_e64 s18, 0, v35
	;; [unrolled: 1-line block ×3, first 2 shown]
	s_bcnt1_i32_b32 s10, s10
	v_cmp_ne_u32_e64 s13, 0, v4
	v_cmp_ne_u32_e64 s19, 0, v36
	;; [unrolled: 1-line block ×3, first 2 shown]
	s_bcnt1_i32_b32 s11, s11
	s_add_i32 s10, s10, s90
	v_cmp_ne_u32_e64 s16, 0, v33
	v_cmp_ne_u32_e64 s20, 0, v37
	;; [unrolled: 1-line block ×3, first 2 shown]
	s_bcnt1_i32_b32 s12, s12
	s_add_i32 s10, s10, s11
	s_bcnt1_i32_b32 s14, s14
	s_bcnt1_i32_b32 s18, s18
	;; [unrolled: 1-line block ×3, first 2 shown]
	v_cmp_ne_u32_e64 s17, 0, v34
	v_cmp_ne_u32_e64 s21, 0, v38
	;; [unrolled: 1-line block ×3, first 2 shown]
	s_bcnt1_i32_b32 s13, s13
	s_add_i32 s10, s10, s12
	s_bcnt1_i32_b32 s15, s15
	s_bcnt1_i32_b32 s19, s19
	s_bcnt1_i32_b32 s23, s23
	s_add_i32 s14, s14, s89
	s_add_i32 s18, s18, s88
	;; [unrolled: 1-line block ×4, first 2 shown]
	s_delay_alu instid0(SALU_CYCLE_1)
	v_dual_mov_b32 v1, s90 :: v_dual_add_nc_u32 v14, s55, v14
	s_bcnt1_i32_b32 s16, s16
	s_bcnt1_i32_b32 s20, s20
	s_bcnt1_i32_b32 s24, s24
	s_add_i32 s11, s14, s15
	s_add_i32 s14, s18, s19
	;; [unrolled: 1-line block ×3, first 2 shown]
	s_bcnt1_i32_b32 s17, s17
	s_bcnt1_i32_b32 s21, s21
	;; [unrolled: 1-line block ×3, first 2 shown]
	s_add_i32 s11, s11, s16
	s_add_i32 s12, s14, s20
	;; [unrolled: 1-line block ×3, first 2 shown]
	v_cmp_le_u32_e32 vcc_lo, s83, v14
	s_add_i32 s89, s11, s17
	s_add_i32 s88, s12, s21
	;; [unrolled: 1-line block ×3, first 2 shown]
	v_dual_mov_b32 v2, s89 :: v_dual_add_nc_u32 v7, s69, v7
	v_dual_mov_b32 v3, s88 :: v_dual_mov_b32 v4, s87
	s_or_b32 s85, vcc_lo, s85
	s_delay_alu instid0(SALU_CYCLE_1)
	s_and_not1_b32 exec_lo, exec_lo, s85
	s_cbranch_execnz .LBB85_53
; %bb.54:                               ;   in Loop: Header=BB85_6 Depth=1
	s_or_b32 exec_lo, exec_lo, s85
.LBB85_55:                              ;   in Loop: Header=BB85_6 Depth=1
	s_delay_alu instid0(SALU_CYCLE_1) | instskip(SKIP_2) | instid1(VALU_DEP_1)
	s_or_b32 exec_lo, exec_lo, s84
	v_add_nc_u32_e32 v7, s83, v0
	s_mov_b32 s15, exec_lo
	v_cmpx_gt_u32_e64 s82, v7
	s_cbranch_execz .LBB85_59
; %bb.56:                               ;   in Loop: Header=BB85_6 Depth=1
	v_lshlrev_b32_e32 v14, 2, v7
	s_and_b32 s17, s76, 0xfe
	s_mov_b32 s16, 0
.LBB85_57:                              ;   Parent Loop BB85_6 Depth=1
                                        ; =>  This Inner Loop Header: Depth=2
	s_waitcnt vmcnt(0)
	ds_load_b32 v31, v14
	v_add_nc_u32_e32 v7, s46, v7
	v_add_nc_u32_e32 v14, s55, v14
	s_delay_alu instid0(VALU_DEP_2) | instskip(SKIP_2) | instid1(VALU_DEP_1)
	v_cmp_le_u32_e32 vcc_lo, s82, v7
	s_waitcnt lgkmcnt(0)
	v_cmp_lt_i32_e64 s10, -1, v31
	v_cndmask_b32_e64 v32, -1, 0x80000000, s10
	v_cmp_o_f32_e64 s10, v31, v31
	s_delay_alu instid0(VALU_DEP_2) | instskip(NEXT) | instid1(VALU_DEP_1)
	v_xor_b32_e32 v32, v32, v31
	v_cndmask_b32_e64 v31, -1, v32, s10
	s_delay_alu instid0(VALU_DEP_1) | instskip(SKIP_1) | instid1(VALU_DEP_2)
	v_and_b32_e32 v32, v31, v28
	v_bfe_u32 v31, v31, s17, 2
	v_cmp_eq_u32_e64 s10, v32, v29
	s_delay_alu instid0(VALU_DEP_2) | instskip(SKIP_3) | instid1(VALU_DEP_4)
	v_cmp_eq_u32_e64 s11, 0, v31
	v_cmp_eq_u32_e64 s12, 1, v31
	;; [unrolled: 1-line block ×4, first 2 shown]
	s_and_b32 s11, s10, s11
	s_delay_alu instid0(SALU_CYCLE_1) | instskip(SKIP_1) | instid1(SALU_CYCLE_1)
	v_cndmask_b32_e64 v31, 0, 1, s11
	s_and_b32 s11, s10, s12
	v_cndmask_b32_e64 v32, 0, 1, s11
	s_and_b32 s11, s10, s13
	s_and_b32 s10, s10, s14
	v_cndmask_b32_e64 v33, 0, 1, s11
	v_cndmask_b32_e64 v34, 0, 1, s10
	v_cmp_ne_u32_e64 s10, 0, v31
	v_cmp_ne_u32_e64 s11, 0, v32
	s_delay_alu instid0(VALU_DEP_4) | instskip(NEXT) | instid1(VALU_DEP_4)
	v_cmp_ne_u32_e64 s12, 0, v33
	v_cmp_ne_u32_e64 s13, 0, v34
	s_delay_alu instid0(VALU_DEP_4) | instskip(NEXT) | instid1(VALU_DEP_3)
	s_bcnt1_i32_b32 s10, s10
	s_bcnt1_i32_b32 s11, s11
	v_add_nc_u32_e32 v1, s10, v1
	s_bcnt1_i32_b32 s12, s12
	s_bcnt1_i32_b32 s13, s13
	v_add_nc_u32_e32 v2, s11, v2
	v_add_nc_u32_e32 v3, s12, v3
	;; [unrolled: 1-line block ×3, first 2 shown]
	s_or_b32 s16, vcc_lo, s16
	s_delay_alu instid0(SALU_CYCLE_1)
	s_and_not1_b32 exec_lo, exec_lo, s16
	s_cbranch_execnz .LBB85_57
; %bb.58:                               ;   in Loop: Header=BB85_6 Depth=1
	s_or_b32 exec_lo, exec_lo, s16
.LBB85_59:                              ;   in Loop: Header=BB85_6 Depth=1
	s_delay_alu instid0(SALU_CYCLE_1)
	s_or_b32 exec_lo, exec_lo, s15
.LBB85_60:                              ;   in Loop: Header=BB85_6 Depth=1
	s_lshl_b32 s10, s71, 7
	s_and_saveexec_b32 s11, s2
	s_cbranch_execz .LBB85_62
; %bb.61:                               ;   in Loop: Header=BB85_6 Depth=1
	v_or_b32_e32 v7, s10, v20
	s_delay_alu instid0(VALU_DEP_1)
	v_lshlrev_b32_e32 v7, 2, v7
	ds_store_b128 v7, v[1:4] offset:3072
.LBB85_62:                              ;   in Loop: Header=BB85_6 Depth=1
	s_or_b32 exec_lo, exec_lo, s11
	s_waitcnt vmcnt(0) lgkmcnt(0)
	s_barrier
	buffer_gl0_inv
	s_and_saveexec_b32 s11, s54
	s_cbranch_execz .LBB85_72
; %bb.63:                               ;   in Loop: Header=BB85_6 Depth=1
	v_mov_b32_e32 v1, 0
	s_and_not1_b32 vcc_lo, exec_lo, s58
	s_cbranch_vccnz .LBB85_71
; %bb.64:                               ;   in Loop: Header=BB85_6 Depth=1
	v_mov_b32_e32 v1, 0
	s_and_not1_b32 vcc_lo, exec_lo, s61
	s_mov_b32 s12, 0
	s_cbranch_vccnz .LBB85_68
; %bb.65:                               ;   in Loop: Header=BB85_6 Depth=1
	v_lshl_add_u32 v2, s71, 9, v27
	v_mov_b32_e32 v1, 0
	.p2align	6
.LBB85_66:                              ;   Parent Loop BB85_6 Depth=1
                                        ; =>  This Inner Loop Header: Depth=2
	ds_load_2addr_b32 v[3:4], v2 offset1:4
	ds_load_2addr_b32 v[31:32], v2 offset0:8 offset1:12
	ds_load_2addr_b32 v[33:34], v2 offset0:16 offset1:20
	ds_load_2addr_b32 v[35:36], v2 offset0:24 offset1:28
	v_add_nc_u32_e32 v2, 0x80, v2
	s_add_i32 s12, s12, 8
	s_delay_alu instid0(SALU_CYCLE_1) | instskip(SKIP_3) | instid1(VALU_DEP_1)
	s_cmp_eq_u32 s62, s12
	s_waitcnt lgkmcnt(3)
	v_add3_u32 v1, v3, v1, v4
	s_waitcnt lgkmcnt(2)
	v_add3_u32 v1, v31, v1, v32
	s_waitcnt lgkmcnt(1)
	s_delay_alu instid0(VALU_DEP_1) | instskip(SKIP_1) | instid1(VALU_DEP_1)
	v_add3_u32 v1, v33, v1, v34
	s_waitcnt lgkmcnt(0)
	v_add3_u32 v1, v35, v1, v36
	s_cbranch_scc0 .LBB85_66
; %bb.67:                               ;   in Loop: Header=BB85_6 Depth=1
	s_mov_b32 s12, s62
.LBB85_68:                              ;   in Loop: Header=BB85_6 Depth=1
	s_and_not1_b32 vcc_lo, exec_lo, s63
	s_cbranch_vccnz .LBB85_71
; %bb.69:                               ;   in Loop: Header=BB85_6 Depth=1
	s_lshl_b32 s13, s71, 9
	s_lshl_b32 s12, s12, 4
	s_delay_alu instid0(SALU_CYCLE_1)
	v_add3_u32 v2, s13, s12, v27
	s_mov_b32 s12, s60
.LBB85_70:                              ;   Parent Loop BB85_6 Depth=1
                                        ; =>  This Inner Loop Header: Depth=2
	ds_load_b32 v3, v2
	v_add_nc_u32_e32 v2, 16, v2
	s_add_i32 s12, s12, -1
	s_delay_alu instid0(SALU_CYCLE_1)
	s_cmp_lg_u32 s12, 0
	s_waitcnt lgkmcnt(0)
	v_add_nc_u32_e32 v1, v3, v1
	s_cbranch_scc1 .LBB85_70
.LBB85_71:                              ;   in Loop: Header=BB85_6 Depth=1
	v_add_lshl_u32 v2, s10, v17, 2
	ds_store_b32 v2, v1 offset:3072
.LBB85_72:                              ;   in Loop: Header=BB85_6 Depth=1
	s_or_b32 exec_lo, exec_lo, s11
	s_lshl_b32 s10, s10, 2
	s_waitcnt lgkmcnt(0)
	v_mov_b32_e32 v1, s10
	s_barrier
	buffer_gl0_inv
	s_and_b32 s17, s76, 0xfe
	v_cmp_eq_u32_e64 s10, 1, v30
	ds_load_b128 v[1:4], v1 offset:3072
	s_lshl_b32 s13, 3, s17
	s_and_not1_b32 vcc_lo, exec_lo, s56
	s_not_b32 s14, s13
	s_waitcnt lgkmcnt(0)
	v_readfirstlane_b32 s12, v1
	v_readfirstlane_b32 s16, v2
	;; [unrolled: 1-line block ×4, first 2 shown]
	s_cbranch_vccnz .LBB85_85
; %bb.73:                               ;   in Loop: Header=BB85_6 Depth=1
	s_cmp_eq_u32 s12, 1
	v_dual_mov_b32 v3, v29 :: v_dual_mov_b32 v4, v28
	v_mov_b32_e32 v2, v15
	s_cselect_b32 s11, -1, 0
	s_mov_b32 s26, -1
	s_and_b32 s25, s11, s10
                                        ; implicit-def: $sgpr15
                                        ; implicit-def: $sgpr22
                                        ; implicit-def: $sgpr21
	s_delay_alu instid0(SALU_CYCLE_1)
	s_and_saveexec_b32 s20, s25
	s_cbranch_execz .LBB85_104
; %bb.74:                               ;   in Loop: Header=BB85_6 Depth=1
	ds_load_b32 v1, v8 offset:4096
	s_waitcnt lgkmcnt(0)
	s_barrier
	buffer_gl0_inv
	v_readfirstlane_b32 s15, v1
	s_and_saveexec_b32 s11, s6
	s_cbranch_execz .LBB85_76
; %bb.75:                               ;   in Loop: Header=BB85_6 Depth=1
	ds_store_b32 v21, v8
.LBB85_76:                              ;   in Loop: Header=BB85_6 Depth=1
	s_or_b32 exec_lo, exec_lo, s11
	v_and_b32_e32 v3, s14, v29
	v_or_b32_e32 v4, s13, v28
	s_cmp_eq_u32 s15, 0
	s_waitcnt lgkmcnt(0)
	s_barrier
	buffer_gl0_inv
	s_cbranch_scc1 .LBB85_90
; %bb.77:                               ;   in Loop: Header=BB85_6 Depth=1
	s_add_i32 s11, s15, s59
                                        ; implicit-def: $vgpr2
	s_delay_alu instid0(SALU_CYCLE_1) | instskip(NEXT) | instid1(SALU_CYCLE_1)
	s_mul_hi_u32 s21, s11, s66
	s_mul_i32 s21, s21, s46
	s_delay_alu instid0(SALU_CYCLE_1) | instskip(NEXT) | instid1(SALU_CYCLE_1)
	s_sub_i32 s21, s11, s21
	s_sub_i32 s22, s21, s46
	s_cmp_ge_u32 s21, s46
	s_cselect_b32 s21, s22, s21
	s_delay_alu instid0(SALU_CYCLE_1) | instskip(SKIP_2) | instid1(SALU_CYCLE_1)
	s_sub_i32 s22, s21, s46
	s_cmp_ge_u32 s21, s46
	s_cselect_b32 s21, s22, s21
	s_sub_i32 s22, s11, s21
	s_mov_b32 s11, 0
	s_mov_b32 s21, exec_lo
	v_cmpx_gt_u32_e64 s22, v0
	s_cbranch_execz .LBB85_92
; %bb.78:                               ;   in Loop: Header=BB85_6 Depth=1
	v_mov_b32_e32 v7, v18
	v_mov_b32_e32 v31, v0
	s_mov_b32 s23, 0
                                        ; implicit-def: $sgpr24
	s_set_inst_prefetch_distance 0x1
	s_branch .LBB85_80
	.p2align	6
.LBB85_79:                              ;   in Loop: Header=BB85_80 Depth=2
	s_or_b32 exec_lo, exec_lo, s11
	s_waitcnt lgkmcnt(0)
	s_barrier
	buffer_gl0_inv
	ds_load_b64 v[1:2], v8 offset:3072
	v_add_nc_u32_e32 v31, s46, v31
	v_add_nc_u32_e32 v7, s55, v7
	s_waitcnt lgkmcnt(0)
	s_barrier
	buffer_gl0_inv
	v_cmp_le_u32_e32 vcc_lo, s22, v31
	v_cmp_neq_f32_e64 s11, 0, v1
	s_delay_alu instid0(VALU_DEP_1) | instskip(NEXT) | instid1(SALU_CYCLE_1)
	s_or_b32 s26, vcc_lo, s11
	s_and_b32 s26, exec_lo, s26
	s_delay_alu instid0(SALU_CYCLE_1) | instskip(SKIP_2) | instid1(SALU_CYCLE_1)
	s_or_b32 s23, s26, s23
	s_and_not1_b32 s24, s24, exec_lo
	s_and_b32 s11, s11, exec_lo
	s_or_b32 s24, s24, s11
	s_and_not1_b32 exec_lo, exec_lo, s23
	s_cbranch_execz .LBB85_91
.LBB85_80:                              ;   Parent Loop BB85_6 Depth=1
                                        ; =>  This Inner Loop Header: Depth=2
	s_delay_alu instid0(VALU_DEP_1)
	v_cmp_gt_u32_e32 vcc_lo, s15, v31
	v_mov_b32_e32 v14, 0
	s_and_saveexec_b32 s11, vcc_lo
	s_cbranch_execz .LBB85_82
; %bb.81:                               ;   in Loop: Header=BB85_80 Depth=2
	ds_load_b32 v14, v7
.LBB85_82:                              ;   in Loop: Header=BB85_80 Depth=2
	s_or_b32 exec_lo, exec_lo, s11
	s_and_saveexec_b32 s11, vcc_lo
	s_cbranch_execz .LBB85_79
; %bb.83:                               ;   in Loop: Header=BB85_80 Depth=2
	s_waitcnt lgkmcnt(0)
	v_cmp_lt_i32_e32 vcc_lo, -1, v14
	v_cndmask_b32_e64 v1, -1, 0x80000000, vcc_lo
	v_cmp_o_f32_e32 vcc_lo, v14, v14
	s_delay_alu instid0(VALU_DEP_2) | instskip(NEXT) | instid1(VALU_DEP_1)
	v_xor_b32_e32 v1, v1, v14
	v_cndmask_b32_e32 v1, -1, v1, vcc_lo
	s_delay_alu instid0(VALU_DEP_1) | instskip(NEXT) | instid1(VALU_DEP_1)
	v_and_b32_e32 v1, v1, v4
	v_cmp_eq_u32_e32 vcc_lo, v1, v3
	s_and_b32 exec_lo, exec_lo, vcc_lo
	s_cbranch_execz .LBB85_79
; %bb.84:                               ;   in Loop: Header=BB85_80 Depth=2
	ds_store_b64 v8, v[13:14] offset:3072
	s_branch .LBB85_79
.LBB85_85:                              ;   in Loop: Header=BB85_6 Depth=1
	s_mov_b32 s20, 0
	s_mov_b32 s11, 0
                                        ; implicit-def: $sgpr21
                                        ; implicit-def: $sgpr22
                                        ; implicit-def: $sgpr15
                                        ; implicit-def: $vgpr1
                                        ; implicit-def: $vgpr31
                                        ; implicit-def: $vgpr3
                                        ; implicit-def: $vgpr4
                                        ; implicit-def: $vgpr2
	s_cbranch_execnz .LBB85_240
.LBB85_86:                              ;   in Loop: Header=BB85_6 Depth=1
	s_mov_b32 s23, s15
	s_mov_b32 s24, s15
	s_and_saveexec_b32 s10, s20
	s_cbranch_execnz .LBB85_402
	s_branch .LBB85_403
.LBB85_87:                              ;   in Loop: Header=BB85_6 Depth=1
	s_or_b32 exec_lo, exec_lo, s12
	s_waitcnt vmcnt(0) lgkmcnt(0)
	s_barrier
	buffer_gl0_inv
	s_and_saveexec_b32 s10, s5
	s_cbranch_execz .LBB85_89
; %bb.88:                               ;   in Loop: Header=BB85_6 Depth=1
	ds_load_b32 v1, v8 offset:4104
	s_waitcnt lgkmcnt(0)
	ds_store_b32 v8, v1 offset:4096
.LBB85_89:                              ;   in Loop: Header=BB85_6 Depth=1
	s_or_b32 exec_lo, exec_lo, s10
	s_waitcnt lgkmcnt(0)
	s_mov_b32 s10, -1
	s_barrier
	s_and_b32 vcc_lo, exec_lo, s82
	s_cbranch_vccnz .LBB85_24
	s_branch .LBB85_34
.LBB85_90:                              ;   in Loop: Header=BB85_6 Depth=1
	s_mov_b32 s15, -1
	s_mov_b32 s11, 0
                                        ; implicit-def: $sgpr21
                                        ; implicit-def: $vgpr2
	s_mov_b32 s22, s15
	s_cbranch_execnz .LBB85_93
	s_branch .LBB85_103
.LBB85_91:                              ;   in Loop: Header=BB85_6 Depth=1
	s_set_inst_prefetch_distance 0x2
	s_or_b32 exec_lo, exec_lo, s23
	s_delay_alu instid0(SALU_CYCLE_1)
	s_and_b32 s11, s24, exec_lo
.LBB85_92:                              ;   in Loop: Header=BB85_6 Depth=1
	s_or_b32 exec_lo, exec_lo, s21
	s_mov_b32 s21, -1
	s_mov_b32 s15, 0
	s_delay_alu instid0(SALU_CYCLE_1)
	s_mov_b32 s22, s15
	s_branch .LBB85_103
.LBB85_93:                              ;   in Loop: Header=BB85_6 Depth=1
	s_mov_b32 s11, 0
                                        ; implicit-def: $vgpr2
	s_and_saveexec_b32 s15, s9
	s_cbranch_execz .LBB85_102
; %bb.94:                               ;   in Loop: Header=BB85_6 Depth=1
	v_mov_b32_e32 v7, v9
	v_mov_b32_e32 v31, v0
	s_mov_b32 s21, 0
                                        ; implicit-def: $sgpr22
	s_set_inst_prefetch_distance 0x1
	s_branch .LBB85_96
	.p2align	6
.LBB85_95:                              ;   in Loop: Header=BB85_96 Depth=2
	s_or_b32 exec_lo, exec_lo, s11
	s_waitcnt vmcnt(0) lgkmcnt(0)
	s_barrier
	buffer_gl0_inv
	ds_load_b64 v[1:2], v8 offset:3072
	v_add_nc_u32_e32 v31, s46, v31
	v_add_nc_u32_e32 v7, s48, v7
	s_waitcnt lgkmcnt(0)
	s_barrier
	buffer_gl0_inv
	v_cmp_le_u32_e32 vcc_lo, s67, v31
	v_cmp_neq_f32_e64 s11, 0, v1
	s_delay_alu instid0(VALU_DEP_1) | instskip(NEXT) | instid1(SALU_CYCLE_1)
	s_or_b32 s23, vcc_lo, s11
	s_and_b32 s23, exec_lo, s23
	s_delay_alu instid0(SALU_CYCLE_1) | instskip(SKIP_2) | instid1(SALU_CYCLE_1)
	s_or_b32 s21, s23, s21
	s_and_not1_b32 s22, s22, exec_lo
	s_and_b32 s11, s11, exec_lo
	s_or_b32 s22, s22, s11
	s_and_not1_b32 exec_lo, exec_lo, s21
	s_cbranch_execz .LBB85_101
.LBB85_96:                              ;   Parent Loop BB85_6 Depth=1
                                        ; =>  This Inner Loop Header: Depth=2
	s_delay_alu instid0(VALU_DEP_1)
	v_cmp_gt_u32_e32 vcc_lo, s36, v31
	v_mov_b32_e32 v14, 0
	s_and_saveexec_b32 s23, vcc_lo
	s_cbranch_execz .LBB85_98
; %bb.97:                               ;   in Loop: Header=BB85_96 Depth=2
	v_lshlrev_b64 v[1:2], 2, v[7:8]
	s_delay_alu instid0(VALU_DEP_1) | instskip(NEXT) | instid1(VALU_DEP_1)
	v_add_co_u32 v1, s11, s33, v1
	v_add_co_ci_u32_e64 v2, s11, s35, v2, s11
	global_load_b32 v14, v[1:2], off
.LBB85_98:                              ;   in Loop: Header=BB85_96 Depth=2
	s_or_b32 exec_lo, exec_lo, s23
	s_and_saveexec_b32 s11, vcc_lo
	s_cbranch_execz .LBB85_95
; %bb.99:                               ;   in Loop: Header=BB85_96 Depth=2
	s_waitcnt vmcnt(0)
	v_cmp_lt_i32_e32 vcc_lo, -1, v14
	v_cndmask_b32_e64 v1, -1, 0x80000000, vcc_lo
	v_cmp_o_f32_e32 vcc_lo, v14, v14
	s_delay_alu instid0(VALU_DEP_2) | instskip(NEXT) | instid1(VALU_DEP_1)
	v_xor_b32_e32 v1, v1, v14
	v_cndmask_b32_e32 v1, -1, v1, vcc_lo
	s_delay_alu instid0(VALU_DEP_1) | instskip(NEXT) | instid1(VALU_DEP_1)
	v_and_b32_e32 v1, v1, v4
	v_cmp_eq_u32_e32 vcc_lo, v1, v3
	s_and_b32 exec_lo, exec_lo, vcc_lo
	s_cbranch_execz .LBB85_95
; %bb.100:                              ;   in Loop: Header=BB85_96 Depth=2
	ds_store_b64 v8, v[13:14] offset:3072
	s_branch .LBB85_95
.LBB85_101:                             ;   in Loop: Header=BB85_6 Depth=1
	s_set_inst_prefetch_distance 0x2
	s_or_b32 exec_lo, exec_lo, s21
	s_delay_alu instid0(SALU_CYCLE_1)
	s_and_b32 s11, s22, exec_lo
.LBB85_102:                             ;   in Loop: Header=BB85_6 Depth=1
	s_or_b32 exec_lo, exec_lo, s15
	s_mov_b32 s22, -1
	s_mov_b32 s15, 0
	s_mov_b32 s21, 0
.LBB85_103:                             ;   in Loop: Header=BB85_6 Depth=1
	s_or_not1_b32 s26, s11, exec_lo
.LBB85_104:                             ;   in Loop: Header=BB85_6 Depth=1
	s_or_b32 exec_lo, exec_lo, s20
	s_mov_b32 s23, 0
	s_mov_b32 s20, 0
	;; [unrolled: 1-line block ×3, first 2 shown]
                                        ; implicit-def: $vgpr1
                                        ; implicit-def: $vgpr31
	s_and_saveexec_b32 s24, s26
	s_cbranch_execz .LBB85_239
; %bb.105:                              ;   in Loop: Header=BB85_6 Depth=1
	v_mov_b32_e32 v31, 1
	v_mov_b32_e32 v1, 1
	s_xor_b32 s25, s25, -1
	s_delay_alu instid0(SALU_CYCLE_1)
	s_and_saveexec_b32 s11, s25
	s_cbranch_execz .LBB85_115
; %bb.106:                              ;   in Loop: Header=BB85_6 Depth=1
	s_mov_b32 s25, exec_lo
                                        ; implicit-def: $sgpr26
                                        ; implicit-def: $sgpr20
	v_cmpx_ge_u32_e64 s12, v30
	s_xor_b32 s25, exec_lo, s25
	s_cbranch_execz .LBB85_112
; %bb.107:                              ;   in Loop: Header=BB85_6 Depth=1
	ds_load_b32 v1, v8 offset:4096
	s_waitcnt lgkmcnt(0)
	v_cmp_ne_u32_e32 vcc_lo, 0, v1
	s_cbranch_vccnz .LBB85_111
; %bb.108:                              ;   in Loop: Header=BB85_6 Depth=1
	s_and_saveexec_b32 s20, s5
	s_cbranch_execz .LBB85_110
; %bb.109:                              ;   in Loop: Header=BB85_6 Depth=1
	v_mov_b32_e32 v1, s12
	ds_store_b32 v8, v1 offset:4100
.LBB85_110:                             ;   in Loop: Header=BB85_6 Depth=1
	s_or_b32 exec_lo, exec_lo, s20
	s_waitcnt lgkmcnt(0)
	s_barrier
	buffer_gl0_inv
.LBB85_111:                             ;   in Loop: Header=BB85_6 Depth=1
	v_and_b32_e32 v3, s14, v3
	v_or_b32_e32 v4, s13, v4
	s_mov_b32 s20, 0
	s_mov_b32 s26, 8
.LBB85_112:                             ;   in Loop: Header=BB85_6 Depth=1
	s_or_saveexec_b32 s25, s25
	v_mov_b32_e32 v1, s26
	v_mov_b32_e32 v31, v30
	s_xor_b32 exec_lo, exec_lo, s25
; %bb.113:                              ;   in Loop: Header=BB85_6 Depth=1
	v_subrev_nc_u32_e32 v31, s12, v30
	v_mov_b32_e32 v1, 0
	s_or_b32 s20, s20, exec_lo
; %bb.114:                              ;   in Loop: Header=BB85_6 Depth=1
	s_or_b32 exec_lo, exec_lo, s25
	s_delay_alu instid0(SALU_CYCLE_1)
	s_and_b32 s20, s20, exec_lo
.LBB85_115:                             ;   in Loop: Header=BB85_6 Depth=1
	s_or_b32 exec_lo, exec_lo, s11
	s_mov_b32 s11, -1
                                        ; implicit-def: $sgpr25
                                        ; implicit-def: $sgpr27
                                        ; implicit-def: $sgpr28
	s_and_saveexec_b32 s26, s20
	s_delay_alu instid0(SALU_CYCLE_1)
	s_xor_b32 s20, exec_lo, s26
	s_cbranch_execz .LBB85_236
; %bb.116:                              ;   in Loop: Header=BB85_6 Depth=1
	v_cmp_eq_u32_e32 vcc_lo, 1, v31
	s_cmp_eq_u32 s16, 1
                                        ; implicit-def: $sgpr25
                                        ; implicit-def: $sgpr27
                                        ; implicit-def: $sgpr26
	s_cselect_b32 s11, -1, 0
	s_delay_alu instid0(SALU_CYCLE_1)
	s_and_b32 s29, s11, vcc_lo
	s_mov_b32 s11, -1
	s_and_saveexec_b32 s28, s29
	s_cbranch_execz .LBB85_142
; %bb.117:                              ;   in Loop: Header=BB85_6 Depth=1
	ds_load_b32 v1, v8 offset:4096
	s_waitcnt lgkmcnt(0)
	s_barrier
	buffer_gl0_inv
	v_readfirstlane_b32 s25, v1
	s_and_saveexec_b32 s11, s6
	s_cbranch_execz .LBB85_119
; %bb.118:                              ;   in Loop: Header=BB85_6 Depth=1
	ds_store_b32 v21, v8
.LBB85_119:                             ;   in Loop: Header=BB85_6 Depth=1
	s_or_b32 exec_lo, exec_lo, s11
	s_lshl_b32 s11, 1, s17
	v_or_b32_e32 v4, s13, v4
	v_and_or_b32 v3, v3, s14, s11
	s_cmp_eq_u32 s25, 0
	s_waitcnt lgkmcnt(0)
	s_barrier
	buffer_gl0_inv
	s_cbranch_scc1 .LBB85_128
; %bb.120:                              ;   in Loop: Header=BB85_6 Depth=1
	s_add_i32 s11, s25, s59
                                        ; implicit-def: $vgpr2
	s_delay_alu instid0(SALU_CYCLE_1) | instskip(NEXT) | instid1(SALU_CYCLE_1)
	s_mul_hi_u32 s26, s11, s66
	s_mul_i32 s26, s26, s46
	s_delay_alu instid0(SALU_CYCLE_1) | instskip(NEXT) | instid1(SALU_CYCLE_1)
	s_sub_i32 s26, s11, s26
	s_sub_i32 s27, s26, s46
	s_cmp_ge_u32 s26, s46
	s_cselect_b32 s26, s27, s26
	s_delay_alu instid0(SALU_CYCLE_1) | instskip(SKIP_2) | instid1(SALU_CYCLE_1)
	s_sub_i32 s27, s26, s46
	s_cmp_ge_u32 s26, s46
	s_cselect_b32 s26, s27, s26
	s_sub_i32 s27, s11, s26
	s_mov_b32 s11, 0
	s_mov_b32 s26, exec_lo
	v_cmpx_gt_u32_e64 s27, v0
	s_cbranch_execz .LBB85_130
; %bb.121:                              ;   in Loop: Header=BB85_6 Depth=1
	v_dual_mov_b32 v7, v18 :: v_dual_mov_b32 v32, v0
	s_mov_b32 s82, 0
                                        ; implicit-def: $sgpr83
	s_set_inst_prefetch_distance 0x1
	s_branch .LBB85_123
	.p2align	6
.LBB85_122:                             ;   in Loop: Header=BB85_123 Depth=2
	s_or_b32 exec_lo, exec_lo, s11
	s_waitcnt lgkmcnt(0)
	s_barrier
	buffer_gl0_inv
	ds_load_b64 v[1:2], v8 offset:3072
	v_add_nc_u32_e32 v32, s46, v32
	v_add_nc_u32_e32 v7, s55, v7
	s_waitcnt lgkmcnt(0)
	s_barrier
	buffer_gl0_inv
	v_cmp_le_u32_e32 vcc_lo, s27, v32
	v_cmp_neq_f32_e64 s11, 0, v1
	s_delay_alu instid0(VALU_DEP_1) | instskip(NEXT) | instid1(SALU_CYCLE_1)
	s_or_b32 s84, vcc_lo, s11
	s_and_b32 s84, exec_lo, s84
	s_delay_alu instid0(SALU_CYCLE_1) | instskip(SKIP_2) | instid1(SALU_CYCLE_1)
	s_or_b32 s82, s84, s82
	s_and_not1_b32 s83, s83, exec_lo
	s_and_b32 s11, s11, exec_lo
	s_or_b32 s83, s83, s11
	s_and_not1_b32 exec_lo, exec_lo, s82
	s_cbranch_execz .LBB85_129
.LBB85_123:                             ;   Parent Loop BB85_6 Depth=1
                                        ; =>  This Inner Loop Header: Depth=2
	s_delay_alu instid0(VALU_DEP_1)
	v_cmp_gt_u32_e32 vcc_lo, s25, v32
	v_mov_b32_e32 v14, 0
	s_and_saveexec_b32 s11, vcc_lo
	s_cbranch_execz .LBB85_125
; %bb.124:                              ;   in Loop: Header=BB85_123 Depth=2
	ds_load_b32 v14, v7
.LBB85_125:                             ;   in Loop: Header=BB85_123 Depth=2
	s_or_b32 exec_lo, exec_lo, s11
	s_and_saveexec_b32 s11, vcc_lo
	s_cbranch_execz .LBB85_122
; %bb.126:                              ;   in Loop: Header=BB85_123 Depth=2
	s_waitcnt lgkmcnt(0)
	v_cmp_lt_i32_e32 vcc_lo, -1, v14
	v_cndmask_b32_e64 v1, -1, 0x80000000, vcc_lo
	v_cmp_o_f32_e32 vcc_lo, v14, v14
	s_delay_alu instid0(VALU_DEP_2) | instskip(NEXT) | instid1(VALU_DEP_1)
	v_xor_b32_e32 v1, v1, v14
	v_cndmask_b32_e32 v1, -1, v1, vcc_lo
	s_delay_alu instid0(VALU_DEP_1) | instskip(NEXT) | instid1(VALU_DEP_1)
	v_and_b32_e32 v1, v1, v4
	v_cmp_eq_u32_e32 vcc_lo, v1, v3
	s_and_b32 exec_lo, exec_lo, vcc_lo
	s_cbranch_execz .LBB85_122
; %bb.127:                              ;   in Loop: Header=BB85_123 Depth=2
	ds_store_b64 v8, v[13:14] offset:3072
	s_branch .LBB85_122
.LBB85_128:                             ;   in Loop: Header=BB85_6 Depth=1
	s_mov_b32 s25, -1
	s_mov_b32 s11, 0
                                        ; implicit-def: $sgpr26
                                        ; implicit-def: $vgpr2
	s_mov_b32 s27, s25
	s_cbranch_execnz .LBB85_131
	s_branch .LBB85_141
.LBB85_129:                             ;   in Loop: Header=BB85_6 Depth=1
	s_set_inst_prefetch_distance 0x2
	s_or_b32 exec_lo, exec_lo, s82
	s_delay_alu instid0(SALU_CYCLE_1)
	s_and_b32 s11, s83, exec_lo
.LBB85_130:                             ;   in Loop: Header=BB85_6 Depth=1
	s_or_b32 exec_lo, exec_lo, s26
	s_mov_b32 s26, -1
	s_mov_b32 s25, 0
	s_delay_alu instid0(SALU_CYCLE_1)
	s_mov_b32 s27, s25
	s_branch .LBB85_141
.LBB85_131:                             ;   in Loop: Header=BB85_6 Depth=1
	s_mov_b32 s11, 0
                                        ; implicit-def: $vgpr2
	s_and_saveexec_b32 s25, s9
	s_cbranch_execz .LBB85_140
; %bb.132:                              ;   in Loop: Header=BB85_6 Depth=1
	v_dual_mov_b32 v7, v9 :: v_dual_mov_b32 v32, v0
	s_mov_b32 s26, 0
                                        ; implicit-def: $sgpr27
	s_set_inst_prefetch_distance 0x1
	s_branch .LBB85_134
	.p2align	6
.LBB85_133:                             ;   in Loop: Header=BB85_134 Depth=2
	s_or_b32 exec_lo, exec_lo, s11
	s_waitcnt vmcnt(0) lgkmcnt(0)
	s_barrier
	buffer_gl0_inv
	ds_load_b64 v[1:2], v8 offset:3072
	v_add_nc_u32_e32 v32, s46, v32
	v_add_nc_u32_e32 v7, s48, v7
	s_waitcnt lgkmcnt(0)
	s_barrier
	buffer_gl0_inv
	v_cmp_le_u32_e32 vcc_lo, s67, v32
	v_cmp_neq_f32_e64 s11, 0, v1
	s_delay_alu instid0(VALU_DEP_1) | instskip(NEXT) | instid1(SALU_CYCLE_1)
	s_or_b32 s82, vcc_lo, s11
	s_and_b32 s82, exec_lo, s82
	s_delay_alu instid0(SALU_CYCLE_1) | instskip(SKIP_2) | instid1(SALU_CYCLE_1)
	s_or_b32 s26, s82, s26
	s_and_not1_b32 s27, s27, exec_lo
	s_and_b32 s11, s11, exec_lo
	s_or_b32 s27, s27, s11
	s_and_not1_b32 exec_lo, exec_lo, s26
	s_cbranch_execz .LBB85_139
.LBB85_134:                             ;   Parent Loop BB85_6 Depth=1
                                        ; =>  This Inner Loop Header: Depth=2
	s_delay_alu instid0(VALU_DEP_1)
	v_cmp_gt_u32_e32 vcc_lo, s36, v32
	v_mov_b32_e32 v14, 0
	s_and_saveexec_b32 s82, vcc_lo
	s_cbranch_execz .LBB85_136
; %bb.135:                              ;   in Loop: Header=BB85_134 Depth=2
	v_lshlrev_b64 v[1:2], 2, v[7:8]
	s_delay_alu instid0(VALU_DEP_1) | instskip(NEXT) | instid1(VALU_DEP_1)
	v_add_co_u32 v1, s11, s33, v1
	v_add_co_ci_u32_e64 v2, s11, s35, v2, s11
	global_load_b32 v14, v[1:2], off
.LBB85_136:                             ;   in Loop: Header=BB85_134 Depth=2
	s_or_b32 exec_lo, exec_lo, s82
	s_and_saveexec_b32 s11, vcc_lo
	s_cbranch_execz .LBB85_133
; %bb.137:                              ;   in Loop: Header=BB85_134 Depth=2
	s_waitcnt vmcnt(0)
	v_cmp_lt_i32_e32 vcc_lo, -1, v14
	v_cndmask_b32_e64 v1, -1, 0x80000000, vcc_lo
	v_cmp_o_f32_e32 vcc_lo, v14, v14
	s_delay_alu instid0(VALU_DEP_2) | instskip(NEXT) | instid1(VALU_DEP_1)
	v_xor_b32_e32 v1, v1, v14
	v_cndmask_b32_e32 v1, -1, v1, vcc_lo
	s_delay_alu instid0(VALU_DEP_1) | instskip(NEXT) | instid1(VALU_DEP_1)
	v_and_b32_e32 v1, v1, v4
	v_cmp_eq_u32_e32 vcc_lo, v1, v3
	s_and_b32 exec_lo, exec_lo, vcc_lo
	s_cbranch_execz .LBB85_133
; %bb.138:                              ;   in Loop: Header=BB85_134 Depth=2
	ds_store_b64 v8, v[13:14] offset:3072
	s_branch .LBB85_133
.LBB85_139:                             ;   in Loop: Header=BB85_6 Depth=1
	s_set_inst_prefetch_distance 0x2
	s_or_b32 exec_lo, exec_lo, s26
	s_delay_alu instid0(SALU_CYCLE_1)
	s_and_b32 s11, s27, exec_lo
.LBB85_140:                             ;   in Loop: Header=BB85_6 Depth=1
	s_or_b32 exec_lo, exec_lo, s25
	s_mov_b32 s27, -1
	s_mov_b32 s25, 0
	s_mov_b32 s26, 0
.LBB85_141:                             ;   in Loop: Header=BB85_6 Depth=1
	s_or_not1_b32 s11, s11, exec_lo
.LBB85_142:                             ;   in Loop: Header=BB85_6 Depth=1
	s_or_b32 exec_lo, exec_lo, s28
	s_mov_b32 s82, 0
                                        ; implicit-def: $vgpr1
	s_and_saveexec_b32 s28, s11
	s_cbranch_execz .LBB85_235
; %bb.143:                              ;   in Loop: Header=BB85_6 Depth=1
	v_dual_mov_b32 v32, 1 :: v_dual_mov_b32 v1, 1
	s_xor_b32 s29, s29, -1
	s_mov_b32 s83, 0
	s_and_saveexec_b32 s11, s29
	s_cbranch_execz .LBB85_153
; %bb.144:                              ;   in Loop: Header=BB85_6 Depth=1
	s_mov_b32 s82, exec_lo
                                        ; implicit-def: $sgpr83
                                        ; implicit-def: $sgpr29
	v_cmpx_ge_u32_e64 s16, v31
	s_xor_b32 s82, exec_lo, s82
	s_cbranch_execz .LBB85_150
; %bb.145:                              ;   in Loop: Header=BB85_6 Depth=1
	ds_load_b32 v1, v8 offset:4096
	s_waitcnt lgkmcnt(0)
	v_cmp_ne_u32_e32 vcc_lo, 0, v1
	s_cbranch_vccnz .LBB85_149
; %bb.146:                              ;   in Loop: Header=BB85_6 Depth=1
	s_and_saveexec_b32 s29, s5
	s_cbranch_execz .LBB85_148
; %bb.147:                              ;   in Loop: Header=BB85_6 Depth=1
	v_mov_b32_e32 v1, s16
	ds_store_b32 v8, v1 offset:4100
.LBB85_148:                             ;   in Loop: Header=BB85_6 Depth=1
	s_or_b32 exec_lo, exec_lo, s29
	s_waitcnt lgkmcnt(0)
	s_barrier
	buffer_gl0_inv
.LBB85_149:                             ;   in Loop: Header=BB85_6 Depth=1
	s_lshl_b32 s29, 1, s17
	v_or_b32_e32 v4, s13, v4
	v_and_or_b32 v3, v3, s14, s29
	s_mov_b32 s29, 0
	s_mov_b32 s83, 8
.LBB85_150:                             ;   in Loop: Header=BB85_6 Depth=1
	s_or_saveexec_b32 s82, s82
	v_mov_b32_e32 v1, s83
	s_xor_b32 exec_lo, exec_lo, s82
; %bb.151:                              ;   in Loop: Header=BB85_6 Depth=1
	v_subrev_nc_u32_e32 v31, s16, v31
	v_mov_b32_e32 v1, 0
	s_or_b32 s29, s29, exec_lo
; %bb.152:                              ;   in Loop: Header=BB85_6 Depth=1
	s_or_b32 exec_lo, exec_lo, s82
	s_delay_alu instid0(VALU_DEP_2)
	v_mov_b32_e32 v32, v31
	s_and_b32 s83, s29, exec_lo
.LBB85_153:                             ;   in Loop: Header=BB85_6 Depth=1
	s_or_b32 exec_lo, exec_lo, s11
	s_mov_b32 s11, -1
                                        ; implicit-def: $sgpr82
                                        ; implicit-def: $sgpr84
                                        ; implicit-def: $sgpr85
	s_and_saveexec_b32 s29, s83
	s_cbranch_execz .LBB85_234
; %bb.154:                              ;   in Loop: Header=BB85_6 Depth=1
	v_cmp_eq_u32_e32 vcc_lo, 1, v32
	s_cmp_eq_u32 s18, 1
                                        ; implicit-def: $sgpr82
                                        ; implicit-def: $sgpr84
                                        ; implicit-def: $sgpr83
	s_cselect_b32 s11, -1, 0
	s_delay_alu instid0(SALU_CYCLE_1)
	s_and_b32 s86, s11, vcc_lo
	s_mov_b32 s11, -1
	s_and_saveexec_b32 s85, s86
	s_cbranch_execz .LBB85_180
; %bb.155:                              ;   in Loop: Header=BB85_6 Depth=1
	ds_load_b32 v1, v8 offset:4096
	s_waitcnt lgkmcnt(0)
	s_barrier
	buffer_gl0_inv
	v_readfirstlane_b32 s82, v1
	s_and_saveexec_b32 s11, s6
	s_cbranch_execz .LBB85_157
; %bb.156:                              ;   in Loop: Header=BB85_6 Depth=1
	ds_store_b32 v21, v8
.LBB85_157:                             ;   in Loop: Header=BB85_6 Depth=1
	s_or_b32 exec_lo, exec_lo, s11
	s_lshl_b32 s11, 2, s17
	v_or_b32_e32 v4, s13, v4
	v_and_or_b32 v3, v3, s14, s11
	s_cmp_eq_u32 s82, 0
	s_waitcnt lgkmcnt(0)
	s_barrier
	buffer_gl0_inv
	s_cbranch_scc1 .LBB85_166
; %bb.158:                              ;   in Loop: Header=BB85_6 Depth=1
	s_add_i32 s11, s82, s59
                                        ; implicit-def: $vgpr2
	s_delay_alu instid0(SALU_CYCLE_1) | instskip(NEXT) | instid1(SALU_CYCLE_1)
	s_mul_hi_u32 s83, s11, s66
	s_mul_i32 s83, s83, s46
	s_delay_alu instid0(SALU_CYCLE_1) | instskip(NEXT) | instid1(SALU_CYCLE_1)
	s_sub_i32 s83, s11, s83
	s_sub_i32 s84, s83, s46
	s_cmp_ge_u32 s83, s46
	s_cselect_b32 s83, s84, s83
	s_delay_alu instid0(SALU_CYCLE_1) | instskip(SKIP_2) | instid1(SALU_CYCLE_1)
	s_sub_i32 s84, s83, s46
	s_cmp_ge_u32 s83, s46
	s_cselect_b32 s83, s84, s83
	s_sub_i32 s84, s11, s83
	s_mov_b32 s11, 0
	s_mov_b32 s83, exec_lo
	v_cmpx_gt_u32_e64 s84, v0
	s_cbranch_execz .LBB85_168
; %bb.159:                              ;   in Loop: Header=BB85_6 Depth=1
	v_mov_b32_e32 v7, v18
	v_mov_b32_e32 v31, v0
	s_mov_b32 s87, 0
                                        ; implicit-def: $sgpr88
	s_set_inst_prefetch_distance 0x1
	s_branch .LBB85_161
	.p2align	6
.LBB85_160:                             ;   in Loop: Header=BB85_161 Depth=2
	s_or_b32 exec_lo, exec_lo, s11
	s_waitcnt lgkmcnt(0)
	s_barrier
	buffer_gl0_inv
	ds_load_b64 v[1:2], v8 offset:3072
	v_add_nc_u32_e32 v31, s46, v31
	v_add_nc_u32_e32 v7, s55, v7
	s_waitcnt lgkmcnt(0)
	s_barrier
	buffer_gl0_inv
	v_cmp_le_u32_e32 vcc_lo, s84, v31
	v_cmp_neq_f32_e64 s11, 0, v1
	s_delay_alu instid0(VALU_DEP_1) | instskip(NEXT) | instid1(SALU_CYCLE_1)
	s_or_b32 s89, vcc_lo, s11
	s_and_b32 s89, exec_lo, s89
	s_delay_alu instid0(SALU_CYCLE_1) | instskip(SKIP_2) | instid1(SALU_CYCLE_1)
	s_or_b32 s87, s89, s87
	s_and_not1_b32 s88, s88, exec_lo
	s_and_b32 s11, s11, exec_lo
	s_or_b32 s88, s88, s11
	s_and_not1_b32 exec_lo, exec_lo, s87
	s_cbranch_execz .LBB85_167
.LBB85_161:                             ;   Parent Loop BB85_6 Depth=1
                                        ; =>  This Inner Loop Header: Depth=2
	s_delay_alu instid0(VALU_DEP_1)
	v_cmp_gt_u32_e32 vcc_lo, s82, v31
	v_mov_b32_e32 v14, 0
	s_and_saveexec_b32 s11, vcc_lo
	s_cbranch_execz .LBB85_163
; %bb.162:                              ;   in Loop: Header=BB85_161 Depth=2
	ds_load_b32 v14, v7
.LBB85_163:                             ;   in Loop: Header=BB85_161 Depth=2
	s_or_b32 exec_lo, exec_lo, s11
	s_and_saveexec_b32 s11, vcc_lo
	s_cbranch_execz .LBB85_160
; %bb.164:                              ;   in Loop: Header=BB85_161 Depth=2
	s_waitcnt lgkmcnt(0)
	v_cmp_lt_i32_e32 vcc_lo, -1, v14
	v_cndmask_b32_e64 v1, -1, 0x80000000, vcc_lo
	v_cmp_o_f32_e32 vcc_lo, v14, v14
	s_delay_alu instid0(VALU_DEP_2) | instskip(NEXT) | instid1(VALU_DEP_1)
	v_xor_b32_e32 v1, v1, v14
	v_cndmask_b32_e32 v1, -1, v1, vcc_lo
	s_delay_alu instid0(VALU_DEP_1) | instskip(NEXT) | instid1(VALU_DEP_1)
	v_and_b32_e32 v1, v1, v4
	v_cmp_eq_u32_e32 vcc_lo, v1, v3
	s_and_b32 exec_lo, exec_lo, vcc_lo
	s_cbranch_execz .LBB85_160
; %bb.165:                              ;   in Loop: Header=BB85_161 Depth=2
	ds_store_b64 v8, v[13:14] offset:3072
	s_branch .LBB85_160
.LBB85_166:                             ;   in Loop: Header=BB85_6 Depth=1
	s_mov_b32 s82, -1
	s_mov_b32 s11, 0
                                        ; implicit-def: $sgpr83
                                        ; implicit-def: $vgpr2
	s_mov_b32 s84, s82
	s_cbranch_execnz .LBB85_169
	s_branch .LBB85_179
.LBB85_167:                             ;   in Loop: Header=BB85_6 Depth=1
	s_set_inst_prefetch_distance 0x2
	s_or_b32 exec_lo, exec_lo, s87
	s_delay_alu instid0(SALU_CYCLE_1)
	s_and_b32 s11, s88, exec_lo
.LBB85_168:                             ;   in Loop: Header=BB85_6 Depth=1
	s_or_b32 exec_lo, exec_lo, s83
	s_mov_b32 s83, -1
	s_mov_b32 s82, 0
	s_delay_alu instid0(SALU_CYCLE_1)
	s_mov_b32 s84, s82
	s_branch .LBB85_179
.LBB85_169:                             ;   in Loop: Header=BB85_6 Depth=1
	s_mov_b32 s11, 0
                                        ; implicit-def: $vgpr2
	s_and_saveexec_b32 s82, s9
	s_cbranch_execz .LBB85_178
; %bb.170:                              ;   in Loop: Header=BB85_6 Depth=1
	v_mov_b32_e32 v7, v9
	v_mov_b32_e32 v31, v0
	s_mov_b32 s83, 0
                                        ; implicit-def: $sgpr84
	s_set_inst_prefetch_distance 0x1
	s_branch .LBB85_172
	.p2align	6
.LBB85_171:                             ;   in Loop: Header=BB85_172 Depth=2
	s_or_b32 exec_lo, exec_lo, s11
	s_waitcnt vmcnt(0) lgkmcnt(0)
	s_barrier
	buffer_gl0_inv
	ds_load_b64 v[1:2], v8 offset:3072
	v_add_nc_u32_e32 v31, s46, v31
	v_add_nc_u32_e32 v7, s48, v7
	s_waitcnt lgkmcnt(0)
	s_barrier
	buffer_gl0_inv
	v_cmp_le_u32_e32 vcc_lo, s67, v31
	v_cmp_neq_f32_e64 s11, 0, v1
	s_delay_alu instid0(VALU_DEP_1) | instskip(NEXT) | instid1(SALU_CYCLE_1)
	s_or_b32 s87, vcc_lo, s11
	s_and_b32 s87, exec_lo, s87
	s_delay_alu instid0(SALU_CYCLE_1) | instskip(SKIP_2) | instid1(SALU_CYCLE_1)
	s_or_b32 s83, s87, s83
	s_and_not1_b32 s84, s84, exec_lo
	s_and_b32 s11, s11, exec_lo
	s_or_b32 s84, s84, s11
	s_and_not1_b32 exec_lo, exec_lo, s83
	s_cbranch_execz .LBB85_177
.LBB85_172:                             ;   Parent Loop BB85_6 Depth=1
                                        ; =>  This Inner Loop Header: Depth=2
	s_delay_alu instid0(VALU_DEP_1)
	v_cmp_gt_u32_e32 vcc_lo, s36, v31
	v_mov_b32_e32 v14, 0
	s_and_saveexec_b32 s87, vcc_lo
	s_cbranch_execz .LBB85_174
; %bb.173:                              ;   in Loop: Header=BB85_172 Depth=2
	v_lshlrev_b64 v[1:2], 2, v[7:8]
	s_delay_alu instid0(VALU_DEP_1) | instskip(NEXT) | instid1(VALU_DEP_1)
	v_add_co_u32 v1, s11, s33, v1
	v_add_co_ci_u32_e64 v2, s11, s35, v2, s11
	global_load_b32 v14, v[1:2], off
.LBB85_174:                             ;   in Loop: Header=BB85_172 Depth=2
	s_or_b32 exec_lo, exec_lo, s87
	s_and_saveexec_b32 s11, vcc_lo
	s_cbranch_execz .LBB85_171
; %bb.175:                              ;   in Loop: Header=BB85_172 Depth=2
	s_waitcnt vmcnt(0)
	v_cmp_lt_i32_e32 vcc_lo, -1, v14
	v_cndmask_b32_e64 v1, -1, 0x80000000, vcc_lo
	v_cmp_o_f32_e32 vcc_lo, v14, v14
	s_delay_alu instid0(VALU_DEP_2) | instskip(NEXT) | instid1(VALU_DEP_1)
	v_xor_b32_e32 v1, v1, v14
	v_cndmask_b32_e32 v1, -1, v1, vcc_lo
	s_delay_alu instid0(VALU_DEP_1) | instskip(NEXT) | instid1(VALU_DEP_1)
	v_and_b32_e32 v1, v1, v4
	v_cmp_eq_u32_e32 vcc_lo, v1, v3
	s_and_b32 exec_lo, exec_lo, vcc_lo
	s_cbranch_execz .LBB85_171
; %bb.176:                              ;   in Loop: Header=BB85_172 Depth=2
	ds_store_b64 v8, v[13:14] offset:3072
	s_branch .LBB85_171
.LBB85_177:                             ;   in Loop: Header=BB85_6 Depth=1
	s_set_inst_prefetch_distance 0x2
	s_or_b32 exec_lo, exec_lo, s83
	s_delay_alu instid0(SALU_CYCLE_1)
	s_and_b32 s11, s84, exec_lo
.LBB85_178:                             ;   in Loop: Header=BB85_6 Depth=1
	s_or_b32 exec_lo, exec_lo, s82
	s_mov_b32 s84, -1
	s_mov_b32 s82, 0
	s_mov_b32 s83, 0
.LBB85_179:                             ;   in Loop: Header=BB85_6 Depth=1
	s_or_not1_b32 s11, s11, exec_lo
.LBB85_180:                             ;   in Loop: Header=BB85_6 Depth=1
	s_or_b32 exec_lo, exec_lo, s85
	s_mov_b32 s87, 0
                                        ; implicit-def: $vgpr1
	s_and_saveexec_b32 s85, s11
	s_cbranch_execz .LBB85_233
; %bb.181:                              ;   in Loop: Header=BB85_6 Depth=1
	v_mov_b32_e32 v31, 1
	v_mov_b32_e32 v1, 1
	s_xor_b32 s86, s86, -1
	s_mov_b32 s88, 0
	s_and_saveexec_b32 s11, s86
	s_cbranch_execz .LBB85_191
; %bb.182:                              ;   in Loop: Header=BB85_6 Depth=1
	s_mov_b32 s87, exec_lo
                                        ; implicit-def: $sgpr88
                                        ; implicit-def: $sgpr86
	v_cmpx_ge_u32_e64 s18, v32
	s_xor_b32 s87, exec_lo, s87
	s_cbranch_execz .LBB85_188
; %bb.183:                              ;   in Loop: Header=BB85_6 Depth=1
	ds_load_b32 v1, v8 offset:4096
	s_waitcnt lgkmcnt(0)
	v_cmp_ne_u32_e32 vcc_lo, 0, v1
	s_cbranch_vccnz .LBB85_187
; %bb.184:                              ;   in Loop: Header=BB85_6 Depth=1
	s_and_saveexec_b32 s86, s5
	s_cbranch_execz .LBB85_186
; %bb.185:                              ;   in Loop: Header=BB85_6 Depth=1
	v_mov_b32_e32 v1, s18
	ds_store_b32 v8, v1 offset:4100
.LBB85_186:                             ;   in Loop: Header=BB85_6 Depth=1
	s_or_b32 exec_lo, exec_lo, s86
	s_waitcnt lgkmcnt(0)
	s_barrier
	buffer_gl0_inv
.LBB85_187:                             ;   in Loop: Header=BB85_6 Depth=1
	s_lshl_b32 s86, 2, s17
	v_or_b32_e32 v4, s13, v4
	v_and_or_b32 v3, v3, s14, s86
	s_mov_b32 s86, 0
	s_mov_b32 s88, 8
.LBB85_188:                             ;   in Loop: Header=BB85_6 Depth=1
	s_or_saveexec_b32 s87, s87
	v_mov_b32_e32 v1, s88
	s_xor_b32 exec_lo, exec_lo, s87
; %bb.189:                              ;   in Loop: Header=BB85_6 Depth=1
	v_subrev_nc_u32_e32 v32, s18, v32
	v_mov_b32_e32 v1, 0
	s_or_b32 s86, s86, exec_lo
; %bb.190:                              ;   in Loop: Header=BB85_6 Depth=1
	s_or_b32 exec_lo, exec_lo, s87
	s_delay_alu instid0(VALU_DEP_2)
	v_mov_b32_e32 v31, v32
	s_and_b32 s88, s86, exec_lo
.LBB85_191:                             ;   in Loop: Header=BB85_6 Depth=1
	s_or_b32 exec_lo, exec_lo, s11
	s_mov_b32 s87, -1
                                        ; implicit-def: $sgpr11
                                        ; implicit-def: $sgpr90
                                        ; implicit-def: $sgpr89
	s_and_saveexec_b32 s86, s88
	s_cbranch_execz .LBB85_232
; %bb.192:                              ;   in Loop: Header=BB85_6 Depth=1
	v_cmp_eq_u32_e32 vcc_lo, 1, v31
	s_cmp_eq_u32 s19, 1
	s_mov_b32 s91, -1
	s_cselect_b32 s11, -1, 0
                                        ; implicit-def: $sgpr90
                                        ; implicit-def: $sgpr89
	s_delay_alu instid0(SALU_CYCLE_1) | instskip(NEXT) | instid1(SALU_CYCLE_1)
	s_and_b32 s87, s11, vcc_lo
                                        ; implicit-def: $sgpr11
	s_and_saveexec_b32 s88, s87
	s_cbranch_execz .LBB85_219
; %bb.193:                              ;   in Loop: Header=BB85_6 Depth=1
	ds_load_b32 v1, v8 offset:4096
	s_waitcnt lgkmcnt(0)
	s_barrier
	buffer_gl0_inv
	v_readfirstlane_b32 s89, v1
	s_and_saveexec_b32 s11, s6
	s_cbranch_execz .LBB85_195
; %bb.194:                              ;   in Loop: Header=BB85_6 Depth=1
	ds_store_b32 v21, v8
.LBB85_195:                             ;   in Loop: Header=BB85_6 Depth=1
	s_or_b32 exec_lo, exec_lo, s11
	v_or_b32_e32 v3, s13, v3
	v_or_b32_e32 v4, s13, v4
	s_cmp_eq_u32 s89, 0
	s_waitcnt lgkmcnt(0)
	s_barrier
	buffer_gl0_inv
	s_cbranch_scc1 .LBB85_204
; %bb.196:                              ;   in Loop: Header=BB85_6 Depth=1
	s_add_i32 s11, s89, s59
                                        ; implicit-def: $vgpr2
	s_delay_alu instid0(SALU_CYCLE_1) | instskip(NEXT) | instid1(SALU_CYCLE_1)
	s_mul_hi_u32 s90, s11, s66
	s_mul_i32 s90, s90, s46
	s_delay_alu instid0(SALU_CYCLE_1) | instskip(NEXT) | instid1(SALU_CYCLE_1)
	s_sub_i32 s90, s11, s90
	s_sub_i32 s91, s90, s46
	s_cmp_ge_u32 s90, s46
	s_cselect_b32 s90, s91, s90
	s_delay_alu instid0(SALU_CYCLE_1)
	s_sub_i32 s91, s90, s46
	s_cmp_ge_u32 s90, s46
	s_cselect_b32 s90, s91, s90
	s_mov_b32 s91, 0
	s_sub_i32 s92, s11, s90
	s_mov_b32 s90, exec_lo
	v_cmpx_gt_u32_e64 s92, v0
	s_cbranch_execz .LBB85_206
; %bb.197:                              ;   in Loop: Header=BB85_6 Depth=1
	v_dual_mov_b32 v7, v18 :: v_dual_mov_b32 v32, v0
                                        ; implicit-def: $sgpr93
	s_set_inst_prefetch_distance 0x1
	s_branch .LBB85_199
	.p2align	6
.LBB85_198:                             ;   in Loop: Header=BB85_199 Depth=2
	s_or_b32 exec_lo, exec_lo, s11
	s_waitcnt lgkmcnt(0)
	s_barrier
	buffer_gl0_inv
	ds_load_b64 v[1:2], v8 offset:3072
	v_add_nc_u32_e32 v32, s46, v32
	v_add_nc_u32_e32 v7, s55, v7
	s_waitcnt lgkmcnt(0)
	s_barrier
	buffer_gl0_inv
	v_cmp_le_u32_e32 vcc_lo, s92, v32
	v_cmp_neq_f32_e64 s11, 0, v1
	s_delay_alu instid0(VALU_DEP_1) | instskip(NEXT) | instid1(SALU_CYCLE_1)
	s_or_b32 s94, vcc_lo, s11
	s_and_b32 s94, exec_lo, s94
	s_delay_alu instid0(SALU_CYCLE_1) | instskip(SKIP_2) | instid1(SALU_CYCLE_1)
	s_or_b32 s91, s94, s91
	s_and_not1_b32 s93, s93, exec_lo
	s_and_b32 s11, s11, exec_lo
	s_or_b32 s93, s93, s11
	s_and_not1_b32 exec_lo, exec_lo, s91
	s_cbranch_execz .LBB85_205
.LBB85_199:                             ;   Parent Loop BB85_6 Depth=1
                                        ; =>  This Inner Loop Header: Depth=2
	s_delay_alu instid0(VALU_DEP_1)
	v_cmp_gt_u32_e32 vcc_lo, s89, v32
	v_mov_b32_e32 v14, 0
	s_and_saveexec_b32 s11, vcc_lo
	s_cbranch_execz .LBB85_201
; %bb.200:                              ;   in Loop: Header=BB85_199 Depth=2
	ds_load_b32 v14, v7
.LBB85_201:                             ;   in Loop: Header=BB85_199 Depth=2
	s_or_b32 exec_lo, exec_lo, s11
	s_and_saveexec_b32 s11, vcc_lo
	s_cbranch_execz .LBB85_198
; %bb.202:                              ;   in Loop: Header=BB85_199 Depth=2
	s_waitcnt lgkmcnt(0)
	v_cmp_lt_i32_e32 vcc_lo, -1, v14
	v_cndmask_b32_e64 v1, -1, 0x80000000, vcc_lo
	v_cmp_o_f32_e32 vcc_lo, v14, v14
	s_delay_alu instid0(VALU_DEP_2) | instskip(NEXT) | instid1(VALU_DEP_1)
	v_xor_b32_e32 v1, v1, v14
	v_cndmask_b32_e32 v1, -1, v1, vcc_lo
	s_delay_alu instid0(VALU_DEP_1) | instskip(NEXT) | instid1(VALU_DEP_1)
	v_and_b32_e32 v1, v1, v4
	v_cmp_eq_u32_e32 vcc_lo, v1, v3
	s_and_b32 exec_lo, exec_lo, vcc_lo
	s_cbranch_execz .LBB85_198
; %bb.203:                              ;   in Loop: Header=BB85_199 Depth=2
	ds_store_b64 v8, v[13:14] offset:3072
	s_branch .LBB85_198
.LBB85_204:                             ;   in Loop: Header=BB85_6 Depth=1
	s_mov_b32 s11, -1
	s_mov_b32 s91, 0
                                        ; implicit-def: $sgpr89
                                        ; implicit-def: $vgpr2
	s_branch .LBB85_207
.LBB85_205:                             ;   in Loop: Header=BB85_6 Depth=1
	s_set_inst_prefetch_distance 0x2
	s_or_b32 exec_lo, exec_lo, s91
	s_delay_alu instid0(SALU_CYCLE_1)
	s_and_b32 s91, s93, exec_lo
.LBB85_206:                             ;   in Loop: Header=BB85_6 Depth=1
	s_or_b32 exec_lo, exec_lo, s90
	s_mov_b32 s89, -1
	s_mov_b32 s11, 0
.LBB85_207:                             ;   in Loop: Header=BB85_6 Depth=1
	s_delay_alu instid0(SALU_CYCLE_1)
	s_and_b32 vcc_lo, exec_lo, s11
	s_mov_b32 s90, s11
	s_cbranch_vccz .LBB85_218
; %bb.208:                              ;   in Loop: Header=BB85_6 Depth=1
	s_mov_b32 s91, 0
                                        ; implicit-def: $vgpr2
	s_and_saveexec_b32 s89, s9
	s_cbranch_execz .LBB85_217
; %bb.209:                              ;   in Loop: Header=BB85_6 Depth=1
	v_dual_mov_b32 v7, v9 :: v_dual_mov_b32 v32, v0
	s_mov_b32 s90, 0
                                        ; implicit-def: $sgpr91
	s_set_inst_prefetch_distance 0x1
	s_branch .LBB85_211
	.p2align	6
.LBB85_210:                             ;   in Loop: Header=BB85_211 Depth=2
	s_or_b32 exec_lo, exec_lo, s11
	s_waitcnt vmcnt(0) lgkmcnt(0)
	s_barrier
	buffer_gl0_inv
	ds_load_b64 v[1:2], v8 offset:3072
	v_add_nc_u32_e32 v32, s46, v32
	v_add_nc_u32_e32 v7, s48, v7
	s_waitcnt lgkmcnt(0)
	s_barrier
	buffer_gl0_inv
	v_cmp_le_u32_e32 vcc_lo, s67, v32
	v_cmp_neq_f32_e64 s11, 0, v1
	s_delay_alu instid0(VALU_DEP_1) | instskip(NEXT) | instid1(SALU_CYCLE_1)
	s_or_b32 s92, vcc_lo, s11
	s_and_b32 s92, exec_lo, s92
	s_delay_alu instid0(SALU_CYCLE_1) | instskip(SKIP_2) | instid1(SALU_CYCLE_1)
	s_or_b32 s90, s92, s90
	s_and_not1_b32 s91, s91, exec_lo
	s_and_b32 s11, s11, exec_lo
	s_or_b32 s91, s91, s11
	s_and_not1_b32 exec_lo, exec_lo, s90
	s_cbranch_execz .LBB85_216
.LBB85_211:                             ;   Parent Loop BB85_6 Depth=1
                                        ; =>  This Inner Loop Header: Depth=2
	s_delay_alu instid0(VALU_DEP_1)
	v_cmp_gt_u32_e32 vcc_lo, s36, v32
	v_mov_b32_e32 v14, 0
	s_and_saveexec_b32 s92, vcc_lo
	s_cbranch_execz .LBB85_213
; %bb.212:                              ;   in Loop: Header=BB85_211 Depth=2
	v_lshlrev_b64 v[1:2], 2, v[7:8]
	s_delay_alu instid0(VALU_DEP_1) | instskip(NEXT) | instid1(VALU_DEP_1)
	v_add_co_u32 v1, s11, s33, v1
	v_add_co_ci_u32_e64 v2, s11, s35, v2, s11
	global_load_b32 v14, v[1:2], off
.LBB85_213:                             ;   in Loop: Header=BB85_211 Depth=2
	s_or_b32 exec_lo, exec_lo, s92
	s_and_saveexec_b32 s11, vcc_lo
	s_cbranch_execz .LBB85_210
; %bb.214:                              ;   in Loop: Header=BB85_211 Depth=2
	s_waitcnt vmcnt(0)
	v_cmp_lt_i32_e32 vcc_lo, -1, v14
	v_cndmask_b32_e64 v1, -1, 0x80000000, vcc_lo
	v_cmp_o_f32_e32 vcc_lo, v14, v14
	s_delay_alu instid0(VALU_DEP_2) | instskip(NEXT) | instid1(VALU_DEP_1)
	v_xor_b32_e32 v1, v1, v14
	v_cndmask_b32_e32 v1, -1, v1, vcc_lo
	s_delay_alu instid0(VALU_DEP_1) | instskip(NEXT) | instid1(VALU_DEP_1)
	v_and_b32_e32 v1, v1, v4
	v_cmp_eq_u32_e32 vcc_lo, v1, v3
	s_and_b32 exec_lo, exec_lo, vcc_lo
	s_cbranch_execz .LBB85_210
; %bb.215:                              ;   in Loop: Header=BB85_211 Depth=2
	ds_store_b64 v8, v[13:14] offset:3072
	s_branch .LBB85_210
.LBB85_216:                             ;   in Loop: Header=BB85_6 Depth=1
	s_set_inst_prefetch_distance 0x2
	s_or_b32 exec_lo, exec_lo, s90
	s_delay_alu instid0(SALU_CYCLE_1)
	s_and_b32 s91, s91, exec_lo
.LBB85_217:                             ;   in Loop: Header=BB85_6 Depth=1
	s_or_b32 exec_lo, exec_lo, s89
	s_mov_b32 s90, -1
	s_mov_b32 s11, 0
	s_mov_b32 s89, 0
.LBB85_218:                             ;   in Loop: Header=BB85_6 Depth=1
	s_or_not1_b32 s91, s91, exec_lo
.LBB85_219:                             ;   in Loop: Header=BB85_6 Depth=1
	s_or_b32 exec_lo, exec_lo, s88
	s_mov_b32 s92, 0
                                        ; implicit-def: $vgpr1
                                        ; implicit-def: $vgpr7
	s_and_saveexec_b32 s88, s91
	s_cbranch_execz .LBB85_231
; %bb.220:                              ;   in Loop: Header=BB85_6 Depth=1
	v_mov_b32_e32 v1, 1
	v_mov_b32_e32 v7, 1
	s_xor_b32 s91, s87, -1
	s_delay_alu instid0(SALU_CYCLE_1)
	s_and_saveexec_b32 s87, s91
	s_cbranch_execz .LBB85_230
; %bb.221:                              ;   in Loop: Header=BB85_6 Depth=1
	s_mov_b32 s91, exec_lo
                                        ; implicit-def: $sgpr92
	v_cmpx_ge_u32_e64 s19, v31
	s_xor_b32 s91, exec_lo, s91
	s_cbranch_execz .LBB85_227
; %bb.222:                              ;   in Loop: Header=BB85_6 Depth=1
	ds_load_b32 v1, v8 offset:4096
	s_waitcnt lgkmcnt(0)
	v_cmp_ne_u32_e32 vcc_lo, 0, v1
	s_cbranch_vccnz .LBB85_226
; %bb.223:                              ;   in Loop: Header=BB85_6 Depth=1
	s_and_saveexec_b32 s92, s5
	s_cbranch_execz .LBB85_225
; %bb.224:                              ;   in Loop: Header=BB85_6 Depth=1
	v_mov_b32_e32 v1, s19
	ds_store_b32 v8, v1 offset:4100
.LBB85_225:                             ;   in Loop: Header=BB85_6 Depth=1
	s_or_b32 exec_lo, exec_lo, s92
	s_waitcnt lgkmcnt(0)
	s_barrier
	buffer_gl0_inv
.LBB85_226:                             ;   in Loop: Header=BB85_6 Depth=1
	v_or_b32_e32 v3, s13, v3
	v_or_b32_e32 v4, s13, v4
	s_mov_b32 s92, 8
.LBB85_227:                             ;   in Loop: Header=BB85_6 Depth=1
	s_or_saveexec_b32 s91, s91
	v_mov_b32_e32 v1, s92
	s_xor_b32 exec_lo, exec_lo, s91
; %bb.228:                              ;   in Loop: Header=BB85_6 Depth=1
	v_subrev_nc_u32_e32 v31, s19, v31
	v_mov_b32_e32 v1, 8
; %bb.229:                              ;   in Loop: Header=BB85_6 Depth=1
	s_or_b32 exec_lo, exec_lo, s91
	s_delay_alu instid0(VALU_DEP_2)
	v_mov_b32_e32 v7, v31
.LBB85_230:                             ;   in Loop: Header=BB85_6 Depth=1
	s_or_b32 exec_lo, exec_lo, s87
	s_delay_alu instid0(SALU_CYCLE_1)
	s_mov_b32 s92, exec_lo
.LBB85_231:                             ;   in Loop: Header=BB85_6 Depth=1
	s_or_b32 exec_lo, exec_lo, s88
	s_delay_alu instid0(VALU_DEP_1)
	v_mov_b32_e32 v31, v7
	s_or_not1_b32 s87, s92, exec_lo
.LBB85_232:                             ;   in Loop: Header=BB85_6 Depth=1
	s_or_b32 exec_lo, exec_lo, s86
	s_delay_alu instid0(SALU_CYCLE_1)
	s_and_not1_b32 s82, s82, exec_lo
	s_and_b32 s11, s11, exec_lo
	v_mov_b32_e32 v32, v31
	s_or_b32 s82, s82, s11
	s_and_not1_b32 s11, s84, exec_lo
	s_and_b32 s84, s90, exec_lo
	s_and_not1_b32 s83, s83, exec_lo
	s_and_b32 s86, s89, exec_lo
	s_or_b32 s84, s11, s84
	s_or_b32 s83, s83, s86
	s_and_b32 s87, s87, exec_lo
.LBB85_233:                             ;   in Loop: Header=BB85_6 Depth=1
	s_or_b32 exec_lo, exec_lo, s85
	s_delay_alu instid0(SALU_CYCLE_1)
	s_and_b32 s85, s82, exec_lo
	s_and_b32 s84, s84, exec_lo
	s_and_b32 s82, s83, exec_lo
	s_or_not1_b32 s11, s87, exec_lo
.LBB85_234:                             ;   in Loop: Header=BB85_6 Depth=1
	s_or_b32 exec_lo, exec_lo, s29
	s_delay_alu instid0(SALU_CYCLE_1)
	s_and_not1_b32 s25, s25, exec_lo
	s_and_b32 s29, s85, exec_lo
	v_mov_b32_e32 v31, v32
	s_or_b32 s25, s25, s29
	s_and_not1_b32 s27, s27, exec_lo
	s_and_b32 s29, s84, exec_lo
	s_and_not1_b32 s26, s26, exec_lo
	s_and_b32 s82, s82, exec_lo
	s_or_b32 s27, s27, s29
	s_or_b32 s26, s26, s82
	s_and_b32 s82, s11, exec_lo
.LBB85_235:                             ;   in Loop: Header=BB85_6 Depth=1
	s_or_b32 exec_lo, exec_lo, s28
	s_delay_alu instid0(SALU_CYCLE_1)
	s_and_b32 s28, s25, exec_lo
	s_and_b32 s27, s27, exec_lo
	;; [unrolled: 1-line block ×3, first 2 shown]
	s_or_not1_b32 s11, s82, exec_lo
.LBB85_236:                             ;   in Loop: Header=BB85_6 Depth=1
	s_or_b32 exec_lo, exec_lo, s20
	s_mov_b32 s20, 0
	s_mov_b32 s26, 0
	s_and_saveexec_b32 s29, s11
	s_delay_alu instid0(SALU_CYCLE_1)
	s_xor_b32 s29, exec_lo, s29
; %bb.237:                              ;   in Loop: Header=BB85_6 Depth=1
	v_cmp_ne_u32_e32 vcc_lo, 8, v1
	v_cmp_eq_u32_e64 s11, 8, v1
	s_and_not1_b32 s28, s28, exec_lo
	s_and_not1_b32 s27, s27, exec_lo
	;; [unrolled: 1-line block ×3, first 2 shown]
	s_and_b32 s26, vcc_lo, exec_lo
	s_and_b32 s20, s11, exec_lo
; %bb.238:                              ;   in Loop: Header=BB85_6 Depth=1
	s_or_b32 exec_lo, exec_lo, s29
	s_delay_alu instid0(SALU_CYCLE_1)
	s_and_not1_b32 s11, s15, exec_lo
	s_and_b32 s15, s28, exec_lo
	s_and_not1_b32 s21, s21, exec_lo
	s_or_b32 s15, s11, s15
	s_and_not1_b32 s11, s22, exec_lo
	s_and_b32 s22, s27, exec_lo
	s_and_b32 s25, s25, exec_lo
	s_or_b32 s22, s11, s22
	s_or_b32 s21, s21, s25
	s_and_b32 s11, s26, exec_lo
	s_and_b32 s20, s20, exec_lo
.LBB85_239:                             ;   in Loop: Header=BB85_6 Depth=1
	s_or_b32 exec_lo, exec_lo, s24
	s_delay_alu instid0(SALU_CYCLE_1)
	s_and_b32 vcc_lo, exec_lo, s23
	s_cbranch_vccz .LBB85_86
.LBB85_240:                             ;   in Loop: Header=BB85_6 Depth=1
	s_cmp_eq_u32 s19, 1
                                        ; implicit-def: $sgpr23
                                        ; implicit-def: $sgpr24
	s_cselect_b32 s15, -1, 0
	s_delay_alu instid0(SALU_CYCLE_1)
	s_and_b32 s22, s15, s10
	s_mov_b32 s10, -1
                                        ; implicit-def: $sgpr15
	s_and_saveexec_b32 s21, s22
	s_cbranch_execz .LBB85_266
; %bb.241:                              ;   in Loop: Header=BB85_6 Depth=1
	ds_load_b32 v1, v8 offset:4096
	s_waitcnt lgkmcnt(0)
	s_barrier
	buffer_gl0_inv
	v_readfirstlane_b32 s15, v1
	s_and_saveexec_b32 s10, s6
	s_cbranch_execz .LBB85_243
; %bb.242:                              ;   in Loop: Header=BB85_6 Depth=1
	ds_store_b32 v21, v8
.LBB85_243:                             ;   in Loop: Header=BB85_6 Depth=1
	s_or_b32 exec_lo, exec_lo, s10
	v_or_b32_e32 v29, s13, v29
	v_or_b32_e32 v28, s13, v28
	s_cmp_eq_u32 s15, 0
	s_waitcnt lgkmcnt(0)
	s_barrier
	buffer_gl0_inv
	s_cbranch_scc1 .LBB85_252
; %bb.244:                              ;   in Loop: Header=BB85_6 Depth=1
	s_add_i32 s10, s15, s59
                                        ; implicit-def: $vgpr15
	s_delay_alu instid0(SALU_CYCLE_1) | instskip(NEXT) | instid1(SALU_CYCLE_1)
	s_mul_hi_u32 s23, s10, s66
	s_mul_i32 s23, s23, s46
	s_delay_alu instid0(SALU_CYCLE_1) | instskip(NEXT) | instid1(SALU_CYCLE_1)
	s_sub_i32 s23, s10, s23
	s_sub_i32 s24, s23, s46
	s_cmp_ge_u32 s23, s46
	s_cselect_b32 s23, s24, s23
	s_delay_alu instid0(SALU_CYCLE_1) | instskip(SKIP_2) | instid1(SALU_CYCLE_1)
	s_sub_i32 s24, s23, s46
	s_cmp_ge_u32 s23, s46
	s_cselect_b32 s23, s24, s23
	s_sub_i32 s24, s10, s23
	s_mov_b32 s10, 0
	s_mov_b32 s23, exec_lo
	v_cmpx_gt_u32_e64 s24, v0
	s_cbranch_execz .LBB85_254
; %bb.245:                              ;   in Loop: Header=BB85_6 Depth=1
	v_dual_mov_b32 v1, v18 :: v_dual_mov_b32 v2, v0
	s_mov_b32 s25, 0
                                        ; implicit-def: $sgpr26
	s_set_inst_prefetch_distance 0x1
	s_branch .LBB85_247
	.p2align	6
.LBB85_246:                             ;   in Loop: Header=BB85_247 Depth=2
	s_or_b32 exec_lo, exec_lo, s10
	s_waitcnt lgkmcnt(0)
	s_barrier
	buffer_gl0_inv
	ds_load_b64 v[14:15], v8 offset:3072
	v_add_nc_u32_e32 v2, s46, v2
	v_add_nc_u32_e32 v1, s55, v1
	s_waitcnt lgkmcnt(0)
	s_barrier
	buffer_gl0_inv
	v_cmp_le_u32_e32 vcc_lo, s24, v2
	v_cmp_neq_f32_e64 s10, 0, v14
	s_delay_alu instid0(VALU_DEP_1) | instskip(NEXT) | instid1(SALU_CYCLE_1)
	s_or_b32 s27, vcc_lo, s10
	s_and_b32 s27, exec_lo, s27
	s_delay_alu instid0(SALU_CYCLE_1) | instskip(SKIP_2) | instid1(SALU_CYCLE_1)
	s_or_b32 s25, s27, s25
	s_and_not1_b32 s26, s26, exec_lo
	s_and_b32 s10, s10, exec_lo
	s_or_b32 s26, s26, s10
	s_and_not1_b32 exec_lo, exec_lo, s25
	s_cbranch_execz .LBB85_253
.LBB85_247:                             ;   Parent Loop BB85_6 Depth=1
                                        ; =>  This Inner Loop Header: Depth=2
	s_delay_alu instid0(VALU_DEP_1)
	v_cmp_gt_u32_e32 vcc_lo, s15, v2
	v_mov_b32_e32 v14, 0
	s_and_saveexec_b32 s10, vcc_lo
	s_cbranch_execz .LBB85_249
; %bb.248:                              ;   in Loop: Header=BB85_247 Depth=2
	ds_load_b32 v14, v1
.LBB85_249:                             ;   in Loop: Header=BB85_247 Depth=2
	s_or_b32 exec_lo, exec_lo, s10
	s_and_saveexec_b32 s10, vcc_lo
	s_cbranch_execz .LBB85_246
; %bb.250:                              ;   in Loop: Header=BB85_247 Depth=2
	s_waitcnt lgkmcnt(0)
	v_cmp_lt_i32_e32 vcc_lo, -1, v14
	v_cndmask_b32_e64 v3, -1, 0x80000000, vcc_lo
	v_cmp_o_f32_e32 vcc_lo, v14, v14
	s_delay_alu instid0(VALU_DEP_2) | instskip(NEXT) | instid1(VALU_DEP_1)
	v_xor_b32_e32 v3, v3, v14
	v_cndmask_b32_e32 v3, -1, v3, vcc_lo
	s_delay_alu instid0(VALU_DEP_1) | instskip(NEXT) | instid1(VALU_DEP_1)
	v_and_b32_e32 v3, v3, v28
	v_cmp_eq_u32_e32 vcc_lo, v3, v29
	s_and_b32 exec_lo, exec_lo, vcc_lo
	s_cbranch_execz .LBB85_246
; %bb.251:                              ;   in Loop: Header=BB85_247 Depth=2
	ds_store_b64 v8, v[13:14] offset:3072
	s_branch .LBB85_246
.LBB85_252:                             ;   in Loop: Header=BB85_6 Depth=1
	s_mov_b32 s23, -1
	s_mov_b32 s10, 0
                                        ; implicit-def: $sgpr24
                                        ; implicit-def: $vgpr15
	s_mov_b32 s15, s23
	s_cbranch_execnz .LBB85_255
	s_branch .LBB85_265
.LBB85_253:                             ;   in Loop: Header=BB85_6 Depth=1
	s_set_inst_prefetch_distance 0x2
	s_or_b32 exec_lo, exec_lo, s25
	s_delay_alu instid0(SALU_CYCLE_1)
	s_and_b32 s10, s26, exec_lo
.LBB85_254:                             ;   in Loop: Header=BB85_6 Depth=1
	s_or_b32 exec_lo, exec_lo, s23
	s_mov_b32 s23, 0
	s_mov_b32 s24, -1
	s_mov_b32 s15, s23
	s_branch .LBB85_265
.LBB85_255:                             ;   in Loop: Header=BB85_6 Depth=1
	s_mov_b32 s10, 0
                                        ; implicit-def: $vgpr15
	s_and_saveexec_b32 s15, s9
	s_cbranch_execz .LBB85_264
; %bb.256:                              ;   in Loop: Header=BB85_6 Depth=1
	v_mov_b32_e32 v7, v9
	v_mov_b32_e32 v1, v0
	s_mov_b32 s23, 0
                                        ; implicit-def: $sgpr24
	s_set_inst_prefetch_distance 0x1
	s_branch .LBB85_258
	.p2align	6
.LBB85_257:                             ;   in Loop: Header=BB85_258 Depth=2
	s_or_b32 exec_lo, exec_lo, s10
	s_waitcnt vmcnt(0) lgkmcnt(0)
	s_barrier
	buffer_gl0_inv
	ds_load_b64 v[14:15], v8 offset:3072
	v_add_nc_u32_e32 v1, s46, v1
	v_add_nc_u32_e32 v7, s48, v7
	s_waitcnt lgkmcnt(0)
	s_barrier
	buffer_gl0_inv
	v_cmp_le_u32_e32 vcc_lo, s67, v1
	v_cmp_neq_f32_e64 s10, 0, v14
	s_delay_alu instid0(VALU_DEP_1) | instskip(NEXT) | instid1(SALU_CYCLE_1)
	s_or_b32 s25, vcc_lo, s10
	s_and_b32 s25, exec_lo, s25
	s_delay_alu instid0(SALU_CYCLE_1) | instskip(SKIP_2) | instid1(SALU_CYCLE_1)
	s_or_b32 s23, s25, s23
	s_and_not1_b32 s24, s24, exec_lo
	s_and_b32 s10, s10, exec_lo
	s_or_b32 s24, s24, s10
	s_and_not1_b32 exec_lo, exec_lo, s23
	s_cbranch_execz .LBB85_263
.LBB85_258:                             ;   Parent Loop BB85_6 Depth=1
                                        ; =>  This Inner Loop Header: Depth=2
	s_delay_alu instid0(VALU_DEP_1)
	v_cmp_gt_u32_e32 vcc_lo, s36, v1
	v_mov_b32_e32 v14, 0
	s_and_saveexec_b32 s25, vcc_lo
	s_cbranch_execz .LBB85_260
; %bb.259:                              ;   in Loop: Header=BB85_258 Depth=2
	v_lshlrev_b64 v[2:3], 2, v[7:8]
	s_delay_alu instid0(VALU_DEP_1) | instskip(NEXT) | instid1(VALU_DEP_1)
	v_add_co_u32 v2, s10, s33, v2
	v_add_co_ci_u32_e64 v3, s10, s35, v3, s10
	global_load_b32 v14, v[2:3], off
.LBB85_260:                             ;   in Loop: Header=BB85_258 Depth=2
	s_or_b32 exec_lo, exec_lo, s25
	s_and_saveexec_b32 s10, vcc_lo
	s_cbranch_execz .LBB85_257
; %bb.261:                              ;   in Loop: Header=BB85_258 Depth=2
	s_waitcnt vmcnt(0)
	v_cmp_lt_i32_e32 vcc_lo, -1, v14
	v_cndmask_b32_e64 v2, -1, 0x80000000, vcc_lo
	v_cmp_o_f32_e32 vcc_lo, v14, v14
	s_delay_alu instid0(VALU_DEP_2) | instskip(NEXT) | instid1(VALU_DEP_1)
	v_xor_b32_e32 v2, v2, v14
	v_cndmask_b32_e32 v2, -1, v2, vcc_lo
	s_delay_alu instid0(VALU_DEP_1) | instskip(NEXT) | instid1(VALU_DEP_1)
	v_and_b32_e32 v2, v2, v28
	v_cmp_eq_u32_e32 vcc_lo, v2, v29
	s_and_b32 exec_lo, exec_lo, vcc_lo
	s_cbranch_execz .LBB85_257
; %bb.262:                              ;   in Loop: Header=BB85_258 Depth=2
	ds_store_b64 v8, v[13:14] offset:3072
	s_branch .LBB85_257
.LBB85_263:                             ;   in Loop: Header=BB85_6 Depth=1
	s_set_inst_prefetch_distance 0x2
	s_or_b32 exec_lo, exec_lo, s23
	s_delay_alu instid0(SALU_CYCLE_1)
	s_and_b32 s10, s24, exec_lo
.LBB85_264:                             ;   in Loop: Header=BB85_6 Depth=1
	s_or_b32 exec_lo, exec_lo, s15
	s_mov_b32 s24, 0
	s_mov_b32 s23, -1
	s_mov_b32 s15, 0
.LBB85_265:                             ;   in Loop: Header=BB85_6 Depth=1
	s_or_not1_b32 s10, s10, exec_lo
.LBB85_266:                             ;   in Loop: Header=BB85_6 Depth=1
	s_or_b32 exec_lo, exec_lo, s21
                                        ; implicit-def: $vgpr1
                                        ; implicit-def: $vgpr31
                                        ; implicit-def: $vgpr3
                                        ; implicit-def: $vgpr4
                                        ; implicit-def: $vgpr2
	s_and_saveexec_b32 s21, s10
	s_cbranch_execz .LBB85_401
; %bb.267:                              ;   in Loop: Header=BB85_6 Depth=1
	v_mov_b32_e32 v31, 1
	v_mov_b32_e32 v1, 1
	s_xor_b32 s22, s22, -1
	s_mov_b32 s28, 0
	s_and_saveexec_b32 s10, s22
	s_cbranch_execz .LBB85_277
; %bb.268:                              ;   in Loop: Header=BB85_6 Depth=1
	s_mov_b32 s25, exec_lo
                                        ; implicit-def: $sgpr26
                                        ; implicit-def: $sgpr22
	v_cmpx_ge_u32_e64 s19, v30
	s_xor_b32 s25, exec_lo, s25
	s_cbranch_execz .LBB85_274
; %bb.269:                              ;   in Loop: Header=BB85_6 Depth=1
	ds_load_b32 v1, v8 offset:4096
	s_waitcnt lgkmcnt(0)
	v_cmp_ne_u32_e32 vcc_lo, 0, v1
	s_cbranch_vccnz .LBB85_273
; %bb.270:                              ;   in Loop: Header=BB85_6 Depth=1
	s_and_saveexec_b32 s22, s5
	s_cbranch_execz .LBB85_272
; %bb.271:                              ;   in Loop: Header=BB85_6 Depth=1
	v_mov_b32_e32 v1, s19
	ds_store_b32 v8, v1 offset:4100
.LBB85_272:                             ;   in Loop: Header=BB85_6 Depth=1
	s_or_b32 exec_lo, exec_lo, s22
	s_waitcnt lgkmcnt(0)
	s_barrier
	buffer_gl0_inv
.LBB85_273:                             ;   in Loop: Header=BB85_6 Depth=1
	v_or_b32_e32 v29, s13, v29
	v_or_b32_e32 v28, s13, v28
	s_mov_b32 s22, 0
	s_mov_b32 s26, 5
.LBB85_274:                             ;   in Loop: Header=BB85_6 Depth=1
	s_or_saveexec_b32 s25, s25
	v_mov_b32_e32 v1, s26
	s_xor_b32 exec_lo, exec_lo, s25
; %bb.275:                              ;   in Loop: Header=BB85_6 Depth=1
	v_subrev_nc_u32_e32 v30, s19, v30
	v_mov_b32_e32 v1, 0
	s_or_b32 s22, s22, exec_lo
; %bb.276:                              ;   in Loop: Header=BB85_6 Depth=1
	s_or_b32 exec_lo, exec_lo, s25
	s_delay_alu instid0(VALU_DEP_2)
	v_mov_b32_e32 v31, v30
	s_and_b32 s28, s22, exec_lo
.LBB85_277:                             ;   in Loop: Header=BB85_6 Depth=1
	s_or_b32 exec_lo, exec_lo, s10
	s_mov_b32 s26, -1
                                        ; implicit-def: $sgpr22
                                        ; implicit-def: $sgpr25
                                        ; implicit-def: $sgpr27
	s_and_saveexec_b32 s10, s28
	s_delay_alu instid0(SALU_CYCLE_1)
	s_xor_b32 s19, exec_lo, s10
	s_cbranch_execz .LBB85_398
; %bb.278:                              ;   in Loop: Header=BB85_6 Depth=1
	v_cmp_eq_u32_e32 vcc_lo, 1, v31
	s_cmp_eq_u32 s18, 1
                                        ; implicit-def: $sgpr22
                                        ; implicit-def: $sgpr25
                                        ; implicit-def: $sgpr26
	s_cselect_b32 s10, -1, 0
	s_delay_alu instid0(SALU_CYCLE_1)
	s_and_b32 s28, s10, vcc_lo
	s_mov_b32 s10, -1
	s_and_saveexec_b32 s27, s28
	s_cbranch_execz .LBB85_304
; %bb.279:                              ;   in Loop: Header=BB85_6 Depth=1
	ds_load_b32 v1, v8 offset:4096
	s_waitcnt lgkmcnt(0)
	s_barrier
	buffer_gl0_inv
	v_readfirstlane_b32 s22, v1
	s_and_saveexec_b32 s10, s6
	s_cbranch_execz .LBB85_281
; %bb.280:                              ;   in Loop: Header=BB85_6 Depth=1
	ds_store_b32 v21, v8
.LBB85_281:                             ;   in Loop: Header=BB85_6 Depth=1
	s_or_b32 exec_lo, exec_lo, s10
	s_lshl_b32 s10, 2, s17
	v_or_b32_e32 v28, s13, v28
	v_and_or_b32 v29, v29, s14, s10
	s_cmp_eq_u32 s22, 0
	s_waitcnt lgkmcnt(0)
	s_barrier
	buffer_gl0_inv
	s_cbranch_scc1 .LBB85_290
; %bb.282:                              ;   in Loop: Header=BB85_6 Depth=1
	s_add_i32 s10, s22, s59
                                        ; implicit-def: $vgpr15
	s_delay_alu instid0(SALU_CYCLE_1) | instskip(NEXT) | instid1(SALU_CYCLE_1)
	s_mul_hi_u32 s25, s10, s66
	s_mul_i32 s25, s25, s46
	s_delay_alu instid0(SALU_CYCLE_1) | instskip(NEXT) | instid1(SALU_CYCLE_1)
	s_sub_i32 s25, s10, s25
	s_sub_i32 s26, s25, s46
	s_cmp_ge_u32 s25, s46
	s_cselect_b32 s25, s26, s25
	s_delay_alu instid0(SALU_CYCLE_1) | instskip(SKIP_2) | instid1(SALU_CYCLE_1)
	s_sub_i32 s26, s25, s46
	s_cmp_ge_u32 s25, s46
	s_cselect_b32 s25, s26, s25
	s_sub_i32 s26, s10, s25
	s_mov_b32 s10, 0
	s_mov_b32 s25, exec_lo
	v_cmpx_gt_u32_e64 s26, v0
	s_cbranch_execz .LBB85_292
; %bb.283:                              ;   in Loop: Header=BB85_6 Depth=1
	v_dual_mov_b32 v1, v18 :: v_dual_mov_b32 v2, v0
	s_mov_b32 s29, 0
                                        ; implicit-def: $sgpr82
	s_set_inst_prefetch_distance 0x1
	s_branch .LBB85_285
	.p2align	6
.LBB85_284:                             ;   in Loop: Header=BB85_285 Depth=2
	s_or_b32 exec_lo, exec_lo, s10
	s_waitcnt lgkmcnt(0)
	s_barrier
	buffer_gl0_inv
	ds_load_b64 v[14:15], v8 offset:3072
	v_add_nc_u32_e32 v2, s46, v2
	v_add_nc_u32_e32 v1, s55, v1
	s_waitcnt lgkmcnt(0)
	s_barrier
	buffer_gl0_inv
	v_cmp_le_u32_e32 vcc_lo, s26, v2
	v_cmp_neq_f32_e64 s10, 0, v14
	s_delay_alu instid0(VALU_DEP_1) | instskip(NEXT) | instid1(SALU_CYCLE_1)
	s_or_b32 s83, vcc_lo, s10
	s_and_b32 s83, exec_lo, s83
	s_delay_alu instid0(SALU_CYCLE_1) | instskip(SKIP_2) | instid1(SALU_CYCLE_1)
	s_or_b32 s29, s83, s29
	s_and_not1_b32 s82, s82, exec_lo
	s_and_b32 s10, s10, exec_lo
	s_or_b32 s82, s82, s10
	s_and_not1_b32 exec_lo, exec_lo, s29
	s_cbranch_execz .LBB85_291
.LBB85_285:                             ;   Parent Loop BB85_6 Depth=1
                                        ; =>  This Inner Loop Header: Depth=2
	s_delay_alu instid0(VALU_DEP_1)
	v_cmp_gt_u32_e32 vcc_lo, s22, v2
	v_mov_b32_e32 v14, 0
	s_and_saveexec_b32 s10, vcc_lo
	s_cbranch_execz .LBB85_287
; %bb.286:                              ;   in Loop: Header=BB85_285 Depth=2
	ds_load_b32 v14, v1
.LBB85_287:                             ;   in Loop: Header=BB85_285 Depth=2
	s_or_b32 exec_lo, exec_lo, s10
	s_and_saveexec_b32 s10, vcc_lo
	s_cbranch_execz .LBB85_284
; %bb.288:                              ;   in Loop: Header=BB85_285 Depth=2
	s_waitcnt lgkmcnt(0)
	v_cmp_lt_i32_e32 vcc_lo, -1, v14
	v_cndmask_b32_e64 v3, -1, 0x80000000, vcc_lo
	v_cmp_o_f32_e32 vcc_lo, v14, v14
	s_delay_alu instid0(VALU_DEP_2) | instskip(NEXT) | instid1(VALU_DEP_1)
	v_xor_b32_e32 v3, v3, v14
	v_cndmask_b32_e32 v3, -1, v3, vcc_lo
	s_delay_alu instid0(VALU_DEP_1) | instskip(NEXT) | instid1(VALU_DEP_1)
	v_and_b32_e32 v3, v3, v28
	v_cmp_eq_u32_e32 vcc_lo, v3, v29
	s_and_b32 exec_lo, exec_lo, vcc_lo
	s_cbranch_execz .LBB85_284
; %bb.289:                              ;   in Loop: Header=BB85_285 Depth=2
	ds_store_b64 v8, v[13:14] offset:3072
	s_branch .LBB85_284
.LBB85_290:                             ;   in Loop: Header=BB85_6 Depth=1
	s_mov_b32 s22, -1
	s_mov_b32 s10, 0
                                        ; implicit-def: $sgpr25
                                        ; implicit-def: $vgpr15
	s_mov_b32 s26, s22
	s_cbranch_execnz .LBB85_293
	s_branch .LBB85_303
.LBB85_291:                             ;   in Loop: Header=BB85_6 Depth=1
	s_set_inst_prefetch_distance 0x2
	s_or_b32 exec_lo, exec_lo, s29
	s_delay_alu instid0(SALU_CYCLE_1)
	s_and_b32 s10, s82, exec_lo
.LBB85_292:                             ;   in Loop: Header=BB85_6 Depth=1
	s_or_b32 exec_lo, exec_lo, s25
	s_mov_b32 s22, 0
	s_mov_b32 s25, -1
	s_mov_b32 s26, s22
	s_branch .LBB85_303
.LBB85_293:                             ;   in Loop: Header=BB85_6 Depth=1
	s_mov_b32 s10, 0
                                        ; implicit-def: $vgpr15
	s_and_saveexec_b32 s22, s9
	s_cbranch_execz .LBB85_302
; %bb.294:                              ;   in Loop: Header=BB85_6 Depth=1
	v_mov_b32_e32 v7, v9
	v_mov_b32_e32 v1, v0
	s_mov_b32 s25, 0
                                        ; implicit-def: $sgpr26
	s_set_inst_prefetch_distance 0x1
	s_branch .LBB85_296
	.p2align	6
.LBB85_295:                             ;   in Loop: Header=BB85_296 Depth=2
	s_or_b32 exec_lo, exec_lo, s10
	s_waitcnt vmcnt(0) lgkmcnt(0)
	s_barrier
	buffer_gl0_inv
	ds_load_b64 v[14:15], v8 offset:3072
	v_add_nc_u32_e32 v1, s46, v1
	v_add_nc_u32_e32 v7, s48, v7
	s_waitcnt lgkmcnt(0)
	s_barrier
	buffer_gl0_inv
	v_cmp_le_u32_e32 vcc_lo, s67, v1
	v_cmp_neq_f32_e64 s10, 0, v14
	s_delay_alu instid0(VALU_DEP_1) | instskip(NEXT) | instid1(SALU_CYCLE_1)
	s_or_b32 s29, vcc_lo, s10
	s_and_b32 s29, exec_lo, s29
	s_delay_alu instid0(SALU_CYCLE_1) | instskip(SKIP_2) | instid1(SALU_CYCLE_1)
	s_or_b32 s25, s29, s25
	s_and_not1_b32 s26, s26, exec_lo
	s_and_b32 s10, s10, exec_lo
	s_or_b32 s26, s26, s10
	s_and_not1_b32 exec_lo, exec_lo, s25
	s_cbranch_execz .LBB85_301
.LBB85_296:                             ;   Parent Loop BB85_6 Depth=1
                                        ; =>  This Inner Loop Header: Depth=2
	s_delay_alu instid0(VALU_DEP_1)
	v_cmp_gt_u32_e32 vcc_lo, s36, v1
	v_mov_b32_e32 v14, 0
	s_and_saveexec_b32 s29, vcc_lo
	s_cbranch_execz .LBB85_298
; %bb.297:                              ;   in Loop: Header=BB85_296 Depth=2
	v_lshlrev_b64 v[2:3], 2, v[7:8]
	s_delay_alu instid0(VALU_DEP_1) | instskip(NEXT) | instid1(VALU_DEP_1)
	v_add_co_u32 v2, s10, s33, v2
	v_add_co_ci_u32_e64 v3, s10, s35, v3, s10
	global_load_b32 v14, v[2:3], off
.LBB85_298:                             ;   in Loop: Header=BB85_296 Depth=2
	s_or_b32 exec_lo, exec_lo, s29
	s_and_saveexec_b32 s10, vcc_lo
	s_cbranch_execz .LBB85_295
; %bb.299:                              ;   in Loop: Header=BB85_296 Depth=2
	s_waitcnt vmcnt(0)
	v_cmp_lt_i32_e32 vcc_lo, -1, v14
	v_cndmask_b32_e64 v2, -1, 0x80000000, vcc_lo
	v_cmp_o_f32_e32 vcc_lo, v14, v14
	s_delay_alu instid0(VALU_DEP_2) | instskip(NEXT) | instid1(VALU_DEP_1)
	v_xor_b32_e32 v2, v2, v14
	v_cndmask_b32_e32 v2, -1, v2, vcc_lo
	s_delay_alu instid0(VALU_DEP_1) | instskip(NEXT) | instid1(VALU_DEP_1)
	v_and_b32_e32 v2, v2, v28
	v_cmp_eq_u32_e32 vcc_lo, v2, v29
	s_and_b32 exec_lo, exec_lo, vcc_lo
	s_cbranch_execz .LBB85_295
; %bb.300:                              ;   in Loop: Header=BB85_296 Depth=2
	ds_store_b64 v8, v[13:14] offset:3072
	s_branch .LBB85_295
.LBB85_301:                             ;   in Loop: Header=BB85_6 Depth=1
	s_set_inst_prefetch_distance 0x2
	s_or_b32 exec_lo, exec_lo, s25
	s_delay_alu instid0(SALU_CYCLE_1)
	s_and_b32 s10, s26, exec_lo
.LBB85_302:                             ;   in Loop: Header=BB85_6 Depth=1
	s_or_b32 exec_lo, exec_lo, s22
	s_mov_b32 s25, 0
	s_mov_b32 s22, -1
	s_mov_b32 s26, 0
.LBB85_303:                             ;   in Loop: Header=BB85_6 Depth=1
	s_or_not1_b32 s10, s10, exec_lo
.LBB85_304:                             ;   in Loop: Header=BB85_6 Depth=1
	s_or_b32 exec_lo, exec_lo, s27
	s_mov_b32 s29, 0
                                        ; implicit-def: $vgpr1
	s_and_saveexec_b32 s27, s10
	s_cbranch_execz .LBB85_397
; %bb.305:                              ;   in Loop: Header=BB85_6 Depth=1
	v_dual_mov_b32 v2, 1 :: v_dual_mov_b32 v1, 1
	s_xor_b32 s28, s28, -1
	s_mov_b32 s82, 0
	s_and_saveexec_b32 s10, s28
	s_cbranch_execz .LBB85_315
; %bb.306:                              ;   in Loop: Header=BB85_6 Depth=1
	s_mov_b32 s29, exec_lo
                                        ; implicit-def: $sgpr82
                                        ; implicit-def: $sgpr28
	v_cmpx_ge_u32_e64 s18, v31
	s_xor_b32 s29, exec_lo, s29
	s_cbranch_execz .LBB85_312
; %bb.307:                              ;   in Loop: Header=BB85_6 Depth=1
	ds_load_b32 v1, v8 offset:4096
	s_waitcnt lgkmcnt(0)
	v_cmp_ne_u32_e32 vcc_lo, 0, v1
	s_cbranch_vccnz .LBB85_311
; %bb.308:                              ;   in Loop: Header=BB85_6 Depth=1
	s_and_saveexec_b32 s28, s5
	s_cbranch_execz .LBB85_310
; %bb.309:                              ;   in Loop: Header=BB85_6 Depth=1
	v_mov_b32_e32 v1, s18
	ds_store_b32 v8, v1 offset:4100
.LBB85_310:                             ;   in Loop: Header=BB85_6 Depth=1
	s_or_b32 exec_lo, exec_lo, s28
	s_waitcnt lgkmcnt(0)
	s_barrier
	buffer_gl0_inv
.LBB85_311:                             ;   in Loop: Header=BB85_6 Depth=1
	s_lshl_b32 s28, 2, s17
	v_or_b32_e32 v28, s13, v28
	v_and_or_b32 v29, v29, s14, s28
	s_mov_b32 s28, 0
	s_mov_b32 s82, 5
.LBB85_312:                             ;   in Loop: Header=BB85_6 Depth=1
	s_or_saveexec_b32 s29, s29
	v_mov_b32_e32 v1, s82
	s_xor_b32 exec_lo, exec_lo, s29
; %bb.313:                              ;   in Loop: Header=BB85_6 Depth=1
	v_subrev_nc_u32_e32 v31, s18, v31
	v_mov_b32_e32 v1, 0
	s_or_b32 s28, s28, exec_lo
; %bb.314:                              ;   in Loop: Header=BB85_6 Depth=1
	s_or_b32 exec_lo, exec_lo, s29
	s_delay_alu instid0(VALU_DEP_2)
	v_mov_b32_e32 v2, v31
	s_and_b32 s82, s28, exec_lo
.LBB85_315:                             ;   in Loop: Header=BB85_6 Depth=1
	s_or_b32 exec_lo, exec_lo, s10
	s_mov_b32 s10, -1
                                        ; implicit-def: $sgpr28
                                        ; implicit-def: $sgpr29
                                        ; implicit-def: $sgpr83
	s_and_saveexec_b32 s18, s82
	s_cbranch_execz .LBB85_396
; %bb.316:                              ;   in Loop: Header=BB85_6 Depth=1
	v_cmp_eq_u32_e32 vcc_lo, 1, v2
	s_cmp_eq_u32 s16, 1
                                        ; implicit-def: $sgpr28
                                        ; implicit-def: $sgpr29
                                        ; implicit-def: $sgpr82
	s_cselect_b32 s10, -1, 0
	s_delay_alu instid0(SALU_CYCLE_1)
	s_and_b32 s84, s10, vcc_lo
	s_mov_b32 s10, -1
	s_and_saveexec_b32 s83, s84
	s_cbranch_execz .LBB85_342
; %bb.317:                              ;   in Loop: Header=BB85_6 Depth=1
	ds_load_b32 v1, v8 offset:4096
	s_waitcnt lgkmcnt(0)
	s_barrier
	buffer_gl0_inv
	v_readfirstlane_b32 s28, v1
	s_and_saveexec_b32 s10, s6
	s_cbranch_execz .LBB85_319
; %bb.318:                              ;   in Loop: Header=BB85_6 Depth=1
	ds_store_b32 v21, v8
.LBB85_319:                             ;   in Loop: Header=BB85_6 Depth=1
	s_or_b32 exec_lo, exec_lo, s10
	s_lshl_b32 s10, 1, s17
	v_or_b32_e32 v28, s13, v28
	v_and_or_b32 v29, v29, s14, s10
	s_cmp_eq_u32 s28, 0
	s_waitcnt lgkmcnt(0)
	s_barrier
	buffer_gl0_inv
	s_cbranch_scc1 .LBB85_328
; %bb.320:                              ;   in Loop: Header=BB85_6 Depth=1
	s_add_i32 s10, s28, s59
                                        ; implicit-def: $vgpr15
	s_delay_alu instid0(SALU_CYCLE_1) | instskip(NEXT) | instid1(SALU_CYCLE_1)
	s_mul_hi_u32 s29, s10, s66
	s_mul_i32 s29, s29, s46
	s_delay_alu instid0(SALU_CYCLE_1) | instskip(NEXT) | instid1(SALU_CYCLE_1)
	s_sub_i32 s29, s10, s29
	s_sub_i32 s82, s29, s46
	s_cmp_ge_u32 s29, s46
	s_cselect_b32 s29, s82, s29
	s_delay_alu instid0(SALU_CYCLE_1) | instskip(SKIP_2) | instid1(SALU_CYCLE_1)
	s_sub_i32 s82, s29, s46
	s_cmp_ge_u32 s29, s46
	s_cselect_b32 s29, s82, s29
	s_sub_i32 s82, s10, s29
	s_mov_b32 s10, 0
	s_mov_b32 s29, exec_lo
	v_cmpx_gt_u32_e64 s82, v0
	s_cbranch_execz .LBB85_330
; %bb.321:                              ;   in Loop: Header=BB85_6 Depth=1
	v_mov_b32_e32 v1, v18
	v_mov_b32_e32 v3, v0
	s_mov_b32 s85, 0
                                        ; implicit-def: $sgpr86
	s_set_inst_prefetch_distance 0x1
	s_branch .LBB85_323
	.p2align	6
.LBB85_322:                             ;   in Loop: Header=BB85_323 Depth=2
	s_or_b32 exec_lo, exec_lo, s10
	s_waitcnt lgkmcnt(0)
	s_barrier
	buffer_gl0_inv
	ds_load_b64 v[14:15], v8 offset:3072
	v_add_nc_u32_e32 v3, s46, v3
	v_add_nc_u32_e32 v1, s55, v1
	s_waitcnt lgkmcnt(0)
	s_barrier
	buffer_gl0_inv
	v_cmp_le_u32_e32 vcc_lo, s82, v3
	v_cmp_neq_f32_e64 s10, 0, v14
	s_delay_alu instid0(VALU_DEP_1) | instskip(NEXT) | instid1(SALU_CYCLE_1)
	s_or_b32 s87, vcc_lo, s10
	s_and_b32 s87, exec_lo, s87
	s_delay_alu instid0(SALU_CYCLE_1) | instskip(SKIP_2) | instid1(SALU_CYCLE_1)
	s_or_b32 s85, s87, s85
	s_and_not1_b32 s86, s86, exec_lo
	s_and_b32 s10, s10, exec_lo
	s_or_b32 s86, s86, s10
	s_and_not1_b32 exec_lo, exec_lo, s85
	s_cbranch_execz .LBB85_329
.LBB85_323:                             ;   Parent Loop BB85_6 Depth=1
                                        ; =>  This Inner Loop Header: Depth=2
	s_delay_alu instid0(VALU_DEP_1)
	v_cmp_gt_u32_e32 vcc_lo, s28, v3
	v_mov_b32_e32 v14, 0
	s_and_saveexec_b32 s10, vcc_lo
	s_cbranch_execz .LBB85_325
; %bb.324:                              ;   in Loop: Header=BB85_323 Depth=2
	ds_load_b32 v14, v1
.LBB85_325:                             ;   in Loop: Header=BB85_323 Depth=2
	s_or_b32 exec_lo, exec_lo, s10
	s_and_saveexec_b32 s10, vcc_lo
	s_cbranch_execz .LBB85_322
; %bb.326:                              ;   in Loop: Header=BB85_323 Depth=2
	s_waitcnt lgkmcnt(0)
	v_cmp_lt_i32_e32 vcc_lo, -1, v14
	v_cndmask_b32_e64 v4, -1, 0x80000000, vcc_lo
	v_cmp_o_f32_e32 vcc_lo, v14, v14
	s_delay_alu instid0(VALU_DEP_2) | instskip(NEXT) | instid1(VALU_DEP_1)
	v_xor_b32_e32 v4, v4, v14
	v_cndmask_b32_e32 v4, -1, v4, vcc_lo
	s_delay_alu instid0(VALU_DEP_1) | instskip(NEXT) | instid1(VALU_DEP_1)
	v_and_b32_e32 v4, v4, v28
	v_cmp_eq_u32_e32 vcc_lo, v4, v29
	s_and_b32 exec_lo, exec_lo, vcc_lo
	s_cbranch_execz .LBB85_322
; %bb.327:                              ;   in Loop: Header=BB85_323 Depth=2
	ds_store_b64 v8, v[13:14] offset:3072
	s_branch .LBB85_322
.LBB85_328:                             ;   in Loop: Header=BB85_6 Depth=1
	s_mov_b32 s28, -1
	s_mov_b32 s10, 0
                                        ; implicit-def: $sgpr29
                                        ; implicit-def: $vgpr15
	s_mov_b32 s82, s28
	s_cbranch_execnz .LBB85_331
	s_branch .LBB85_341
.LBB85_329:                             ;   in Loop: Header=BB85_6 Depth=1
	s_set_inst_prefetch_distance 0x2
	s_or_b32 exec_lo, exec_lo, s85
	s_delay_alu instid0(SALU_CYCLE_1)
	s_and_b32 s10, s86, exec_lo
.LBB85_330:                             ;   in Loop: Header=BB85_6 Depth=1
	s_or_b32 exec_lo, exec_lo, s29
	s_mov_b32 s28, 0
	s_mov_b32 s29, -1
	s_mov_b32 s82, s28
	s_branch .LBB85_341
.LBB85_331:                             ;   in Loop: Header=BB85_6 Depth=1
	s_mov_b32 s10, 0
                                        ; implicit-def: $vgpr15
	s_and_saveexec_b32 s28, s9
	s_cbranch_execz .LBB85_340
; %bb.332:                              ;   in Loop: Header=BB85_6 Depth=1
	v_mov_b32_e32 v7, v9
	v_mov_b32_e32 v1, v0
	s_mov_b32 s29, 0
                                        ; implicit-def: $sgpr82
	s_set_inst_prefetch_distance 0x1
	s_branch .LBB85_334
	.p2align	6
.LBB85_333:                             ;   in Loop: Header=BB85_334 Depth=2
	s_or_b32 exec_lo, exec_lo, s10
	s_waitcnt vmcnt(0) lgkmcnt(0)
	s_barrier
	buffer_gl0_inv
	ds_load_b64 v[14:15], v8 offset:3072
	v_add_nc_u32_e32 v1, s46, v1
	v_add_nc_u32_e32 v7, s48, v7
	s_waitcnt lgkmcnt(0)
	s_barrier
	buffer_gl0_inv
	v_cmp_le_u32_e32 vcc_lo, s67, v1
	v_cmp_neq_f32_e64 s10, 0, v14
	s_delay_alu instid0(VALU_DEP_1) | instskip(NEXT) | instid1(SALU_CYCLE_1)
	s_or_b32 s85, vcc_lo, s10
	s_and_b32 s85, exec_lo, s85
	s_delay_alu instid0(SALU_CYCLE_1) | instskip(SKIP_2) | instid1(SALU_CYCLE_1)
	s_or_b32 s29, s85, s29
	s_and_not1_b32 s82, s82, exec_lo
	s_and_b32 s10, s10, exec_lo
	s_or_b32 s82, s82, s10
	s_and_not1_b32 exec_lo, exec_lo, s29
	s_cbranch_execz .LBB85_339
.LBB85_334:                             ;   Parent Loop BB85_6 Depth=1
                                        ; =>  This Inner Loop Header: Depth=2
	s_delay_alu instid0(VALU_DEP_1)
	v_cmp_gt_u32_e32 vcc_lo, s36, v1
	v_mov_b32_e32 v14, 0
	s_and_saveexec_b32 s85, vcc_lo
	s_cbranch_execz .LBB85_336
; %bb.335:                              ;   in Loop: Header=BB85_334 Depth=2
	v_lshlrev_b64 v[3:4], 2, v[7:8]
	s_delay_alu instid0(VALU_DEP_1) | instskip(NEXT) | instid1(VALU_DEP_1)
	v_add_co_u32 v3, s10, s33, v3
	v_add_co_ci_u32_e64 v4, s10, s35, v4, s10
	global_load_b32 v14, v[3:4], off
.LBB85_336:                             ;   in Loop: Header=BB85_334 Depth=2
	s_or_b32 exec_lo, exec_lo, s85
	s_and_saveexec_b32 s10, vcc_lo
	s_cbranch_execz .LBB85_333
; %bb.337:                              ;   in Loop: Header=BB85_334 Depth=2
	s_waitcnt vmcnt(0)
	v_cmp_lt_i32_e32 vcc_lo, -1, v14
	v_cndmask_b32_e64 v3, -1, 0x80000000, vcc_lo
	v_cmp_o_f32_e32 vcc_lo, v14, v14
	s_delay_alu instid0(VALU_DEP_2) | instskip(NEXT) | instid1(VALU_DEP_1)
	v_xor_b32_e32 v3, v3, v14
	v_cndmask_b32_e32 v3, -1, v3, vcc_lo
	s_delay_alu instid0(VALU_DEP_1) | instskip(NEXT) | instid1(VALU_DEP_1)
	v_and_b32_e32 v3, v3, v28
	v_cmp_eq_u32_e32 vcc_lo, v3, v29
	s_and_b32 exec_lo, exec_lo, vcc_lo
	s_cbranch_execz .LBB85_333
; %bb.338:                              ;   in Loop: Header=BB85_334 Depth=2
	ds_store_b64 v8, v[13:14] offset:3072
	s_branch .LBB85_333
.LBB85_339:                             ;   in Loop: Header=BB85_6 Depth=1
	s_set_inst_prefetch_distance 0x2
	s_or_b32 exec_lo, exec_lo, s29
	s_delay_alu instid0(SALU_CYCLE_1)
	s_and_b32 s10, s82, exec_lo
.LBB85_340:                             ;   in Loop: Header=BB85_6 Depth=1
	s_or_b32 exec_lo, exec_lo, s28
	s_mov_b32 s29, 0
	s_mov_b32 s28, -1
	s_mov_b32 s82, 0
.LBB85_341:                             ;   in Loop: Header=BB85_6 Depth=1
	s_or_not1_b32 s10, s10, exec_lo
.LBB85_342:                             ;   in Loop: Header=BB85_6 Depth=1
	s_or_b32 exec_lo, exec_lo, s83
	s_mov_b32 s85, 0
                                        ; implicit-def: $vgpr1
	s_and_saveexec_b32 s83, s10
	s_cbranch_execz .LBB85_395
; %bb.343:                              ;   in Loop: Header=BB85_6 Depth=1
	v_mov_b32_e32 v3, 1
	v_mov_b32_e32 v1, 1
	s_xor_b32 s85, s84, -1
	s_mov_b32 s84, 0
	s_and_saveexec_b32 s10, s85
	s_cbranch_execz .LBB85_353
; %bb.344:                              ;   in Loop: Header=BB85_6 Depth=1
	s_mov_b32 s85, exec_lo
                                        ; implicit-def: $sgpr86
                                        ; implicit-def: $sgpr84
	v_cmpx_ge_u32_e64 s16, v2
	s_xor_b32 s85, exec_lo, s85
	s_cbranch_execz .LBB85_350
; %bb.345:                              ;   in Loop: Header=BB85_6 Depth=1
	ds_load_b32 v1, v8 offset:4096
	s_waitcnt lgkmcnt(0)
	v_cmp_ne_u32_e32 vcc_lo, 0, v1
	s_cbranch_vccnz .LBB85_349
; %bb.346:                              ;   in Loop: Header=BB85_6 Depth=1
	s_and_saveexec_b32 s84, s5
	s_cbranch_execz .LBB85_348
; %bb.347:                              ;   in Loop: Header=BB85_6 Depth=1
	v_mov_b32_e32 v1, s16
	ds_store_b32 v8, v1 offset:4100
.LBB85_348:                             ;   in Loop: Header=BB85_6 Depth=1
	s_or_b32 exec_lo, exec_lo, s84
	s_waitcnt lgkmcnt(0)
	s_barrier
	buffer_gl0_inv
.LBB85_349:                             ;   in Loop: Header=BB85_6 Depth=1
	s_lshl_b32 s17, 1, s17
	v_or_b32_e32 v28, s13, v28
	v_and_or_b32 v29, v29, s14, s17
	s_mov_b32 s84, 0
	s_mov_b32 s86, 5
.LBB85_350:                             ;   in Loop: Header=BB85_6 Depth=1
	s_or_saveexec_b32 s17, s85
	v_mov_b32_e32 v1, s86
	s_xor_b32 exec_lo, exec_lo, s17
; %bb.351:                              ;   in Loop: Header=BB85_6 Depth=1
	v_subrev_nc_u32_e32 v2, s16, v2
	v_mov_b32_e32 v1, 0
	s_or_b32 s84, s84, exec_lo
; %bb.352:                              ;   in Loop: Header=BB85_6 Depth=1
	s_or_b32 exec_lo, exec_lo, s17
	s_delay_alu instid0(VALU_DEP_2)
	v_mov_b32_e32 v3, v2
	s_and_b32 s84, s84, exec_lo
.LBB85_353:                             ;   in Loop: Header=BB85_6 Depth=1
	s_or_b32 exec_lo, exec_lo, s10
	s_mov_b32 s17, -1
                                        ; implicit-def: $sgpr10
                                        ; implicit-def: $sgpr85
                                        ; implicit-def: $sgpr86
	s_and_saveexec_b32 s16, s84
	s_cbranch_execz .LBB85_394
; %bb.354:                              ;   in Loop: Header=BB85_6 Depth=1
	v_cmp_eq_u32_e32 vcc_lo, 1, v3
	s_cmp_eq_u32 s12, 1
	s_mov_b32 s87, -1
	s_cselect_b32 s10, -1, 0
                                        ; implicit-def: $sgpr85
                                        ; implicit-def: $sgpr86
	s_delay_alu instid0(SALU_CYCLE_1) | instskip(NEXT) | instid1(SALU_CYCLE_1)
	s_and_b32 s17, s10, vcc_lo
                                        ; implicit-def: $sgpr10
	s_and_saveexec_b32 s84, s17
	s_cbranch_execz .LBB85_381
; %bb.355:                              ;   in Loop: Header=BB85_6 Depth=1
	ds_load_b32 v1, v8 offset:4096
	s_waitcnt lgkmcnt(0)
	s_barrier
	buffer_gl0_inv
	v_readfirstlane_b32 s85, v1
	s_and_saveexec_b32 s10, s6
	s_cbranch_execz .LBB85_357
; %bb.356:                              ;   in Loop: Header=BB85_6 Depth=1
	ds_store_b32 v21, v8
.LBB85_357:                             ;   in Loop: Header=BB85_6 Depth=1
	s_or_b32 exec_lo, exec_lo, s10
	v_and_b32_e32 v29, s14, v29
	v_or_b32_e32 v28, s13, v28
	s_cmp_eq_u32 s85, 0
	s_waitcnt lgkmcnt(0)
	s_barrier
	buffer_gl0_inv
	s_cbranch_scc1 .LBB85_366
; %bb.358:                              ;   in Loop: Header=BB85_6 Depth=1
	s_add_i32 s10, s85, s59
                                        ; implicit-def: $vgpr15
	s_delay_alu instid0(SALU_CYCLE_1) | instskip(NEXT) | instid1(SALU_CYCLE_1)
	s_mul_hi_u32 s86, s10, s66
	s_mul_i32 s86, s86, s46
	s_delay_alu instid0(SALU_CYCLE_1) | instskip(NEXT) | instid1(SALU_CYCLE_1)
	s_sub_i32 s86, s10, s86
	s_sub_i32 s87, s86, s46
	s_cmp_ge_u32 s86, s46
	s_cselect_b32 s86, s87, s86
	s_delay_alu instid0(SALU_CYCLE_1)
	s_sub_i32 s87, s86, s46
	s_cmp_ge_u32 s86, s46
	s_cselect_b32 s86, s87, s86
	s_mov_b32 s87, 0
	s_sub_i32 s88, s10, s86
	s_mov_b32 s86, exec_lo
	v_cmpx_gt_u32_e64 s88, v0
	s_cbranch_execz .LBB85_368
; %bb.359:                              ;   in Loop: Header=BB85_6 Depth=1
	v_dual_mov_b32 v1, v18 :: v_dual_mov_b32 v2, v0
                                        ; implicit-def: $sgpr89
	s_set_inst_prefetch_distance 0x1
	s_branch .LBB85_361
	.p2align	6
.LBB85_360:                             ;   in Loop: Header=BB85_361 Depth=2
	s_or_b32 exec_lo, exec_lo, s10
	s_waitcnt lgkmcnt(0)
	s_barrier
	buffer_gl0_inv
	ds_load_b64 v[14:15], v8 offset:3072
	v_add_nc_u32_e32 v2, s46, v2
	v_add_nc_u32_e32 v1, s55, v1
	s_waitcnt lgkmcnt(0)
	s_barrier
	buffer_gl0_inv
	v_cmp_le_u32_e32 vcc_lo, s88, v2
	v_cmp_neq_f32_e64 s10, 0, v14
	s_delay_alu instid0(VALU_DEP_1) | instskip(NEXT) | instid1(SALU_CYCLE_1)
	s_or_b32 s90, vcc_lo, s10
	s_and_b32 s90, exec_lo, s90
	s_delay_alu instid0(SALU_CYCLE_1) | instskip(SKIP_2) | instid1(SALU_CYCLE_1)
	s_or_b32 s87, s90, s87
	s_and_not1_b32 s89, s89, exec_lo
	s_and_b32 s10, s10, exec_lo
	s_or_b32 s89, s89, s10
	s_and_not1_b32 exec_lo, exec_lo, s87
	s_cbranch_execz .LBB85_367
.LBB85_361:                             ;   Parent Loop BB85_6 Depth=1
                                        ; =>  This Inner Loop Header: Depth=2
	s_delay_alu instid0(VALU_DEP_1)
	v_cmp_gt_u32_e32 vcc_lo, s85, v2
	v_mov_b32_e32 v14, 0
	s_and_saveexec_b32 s10, vcc_lo
	s_cbranch_execz .LBB85_363
; %bb.362:                              ;   in Loop: Header=BB85_361 Depth=2
	ds_load_b32 v14, v1
.LBB85_363:                             ;   in Loop: Header=BB85_361 Depth=2
	s_or_b32 exec_lo, exec_lo, s10
	s_and_saveexec_b32 s10, vcc_lo
	s_cbranch_execz .LBB85_360
; %bb.364:                              ;   in Loop: Header=BB85_361 Depth=2
	s_waitcnt lgkmcnt(0)
	v_cmp_lt_i32_e32 vcc_lo, -1, v14
	v_cndmask_b32_e64 v4, -1, 0x80000000, vcc_lo
	v_cmp_o_f32_e32 vcc_lo, v14, v14
	s_delay_alu instid0(VALU_DEP_2) | instskip(NEXT) | instid1(VALU_DEP_1)
	v_xor_b32_e32 v4, v4, v14
	v_cndmask_b32_e32 v4, -1, v4, vcc_lo
	s_delay_alu instid0(VALU_DEP_1) | instskip(NEXT) | instid1(VALU_DEP_1)
	v_and_b32_e32 v4, v4, v28
	v_cmp_eq_u32_e32 vcc_lo, v4, v29
	s_and_b32 exec_lo, exec_lo, vcc_lo
	s_cbranch_execz .LBB85_360
; %bb.365:                              ;   in Loop: Header=BB85_361 Depth=2
	ds_store_b64 v8, v[13:14] offset:3072
	s_branch .LBB85_360
.LBB85_366:                             ;   in Loop: Header=BB85_6 Depth=1
	s_mov_b32 s10, -1
	s_mov_b32 s87, 0
                                        ; implicit-def: $sgpr85
                                        ; implicit-def: $vgpr15
	s_branch .LBB85_369
.LBB85_367:                             ;   in Loop: Header=BB85_6 Depth=1
	s_set_inst_prefetch_distance 0x2
	s_or_b32 exec_lo, exec_lo, s87
	s_delay_alu instid0(SALU_CYCLE_1)
	s_and_b32 s87, s89, exec_lo
.LBB85_368:                             ;   in Loop: Header=BB85_6 Depth=1
	s_or_b32 exec_lo, exec_lo, s86
	s_mov_b32 s10, 0
	s_mov_b32 s85, -1
.LBB85_369:                             ;   in Loop: Header=BB85_6 Depth=1
	s_and_b32 vcc_lo, exec_lo, s10
	s_mov_b32 s86, s10
	s_cbranch_vccz .LBB85_380
; %bb.370:                              ;   in Loop: Header=BB85_6 Depth=1
	s_mov_b32 s87, 0
                                        ; implicit-def: $vgpr15
	s_and_saveexec_b32 s85, s9
	s_cbranch_execz .LBB85_379
; %bb.371:                              ;   in Loop: Header=BB85_6 Depth=1
	v_mov_b32_e32 v7, v9
	v_mov_b32_e32 v1, v0
	s_mov_b32 s86, 0
                                        ; implicit-def: $sgpr87
	s_set_inst_prefetch_distance 0x1
	s_branch .LBB85_373
	.p2align	6
.LBB85_372:                             ;   in Loop: Header=BB85_373 Depth=2
	s_or_b32 exec_lo, exec_lo, s10
	s_waitcnt vmcnt(0) lgkmcnt(0)
	s_barrier
	buffer_gl0_inv
	ds_load_b64 v[14:15], v8 offset:3072
	v_add_nc_u32_e32 v1, s46, v1
	v_add_nc_u32_e32 v7, s48, v7
	s_waitcnt lgkmcnt(0)
	s_barrier
	buffer_gl0_inv
	v_cmp_le_u32_e32 vcc_lo, s67, v1
	v_cmp_neq_f32_e64 s10, 0, v14
	s_delay_alu instid0(VALU_DEP_1) | instskip(NEXT) | instid1(SALU_CYCLE_1)
	s_or_b32 s88, vcc_lo, s10
	s_and_b32 s88, exec_lo, s88
	s_delay_alu instid0(SALU_CYCLE_1) | instskip(SKIP_2) | instid1(SALU_CYCLE_1)
	s_or_b32 s86, s88, s86
	s_and_not1_b32 s87, s87, exec_lo
	s_and_b32 s10, s10, exec_lo
	s_or_b32 s87, s87, s10
	s_and_not1_b32 exec_lo, exec_lo, s86
	s_cbranch_execz .LBB85_378
.LBB85_373:                             ;   Parent Loop BB85_6 Depth=1
                                        ; =>  This Inner Loop Header: Depth=2
	s_delay_alu instid0(VALU_DEP_1)
	v_cmp_gt_u32_e32 vcc_lo, s36, v1
	v_mov_b32_e32 v14, 0
	s_and_saveexec_b32 s88, vcc_lo
	s_cbranch_execz .LBB85_375
; %bb.374:                              ;   in Loop: Header=BB85_373 Depth=2
	v_lshlrev_b64 v[14:15], 2, v[7:8]
	s_delay_alu instid0(VALU_DEP_1) | instskip(NEXT) | instid1(VALU_DEP_1)
	v_add_co_u32 v14, s10, s33, v14
	v_add_co_ci_u32_e64 v15, s10, s35, v15, s10
	global_load_b32 v14, v[14:15], off
.LBB85_375:                             ;   in Loop: Header=BB85_373 Depth=2
	s_or_b32 exec_lo, exec_lo, s88
	s_and_saveexec_b32 s10, vcc_lo
	s_cbranch_execz .LBB85_372
; %bb.376:                              ;   in Loop: Header=BB85_373 Depth=2
	s_waitcnt vmcnt(0)
	v_cmp_lt_i32_e32 vcc_lo, -1, v14
	v_cndmask_b32_e64 v2, -1, 0x80000000, vcc_lo
	v_cmp_o_f32_e32 vcc_lo, v14, v14
	s_delay_alu instid0(VALU_DEP_2) | instskip(NEXT) | instid1(VALU_DEP_1)
	v_xor_b32_e32 v2, v2, v14
	v_cndmask_b32_e32 v2, -1, v2, vcc_lo
	s_delay_alu instid0(VALU_DEP_1) | instskip(NEXT) | instid1(VALU_DEP_1)
	v_and_b32_e32 v2, v2, v28
	v_cmp_eq_u32_e32 vcc_lo, v2, v29
	s_and_b32 exec_lo, exec_lo, vcc_lo
	s_cbranch_execz .LBB85_372
; %bb.377:                              ;   in Loop: Header=BB85_373 Depth=2
	ds_store_b64 v8, v[13:14] offset:3072
	s_branch .LBB85_372
.LBB85_378:                             ;   in Loop: Header=BB85_6 Depth=1
	s_set_inst_prefetch_distance 0x2
	s_or_b32 exec_lo, exec_lo, s86
	s_delay_alu instid0(SALU_CYCLE_1)
	s_and_b32 s87, s87, exec_lo
.LBB85_379:                             ;   in Loop: Header=BB85_6 Depth=1
	s_or_b32 exec_lo, exec_lo, s85
	s_mov_b32 s85, 0
	s_mov_b32 s10, -1
	s_mov_b32 s86, 0
.LBB85_380:                             ;   in Loop: Header=BB85_6 Depth=1
	s_or_not1_b32 s87, s87, exec_lo
.LBB85_381:                             ;   in Loop: Header=BB85_6 Depth=1
	s_or_b32 exec_lo, exec_lo, s84
	s_mov_b32 s88, 0
                                        ; implicit-def: $vgpr1
                                        ; implicit-def: $vgpr2
	s_and_saveexec_b32 s84, s87
	s_cbranch_execz .LBB85_393
; %bb.382:                              ;   in Loop: Header=BB85_6 Depth=1
	v_dual_mov_b32 v1, 1 :: v_dual_mov_b32 v2, 1
	s_xor_b32 s87, s17, -1
	s_delay_alu instid0(SALU_CYCLE_1)
	s_and_saveexec_b32 s17, s87
	s_cbranch_execz .LBB85_392
; %bb.383:                              ;   in Loop: Header=BB85_6 Depth=1
	s_mov_b32 s87, exec_lo
                                        ; implicit-def: $sgpr88
	v_cmpx_ge_u32_e64 s12, v3
	s_xor_b32 s87, exec_lo, s87
	s_cbranch_execz .LBB85_389
; %bb.384:                              ;   in Loop: Header=BB85_6 Depth=1
	ds_load_b32 v1, v8 offset:4096
	s_waitcnt lgkmcnt(0)
	v_cmp_ne_u32_e32 vcc_lo, 0, v1
	s_cbranch_vccnz .LBB85_388
; %bb.385:                              ;   in Loop: Header=BB85_6 Depth=1
	s_and_saveexec_b32 s88, s5
	s_cbranch_execz .LBB85_387
; %bb.386:                              ;   in Loop: Header=BB85_6 Depth=1
	v_mov_b32_e32 v1, s12
	ds_store_b32 v8, v1 offset:4100
.LBB85_387:                             ;   in Loop: Header=BB85_6 Depth=1
	s_or_b32 exec_lo, exec_lo, s88
	s_waitcnt lgkmcnt(0)
	s_barrier
	buffer_gl0_inv
.LBB85_388:                             ;   in Loop: Header=BB85_6 Depth=1
	v_and_b32_e32 v29, s14, v29
	v_or_b32_e32 v28, s13, v28
	s_mov_b32 s88, 5
.LBB85_389:                             ;   in Loop: Header=BB85_6 Depth=1
	s_or_saveexec_b32 s13, s87
	v_mov_b32_e32 v1, s88
	s_xor_b32 exec_lo, exec_lo, s13
; %bb.390:                              ;   in Loop: Header=BB85_6 Depth=1
	v_subrev_nc_u32_e32 v3, s12, v3
	v_mov_b32_e32 v1, 5
; %bb.391:                              ;   in Loop: Header=BB85_6 Depth=1
	s_or_b32 exec_lo, exec_lo, s13
	s_delay_alu instid0(VALU_DEP_2)
	v_mov_b32_e32 v2, v3
.LBB85_392:                             ;   in Loop: Header=BB85_6 Depth=1
	s_or_b32 exec_lo, exec_lo, s17
	s_delay_alu instid0(SALU_CYCLE_1)
	s_mov_b32 s88, exec_lo
.LBB85_393:                             ;   in Loop: Header=BB85_6 Depth=1
	s_or_b32 exec_lo, exec_lo, s84
	s_delay_alu instid0(VALU_DEP_1)
	v_mov_b32_e32 v3, v2
	s_or_not1_b32 s17, s88, exec_lo
.LBB85_394:                             ;   in Loop: Header=BB85_6 Depth=1
	s_or_b32 exec_lo, exec_lo, s16
	s_delay_alu instid0(SALU_CYCLE_1)
	s_and_not1_b32 s12, s28, exec_lo
	s_and_b32 s10, s10, exec_lo
	s_and_not1_b32 s13, s82, exec_lo
	s_or_b32 s28, s12, s10
	s_and_not1_b32 s10, s29, exec_lo
	s_and_b32 s12, s85, exec_lo
	s_and_b32 s14, s86, exec_lo
	v_mov_b32_e32 v2, v3
	s_or_b32 s29, s10, s12
	s_or_b32 s82, s13, s14
	s_and_b32 s85, s17, exec_lo
.LBB85_395:                             ;   in Loop: Header=BB85_6 Depth=1
	s_or_b32 exec_lo, exec_lo, s83
	s_delay_alu instid0(SALU_CYCLE_1)
	s_and_b32 s83, s28, exec_lo
	s_and_b32 s29, s29, exec_lo
	;; [unrolled: 1-line block ×3, first 2 shown]
	s_or_not1_b32 s10, s85, exec_lo
.LBB85_396:                             ;   in Loop: Header=BB85_6 Depth=1
	s_or_b32 exec_lo, exec_lo, s18
	s_delay_alu instid0(SALU_CYCLE_1)
	s_and_not1_b32 s12, s22, exec_lo
	s_and_b32 s13, s83, exec_lo
	s_and_not1_b32 s14, s26, exec_lo
	s_or_b32 s22, s12, s13
	s_and_not1_b32 s12, s25, exec_lo
	s_and_b32 s13, s29, exec_lo
	s_and_b32 s16, s28, exec_lo
	v_mov_b32_e32 v31, v2
	s_or_b32 s25, s12, s13
	s_or_b32 s26, s14, s16
	s_and_b32 s29, s10, exec_lo
.LBB85_397:                             ;   in Loop: Header=BB85_6 Depth=1
	s_or_b32 exec_lo, exec_lo, s27
	s_delay_alu instid0(SALU_CYCLE_1)
	s_and_b32 s27, s22, exec_lo
	s_and_b32 s25, s25, exec_lo
	;; [unrolled: 1-line block ×3, first 2 shown]
	s_or_not1_b32 s26, s29, exec_lo
.LBB85_398:                             ;   in Loop: Header=BB85_6 Depth=1
	s_or_b32 exec_lo, exec_lo, s19
	s_mov_b32 s10, s20
	s_mov_b32 s12, s11
	s_and_saveexec_b32 s13, s26
; %bb.399:                              ;   in Loop: Header=BB85_6 Depth=1
	v_cmp_eq_u32_e32 vcc_lo, 5, v1
	v_cmp_ne_u32_e64 s10, 5, v1
	s_and_not1_b32 s12, s11, exec_lo
	s_and_not1_b32 s14, s20, exec_lo
	;; [unrolled: 1-line block ×3, first 2 shown]
	s_and_b32 s16, vcc_lo, exec_lo
	s_and_b32 s10, s10, exec_lo
	s_and_not1_b32 s25, s25, exec_lo
	s_and_not1_b32 s22, s22, exec_lo
	s_or_b32 s12, s12, s10
	s_or_b32 s10, s14, s16
; %bb.400:                              ;   in Loop: Header=BB85_6 Depth=1
	s_or_b32 exec_lo, exec_lo, s13
	s_delay_alu instid0(SALU_CYCLE_1)
	s_and_not1_b32 s13, s23, exec_lo
	s_and_b32 s14, s27, exec_lo
	v_dual_mov_b32 v3, v29 :: v_dual_mov_b32 v4, v28
	s_or_b32 s23, s13, s14
	s_and_not1_b32 s13, s24, exec_lo
	s_and_b32 s14, s25, exec_lo
	v_mov_b32_e32 v2, v15
	s_and_not1_b32 s15, s15, exec_lo
	s_and_b32 s16, s22, exec_lo
	s_or_b32 s24, s13, s14
	s_and_not1_b32 s11, s11, exec_lo
	s_and_b32 s12, s12, exec_lo
	s_and_not1_b32 s13, s20, exec_lo
	s_and_b32 s10, s10, exec_lo
	s_or_b32 s15, s15, s16
	s_or_b32 s11, s11, s12
	;; [unrolled: 1-line block ×3, first 2 shown]
.LBB85_401:                             ;   in Loop: Header=BB85_6 Depth=1
	s_or_b32 exec_lo, exec_lo, s21
	s_mov_b32 s22, s15
	s_mov_b32 s21, s15
	s_and_saveexec_b32 s10, s20
.LBB85_402:                             ;   in Loop: Header=BB85_6 Depth=1
	v_mov_b32_e32 v1, 0
	s_and_not1_b32 s15, s15, exec_lo
	s_and_not1_b32 s23, s23, exec_lo
	;; [unrolled: 1-line block ×5, first 2 shown]
	s_or_b32 s11, s11, exec_lo
.LBB85_403:                             ;   in Loop: Header=BB85_6 Depth=1
	s_or_b32 exec_lo, exec_lo, s10
	s_delay_alu instid0(SALU_CYCLE_1)
	s_and_not1_b32 s10, s81, exec_lo
	s_and_b32 s13, s15, exec_lo
	s_and_not1_b32 s14, s78, exec_lo
	s_or_b32 s81, s10, s13
	s_and_not1_b32 s10, s80, exec_lo
	s_and_b32 s13, s23, exec_lo
	s_and_b32 s15, s24, exec_lo
	s_or_b32 s80, s10, s13
	s_or_b32 s78, s14, s15
	s_and_not1_b32 s10, s79, exec_lo
	s_and_b32 s13, s22, exec_lo
	s_and_not1_b32 s14, s77, exec_lo
	s_and_b32 s15, s21, exec_lo
	s_mov_b32 s12, -1
	s_or_b32 s79, s10, s13
	s_or_b32 s77, s14, s15
                                        ; implicit-def: $vgpr28
                                        ; implicit-def: $vgpr29
                                        ; implicit-def: $vgpr30
                                        ; implicit-def: $vgpr15
	s_and_saveexec_b32 s10, s11
	s_delay_alu instid0(SALU_CYCLE_1)
	s_xor_b32 s10, exec_lo, s10
	s_cbranch_execz .LBB85_5
; %bb.404:                              ;   in Loop: Header=BB85_6 Depth=1
	s_mov_b32 s11, -1
	s_mov_b32 s13, exec_lo
	v_cmpx_eq_u32_e32 0, v1
	s_cbranch_execz .LBB85_4
; %bb.405:                              ;   in Loop: Header=BB85_6 Depth=1
	s_xor_b32 s71, s71, 1
	s_add_i32 s14, s76, -2
	s_cmp_eq_u32 s76, 0
	s_mov_b32 s76, s14
	s_cselect_b32 s11, -1, 0
	s_xor_b32 s12, exec_lo, -1
	s_or_not1_b32 s11, s11, exec_lo
	s_branch .LBB85_4
.LBB85_406:
	s_or_b32 exec_lo, exec_lo, s47
	s_xor_b32 s7, s75, -1
	s_xor_b32 s12, s73, -1
	s_xor_b32 s11, s74, -1
	s_xor_b32 s8, s70, -1
	s_xor_b32 s6, s72, -1
	s_mov_b32 s9, 0
	s_and_saveexec_b32 s10, s8
	s_delay_alu instid0(SALU_CYCLE_1)
	s_xor_b32 s8, exec_lo, s10
	s_cbranch_execz .LBB85_465
; %bb.407:
	s_mov_b32 s10, 0
	s_and_saveexec_b32 s9, s11
	s_delay_alu instid0(SALU_CYCLE_1)
	s_xor_b32 s9, exec_lo, s9
	s_cbranch_execz .LBB85_463
; %bb.408:
	;; [unrolled: 6-line block ×4, first 2 shown]
	s_and_saveexec_b32 s7, s6
	s_delay_alu instid0(SALU_CYCLE_1)
	s_xor_b32 s6, exec_lo, s7
; %bb.411:
	v_cmp_lt_i32_e32 vcc_lo, -1, v3
	v_cndmask_b32_e64 v1, 0x80000000, -1, vcc_lo
	s_delay_alu instid0(VALU_DEP_1)
	v_xor_b32_e32 v2, v1, v3
; %bb.412:
	s_or_b32 exec_lo, exec_lo, s6
	s_and_saveexec_b32 s6, s5
	s_cbranch_execz .LBB85_414
; %bb.413:
	v_mov_b32_e32 v1, 0
	ds_store_b32 v1, v1 offset:4108
.LBB85_414:
	s_or_b32 exec_lo, exec_lo, s6
	v_mov_b32_e32 v1, 0
	s_waitcnt lgkmcnt(0)
	s_barrier
	buffer_gl0_inv
	s_and_saveexec_b32 s5, s4
	s_cbranch_execz .LBB85_416
; %bb.415:
	global_load_b32 v1, v[5:6], off
.LBB85_416:
	s_or_b32 exec_lo, exec_lo, s5
	s_mul_i32 s6, s53, s51
	s_add_i32 s5, s36, 31
	s_sub_i32 s6, s49, s6
	s_and_not1_b32 s5, s5, 31
	s_add_i32 s7, s53, 1
	s_sub_i32 s12, s6, s51
	s_cmp_ge_u32 s6, s51
	v_cmp_lt_i32_e32 vcc_lo, -1, v2
	s_cselect_b32 s7, s7, s53
	s_cselect_b32 s6, s12, s6
	s_add_i32 s12, s7, 1
	s_cmp_ge_u32 s6, s51
	s_mul_i32 s6, s52, s50
	s_cselect_b32 s7, s12, s7
	s_sub_i32 s12, s49, s6
	s_mul_i32 s6, s7, s51
	s_mul_i32 s7, s7, s44
	s_sub_i32 s6, s49, s6
	s_add_i32 s13, s52, 1
	s_mul_i32 s6, s6, s45
	s_sub_i32 s14, s12, s50
	s_add_i32 s6, s7, s6
	s_cmp_ge_u32 s12, s50
	v_cndmask_b32_e64 v3, -1, 0x80000000, vcc_lo
	s_cselect_b32 s7, s13, s52
	s_cselect_b32 s12, s14, s12
	s_add_i32 s13, s7, 1
	s_cmp_ge_u32 s12, s50
	s_clause 0x1
	s_load_b32 s12, s[0:1], 0x1c8
	s_load_b32 s1, s[0:1], 0x2a8
	v_xor_b32_e32 v3, v3, v2
	v_cmp_o_f32_e32 vcc_lo, v2, v2
	s_cselect_b32 s7, s13, s7
	s_mov_b32 s18, -1
	s_mul_i32 s13, s7, s50
	v_cndmask_b32_e32 v9, -1, v3, vcc_lo
	v_add_nc_u32_e32 v3, s46, v0
	s_sub_i32 s0, s49, s13
	s_mul_i32 s13, s7, s42
	s_mov_b32 s7, 0
	s_mul_i32 s0, s0, s43
	s_lshl_b64 s[14:15], s[6:7], 2
	v_mul_lo_u32 v2, s34, v3
	s_add_i32 s16, s13, s0
	s_mov_b32 s17, s7
	s_add_u32 s6, s30, s14
	s_addc_u32 s13, s31, s15
	s_lshl_b64 s[14:15], s[16:17], 3
	s_mov_b32 s16, 0
	s_add_u32 s14, s40, s14
	s_addc_u32 s15, s41, s15
	s_mov_b32 s17, exec_lo
	v_cmpx_gt_u32_e64 s5, v0
	s_cbranch_execz .LBB85_434
; %bb.417:
	v_mul_lo_u32 v3, s34, v3
	v_dual_mov_b32 v4, 0 :: v_dual_mov_b32 v7, v0
                                        ; implicit-def: $sgpr18
                                        ; implicit-def: $vgpr11
	s_branch .LBB85_419
.LBB85_418:                             ;   in Loop: Header=BB85_419 Depth=1
	s_or_b32 exec_lo, exec_lo, s19
	s_xor_b32 s19, s21, -1
	s_and_b32 s0, exec_lo, s0
	s_waitcnt vmcnt(0)
	v_mov_b32_e32 v1, v12
	s_or_b32 s16, s0, s16
	v_mov_b32_e32 v7, v10
	s_and_not1_b32 s0, s18, exec_lo
	s_and_b32 s18, s19, exec_lo
	s_delay_alu instid0(SALU_CYCLE_1)
	s_or_b32 s18, s0, s18
	s_and_not1_b32 exec_lo, exec_lo, s16
	s_cbranch_execz .LBB85_433
.LBB85_419:                             ; =>This Inner Loop Header: Depth=1
	s_delay_alu instid0(VALU_DEP_1) | instskip(SKIP_2) | instid1(VALU_DEP_2)
	v_add_nc_u32_e32 v10, s46, v7
	v_mov_b32_e32 v12, 0
	s_mov_b32 s0, exec_lo
	v_cmpx_gt_u32_e64 s36, v10
	s_cbranch_execz .LBB85_421
; %bb.420:                              ;   in Loop: Header=BB85_419 Depth=1
	v_lshlrev_b64 v[12:13], 2, v[3:4]
	s_delay_alu instid0(VALU_DEP_1) | instskip(NEXT) | instid1(VALU_DEP_2)
	v_add_co_u32 v12, vcc_lo, s33, v12
	v_add_co_ci_u32_e32 v13, vcc_lo, s35, v13, vcc_lo
	global_load_b32 v12, v[12:13], off
.LBB85_421:                             ;   in Loop: Header=BB85_419 Depth=1
	s_or_b32 exec_lo, exec_lo, s0
	s_mov_b32 s19, 0
	s_mov_b32 s0, exec_lo
	v_cmpx_gt_u32_e64 s36, v7
	s_cbranch_execz .LBB85_423
; %bb.422:                              ;   in Loop: Header=BB85_419 Depth=1
	s_waitcnt vmcnt(0)
	v_cmp_lt_i32_e32 vcc_lo, -1, v1
	v_cndmask_b32_e64 v8, -1, 0x80000000, vcc_lo
	v_cmp_o_f32_e32 vcc_lo, v1, v1
	s_delay_alu instid0(VALU_DEP_2) | instskip(NEXT) | instid1(VALU_DEP_1)
	v_xor_b32_e32 v8, v8, v1
	v_cndmask_b32_e32 v8, -1, v8, vcc_lo
	s_delay_alu instid0(VALU_DEP_1) | instskip(SKIP_3) | instid1(VALU_DEP_1)
	v_cmp_gt_u32_e32 vcc_lo, v8, v9
	v_cndmask_b32_e64 v13, 0, 1, vcc_lo
	v_cmp_lt_u32_e32 vcc_lo, v8, v9
	v_cndmask_b32_e64 v8, 0, 1, vcc_lo
	v_cndmask_b32_e64 v8, v8, v13, s3
	s_delay_alu instid0(VALU_DEP_1) | instskip(NEXT) | instid1(VALU_DEP_1)
	v_and_b32_e32 v8, 1, v8
	v_cmp_eq_u32_e32 vcc_lo, 1, v8
	s_and_b32 s19, vcc_lo, exec_lo
.LBB85_423:                             ;   in Loop: Header=BB85_419 Depth=1
	s_or_b32 exec_lo, exec_lo, s0
	v_cndmask_b32_e64 v8, 0, 1, s19
	s_delay_alu instid0(VALU_DEP_1) | instskip(SKIP_2) | instid1(SALU_CYCLE_1)
	v_cmp_ne_u32_e32 vcc_lo, 0, v8
	s_cmp_lg_u32 vcc_lo, 0
	s_cselect_b32 s0, -1, 0
	s_and_b32 s0, s2, s0
	s_delay_alu instid0(SALU_CYCLE_1)
	s_and_saveexec_b32 s20, s0
	s_cbranch_execz .LBB85_427
; %bb.424:                              ;   in Loop: Header=BB85_419 Depth=1
	s_mov_b32 s23, exec_lo
	s_bcnt1_i32_b32 s21, vcc_lo
	v_mbcnt_lo_u32_b32 v8, s23, 0
	s_mov_b32 s22, exec_lo
                                        ; implicit-def: $vgpr11
	s_delay_alu instid0(VALU_DEP_1)
	v_cmpx_eq_u32_e32 0, v8
	s_cbranch_execz .LBB85_426
; %bb.425:                              ;   in Loop: Header=BB85_419 Depth=1
	s_bcnt1_i32_b32 s0, s23
	s_delay_alu instid0(SALU_CYCLE_1)
	s_mul_i32 s0, s21, s0
	s_waitcnt lgkmcnt(0)
	v_mov_b32_e32 v11, s0
	ds_add_rtn_u32 v11, v4, v11 offset:4108
.LBB85_426:                             ;   in Loop: Header=BB85_419 Depth=1
	s_or_b32 exec_lo, exec_lo, s22
	s_waitcnt lgkmcnt(0)
	v_readfirstlane_b32 s0, v11
	s_delay_alu instid0(VALU_DEP_1)
	v_mad_u32_u24 v11, s21, v8, s0
.LBB85_427:                             ;   in Loop: Header=BB85_419 Depth=1
	s_or_b32 exec_lo, exec_lo, s20
	s_waitcnt lgkmcnt(0)
	ds_bpermute_b32 v11, v4, v11
	s_mov_b32 s0, -1
	s_mov_b32 s22, -1
                                        ; implicit-def: $sgpr21
	s_and_saveexec_b32 s20, s19
	s_cbranch_execz .LBB85_431
; %bb.428:                              ;   in Loop: Header=BB85_419 Depth=1
	v_and_b32_e32 v8, vcc_lo, v16
	s_mov_b32 s19, 0
	s_mov_b32 s21, exec_lo
	s_waitcnt lgkmcnt(0)
	s_delay_alu instid0(VALU_DEP_1) | instskip(NEXT) | instid1(VALU_DEP_1)
	v_bcnt_u32_b32 v8, v8, v11
	v_cmpx_gt_u32_e64 s37, v8
	s_cbranch_execz .LBB85_430
; %bb.429:                              ;   in Loop: Header=BB85_419 Depth=1
	v_mul_lo_u32 v13, v8, s12
	v_mov_b32_e32 v14, v4
	v_mul_lo_u32 v17, v8, s1
	v_mov_b32_e32 v18, v4
	v_mov_b32_e32 v8, v4
	s_mov_b32 s19, exec_lo
	v_lshlrev_b64 v[13:14], 2, v[13:14]
	s_delay_alu instid0(VALU_DEP_3) | instskip(NEXT) | instid1(VALU_DEP_2)
	v_lshlrev_b64 v[17:18], 3, v[17:18]
	v_add_co_u32 v13, vcc_lo, s6, v13
	s_delay_alu instid0(VALU_DEP_3) | instskip(NEXT) | instid1(VALU_DEP_3)
	v_add_co_ci_u32_e32 v14, vcc_lo, s13, v14, vcc_lo
	v_add_co_u32 v17, vcc_lo, s14, v17
	s_delay_alu instid0(VALU_DEP_4)
	v_add_co_ci_u32_e32 v18, vcc_lo, s15, v18, vcc_lo
	s_waitcnt vmcnt(0)
	global_store_b32 v[13:14], v1, off
	global_store_b64 v[17:18], v[7:8], off
.LBB85_430:                             ;   in Loop: Header=BB85_419 Depth=1
	s_or_b32 exec_lo, exec_lo, s21
	s_mov_b32 s21, -1
	s_or_not1_b32 s22, s19, exec_lo
.LBB85_431:                             ;   in Loop: Header=BB85_419 Depth=1
	s_or_b32 exec_lo, exec_lo, s20
	s_and_saveexec_b32 s19, s22
	s_cbranch_execz .LBB85_418
; %bb.432:                              ;   in Loop: Header=BB85_419 Depth=1
	v_cmp_le_u32_e32 vcc_lo, s5, v10
	v_add_nc_u32_e32 v3, s48, v3
	s_and_not1_b32 s21, s21, exec_lo
	s_or_not1_b32 s0, vcc_lo, exec_lo
	s_branch .LBB85_418
.LBB85_433:
	s_or_b32 exec_lo, exec_lo, s16
	s_delay_alu instid0(SALU_CYCLE_1)
	s_mov_b32 s16, exec_lo
	s_or_not1_b32 s18, s18, exec_lo
.LBB85_434:
	s_or_b32 exec_lo, exec_lo, s17
	s_and_saveexec_b32 s3, s18
	s_cbranch_execz .LBB85_457
; %bb.435:
	v_mov_b32_e32 v3, 0
	v_mov_b32_e32 v7, 0
	s_waitcnt vmcnt(0) lgkmcnt(0)
	s_waitcnt_vscnt null, 0x0
	s_barrier
	buffer_gl0_inv
	s_and_saveexec_b32 s0, s4
	s_cbranch_execz .LBB85_437
; %bb.436:
	global_load_b32 v7, v[5:6], off
.LBB85_437:
	s_or_b32 exec_lo, exec_lo, s0
	s_mov_b32 s7, 0
                                        ; implicit-def: $sgpr4
                                        ; implicit-def: $sgpr17
                                        ; implicit-def: $sgpr18
                                        ; implicit-def: $vgpr4
	s_branch .LBB85_440
.LBB85_438:                             ;   in Loop: Header=BB85_440 Depth=1
	s_or_b32 exec_lo, exec_lo, s21
	v_mov_b32_e32 v0, v5
	v_mov_b32_e32 v7, v1
	s_and_not1_b32 s0, s18, exec_lo
	s_and_b32 s18, s23, exec_lo
	s_and_not1_b32 s17, s17, exec_lo
	s_and_b32 s20, s20, exec_lo
	s_or_b32 s18, s0, s18
	s_or_b32 s17, s17, s20
.LBB85_439:                             ;   in Loop: Header=BB85_440 Depth=1
	s_or_b32 exec_lo, exec_lo, s19
	s_xor_b32 s0, s18, -1
	s_and_b32 s19, exec_lo, s17
	s_delay_alu instid0(SALU_CYCLE_1) | instskip(SKIP_2) | instid1(SALU_CYCLE_1)
	s_or_b32 s7, s19, s7
	s_and_not1_b32 s4, s4, exec_lo
	s_and_b32 s0, s0, exec_lo
	s_or_b32 s4, s4, s0
	s_and_not1_b32 exec_lo, exec_lo, s7
	s_cbranch_execz .LBB85_455
.LBB85_440:                             ; =>This Inner Loop Header: Depth=1
	s_or_b32 s18, s18, exec_lo
	s_or_b32 s17, s17, exec_lo
	s_mov_b32 s19, exec_lo
	v_cmpx_gt_u32_e64 s5, v0
	s_cbranch_execz .LBB85_439
; %bb.441:                              ;   in Loop: Header=BB85_440 Depth=1
	v_dual_mov_b32 v6, 0 :: v_dual_add_nc_u32 v5, s46, v0
	s_mov_b32 s0, exec_lo
	s_delay_alu instid0(VALU_DEP_1)
	v_cmpx_gt_u32_e64 s36, v5
	s_cbranch_execz .LBB85_443
; %bb.442:                              ;   in Loop: Header=BB85_440 Depth=1
	v_lshlrev_b64 v[10:11], 2, v[2:3]
	s_delay_alu instid0(VALU_DEP_1) | instskip(NEXT) | instid1(VALU_DEP_2)
	v_add_co_u32 v10, vcc_lo, s33, v10
	v_add_co_ci_u32_e32 v11, vcc_lo, s35, v11, vcc_lo
	global_load_b32 v6, v[10:11], off
.LBB85_443:                             ;   in Loop: Header=BB85_440 Depth=1
	s_or_b32 exec_lo, exec_lo, s0
	s_waitcnt vmcnt(0)
	v_cmp_lt_i32_e32 vcc_lo, -1, v7
	v_cndmask_b32_e64 v1, -1, 0x80000000, vcc_lo
	v_cmp_o_f32_e32 vcc_lo, v7, v7
	s_delay_alu instid0(VALU_DEP_2) | instskip(NEXT) | instid1(VALU_DEP_1)
	v_xor_b32_e32 v1, v1, v7
	v_cndmask_b32_e32 v1, -1, v1, vcc_lo
	v_cmp_gt_u32_e32 vcc_lo, s36, v0
	s_delay_alu instid0(VALU_DEP_2) | instskip(NEXT) | instid1(VALU_DEP_1)
	v_cmp_eq_u32_e64 s0, v1, v9
	s_and_b32 s21, vcc_lo, s0
	s_delay_alu instid0(SALU_CYCLE_1) | instskip(NEXT) | instid1(VALU_DEP_1)
	v_cndmask_b32_e64 v1, 0, 1, s21
	v_cmp_ne_u32_e32 vcc_lo, 0, v1
	s_cmp_lg_u32 vcc_lo, 0
	s_cselect_b32 s0, -1, 0
	s_delay_alu instid0(SALU_CYCLE_1) | instskip(NEXT) | instid1(SALU_CYCLE_1)
	s_and_b32 s0, s2, s0
	s_and_saveexec_b32 s20, s0
	s_cbranch_execz .LBB85_447
; %bb.444:                              ;   in Loop: Header=BB85_440 Depth=1
	s_mov_b32 s24, exec_lo
	s_bcnt1_i32_b32 s22, vcc_lo
	v_mbcnt_lo_u32_b32 v1, s24, 0
	s_mov_b32 s23, exec_lo
                                        ; implicit-def: $vgpr4
	s_delay_alu instid0(VALU_DEP_1)
	v_cmpx_eq_u32_e32 0, v1
	s_cbranch_execz .LBB85_446
; %bb.445:                              ;   in Loop: Header=BB85_440 Depth=1
	s_bcnt1_i32_b32 s0, s24
	s_delay_alu instid0(SALU_CYCLE_1) | instskip(NEXT) | instid1(SALU_CYCLE_1)
	s_mul_i32 s0, s22, s0
	v_mov_b32_e32 v4, s0
	ds_add_rtn_u32 v4, v3, v4 offset:4108
.LBB85_446:                             ;   in Loop: Header=BB85_440 Depth=1
	s_or_b32 exec_lo, exec_lo, s23
	s_waitcnt lgkmcnt(0)
	v_readfirstlane_b32 s0, v4
	s_delay_alu instid0(VALU_DEP_1)
	v_mad_u32_u24 v4, s22, v1, s0
.LBB85_447:                             ;   in Loop: Header=BB85_440 Depth=1
	s_or_b32 exec_lo, exec_lo, s20
	ds_bpermute_b32 v4, v3, v4
	s_cmp_eq_u32 vcc_lo, 0
	s_mov_b32 s20, -1
	s_cselect_b32 s22, -1, 0
	s_mov_b32 s23, -1
	s_waitcnt lgkmcnt(0)
	v_cmp_gt_u32_e64 s0, s37, v4
	s_delay_alu instid0(VALU_DEP_1) | instskip(SKIP_3) | instid1(SALU_CYCLE_1)
	s_or_b32 s0, s22, s0
	s_mov_b32 s22, -1
	v_cndmask_b32_e64 v1, v7, v6, s0
	s_and_b32 s24, s21, s0
	s_and_saveexec_b32 s21, s24
	s_cbranch_execz .LBB85_453
; %bb.448:                              ;   in Loop: Header=BB85_440 Depth=1
	v_and_b32_e32 v1, vcc_lo, v16
	v_sub_nc_u32_e32 v8, s37, v4
	s_mov_b32 s24, -1
	s_mov_b32 s23, exec_lo
	s_delay_alu instid0(VALU_DEP_2) | instskip(NEXT) | instid1(VALU_DEP_1)
	v_bcnt_u32_b32 v1, v1, 0
	v_cmp_le_u32_e64 s22, v8, v1
	v_cmpx_gt_u32_e64 v8, v1
	s_cbranch_execz .LBB85_452
; %bb.449:                              ;   in Loop: Header=BB85_440 Depth=1
	v_add_nc_u32_e32 v1, v4, v1
	s_delay_alu instid0(VALU_DEP_3) | instskip(SKIP_1) | instid1(VALU_DEP_1)
	s_mov_b32 s25, s22
	s_mov_b32 s24, exec_lo
	v_cmpx_gt_u32_e64 s37, v1
	s_cbranch_execz .LBB85_451
; %bb.450:                              ;   in Loop: Header=BB85_440 Depth=1
	v_mul_lo_u32 v10, v1, s12
	v_mov_b32_e32 v11, v3
	v_mul_lo_u32 v12, v1, s1
	v_mov_b32_e32 v13, v3
	v_mov_b32_e32 v1, v3
	s_or_b32 s25, s22, exec_lo
	v_lshlrev_b64 v[10:11], 2, v[10:11]
	s_delay_alu instid0(VALU_DEP_3) | instskip(NEXT) | instid1(VALU_DEP_2)
	v_lshlrev_b64 v[12:13], 3, v[12:13]
	v_add_co_u32 v10, vcc_lo, s6, v10
	s_delay_alu instid0(VALU_DEP_3) | instskip(NEXT) | instid1(VALU_DEP_3)
	v_add_co_ci_u32_e32 v11, vcc_lo, s13, v11, vcc_lo
	v_add_co_u32 v12, vcc_lo, s14, v12
	s_delay_alu instid0(VALU_DEP_4)
	v_add_co_ci_u32_e32 v13, vcc_lo, s15, v13, vcc_lo
	global_store_b32 v[10:11], v7, off
	global_store_b64 v[12:13], v[0:1], off
.LBB85_451:                             ;   in Loop: Header=BB85_440 Depth=1
	s_or_b32 exec_lo, exec_lo, s24
	s_delay_alu instid0(SALU_CYCLE_1)
	s_and_not1_b32 s22, s22, exec_lo
	s_and_b32 s25, s25, exec_lo
	s_xor_b32 s24, exec_lo, -1
	s_or_b32 s22, s22, s25
.LBB85_452:                             ;   in Loop: Header=BB85_440 Depth=1
	s_or_b32 exec_lo, exec_lo, s23
	v_mov_b32_e32 v1, v6
	s_or_not1_b32 s23, s24, exec_lo
	s_or_b32 s0, s0, exec_lo
	s_or_not1_b32 s22, s22, exec_lo
.LBB85_453:                             ;   in Loop: Header=BB85_440 Depth=1
	s_or_b32 exec_lo, exec_lo, s21
	s_and_saveexec_b32 s21, s22
	s_cbranch_execz .LBB85_438
; %bb.454:                              ;   in Loop: Header=BB85_440 Depth=1
	v_add_nc_u32_e32 v2, s48, v2
	s_xor_b32 s0, s0, -1
	s_or_b32 s23, s23, exec_lo
	s_or_not1_b32 s20, s0, exec_lo
	s_branch .LBB85_438
.LBB85_455:
	s_or_b32 exec_lo, exec_lo, s7
	s_mov_b32 s0, 0
	s_and_saveexec_b32 s1, s4
	s_delay_alu instid0(SALU_CYCLE_1)
	s_xor_b32 s1, exec_lo, s1
	s_cbranch_execnz .LBB85_487
.LBB85_456:
	s_or_b32 exec_lo, exec_lo, s1
	s_delay_alu instid0(SALU_CYCLE_1)
	s_and_b32 s7, s0, exec_lo
	s_and_not1_b32 s16, s16, exec_lo
.LBB85_457:
	s_or_b32 exec_lo, exec_lo, s3
	s_and_saveexec_b32 s0, s16
	s_delay_alu instid0(SALU_CYCLE_1)
	s_xor_b32 s0, exec_lo, s0
	s_cbranch_execnz .LBB85_483
.LBB85_458:
	s_or_b32 exec_lo, exec_lo, s0
	s_waitcnt lgkmcnt(0)
	s_and_b32 s12, s7, exec_lo
.LBB85_459:
	s_and_not1_saveexec_b32 s0, s11
	s_cbranch_execnz .LBB85_479
.LBB85_460:
	s_or_b32 exec_lo, exec_lo, s0
	s_delay_alu instid0(SALU_CYCLE_1)
	s_and_b32 s11, s12, exec_lo
.LBB85_461:
	s_and_not1_saveexec_b32 s0, s10
	s_cbranch_execnz .LBB85_475
.LBB85_462:
	s_or_b32 exec_lo, exec_lo, s0
	s_delay_alu instid0(SALU_CYCLE_1)
	s_and_b32 s10, s11, exec_lo
.LBB85_463:
	s_and_not1_saveexec_b32 s0, s9
	s_cbranch_execnz .LBB85_471
.LBB85_464:
	s_or_b32 exec_lo, exec_lo, s0
	s_delay_alu instid0(SALU_CYCLE_1)
	s_and_b32 s9, s10, exec_lo
.LBB85_465:
	s_and_not1_saveexec_b32 s0, s8
	s_cbranch_execnz .LBB85_469
; %bb.466:
	s_or_b32 exec_lo, exec_lo, s0
	s_and_saveexec_b32 s0, s9
.LBB85_467:
	; divergent unreachable
.LBB85_468:
	s_nop 0
	s_sendmsg sendmsg(MSG_DEALLOC_VGPRS)
	s_endpgm
.LBB85_469:
	s_cbranch_execnz .LBB85_473
; %bb.470:
	s_or_b32 s9, s9, exec_lo
	s_or_b32 exec_lo, exec_lo, s0
	s_and_saveexec_b32 s0, s9
	s_cbranch_execnz .LBB85_467
	s_branch .LBB85_468
.LBB85_471:
	s_cbranch_execnz .LBB85_477
; %bb.472:
	s_or_b32 s10, s10, exec_lo
	s_branch .LBB85_464
.LBB85_473:
	s_trap 2
	s_sendmsg_rtn_b32 s0, sendmsg(MSG_RTN_GET_DOORBELL)
	s_mov_b32 ttmp2, m0
	s_waitcnt lgkmcnt(0)
	s_and_b32 s0, s0, 0x3ff
	s_delay_alu instid0(SALU_CYCLE_1) | instskip(NEXT) | instid1(SALU_CYCLE_1)
	s_bitset1_b32 s0, 10
	s_mov_b32 m0, s0
	s_sendmsg sendmsg(MSG_INTERRUPT)
	s_mov_b32 m0, ttmp2
.LBB85_474:                             ; =>This Inner Loop Header: Depth=1
	s_sethalt 5
	s_branch .LBB85_474
.LBB85_475:
	s_cbranch_execnz .LBB85_481
; %bb.476:
	s_or_b32 s11, s11, exec_lo
	s_branch .LBB85_462
.LBB85_477:
	s_trap 2
	s_sendmsg_rtn_b32 s0, sendmsg(MSG_RTN_GET_DOORBELL)
	s_mov_b32 ttmp2, m0
	s_waitcnt lgkmcnt(0)
	s_and_b32 s0, s0, 0x3ff
	s_delay_alu instid0(SALU_CYCLE_1) | instskip(NEXT) | instid1(SALU_CYCLE_1)
	s_bitset1_b32 s0, 10
	s_mov_b32 m0, s0
	s_sendmsg sendmsg(MSG_INTERRUPT)
	s_mov_b32 m0, ttmp2
.LBB85_478:                             ; =>This Inner Loop Header: Depth=1
	s_sethalt 5
	s_branch .LBB85_478
.LBB85_479:
	s_cbranch_execnz .LBB85_485
; %bb.480:
	s_or_b32 s12, s12, exec_lo
	s_branch .LBB85_460
.LBB85_481:
	s_trap 2
	s_sendmsg_rtn_b32 s0, sendmsg(MSG_RTN_GET_DOORBELL)
	s_mov_b32 ttmp2, m0
	s_waitcnt lgkmcnt(0)
	s_and_b32 s0, s0, 0x3ff
	s_delay_alu instid0(SALU_CYCLE_1) | instskip(NEXT) | instid1(SALU_CYCLE_1)
	s_bitset1_b32 s0, 10
	s_mov_b32 m0, s0
	s_sendmsg sendmsg(MSG_INTERRUPT)
	s_mov_b32 m0, ttmp2
.LBB85_482:                             ; =>This Inner Loop Header: Depth=1
	s_sethalt 5
	s_branch .LBB85_482
.LBB85_483:
	s_cbranch_execnz .LBB85_489
; %bb.484:
	s_or_b32 s7, s7, exec_lo
	s_branch .LBB85_458
.LBB85_485:
	s_trap 2
	s_sendmsg_rtn_b32 s0, sendmsg(MSG_RTN_GET_DOORBELL)
	s_mov_b32 ttmp2, m0
	s_waitcnt lgkmcnt(0)
	s_and_b32 s0, s0, 0x3ff
	s_delay_alu instid0(SALU_CYCLE_1) | instskip(NEXT) | instid1(SALU_CYCLE_1)
	s_bitset1_b32 s0, 10
	s_mov_b32 m0, s0
	s_sendmsg sendmsg(MSG_INTERRUPT)
	s_mov_b32 m0, ttmp2
.LBB85_486:                             ; =>This Inner Loop Header: Depth=1
	s_sethalt 5
	s_branch .LBB85_486
.LBB85_487:
	s_cbranch_execnz .LBB85_491
; %bb.488:
	s_mov_b32 s0, exec_lo
	s_branch .LBB85_456
.LBB85_489:
	s_trap 2
	s_sendmsg_rtn_b32 s0, sendmsg(MSG_RTN_GET_DOORBELL)
	s_mov_b32 ttmp2, m0
	s_waitcnt lgkmcnt(0)
	s_and_b32 s0, s0, 0x3ff
	s_delay_alu instid0(SALU_CYCLE_1) | instskip(NEXT) | instid1(SALU_CYCLE_1)
	s_bitset1_b32 s0, 10
	s_mov_b32 m0, s0
	s_sendmsg sendmsg(MSG_INTERRUPT)
	s_mov_b32 m0, ttmp2
.LBB85_490:                             ; =>This Inner Loop Header: Depth=1
	s_sethalt 5
	s_branch .LBB85_490
.LBB85_491:
	s_trap 2
	s_sendmsg_rtn_b32 s0, sendmsg(MSG_RTN_GET_DOORBELL)
	s_mov_b32 ttmp2, m0
	s_waitcnt lgkmcnt(0)
	s_and_b32 s0, s0, 0x3ff
	s_delay_alu instid0(SALU_CYCLE_1) | instskip(NEXT) | instid1(SALU_CYCLE_1)
	s_bitset1_b32 s0, 10
	s_mov_b32 m0, s0
	s_sendmsg sendmsg(MSG_INTERRUPT)
	s_mov_b32 m0, ttmp2
.LBB85_492:                             ; =>This Inner Loop Header: Depth=1
	s_sethalt 5
	s_branch .LBB85_492
	.section	.rodata,"a",@progbits
	.p2align	6, 0x0
	.amdhsa_kernel _ZN2at6native6sbtopk10gatherTopKIfjLi2ELb0EEEvNS_4cuda6detail10TensorInfoIKT_T0_EES8_S8_bS8_S8_NS5_IS6_S8_EES8_NS5_IlS8_EES8_PS6_
		.amdhsa_group_segment_fixed_size 4112
		.amdhsa_private_segment_fixed_size 0
		.amdhsa_kernarg_size 952
		.amdhsa_user_sgpr_count 13
		.amdhsa_user_sgpr_dispatch_ptr 0
		.amdhsa_user_sgpr_queue_ptr 0
		.amdhsa_user_sgpr_kernarg_segment_ptr 1
		.amdhsa_user_sgpr_dispatch_id 0
		.amdhsa_user_sgpr_private_segment_size 0
		.amdhsa_wavefront_size32 1
		.amdhsa_uses_dynamic_stack 0
		.amdhsa_enable_private_segment 0
		.amdhsa_system_sgpr_workgroup_id_x 1
		.amdhsa_system_sgpr_workgroup_id_y 1
		.amdhsa_system_sgpr_workgroup_id_z 1
		.amdhsa_system_sgpr_workgroup_info 0
		.amdhsa_system_vgpr_workitem_id 0
		.amdhsa_next_free_vgpr 43
		.amdhsa_next_free_sgpr 95
		.amdhsa_reserve_vcc 1
		.amdhsa_float_round_mode_32 0
		.amdhsa_float_round_mode_16_64 0
		.amdhsa_float_denorm_mode_32 3
		.amdhsa_float_denorm_mode_16_64 3
		.amdhsa_dx10_clamp 1
		.amdhsa_ieee_mode 1
		.amdhsa_fp16_overflow 0
		.amdhsa_workgroup_processor_mode 1
		.amdhsa_memory_ordered 1
		.amdhsa_forward_progress 0
		.amdhsa_shared_vgpr_count 0
		.amdhsa_exception_fp_ieee_invalid_op 0
		.amdhsa_exception_fp_denorm_src 0
		.amdhsa_exception_fp_ieee_div_zero 0
		.amdhsa_exception_fp_ieee_overflow 0
		.amdhsa_exception_fp_ieee_underflow 0
		.amdhsa_exception_fp_ieee_inexact 0
		.amdhsa_exception_int_div_zero 0
	.end_amdhsa_kernel
	.section	.text._ZN2at6native6sbtopk10gatherTopKIfjLi2ELb0EEEvNS_4cuda6detail10TensorInfoIKT_T0_EES8_S8_bS8_S8_NS5_IS6_S8_EES8_NS5_IlS8_EES8_PS6_,"axG",@progbits,_ZN2at6native6sbtopk10gatherTopKIfjLi2ELb0EEEvNS_4cuda6detail10TensorInfoIKT_T0_EES8_S8_bS8_S8_NS5_IS6_S8_EES8_NS5_IlS8_EES8_PS6_,comdat
.Lfunc_end85:
	.size	_ZN2at6native6sbtopk10gatherTopKIfjLi2ELb0EEEvNS_4cuda6detail10TensorInfoIKT_T0_EES8_S8_bS8_S8_NS5_IS6_S8_EES8_NS5_IlS8_EES8_PS6_, .Lfunc_end85-_ZN2at6native6sbtopk10gatherTopKIfjLi2ELb0EEEvNS_4cuda6detail10TensorInfoIKT_T0_EES8_S8_bS8_S8_NS5_IS6_S8_EES8_NS5_IlS8_EES8_PS6_
                                        ; -- End function
	.section	.AMDGPU.csdata,"",@progbits
; Kernel info:
; codeLenInByte = 16384
; NumSgprs: 97
; NumVgprs: 43
; ScratchSize: 0
; MemoryBound: 0
; FloatMode: 240
; IeeeMode: 1
; LDSByteSize: 4112 bytes/workgroup (compile time only)
; SGPRBlocks: 12
; VGPRBlocks: 5
; NumSGPRsForWavesPerEU: 97
; NumVGPRsForWavesPerEU: 43
; Occupancy: 16
; WaveLimiterHint : 1
; COMPUTE_PGM_RSRC2:SCRATCH_EN: 0
; COMPUTE_PGM_RSRC2:USER_SGPR: 13
; COMPUTE_PGM_RSRC2:TRAP_HANDLER: 0
; COMPUTE_PGM_RSRC2:TGID_X_EN: 1
; COMPUTE_PGM_RSRC2:TGID_Y_EN: 1
; COMPUTE_PGM_RSRC2:TGID_Z_EN: 1
; COMPUTE_PGM_RSRC2:TIDIG_COMP_CNT: 0
	.section	.text._ZN2at6native6mbtopk23computeBlockDigitCountsIfjjLi3EEEvNS_4cuda6detail10TensorInfoIKT_T0_EEjPjjS8_iijT1_PSB_Ps,"axG",@progbits,_ZN2at6native6mbtopk23computeBlockDigitCountsIfjjLi3EEEvNS_4cuda6detail10TensorInfoIKT_T0_EEjPjjS8_iijT1_PSB_Ps,comdat
	.protected	_ZN2at6native6mbtopk23computeBlockDigitCountsIfjjLi3EEEvNS_4cuda6detail10TensorInfoIKT_T0_EEjPjjS8_iijT1_PSB_Ps ; -- Begin function _ZN2at6native6mbtopk23computeBlockDigitCountsIfjjLi3EEEvNS_4cuda6detail10TensorInfoIKT_T0_EEjPjjS8_iijT1_PSB_Ps
	.globl	_ZN2at6native6mbtopk23computeBlockDigitCountsIfjjLi3EEEvNS_4cuda6detail10TensorInfoIKT_T0_EEjPjjS8_iijT1_PSB_Ps
	.p2align	8
	.type	_ZN2at6native6mbtopk23computeBlockDigitCountsIfjjLi3EEEvNS_4cuda6detail10TensorInfoIKT_T0_EEjPjjS8_iijT1_PSB_Ps,@function
_ZN2at6native6mbtopk23computeBlockDigitCountsIfjjLi3EEEvNS_4cuda6detail10TensorInfoIKT_T0_EEjPjjS8_iijT1_PSB_Ps: ; @_ZN2at6native6mbtopk23computeBlockDigitCountsIfjjLi3EEEvNS_4cuda6detail10TensorInfoIKT_T0_EEjPjjS8_iijT1_PSB_Ps
; %bb.0:
	s_clause 0x2
	s_load_b64 s[2:3], s[0:1], 0xf8
	s_load_b128 s[8:11], s[0:1], 0xe8
	s_load_b64 s[4:5], s[0:1], 0x110
	s_waitcnt lgkmcnt(0)
	v_cvt_f32_u32_e32 v1, s2
	s_sub_i32 s7, 0, s2
	s_mul_i32 s5, s5, s15
	s_mov_b32 s15, 0
	s_add_i32 s5, s5, s14
	v_rcp_iflag_f32_e32 v1, v1
	s_mul_i32 s18, s5, s4
	s_delay_alu instid0(SALU_CYCLE_1) | instskip(SKIP_2) | instid1(VALU_DEP_1)
	s_add_i32 s18, s18, s13
	s_waitcnt_depctr 0xfff
	v_mul_f32_e32 v1, 0x4f7ffffe, v1
	v_cvt_u32_f32_e32 v1, v1
	s_delay_alu instid0(VALU_DEP_1) | instskip(NEXT) | instid1(VALU_DEP_1)
	v_readfirstlane_b32 s6, v1
	s_mul_i32 s7, s7, s6
	s_delay_alu instid0(SALU_CYCLE_1) | instskip(NEXT) | instid1(SALU_CYCLE_1)
	s_mul_hi_u32 s4, s6, s7
	s_add_i32 s6, s6, s4
	s_delay_alu instid0(SALU_CYCLE_1) | instskip(NEXT) | instid1(SALU_CYCLE_1)
	s_mul_hi_u32 s4, s18, s6
	s_mul_i32 s5, s4, s2
	s_add_i32 s6, s4, 1
	s_sub_i32 s5, s18, s5
	s_delay_alu instid0(SALU_CYCLE_1)
	s_sub_i32 s7, s5, s2
	s_cmp_ge_u32 s5, s2
	s_cselect_b32 s4, s6, s4
	s_cselect_b32 s5, s7, s5
	s_add_i32 s6, s4, 1
	s_cmp_ge_u32 s5, s2
	s_cselect_b32 s14, s6, s4
	s_delay_alu instid0(SALU_CYCLE_1)
	s_cmp_ge_u32 s14, s8
	s_cbranch_scc1 .LBB86_29
; %bb.1:
	s_clause 0x1
	s_load_b64 s[12:13], s[0:1], 0xc
	s_load_b128 s[4:7], s[0:1], 0x100
	s_lshl_b64 s[16:17], s[14:15], 2
	v_cmp_gt_u32_e32 vcc_lo, 0x100, v0
	v_lshlrev_b32_e32 v3, 2, v0
	s_waitcnt lgkmcnt(0)
	v_cvt_f32_u32_e32 v1, s13
	v_cvt_f32_u32_e32 v2, s12
	s_add_u32 s16, s4, s16
	s_addc_u32 s17, s5, s17
	s_sub_i32 s4, 0, s13
	v_rcp_iflag_f32_e32 v1, v1
	v_rcp_iflag_f32_e32 v2, v2
	s_waitcnt_depctr 0xfff
	v_mul_f32_e32 v1, 0x4f7ffffe, v1
	s_delay_alu instid0(VALU_DEP_1) | instskip(NEXT) | instid1(VALU_DEP_1)
	v_cvt_u32_f32_e32 v1, v1
	v_readfirstlane_b32 s8, v1
	v_mul_f32_e32 v1, 0x4f7ffffe, v2
	s_delay_alu instid0(VALU_DEP_2) | instskip(NEXT) | instid1(VALU_DEP_1)
	s_mul_i32 s4, s4, s8
	v_cvt_u32_f32_e32 v1, v1
	s_mul_hi_u32 s4, s8, s4
	s_delay_alu instid0(SALU_CYCLE_1) | instskip(NEXT) | instid1(VALU_DEP_1)
	s_add_i32 s8, s8, s4
	v_readfirstlane_b32 s19, v1
	s_mul_hi_u32 s4, s14, s8
	s_delay_alu instid0(SALU_CYCLE_1) | instskip(SKIP_2) | instid1(SALU_CYCLE_1)
	s_mul_i32 s5, s4, s13
	s_add_i32 s8, s4, 1
	s_sub_i32 s5, s14, s5
	s_sub_i32 s15, s5, s13
	s_cmp_ge_u32 s5, s13
	s_cselect_b32 s4, s8, s4
	s_cselect_b32 s5, s15, s5
	s_add_i32 s8, s4, 1
	s_cmp_ge_u32 s5, s13
	s_cselect_b32 s4, s8, s4
	s_and_saveexec_b32 s5, vcc_lo
	s_cbranch_execz .LBB86_3
; %bb.2:
	v_mov_b32_e32 v1, 0
	ds_store_b32 v3, v1
.LBB86_3:
	s_or_b32 exec_lo, exec_lo, s5
	s_load_b32 s8, s[0:1], 0xd8
	s_mul_i32 s5, s14, s2
	s_waitcnt lgkmcnt(0)
	s_sub_i32 s5, s18, s5
	s_barrier
	s_mul_i32 s15, s11, s5
	s_add_i32 s5, s5, 1
	s_lshl_b32 s15, s15, 8
	buffer_gl0_inv
	s_sub_i32 s20, s8, s15
	s_delay_alu instid0(SALU_CYCLE_1) | instskip(SKIP_4) | instid1(VALU_DEP_1)
	s_add_u32 s20, s20, 0xff
	s_addc_u32 s21, 0, 0
	s_cmp_lt_u32 s5, s2
	v_alignbit_b32 v1, s21, s20, 8
	s_mov_b32 s5, 0
	v_readfirstlane_b32 s20, v1
	s_delay_alu instid0(VALU_DEP_1) | instskip(NEXT) | instid1(SALU_CYCLE_1)
	s_cselect_b32 s11, s11, s20
	s_cmp_lt_i32 s11, 1
	s_cbranch_scc1 .LBB86_25
; %bb.4:
	s_sub_i32 s2, 0, s12
	s_clause 0x1
	s_load_b128 s[20:23], s[0:1], 0x6c
	s_load_b64 s[24:25], s[0:1], 0x0
	s_mul_i32 s2, s2, s19
	s_mul_i32 s13, s4, s13
	s_mul_hi_u32 s2, s19, s2
	s_sub_i32 s13, s14, s13
	s_add_i32 s19, s19, s2
	s_delay_alu instid0(SALU_CYCLE_1) | instskip(NEXT) | instid1(SALU_CYCLE_1)
	s_mul_hi_u32 s2, s4, s19
	s_mul_i32 s19, s2, s12
	s_delay_alu instid0(SALU_CYCLE_1)
	s_sub_i32 s14, s4, s19
	s_add_i32 s19, s2, 1
	s_waitcnt lgkmcnt(0)
	s_sub_i32 s23, s14, s12
	s_cmp_ge_u32 s14, s12
	s_cselect_b32 s0, s19, s2
	s_cselect_b32 s1, s23, s14
	s_add_i32 s2, s0, 1
	s_cmp_ge_u32 s1, s12
	s_load_b32 s1, s[16:17], 0x0
	s_cselect_b32 s0, s2, s0
	s_mul_i32 s13, s13, s22
	s_mul_i32 s2, s0, s12
	;; [unrolled: 1-line block ×3, first 2 shown]
	s_sub_i32 s2, s4, s2
	s_delay_alu instid0(SALU_CYCLE_1) | instskip(NEXT) | instid1(SALU_CYCLE_1)
	s_mul_i32 s2, s2, s21
	s_add_i32 s2, s2, s13
	s_delay_alu instid0(SALU_CYCLE_1) | instskip(NEXT) | instid1(SALU_CYCLE_1)
	s_add_i32 s4, s2, s0
	s_lshl_b64 s[12:13], s[4:5], 2
	s_delay_alu instid0(SALU_CYCLE_1)
	s_add_u32 s2, s24, s12
	s_addc_u32 s4, s25, s13
	s_and_b32 s10, s10, 0xff
	s_cmp_lt_u32 s11, 4
	s_cbranch_scc1 .LBB86_19
; %bb.5:
	v_add_nc_u32_e32 v1, s15, v0
	s_and_b32 s5, s11, 0x7ffffffc
	s_lshl_b32 s12, s9, 10
	s_mov_b32 s13, 0
	s_mov_b32 s14, 0
	v_dual_mov_b32 v9, 1 :: v_dual_add_nc_u32 v2, 0x200, v1
	s_delay_alu instid0(VALU_DEP_1) | instskip(SKIP_4) | instid1(VALU_DEP_3)
	v_mul_lo_u32 v6, s9, v2
	v_mov_b32_e32 v2, 0
	v_add_nc_u32_e32 v4, 0x300, v1
	v_add_nc_u32_e32 v7, 0x100, v1
	v_mul_lo_u32 v8, s9, v1
	v_mul_lo_u32 v5, s9, v4
	s_delay_alu instid0(VALU_DEP_3)
	v_mul_lo_u32 v7, s9, v7
	s_branch .LBB86_7
.LBB86_6:                               ;   in Loop: Header=BB86_7 Depth=1
	s_or_b32 exec_lo, exec_lo, s16
	v_add_nc_u32_e32 v4, 0x400, v4
	s_add_i32 s14, s14, 4
	s_add_i32 s13, s13, s12
	s_cmp_eq_u32 s5, s14
	s_cbranch_scc1 .LBB86_19
.LBB86_7:                               ; =>This Inner Loop Header: Depth=1
	v_add_nc_u32_e32 v1, 0xfffffd00, v4
	s_mov_b32 s16, exec_lo
	s_delay_alu instid0(VALU_DEP_1)
	v_cmpx_gt_u32_e64 s8, v1
	s_cbranch_execz .LBB86_10
; %bb.8:                                ;   in Loop: Header=BB86_7 Depth=1
	v_add_nc_u32_e32 v1, s13, v8
	s_delay_alu instid0(VALU_DEP_1) | instskip(NEXT) | instid1(VALU_DEP_1)
	v_lshlrev_b64 v[10:11], 2, v[1:2]
	v_add_co_u32 v10, s0, s2, v10
	s_delay_alu instid0(VALU_DEP_1) | instskip(SKIP_3) | instid1(VALU_DEP_1)
	v_add_co_ci_u32_e64 v11, s0, s4, v11, s0
	global_load_b32 v1, v[10:11], off
	s_waitcnt vmcnt(0)
	v_cmp_lt_i32_e64 s0, -1, v1
	v_cndmask_b32_e64 v10, -1, 0x80000000, s0
	v_cmp_o_f32_e64 s0, v1, v1
	s_delay_alu instid0(VALU_DEP_2) | instskip(NEXT) | instid1(VALU_DEP_1)
	v_xor_b32_e32 v10, v10, v1
	v_cndmask_b32_e64 v1, -1, v10, s0
	s_waitcnt lgkmcnt(0)
	s_delay_alu instid0(VALU_DEP_1) | instskip(NEXT) | instid1(VALU_DEP_1)
	v_xor_b32_e32 v10, s1, v1
	v_and_b32_e32 v10, s3, v10
	s_delay_alu instid0(VALU_DEP_1) | instskip(NEXT) | instid1(VALU_DEP_1)
	v_cmp_eq_u32_e64 s0, 0, v10
	s_and_b32 exec_lo, exec_lo, s0
	s_cbranch_execz .LBB86_10
; %bb.9:                                ;   in Loop: Header=BB86_7 Depth=1
	v_bfe_u32 v1, v1, s10, 8
	s_delay_alu instid0(VALU_DEP_1)
	v_lshlrev_b32_e32 v1, 2, v1
	ds_add_u32 v1, v9
.LBB86_10:                              ;   in Loop: Header=BB86_7 Depth=1
	s_or_b32 exec_lo, exec_lo, s16
	v_add_nc_u32_e32 v1, 0xfffffe00, v4
	s_mov_b32 s16, exec_lo
	s_delay_alu instid0(VALU_DEP_1)
	v_cmpx_gt_u32_e64 s8, v1
	s_cbranch_execz .LBB86_13
; %bb.11:                               ;   in Loop: Header=BB86_7 Depth=1
	v_add_nc_u32_e32 v1, s13, v7
	s_delay_alu instid0(VALU_DEP_1) | instskip(NEXT) | instid1(VALU_DEP_1)
	v_lshlrev_b64 v[10:11], 2, v[1:2]
	v_add_co_u32 v10, s0, s2, v10
	s_delay_alu instid0(VALU_DEP_1) | instskip(SKIP_3) | instid1(VALU_DEP_1)
	v_add_co_ci_u32_e64 v11, s0, s4, v11, s0
	global_load_b32 v1, v[10:11], off
	s_waitcnt vmcnt(0)
	v_cmp_lt_i32_e64 s0, -1, v1
	v_cndmask_b32_e64 v10, -1, 0x80000000, s0
	v_cmp_o_f32_e64 s0, v1, v1
	s_delay_alu instid0(VALU_DEP_2) | instskip(NEXT) | instid1(VALU_DEP_1)
	v_xor_b32_e32 v10, v10, v1
	v_cndmask_b32_e64 v1, -1, v10, s0
	s_waitcnt lgkmcnt(0)
	s_delay_alu instid0(VALU_DEP_1) | instskip(NEXT) | instid1(VALU_DEP_1)
	v_xor_b32_e32 v10, s1, v1
	v_and_b32_e32 v10, s3, v10
	s_delay_alu instid0(VALU_DEP_1) | instskip(NEXT) | instid1(VALU_DEP_1)
	v_cmp_eq_u32_e64 s0, 0, v10
	s_and_b32 exec_lo, exec_lo, s0
	s_cbranch_execz .LBB86_13
; %bb.12:                               ;   in Loop: Header=BB86_7 Depth=1
	v_bfe_u32 v1, v1, s10, 8
	s_delay_alu instid0(VALU_DEP_1)
	v_lshlrev_b32_e32 v1, 2, v1
	ds_add_u32 v1, v9
.LBB86_13:                              ;   in Loop: Header=BB86_7 Depth=1
	s_or_b32 exec_lo, exec_lo, s16
	v_add_nc_u32_e32 v1, 0xffffff00, v4
	s_mov_b32 s16, exec_lo
	s_delay_alu instid0(VALU_DEP_1)
	v_cmpx_gt_u32_e64 s8, v1
	s_cbranch_execz .LBB86_16
; %bb.14:                               ;   in Loop: Header=BB86_7 Depth=1
	v_add_nc_u32_e32 v1, s13, v6
	s_delay_alu instid0(VALU_DEP_1) | instskip(NEXT) | instid1(VALU_DEP_1)
	v_lshlrev_b64 v[10:11], 2, v[1:2]
	v_add_co_u32 v10, s0, s2, v10
	s_delay_alu instid0(VALU_DEP_1) | instskip(SKIP_3) | instid1(VALU_DEP_1)
	v_add_co_ci_u32_e64 v11, s0, s4, v11, s0
	global_load_b32 v1, v[10:11], off
	s_waitcnt vmcnt(0)
	v_cmp_lt_i32_e64 s0, -1, v1
	v_cndmask_b32_e64 v10, -1, 0x80000000, s0
	v_cmp_o_f32_e64 s0, v1, v1
	s_delay_alu instid0(VALU_DEP_2) | instskip(NEXT) | instid1(VALU_DEP_1)
	v_xor_b32_e32 v10, v10, v1
	v_cndmask_b32_e64 v1, -1, v10, s0
	s_waitcnt lgkmcnt(0)
	s_delay_alu instid0(VALU_DEP_1) | instskip(NEXT) | instid1(VALU_DEP_1)
	v_xor_b32_e32 v10, s1, v1
	v_and_b32_e32 v10, s3, v10
	s_delay_alu instid0(VALU_DEP_1) | instskip(NEXT) | instid1(VALU_DEP_1)
	v_cmp_eq_u32_e64 s0, 0, v10
	s_and_b32 exec_lo, exec_lo, s0
	s_cbranch_execz .LBB86_16
; %bb.15:                               ;   in Loop: Header=BB86_7 Depth=1
	v_bfe_u32 v1, v1, s10, 8
	s_delay_alu instid0(VALU_DEP_1)
	v_lshlrev_b32_e32 v1, 2, v1
	ds_add_u32 v1, v9
.LBB86_16:                              ;   in Loop: Header=BB86_7 Depth=1
	s_or_b32 exec_lo, exec_lo, s16
	s_delay_alu instid0(SALU_CYCLE_1)
	s_mov_b32 s16, exec_lo
	v_cmpx_gt_u32_e64 s8, v4
	s_cbranch_execz .LBB86_6
; %bb.17:                               ;   in Loop: Header=BB86_7 Depth=1
	v_add_nc_u32_e32 v1, s13, v5
	s_delay_alu instid0(VALU_DEP_1) | instskip(NEXT) | instid1(VALU_DEP_1)
	v_lshlrev_b64 v[10:11], 2, v[1:2]
	v_add_co_u32 v10, s0, s2, v10
	s_delay_alu instid0(VALU_DEP_1) | instskip(SKIP_3) | instid1(VALU_DEP_1)
	v_add_co_ci_u32_e64 v11, s0, s4, v11, s0
	global_load_b32 v1, v[10:11], off
	s_waitcnt vmcnt(0)
	v_cmp_lt_i32_e64 s0, -1, v1
	v_cndmask_b32_e64 v10, -1, 0x80000000, s0
	v_cmp_o_f32_e64 s0, v1, v1
	s_delay_alu instid0(VALU_DEP_2) | instskip(NEXT) | instid1(VALU_DEP_1)
	v_xor_b32_e32 v10, v10, v1
	v_cndmask_b32_e64 v1, -1, v10, s0
	s_waitcnt lgkmcnt(0)
	s_delay_alu instid0(VALU_DEP_1) | instskip(NEXT) | instid1(VALU_DEP_1)
	v_xor_b32_e32 v10, s1, v1
	v_and_b32_e32 v10, s3, v10
	s_delay_alu instid0(VALU_DEP_1) | instskip(NEXT) | instid1(VALU_DEP_1)
	v_cmp_eq_u32_e64 s0, 0, v10
	s_and_b32 exec_lo, exec_lo, s0
	s_cbranch_execz .LBB86_6
; %bb.18:                               ;   in Loop: Header=BB86_7 Depth=1
	v_bfe_u32 v1, v1, s10, 8
	s_delay_alu instid0(VALU_DEP_1)
	v_lshlrev_b32_e32 v1, 2, v1
	ds_add_u32 v1, v9
	s_branch .LBB86_6
.LBB86_19:
	s_and_b32 s11, s11, 3
	s_delay_alu instid0(SALU_CYCLE_1)
	s_cmp_eq_u32 s11, 0
	s_cbranch_scc1 .LBB86_25
; %bb.20:
	s_lshl_b32 s0, s5, 8
	v_dual_mov_b32 v2, 0 :: v_dual_mov_b32 v5, 1
	v_add3_u32 v4, s0, s15, v0
	s_lshl_b32 s5, s9, 8
	s_delay_alu instid0(VALU_DEP_1)
	v_mul_lo_u32 v1, s9, v4
	s_set_inst_prefetch_distance 0x1
	s_branch .LBB86_22
	.p2align	6
.LBB86_21:                              ;   in Loop: Header=BB86_22 Depth=1
	s_or_b32 exec_lo, exec_lo, s9
	s_delay_alu instid0(VALU_DEP_2) | instskip(SKIP_2) | instid1(SALU_CYCLE_1)
	v_add_nc_u32_e32 v1, s5, v1
	v_add_nc_u32_e32 v4, 0x100, v4
	s_add_i32 s11, s11, -1
	s_cmp_lg_u32 s11, 0
	s_cbranch_scc0 .LBB86_25
.LBB86_22:                              ; =>This Inner Loop Header: Depth=1
	s_mov_b32 s9, exec_lo
	v_cmpx_gt_u32_e64 s8, v4
	s_cbranch_execz .LBB86_21
; %bb.23:                               ;   in Loop: Header=BB86_22 Depth=1
	s_delay_alu instid0(VALU_DEP_2) | instskip(NEXT) | instid1(VALU_DEP_1)
	v_lshlrev_b64 v[6:7], 2, v[1:2]
	v_add_co_u32 v6, s0, s2, v6
	s_delay_alu instid0(VALU_DEP_1) | instskip(SKIP_3) | instid1(VALU_DEP_1)
	v_add_co_ci_u32_e64 v7, s0, s4, v7, s0
	global_load_b32 v6, v[6:7], off
	s_waitcnt vmcnt(0)
	v_cmp_lt_i32_e64 s0, -1, v6
	v_cndmask_b32_e64 v7, -1, 0x80000000, s0
	v_cmp_o_f32_e64 s0, v6, v6
	s_delay_alu instid0(VALU_DEP_2) | instskip(NEXT) | instid1(VALU_DEP_1)
	v_xor_b32_e32 v7, v7, v6
	v_cndmask_b32_e64 v6, -1, v7, s0
	s_waitcnt lgkmcnt(0)
	s_delay_alu instid0(VALU_DEP_1) | instskip(NEXT) | instid1(VALU_DEP_1)
	v_xor_b32_e32 v7, s1, v6
	v_and_b32_e32 v7, s3, v7
	s_delay_alu instid0(VALU_DEP_1) | instskip(NEXT) | instid1(VALU_DEP_1)
	v_cmp_eq_u32_e64 s0, 0, v7
	s_and_b32 exec_lo, exec_lo, s0
	s_cbranch_execz .LBB86_21
; %bb.24:                               ;   in Loop: Header=BB86_22 Depth=1
	v_bfe_u32 v6, v6, s10, 8
	s_delay_alu instid0(VALU_DEP_1)
	v_lshlrev_b32_e32 v6, 2, v6
	ds_add_u32 v6, v5
	s_branch .LBB86_21
.LBB86_25:
	s_set_inst_prefetch_distance 0x2
	v_mov_b32_e32 v1, 0
	s_waitcnt lgkmcnt(0)
	s_barrier
	buffer_gl0_inv
	s_and_saveexec_b32 s0, vcc_lo
	s_cbranch_execz .LBB86_27
; %bb.26:
	ds_load_b32 v1, v3
.LBB86_27:
	s_or_b32 exec_lo, exec_lo, s0
	s_and_saveexec_b32 s0, vcc_lo
	s_cbranch_execz .LBB86_29
; %bb.28:
	v_lshl_or_b32 v2, s18, 8, v0
	v_mov_b32_e32 v3, 0
	s_delay_alu instid0(VALU_DEP_1) | instskip(NEXT) | instid1(VALU_DEP_1)
	v_lshlrev_b64 v[2:3], 1, v[2:3]
	v_add_co_u32 v2, vcc_lo, s6, v2
	s_delay_alu instid0(VALU_DEP_2)
	v_add_co_ci_u32_e32 v3, vcc_lo, s7, v3, vcc_lo
	s_waitcnt lgkmcnt(0)
	global_store_b16 v[2:3], v1, off
.LBB86_29:
	s_nop 0
	s_sendmsg sendmsg(MSG_DEALLOC_VGPRS)
	s_endpgm
	.section	.rodata,"a",@progbits
	.p2align	6, 0x0
	.amdhsa_kernel _ZN2at6native6mbtopk23computeBlockDigitCountsIfjjLi3EEEvNS_4cuda6detail10TensorInfoIKT_T0_EEjPjjS8_iijT1_PSB_Ps
		.amdhsa_group_segment_fixed_size 1024
		.amdhsa_private_segment_fixed_size 0
		.amdhsa_kernarg_size 528
		.amdhsa_user_sgpr_count 13
		.amdhsa_user_sgpr_dispatch_ptr 0
		.amdhsa_user_sgpr_queue_ptr 0
		.amdhsa_user_sgpr_kernarg_segment_ptr 1
		.amdhsa_user_sgpr_dispatch_id 0
		.amdhsa_user_sgpr_private_segment_size 0
		.amdhsa_wavefront_size32 1
		.amdhsa_uses_dynamic_stack 0
		.amdhsa_enable_private_segment 0
		.amdhsa_system_sgpr_workgroup_id_x 1
		.amdhsa_system_sgpr_workgroup_id_y 1
		.amdhsa_system_sgpr_workgroup_id_z 1
		.amdhsa_system_sgpr_workgroup_info 0
		.amdhsa_system_vgpr_workitem_id 0
		.amdhsa_next_free_vgpr 12
		.amdhsa_next_free_sgpr 26
		.amdhsa_reserve_vcc 1
		.amdhsa_float_round_mode_32 0
		.amdhsa_float_round_mode_16_64 0
		.amdhsa_float_denorm_mode_32 3
		.amdhsa_float_denorm_mode_16_64 3
		.amdhsa_dx10_clamp 1
		.amdhsa_ieee_mode 1
		.amdhsa_fp16_overflow 0
		.amdhsa_workgroup_processor_mode 1
		.amdhsa_memory_ordered 1
		.amdhsa_forward_progress 0
		.amdhsa_shared_vgpr_count 0
		.amdhsa_exception_fp_ieee_invalid_op 0
		.amdhsa_exception_fp_denorm_src 0
		.amdhsa_exception_fp_ieee_div_zero 0
		.amdhsa_exception_fp_ieee_overflow 0
		.amdhsa_exception_fp_ieee_underflow 0
		.amdhsa_exception_fp_ieee_inexact 0
		.amdhsa_exception_int_div_zero 0
	.end_amdhsa_kernel
	.section	.text._ZN2at6native6mbtopk23computeBlockDigitCountsIfjjLi3EEEvNS_4cuda6detail10TensorInfoIKT_T0_EEjPjjS8_iijT1_PSB_Ps,"axG",@progbits,_ZN2at6native6mbtopk23computeBlockDigitCountsIfjjLi3EEEvNS_4cuda6detail10TensorInfoIKT_T0_EEjPjjS8_iijT1_PSB_Ps,comdat
.Lfunc_end86:
	.size	_ZN2at6native6mbtopk23computeBlockDigitCountsIfjjLi3EEEvNS_4cuda6detail10TensorInfoIKT_T0_EEjPjjS8_iijT1_PSB_Ps, .Lfunc_end86-_ZN2at6native6mbtopk23computeBlockDigitCountsIfjjLi3EEEvNS_4cuda6detail10TensorInfoIKT_T0_EEjPjjS8_iijT1_PSB_Ps
                                        ; -- End function
	.section	.AMDGPU.csdata,"",@progbits
; Kernel info:
; codeLenInByte = 1880
; NumSgprs: 28
; NumVgprs: 12
; ScratchSize: 0
; MemoryBound: 0
; FloatMode: 240
; IeeeMode: 1
; LDSByteSize: 1024 bytes/workgroup (compile time only)
; SGPRBlocks: 3
; VGPRBlocks: 1
; NumSGPRsForWavesPerEU: 28
; NumVGPRsForWavesPerEU: 12
; Occupancy: 16
; WaveLimiterHint : 1
; COMPUTE_PGM_RSRC2:SCRATCH_EN: 0
; COMPUTE_PGM_RSRC2:USER_SGPR: 13
; COMPUTE_PGM_RSRC2:TRAP_HANDLER: 0
; COMPUTE_PGM_RSRC2:TGID_X_EN: 1
; COMPUTE_PGM_RSRC2:TGID_Y_EN: 1
; COMPUTE_PGM_RSRC2:TGID_Z_EN: 1
; COMPUTE_PGM_RSRC2:TIDIG_COMP_CNT: 0
	.section	.text._ZN2at6native6mbtopk10gatherTopKIfjLi3EEEvNS_4cuda6detail10TensorInfoIKT_T0_EES8_S8_bjS8_NS5_IS6_S8_EES8_NS5_IlS8_EES8_jjPS6_PjSD_j,"axG",@progbits,_ZN2at6native6mbtopk10gatherTopKIfjLi3EEEvNS_4cuda6detail10TensorInfoIKT_T0_EES8_S8_bjS8_NS5_IS6_S8_EES8_NS5_IlS8_EES8_jjPS6_PjSD_j,comdat
	.protected	_ZN2at6native6mbtopk10gatherTopKIfjLi3EEEvNS_4cuda6detail10TensorInfoIKT_T0_EES8_S8_bjS8_NS5_IS6_S8_EES8_NS5_IlS8_EES8_jjPS6_PjSD_j ; -- Begin function _ZN2at6native6mbtopk10gatherTopKIfjLi3EEEvNS_4cuda6detail10TensorInfoIKT_T0_EES8_S8_bjS8_NS5_IS6_S8_EES8_NS5_IlS8_EES8_jjPS6_PjSD_j
	.globl	_ZN2at6native6mbtopk10gatherTopKIfjLi3EEEvNS_4cuda6detail10TensorInfoIKT_T0_EES8_S8_bjS8_NS5_IS6_S8_EES8_NS5_IlS8_EES8_jjPS6_PjSD_j
	.p2align	8
	.type	_ZN2at6native6mbtopk10gatherTopKIfjLi3EEEvNS_4cuda6detail10TensorInfoIKT_T0_EES8_S8_bjS8_NS5_IS6_S8_EES8_NS5_IlS8_EES8_jjPS6_PjSD_j,@function
_ZN2at6native6mbtopk10gatherTopKIfjLi3EEEvNS_4cuda6detail10TensorInfoIKT_T0_EES8_S8_bjS8_NS5_IS6_S8_EES8_NS5_IlS8_EES8_jjPS6_PjSD_j: ; @_ZN2at6native6mbtopk10gatherTopKIfjLi3EEEvNS_4cuda6detail10TensorInfoIKT_T0_EES8_S8_bjS8_NS5_IS6_S8_EES8_NS5_IlS8_EES8_jjPS6_PjSD_j
; %bb.0:
	s_clause 0x1
	s_load_b64 s[2:3], s[0:1], 0x2d8
	s_load_b32 s4, s[0:1], 0x2d0
	s_waitcnt lgkmcnt(0)
	s_mul_i32 s3, s3, s15
	s_delay_alu instid0(SALU_CYCLE_1) | instskip(NEXT) | instid1(SALU_CYCLE_1)
	s_add_i32 s3, s3, s14
	s_mul_i32 s2, s3, s2
	s_delay_alu instid0(SALU_CYCLE_1) | instskip(NEXT) | instid1(SALU_CYCLE_1)
	s_add_i32 s2, s2, s13
	s_cmp_ge_u32 s2, s4
	s_cbranch_scc1 .LBB87_40
; %bb.1:
	s_clause 0x6
	s_load_b256 s[4:11], s[0:1], 0x2a8
	s_load_b64 s[38:39], s[0:1], 0xc
	s_load_b64 s[36:37], s[0:1], 0xfc
	;; [unrolled: 1-line block ×4, first 2 shown]
	s_load_b128 s[16:19], s[0:1], 0x15c
	s_load_b64 s[28:29], s[0:1], 0x1d0
	s_mov_b32 s41, 0
	s_waitcnt lgkmcnt(0)
	v_cvt_f32_u32_e32 v1, s6
	v_cvt_f32_u32_e32 v2, s39
	s_sub_i32 s3, 0, s6
	v_cvt_f32_u32_e32 v3, s38
	v_cvt_f32_u32_e32 v4, s37
	v_rcp_iflag_f32_e32 v1, v1
	v_rcp_iflag_f32_e32 v2, v2
	v_cvt_f32_u32_e32 v5, s36
	v_rcp_iflag_f32_e32 v3, v3
	v_rcp_iflag_f32_e32 v4, v4
	v_cvt_f32_u32_e32 v6, s35
	s_delay_alu instid0(VALU_DEP_2) | instskip(NEXT) | instid1(VALU_DEP_1)
	v_rcp_iflag_f32_e32 v5, v5
	v_rcp_iflag_f32_e32 v6, v6
	v_dual_mul_f32 v1, 0x4f7ffffe, v1 :: v_dual_mul_f32 v2, 0x4f7ffffe, v2
	v_mul_f32_e32 v3, 0x4f7ffffe, v3
	s_delay_alu instid0(VALU_DEP_2) | instskip(NEXT) | instid1(VALU_DEP_3)
	v_cvt_u32_f32_e32 v1, v1
	v_cvt_u32_f32_e32 v2, v2
	s_delay_alu instid0(VALU_DEP_2) | instskip(NEXT) | instid1(VALU_DEP_2)
	v_readfirstlane_b32 s7, v1
	v_readfirstlane_b32 s14, v2
	v_mul_f32_e32 v2, 0x4f7ffffe, v4
	v_cvt_u32_f32_e32 v3, v3
	s_delay_alu instid0(TRANS32_DEP_1) | instskip(SKIP_1) | instid1(VALU_DEP_3)
	v_dual_mul_f32 v4, 0x4f7ffffe, v5 :: v_dual_mul_f32 v5, 0x4f7ffffe, v6
	s_mul_i32 s3, s3, s7
	v_cvt_u32_f32_e32 v2, v2
	s_mul_hi_u32 s3, s7, s3
	v_cvt_f32_u32_e32 v1, s34
	s_add_i32 s7, s7, s3
	s_delay_alu instid0(SALU_CYCLE_1) | instskip(NEXT) | instid1(SALU_CYCLE_1)
	s_mul_hi_u32 s3, s2, s7
	s_mul_i32 s7, s3, s6
	s_add_i32 s12, s3, 1
	s_sub_i32 s7, s2, s7
	v_rcp_iflag_f32_e32 v1, v1
	s_sub_i32 s13, s7, s6
	s_cmp_ge_u32 s7, s6
	s_cselect_b32 s3, s12, s3
	s_cselect_b32 s7, s13, s7
	s_add_i32 s12, s3, 1
	s_cmp_ge_u32 s7, s6
	s_cselect_b32 s40, s12, s3
	s_sub_i32 s3, 0, s39
	s_mul_i32 s24, s40, s6
	s_mul_i32 s3, s3, s14
	s_sub_i32 s7, s2, s24
	s_mul_hi_u32 s3, s14, s3
	s_waitcnt_depctr 0xfff
	v_mul_f32_e32 v1, 0x4f7ffffe, v1
	s_add_i32 s14, s14, s3
	s_delay_alu instid0(SALU_CYCLE_1)
	s_mul_hi_u32 s3, s40, s14
	v_readfirstlane_b32 s14, v2
	s_mul_i32 s12, s3, s39
	v_cvt_u32_f32_e32 v2, v4
	s_sub_i32 s2, s40, s12
	s_add_i32 s12, s3, 1
	s_sub_i32 s13, s2, s39
	s_cmp_ge_u32 s2, s39
	v_cvt_u32_f32_e32 v1, v1
	s_cselect_b32 s3, s12, s3
	s_cselect_b32 s2, s13, s2
	s_add_i32 s12, s3, 1
	s_cmp_ge_u32 s2, s39
	v_readfirstlane_b32 s20, v1
	s_cselect_b32 s48, s12, s3
	s_sub_i32 s2, 0, s37
	v_readfirstlane_b32 s3, v3
	s_mul_i32 s2, s2, s14
	s_sub_i32 s12, 0, s38
	s_mul_hi_u32 s2, s14, s2
	v_cvt_u32_f32_e32 v3, v5
	s_add_i32 s14, s14, s2
	s_mul_i32 s12, s12, s3
	s_mul_hi_u32 s2, s40, s14
	s_mul_hi_u32 s12, s3, s12
	s_mul_i32 s13, s2, s37
	s_add_i32 s25, s3, s12
	s_sub_i32 s3, s40, s13
	s_add_i32 s12, s2, 1
	s_sub_i32 s13, s3, s37
	s_cmp_ge_u32 s3, s37
	v_readfirstlane_b32 s14, v3
	s_cselect_b32 s2, s12, s2
	s_cselect_b32 s3, s13, s3
	s_add_i32 s12, s2, 1
	s_cmp_ge_u32 s3, s37
	v_readfirstlane_b32 s3, v2
	s_cselect_b32 s33, s12, s2
	s_sub_i32 s2, 0, s35
	s_sub_i32 s12, 0, s36
	s_mul_i32 s2, s2, s14
	s_mul_i32 s12, s12, s3
	s_mul_hi_u32 s2, s14, s2
	s_mul_hi_u32 s12, s3, s12
	s_add_i32 s14, s14, s2
	s_add_i32 s26, s3, s12
	s_mul_hi_u32 s2, s40, s14
	s_mul_hi_u32 s50, s48, s25
	s_mul_i32 s13, s2, s35
	s_add_i32 s12, s2, 1
	s_sub_i32 s3, s40, s13
	s_mul_hi_u32 s49, s33, s26
	s_sub_i32 s13, s3, s35
	s_cmp_ge_u32 s3, s35
	s_cselect_b32 s2, s12, s2
	s_cselect_b32 s3, s13, s3
	s_add_i32 s12, s2, 1
	s_cmp_ge_u32 s3, s35
	s_cselect_b32 s19, s12, s2
	s_sub_i32 s2, 0, s34
	s_load_b128 s[12:15], s[0:1], 0x23c
	s_mul_i32 s2, s2, s20
	s_waitcnt lgkmcnt(0)
	s_mul_hi_u32 s15, s20, s2
	s_lshl_b64 s[2:3], s[40:41], 2
	s_add_i32 s27, s20, s15
	s_add_u32 s2, s8, s2
	s_addc_u32 s3, s9, s3
	s_clause 0x1
	s_load_b64 s[42:43], s[0:1], 0xf0
	s_load_b128 s[20:23], s[0:1], 0x6c
	s_load_b32 s15, s[2:3], 0x0
	v_cmp_ne_u32_e64 s2, 0, v0
	v_cmp_eq_u32_e64 s3, 0, v0
	s_waitcnt lgkmcnt(0)
	s_mul_hi_u32 s23, s19, s27
	s_delay_alu instid0(VALU_DEP_1)
	s_and_saveexec_b32 s51, s3
	s_cbranch_execz .LBB87_17
; %bb.2:
	s_load_b64 s[8:9], s[0:1], 0x2c8
	s_mov_b32 s25, s41
	s_delay_alu instid0(SALU_CYCLE_1) | instskip(NEXT) | instid1(SALU_CYCLE_1)
	s_lshl_b64 s[44:45], s[24:25], 2
	s_add_u32 s24, s10, s44
	s_addc_u32 s25, s11, s45
	s_waitcnt lgkmcnt(0)
	s_add_u32 s26, s8, s44
	s_addc_u32 s27, s9, s45
	s_cmp_lt_u32 s6, 4
	s_cbranch_scc1 .LBB87_14
; %bb.3:
	s_mov_b32 s52, s41
	s_mov_b32 s53, s41
	;; [unrolled: 1-line block ×3, first 2 shown]
.LBB87_4:                               ; =>This Inner Loop Header: Depth=1
	s_add_u32 s24, s10, s44
	s_addc_u32 s25, s11, s45
	s_add_u32 s46, s8, s44
	s_load_b128 s[24:27], s[24:25], 0x0
	s_addc_u32 s47, s9, s45
	s_cmp_ge_u32 s54, s7
	s_cbranch_scc0 .LBB87_11
; %bb.5:                                ;   in Loop: Header=BB87_4 Depth=1
	s_add_i32 s55, s54, 1
	s_delay_alu instid0(SALU_CYCLE_1)
	s_cmp_ge_u32 s55, s7
	s_cbranch_scc0 .LBB87_12
.LBB87_6:                               ;   in Loop: Header=BB87_4 Depth=1
	s_add_i32 s55, s55, 1
	s_delay_alu instid0(SALU_CYCLE_1)
	s_cmp_ge_u32 s55, s7
	s_cbranch_scc0 .LBB87_13
.LBB87_7:                               ;   in Loop: Header=BB87_4 Depth=1
	s_add_i32 s55, s55, 1
	s_delay_alu instid0(SALU_CYCLE_1)
	s_cmp_ge_u32 s55, s7
	s_cbranch_scc1 .LBB87_9
.LBB87_8:                               ;   in Loop: Header=BB87_4 Depth=1
	s_load_b32 s46, s[46:47], 0xc
	s_waitcnt lgkmcnt(0)
	s_add_i32 s41, s41, s27
	s_add_i32 s52, s46, s52
.LBB87_9:                               ;   in Loop: Header=BB87_4 Depth=1
	s_waitcnt lgkmcnt(0)
	s_add_i32 s24, s24, s53
	s_delay_alu instid0(SALU_CYCLE_1) | instskip(NEXT) | instid1(SALU_CYCLE_1)
	s_add_i32 s24, s24, s25
	s_add_i32 s24, s24, s26
	s_delay_alu instid0(SALU_CYCLE_1)
	s_add_i32 s53, s24, s27
	s_add_u32 s10, s10, 16
	s_addc_u32 s11, s11, 0
	s_add_u32 s8, s8, 16
	s_addc_u32 s9, s9, 0
	s_add_i32 s47, s55, 4
	s_add_u32 s26, s8, s44
	s_addc_u32 s27, s9, s45
	s_add_u32 s24, s10, s44
	s_addc_u32 s25, s11, s45
	s_add_i32 s46, s55, 1
	s_cmp_ge_u32 s47, s6
	s_cbranch_scc1 .LBB87_15
; %bb.10:                               ;   in Loop: Header=BB87_4 Depth=1
	s_mov_b32 s54, s46
	s_branch .LBB87_4
.LBB87_11:                              ;   in Loop: Header=BB87_4 Depth=1
	s_load_b32 s55, s[46:47], 0x0
	s_waitcnt lgkmcnt(0)
	s_add_i32 s41, s24, s41
	s_add_i32 s52, s55, s52
	;; [unrolled: 1-line block ×3, first 2 shown]
	s_delay_alu instid0(SALU_CYCLE_1)
	s_cmp_ge_u32 s55, s7
	s_cbranch_scc1 .LBB87_6
.LBB87_12:                              ;   in Loop: Header=BB87_4 Depth=1
	s_load_b32 s56, s[46:47], 0x4
	s_waitcnt lgkmcnt(0)
	s_add_i32 s41, s41, s25
	s_add_i32 s52, s56, s52
	;; [unrolled: 1-line block ×3, first 2 shown]
	s_delay_alu instid0(SALU_CYCLE_1)
	s_cmp_ge_u32 s55, s7
	s_cbranch_scc1 .LBB87_7
.LBB87_13:                              ;   in Loop: Header=BB87_4 Depth=1
	s_load_b32 s56, s[46:47], 0x8
	s_waitcnt lgkmcnt(0)
	s_add_i32 s41, s41, s26
	s_add_i32 s52, s56, s52
	;; [unrolled: 1-line block ×3, first 2 shown]
	s_delay_alu instid0(SALU_CYCLE_1)
	s_cmp_ge_u32 s55, s7
	s_cbranch_scc0 .LBB87_8
	s_branch .LBB87_9
.LBB87_14:
	s_mov_b32 s52, 0
	s_mov_b32 s53, 0
	;; [unrolled: 1-line block ×3, first 2 shown]
	s_delay_alu instid0(SALU_CYCLE_1)
	s_cmp_ge_u32 s8, s6
	s_cbranch_scc0 .LBB87_38
	s_branch .LBB87_16
.LBB87_15:
	s_add_i32 s8, s54, 4
	s_delay_alu instid0(SALU_CYCLE_1)
	s_cmp_ge_u32 s8, s6
	s_cbranch_scc0 .LBB87_38
.LBB87_16:
	v_dual_mov_b32 v1, s52 :: v_dual_mov_b32 v2, s53
	v_dual_mov_b32 v3, s41 :: v_dual_mov_b32 v4, 0
	ds_store_b96 v4, v[1:3] offset:1056
.LBB87_17:
	s_or_b32 exec_lo, exec_lo, s51
	s_load_b128 s[8:11], s[0:1], 0xd8
	s_waitcnt lgkmcnt(0)
	s_mul_i32 s11, s5, s7
	s_add_i32 s7, s7, 1
	s_lshl_b32 s24, s11, 8
	s_barrier
	buffer_gl0_inv
	s_sub_i32 s11, s8, s24
	s_delay_alu instid0(SALU_CYCLE_1) | instskip(SKIP_4) | instid1(VALU_DEP_1)
	s_add_u32 s11, s11, 0xff
	s_addc_u32 s25, 0, 0
	s_cmp_lt_u32 s7, s6
	v_alignbit_b32 v1, s25, s11, 8
	s_mov_b32 s7, 0
	v_readfirstlane_b32 s11, v1
	s_delay_alu instid0(VALU_DEP_1) | instskip(NEXT) | instid1(SALU_CYCLE_1)
	s_cselect_b32 s5, s5, s11
	s_cmp_eq_u32 s5, 0
	s_cbranch_scc1 .LBB87_40
; %bb.18:
	s_mul_i32 s11, s50, s38
	s_mul_i32 s6, s48, s39
	s_sub_i32 s11, s48, s11
	s_sub_i32 s6, s40, s6
	s_add_i32 s25, s50, 1
	s_sub_i32 s26, s11, s38
	s_cmp_ge_u32 s11, s38
	s_mul_i32 s6, s6, s22
	s_cselect_b32 s25, s25, s50
	s_cselect_b32 s11, s26, s11
	s_add_i32 s26, s25, 1
	s_cmp_ge_u32 s11, s38
	s_mul_i32 s11, s33, s37
	s_cselect_b32 s25, s26, s25
	s_mul_i32 s26, s49, s36
	s_mul_i32 s27, s25, s38
	;; [unrolled: 1-line block ×3, first 2 shown]
	s_sub_i32 s22, s48, s27
	s_sub_i32 s20, s33, s26
	s_mul_i32 s21, s22, s21
	s_sub_i32 s11, s40, s11
	s_add_i32 s6, s21, s6
	s_add_i32 s21, s49, 1
	;; [unrolled: 1-line block ×3, first 2 shown]
	s_sub_i32 s22, s20, s36
	s_cmp_ge_u32 s20, s36
	s_mul_i32 s11, s11, s18
	s_cselect_b32 s21, s21, s49
	s_cselect_b32 s20, s22, s20
	s_add_i32 s22, s21, 1
	s_cmp_ge_u32 s20, s36
	s_mul_i32 s25, s23, s34
	s_cselect_b32 s20, s22, s21
	s_mul_i32 s21, s19, s35
	s_mul_i32 s22, s20, s36
	s_mul_i32 s20, s20, s16
	s_sub_i32 s22, s33, s22
	s_add_i32 s18, s23, 1
	s_mul_i32 s17, s22, s17
	v_mov_b32_e32 v5, 0
	s_add_i32 s11, s17, s11
	s_sub_i32 s17, s40, s21
	s_add_i32 s16, s11, s20
	s_sub_i32 s11, s19, s25
	s_mul_i32 s17, s17, s14
	s_sub_i32 s20, s11, s34
	s_cmp_ge_u32 s11, s34
	ds_load_b96 v[1:3], v5 offset:1056
	s_cselect_b32 s18, s18, s23
	s_cselect_b32 s11, s20, s11
	s_add_i32 s20, s18, 1
	s_cmp_ge_u32 s11, s34
	v_lshrrev_b32_e32 v4, 5, v0
	s_cselect_b32 s11, s20, s18
	v_add_nc_u32_e32 v9, -1, v0
	s_mul_i32 s18, s11, s34
	s_mul_i32 s11, s11, s12
	s_sub_i32 s18, s19, s18
	s_mov_b32 s19, s7
	s_mul_i32 s13, s18, s13
	v_add_lshl_u32 v7, v4, v0, 2
	s_add_i32 s14, s13, s17
	s_lshl_b64 s[12:13], s[6:7], 2
	s_add_i32 s18, s14, s11
	s_mov_b32 s17, s7
	s_add_u32 s6, s30, s12
	s_addc_u32 s11, s31, s13
	s_waitcnt lgkmcnt(0)
	v_add_nc_u32_e32 v6, v1, v2
	s_lshl_b64 s[12:13], s[16:17], 2
	v_lshlrev_b32_e32 v2, 3, v0
	s_add_u32 s12, s42, s12
	s_addc_u32 s7, s43, s13
	s_lshl_b64 s[16:17], s[18:19], 3
	v_lshrrev_b32_e32 v4, 2, v0
	s_add_u32 s13, s28, s16
	s_addc_u32 s14, s29, s17
	s_load_b32 s17, s[0:1], 0xe8
	s_cmp_gt_i32 s15, -1
	v_cmp_o_f32_e64 s16, s15, s15
	s_cselect_b32 s18, 0x80000000, -1
	v_add_nc_u32_e32 v1, s24, v0
	s_xor_b32 s15, s18, s15
	v_lshrrev_b32_e32 v10, 5, v9
	s_and_b32 s16, s16, exec_lo
	s_cselect_b32 s15, s15, -1
	s_bitcmp1_b32 s10, 0
	s_load_b32 s10, s[0:1], 0x1c8
	v_mbcnt_lo_u32_b32 v8, -1, 0
	v_cmp_gt_u32_e64 s0, 32, v0
	v_add_lshl_u32 v0, v4, v2, 2
	v_add_lshl_u32 v9, v10, v9, 2
	s_cselect_b32 s1, -1, 0
	v_and_b32_e32 v10, 15, v8
	v_bfe_i32 v11, v8, 4, 1
	v_add_nc_u32_e32 v12, -1, v8
                                        ; implicit-def: $vgpr13
	s_waitcnt lgkmcnt(0)
	v_mul_lo_u32 v4, s17, v1
	s_lshl_b32 s16, s17, 8
	s_branch .LBB87_21
.LBB87_19:                              ;   in Loop: Header=BB87_21 Depth=1
	s_or_b32 exec_lo, exec_lo, s17
	v_add_nc_u32_e32 v6, v16, v6
.LBB87_20:                              ;   in Loop: Header=BB87_21 Depth=1
	v_add_nc_u32_e32 v3, v15, v3
	v_add_nc_u32_e32 v4, s16, v4
	;; [unrolled: 1-line block ×3, first 2 shown]
	s_add_i32 s5, s5, -1
	s_delay_alu instid0(SALU_CYCLE_1)
	s_cmp_lg_u32 s5, 0
	s_cbranch_scc0 .LBB87_40
.LBB87_21:                              ; =>This Inner Loop Header: Depth=1
	v_mov_b32_e32 v2, 0
	v_mov_b32_e32 v14, 0
	s_mov_b32 s17, exec_lo
	v_cmpx_gt_u32_e64 s8, v1
	s_cbranch_execz .LBB87_23
; %bb.22:                               ;   in Loop: Header=BB87_21 Depth=1
	v_lshlrev_b64 v[13:14], 2, v[4:5]
	s_delay_alu instid0(VALU_DEP_1) | instskip(NEXT) | instid1(VALU_DEP_2)
	v_add_co_u32 v13, vcc_lo, s6, v13
	v_add_co_ci_u32_e32 v14, vcc_lo, s11, v14, vcc_lo
	global_load_b32 v13, v[13:14], off
	s_waitcnt vmcnt(0)
	v_cmp_lt_i32_e32 vcc_lo, -1, v13
	v_cndmask_b32_e64 v2, -1, 0x80000000, vcc_lo
	v_cmp_o_f32_e32 vcc_lo, v13, v13
	s_delay_alu instid0(VALU_DEP_2) | instskip(NEXT) | instid1(VALU_DEP_1)
	v_xor_b32_e32 v2, v2, v13
	v_cndmask_b32_e32 v14, -1, v2, vcc_lo
	s_delay_alu instid0(VALU_DEP_1) | instskip(SKIP_4) | instid1(VALU_DEP_2)
	v_cmp_lt_u32_e32 vcc_lo, s15, v14
	v_cndmask_b32_e64 v2, 0, 1, vcc_lo
	v_cmp_gt_u32_e32 vcc_lo, s15, v14
	v_cndmask_b32_e64 v15, 0, 1, vcc_lo
	v_cmp_eq_u32_e32 vcc_lo, s15, v14
	v_cndmask_b32_e64 v2, v15, v2, s1
	v_cndmask_b32_e64 v14, 0, 1, vcc_lo
	s_delay_alu instid0(VALU_DEP_2)
	v_and_b32_e32 v2, 1, v2
.LBB87_23:                              ;   in Loop: Header=BB87_21 Depth=1
	s_or_b32 exec_lo, exec_lo, s17
	ds_store_b32 v7, v2
	s_waitcnt lgkmcnt(0)
	s_waitcnt_vscnt null, 0x0
	s_barrier
	buffer_gl0_inv
	s_and_saveexec_b32 s17, s0
	s_cbranch_execz .LBB87_25
; %bb.24:                               ;   in Loop: Header=BB87_21 Depth=1
	ds_load_2addr_b32 v[15:16], v0 offset1:1
	ds_load_2addr_b32 v[17:18], v0 offset0:2 offset1:3
	ds_load_2addr_b32 v[19:20], v0 offset0:4 offset1:5
	;; [unrolled: 1-line block ×3, first 2 shown]
	v_cmp_ne_u32_e32 vcc_lo, 0, v10
	; wave barrier
	s_waitcnt lgkmcnt(3)
	v_add_nc_u32_e32 v16, v16, v15
	s_waitcnt lgkmcnt(2)
	s_delay_alu instid0(VALU_DEP_1) | instskip(SKIP_1) | instid1(VALU_DEP_1)
	v_add3_u32 v16, v16, v17, v18
	s_waitcnt lgkmcnt(1)
	v_add3_u32 v16, v16, v19, v20
	s_waitcnt lgkmcnt(0)
	s_delay_alu instid0(VALU_DEP_1) | instskip(NEXT) | instid1(VALU_DEP_1)
	v_add3_u32 v16, v16, v21, v22
	v_mov_b32_dpp v17, v16 row_shr:1 row_mask:0xf bank_mask:0xf
	s_delay_alu instid0(VALU_DEP_1) | instskip(SKIP_1) | instid1(VALU_DEP_2)
	v_cndmask_b32_e32 v17, 0, v17, vcc_lo
	v_cmp_lt_u32_e32 vcc_lo, 1, v10
	v_add_nc_u32_e32 v16, v17, v16
	s_delay_alu instid0(VALU_DEP_1) | instskip(NEXT) | instid1(VALU_DEP_1)
	v_mov_b32_dpp v17, v16 row_shr:2 row_mask:0xf bank_mask:0xf
	v_cndmask_b32_e32 v17, 0, v17, vcc_lo
	v_cmp_lt_u32_e32 vcc_lo, 3, v10
	s_delay_alu instid0(VALU_DEP_2) | instskip(NEXT) | instid1(VALU_DEP_1)
	v_add_nc_u32_e32 v16, v16, v17
	v_mov_b32_dpp v17, v16 row_shr:4 row_mask:0xf bank_mask:0xf
	s_delay_alu instid0(VALU_DEP_1) | instskip(SKIP_1) | instid1(VALU_DEP_2)
	v_cndmask_b32_e32 v17, 0, v17, vcc_lo
	v_cmp_lt_u32_e32 vcc_lo, 7, v10
	v_add_nc_u32_e32 v16, v16, v17
	s_delay_alu instid0(VALU_DEP_1) | instskip(NEXT) | instid1(VALU_DEP_1)
	v_mov_b32_dpp v17, v16 row_shr:8 row_mask:0xf bank_mask:0xf
	v_cndmask_b32_e32 v17, 0, v17, vcc_lo
	v_cmp_gt_i32_e32 vcc_lo, 0, v12
	v_cndmask_b32_e32 v18, v12, v8, vcc_lo
	s_delay_alu instid0(VALU_DEP_1) | instskip(NEXT) | instid1(VALU_DEP_4)
	v_lshlrev_b32_e32 v18, 2, v18
	v_add_nc_u32_e32 v16, v16, v17
	ds_swizzle_b32 v17, v16 offset:swizzle(BROADCAST,32,15)
	s_waitcnt lgkmcnt(0)
	v_and_b32_e32 v17, v11, v17
	s_delay_alu instid0(VALU_DEP_1) | instskip(SKIP_3) | instid1(VALU_DEP_1)
	v_add_nc_u32_e32 v16, v16, v17
	ds_bpermute_b32 v16, v18, v16
	s_waitcnt lgkmcnt(0)
	v_add_nc_u32_e32 v15, v16, v15
	v_cndmask_b32_e64 v21, v15, v2, s3
	ds_store_b32 v0, v21
	; wave barrier
	ds_load_2addr_b32 v[15:16], v0 offset0:1 offset1:2
	ds_load_2addr_b32 v[17:18], v0 offset0:3 offset1:4
	;; [unrolled: 1-line block ×3, first 2 shown]
	ds_load_b32 v22, v0 offset:28
	s_waitcnt lgkmcnt(3)
	v_add_nc_u32_e32 v15, v15, v21
	s_delay_alu instid0(VALU_DEP_1) | instskip(SKIP_1) | instid1(VALU_DEP_1)
	v_add_nc_u32_e32 v16, v16, v15
	s_waitcnt lgkmcnt(2)
	v_add_nc_u32_e32 v17, v17, v16
	s_delay_alu instid0(VALU_DEP_1) | instskip(SKIP_1) | instid1(VALU_DEP_1)
	v_add_nc_u32_e32 v18, v18, v17
	;; [unrolled: 4-line block ×3, first 2 shown]
	s_waitcnt lgkmcnt(0)
	v_add_nc_u32_e32 v21, v22, v20
	ds_store_2addr_b32 v0, v15, v16 offset0:1 offset1:2
	ds_store_2addr_b32 v0, v17, v18 offset0:3 offset1:4
	;; [unrolled: 1-line block ×3, first 2 shown]
	ds_store_b32 v0, v21 offset:28
.LBB87_25:                              ;   in Loop: Header=BB87_21 Depth=1
	s_or_b32 exec_lo, exec_lo, s17
	v_mov_b32_e32 v16, 0
	s_waitcnt lgkmcnt(0)
	s_barrier
	buffer_gl0_inv
	s_and_saveexec_b32 s17, s2
	s_cbranch_execz .LBB87_27
; %bb.26:                               ;   in Loop: Header=BB87_21 Depth=1
	ds_load_b32 v16, v9
.LBB87_27:                              ;   in Loop: Header=BB87_21 Depth=1
	s_or_b32 exec_lo, exec_lo, s17
	ds_load_b32 v15, v5 offset:1048
	s_mov_b32 s17, exec_lo
	s_waitcnt lgkmcnt(0)
	s_barrier
	buffer_gl0_inv
	v_cmpx_ne_u32_e32 0, v2
	s_cbranch_execz .LBB87_29
; %bb.28:                               ;   in Loop: Header=BB87_21 Depth=1
	v_dual_mov_b32 v17, v5 :: v_dual_add_nc_u32 v2, v16, v3
	v_mov_b32_e32 v19, v5
	s_delay_alu instid0(VALU_DEP_2) | instskip(SKIP_2) | instid1(VALU_DEP_3)
	v_mul_lo_u32 v16, v2, s10
	v_mul_lo_u32 v18, v2, s4
	v_mov_b32_e32 v2, v5
	v_lshlrev_b64 v[16:17], 2, v[16:17]
	s_delay_alu instid0(VALU_DEP_3) | instskip(NEXT) | instid1(VALU_DEP_2)
	v_lshlrev_b64 v[18:19], 3, v[18:19]
	v_add_co_u32 v16, vcc_lo, s12, v16
	s_delay_alu instid0(VALU_DEP_3) | instskip(NEXT) | instid1(VALU_DEP_3)
	v_add_co_ci_u32_e32 v17, vcc_lo, s7, v17, vcc_lo
	v_add_co_u32 v18, vcc_lo, s13, v18
	s_delay_alu instid0(VALU_DEP_4)
	v_add_co_ci_u32_e32 v19, vcc_lo, s14, v19, vcc_lo
	global_store_b32 v[16:17], v13, off
	global_store_b64 v[18:19], v[1:2], off
.LBB87_29:                              ;   in Loop: Header=BB87_21 Depth=1
	s_or_b32 exec_lo, exec_lo, s17
	v_cmp_le_u32_e32 vcc_lo, s9, v6
	s_cbranch_vccnz .LBB87_20
; %bb.30:                               ;   in Loop: Header=BB87_21 Depth=1
	ds_store_b32 v7, v14
	s_waitcnt lgkmcnt(0)
	s_waitcnt_vscnt null, 0x0
	s_barrier
	buffer_gl0_inv
	s_and_saveexec_b32 s17, s0
	s_cbranch_execz .LBB87_32
; %bb.31:                               ;   in Loop: Header=BB87_21 Depth=1
	ds_load_2addr_b32 v[16:17], v0 offset1:1
	ds_load_2addr_b32 v[18:19], v0 offset0:2 offset1:3
	ds_load_2addr_b32 v[20:21], v0 offset0:4 offset1:5
	;; [unrolled: 1-line block ×3, first 2 shown]
	v_cmp_ne_u32_e32 vcc_lo, 0, v10
	; wave barrier
	s_waitcnt lgkmcnt(3)
	v_add_nc_u32_e32 v2, v17, v16
	s_waitcnt lgkmcnt(2)
	s_delay_alu instid0(VALU_DEP_1) | instskip(SKIP_1) | instid1(VALU_DEP_1)
	v_add3_u32 v2, v2, v18, v19
	s_waitcnt lgkmcnt(1)
	v_add3_u32 v2, v2, v20, v21
	s_waitcnt lgkmcnt(0)
	s_delay_alu instid0(VALU_DEP_1) | instskip(NEXT) | instid1(VALU_DEP_1)
	v_add3_u32 v2, v2, v22, v23
	v_mov_b32_dpp v17, v2 row_shr:1 row_mask:0xf bank_mask:0xf
	s_delay_alu instid0(VALU_DEP_1) | instskip(SKIP_1) | instid1(VALU_DEP_2)
	v_cndmask_b32_e32 v17, 0, v17, vcc_lo
	v_cmp_lt_u32_e32 vcc_lo, 1, v10
	v_add_nc_u32_e32 v2, v17, v2
	s_delay_alu instid0(VALU_DEP_1) | instskip(NEXT) | instid1(VALU_DEP_1)
	v_mov_b32_dpp v17, v2 row_shr:2 row_mask:0xf bank_mask:0xf
	v_cndmask_b32_e32 v17, 0, v17, vcc_lo
	v_cmp_lt_u32_e32 vcc_lo, 3, v10
	s_delay_alu instid0(VALU_DEP_2) | instskip(NEXT) | instid1(VALU_DEP_1)
	v_add_nc_u32_e32 v2, v2, v17
	v_mov_b32_dpp v17, v2 row_shr:4 row_mask:0xf bank_mask:0xf
	s_delay_alu instid0(VALU_DEP_1) | instskip(SKIP_1) | instid1(VALU_DEP_2)
	v_cndmask_b32_e32 v17, 0, v17, vcc_lo
	v_cmp_lt_u32_e32 vcc_lo, 7, v10
	v_add_nc_u32_e32 v2, v2, v17
	s_delay_alu instid0(VALU_DEP_1) | instskip(NEXT) | instid1(VALU_DEP_1)
	v_mov_b32_dpp v17, v2 row_shr:8 row_mask:0xf bank_mask:0xf
	v_cndmask_b32_e32 v17, 0, v17, vcc_lo
	v_cmp_gt_i32_e32 vcc_lo, 0, v12
	v_cndmask_b32_e32 v18, v12, v8, vcc_lo
	s_delay_alu instid0(VALU_DEP_1) | instskip(NEXT) | instid1(VALU_DEP_4)
	v_lshlrev_b32_e32 v18, 2, v18
	v_add_nc_u32_e32 v2, v2, v17
	ds_swizzle_b32 v17, v2 offset:swizzle(BROADCAST,32,15)
	s_waitcnt lgkmcnt(0)
	v_and_b32_e32 v17, v11, v17
	s_delay_alu instid0(VALU_DEP_1) | instskip(SKIP_3) | instid1(VALU_DEP_1)
	v_add_nc_u32_e32 v2, v2, v17
	ds_bpermute_b32 v2, v18, v2
	s_waitcnt lgkmcnt(0)
	v_add_nc_u32_e32 v2, v2, v16
	v_cndmask_b32_e64 v2, v2, v14, s3
	ds_store_b32 v0, v2
	; wave barrier
	ds_load_2addr_b32 v[16:17], v0 offset0:1 offset1:2
	ds_load_2addr_b32 v[18:19], v0 offset0:3 offset1:4
	ds_load_2addr_b32 v[20:21], v0 offset0:5 offset1:6
	ds_load_b32 v22, v0 offset:28
	s_waitcnt lgkmcnt(3)
	v_add_nc_u32_e32 v2, v16, v2
	s_delay_alu instid0(VALU_DEP_1) | instskip(SKIP_1) | instid1(VALU_DEP_1)
	v_add_nc_u32_e32 v16, v17, v2
	s_waitcnt lgkmcnt(2)
	v_add_nc_u32_e32 v17, v18, v16
	s_delay_alu instid0(VALU_DEP_1) | instskip(SKIP_1) | instid1(VALU_DEP_1)
	v_add_nc_u32_e32 v18, v19, v17
	;; [unrolled: 4-line block ×3, first 2 shown]
	s_waitcnt lgkmcnt(0)
	v_add_nc_u32_e32 v21, v22, v20
	ds_store_2addr_b32 v0, v2, v16 offset0:1 offset1:2
	ds_store_2addr_b32 v0, v17, v18 offset0:3 offset1:4
	;; [unrolled: 1-line block ×3, first 2 shown]
	ds_store_b32 v0, v21 offset:28
.LBB87_32:                              ;   in Loop: Header=BB87_21 Depth=1
	s_or_b32 exec_lo, exec_lo, s17
	v_mov_b32_e32 v2, 0
	s_waitcnt lgkmcnt(0)
	s_barrier
	buffer_gl0_inv
	s_and_saveexec_b32 s17, s2
	s_cbranch_execz .LBB87_34
; %bb.33:                               ;   in Loop: Header=BB87_21 Depth=1
	ds_load_b32 v2, v9
.LBB87_34:                              ;   in Loop: Header=BB87_21 Depth=1
	s_or_b32 exec_lo, exec_lo, s17
	ds_load_b32 v16, v5 offset:1048
	s_mov_b32 s17, exec_lo
	s_waitcnt lgkmcnt(0)
	s_barrier
	buffer_gl0_inv
	v_cmpx_ne_u32_e32 0, v14
	s_cbranch_execz .LBB87_19
; %bb.35:                               ;   in Loop: Header=BB87_21 Depth=1
	v_add_nc_u32_e32 v2, v2, v6
	s_delay_alu instid0(VALU_DEP_1)
	v_cmp_gt_u32_e32 vcc_lo, s9, v2
	s_and_b32 exec_lo, exec_lo, vcc_lo
	s_cbranch_execz .LBB87_19
; %bb.36:                               ;   in Loop: Header=BB87_21 Depth=1
	v_mul_lo_u32 v17, v2, s10
	v_mov_b32_e32 v18, v5
	v_mul_lo_u32 v19, v2, s4
	v_mov_b32_e32 v20, v5
	v_mov_b32_e32 v2, v5
	s_delay_alu instid0(VALU_DEP_4) | instskip(NEXT) | instid1(VALU_DEP_3)
	v_lshlrev_b64 v[17:18], 2, v[17:18]
	v_lshlrev_b64 v[19:20], 3, v[19:20]
	s_delay_alu instid0(VALU_DEP_2) | instskip(NEXT) | instid1(VALU_DEP_3)
	v_add_co_u32 v17, vcc_lo, s12, v17
	v_add_co_ci_u32_e32 v18, vcc_lo, s7, v18, vcc_lo
	s_delay_alu instid0(VALU_DEP_3) | instskip(NEXT) | instid1(VALU_DEP_4)
	v_add_co_u32 v19, vcc_lo, s13, v19
	v_add_co_ci_u32_e32 v20, vcc_lo, s14, v20, vcc_lo
	global_store_b32 v[17:18], v13, off
	global_store_b64 v[19:20], v[1:2], off
	s_branch .LBB87_19
	.p2align	6
.LBB87_37:                              ;   in Loop: Header=BB87_38 Depth=1
	s_add_u32 s24, s24, 4
	s_addc_u32 s25, s25, 0
	s_waitcnt lgkmcnt(0)
	s_add_i32 s53, s9, s53
	s_add_u32 s26, s26, 4
	s_addc_u32 s27, s27, 0
	s_add_i32 s8, s8, 1
	s_delay_alu instid0(SALU_CYCLE_1)
	s_cmp_lt_u32 s8, s6
	s_cbranch_scc0 .LBB87_16
.LBB87_38:                              ; =>This Inner Loop Header: Depth=1
	s_load_b32 s9, s[24:25], 0x0
	s_cmp_ge_u32 s8, s7
	s_cbranch_scc1 .LBB87_37
; %bb.39:                               ;   in Loop: Header=BB87_38 Depth=1
	s_load_b32 s10, s[26:27], 0x0
	s_waitcnt lgkmcnt(0)
	s_add_i32 s41, s9, s41
	s_add_i32 s52, s10, s52
	s_branch .LBB87_37
.LBB87_40:
	s_nop 0
	s_sendmsg sendmsg(MSG_DEALLOC_VGPRS)
	s_endpgm
	.section	.rodata,"a",@progbits
	.p2align	6, 0x0
	.amdhsa_kernel _ZN2at6native6mbtopk10gatherTopKIfjLi3EEEvNS_4cuda6detail10TensorInfoIKT_T0_EES8_S8_bjS8_NS5_IS6_S8_EES8_NS5_IlS8_EES8_jjPS6_PjSD_j
		.amdhsa_group_segment_fixed_size 1068
		.amdhsa_private_segment_fixed_size 0
		.amdhsa_kernarg_size 984
		.amdhsa_user_sgpr_count 13
		.amdhsa_user_sgpr_dispatch_ptr 0
		.amdhsa_user_sgpr_queue_ptr 0
		.amdhsa_user_sgpr_kernarg_segment_ptr 1
		.amdhsa_user_sgpr_dispatch_id 0
		.amdhsa_user_sgpr_private_segment_size 0
		.amdhsa_wavefront_size32 1
		.amdhsa_uses_dynamic_stack 0
		.amdhsa_enable_private_segment 0
		.amdhsa_system_sgpr_workgroup_id_x 1
		.amdhsa_system_sgpr_workgroup_id_y 1
		.amdhsa_system_sgpr_workgroup_id_z 1
		.amdhsa_system_sgpr_workgroup_info 0
		.amdhsa_system_vgpr_workitem_id 0
		.amdhsa_next_free_vgpr 24
		.amdhsa_next_free_sgpr 57
		.amdhsa_reserve_vcc 1
		.amdhsa_float_round_mode_32 0
		.amdhsa_float_round_mode_16_64 0
		.amdhsa_float_denorm_mode_32 3
		.amdhsa_float_denorm_mode_16_64 3
		.amdhsa_dx10_clamp 1
		.amdhsa_ieee_mode 1
		.amdhsa_fp16_overflow 0
		.amdhsa_workgroup_processor_mode 1
		.amdhsa_memory_ordered 1
		.amdhsa_forward_progress 0
		.amdhsa_shared_vgpr_count 0
		.amdhsa_exception_fp_ieee_invalid_op 0
		.amdhsa_exception_fp_denorm_src 0
		.amdhsa_exception_fp_ieee_div_zero 0
		.amdhsa_exception_fp_ieee_overflow 0
		.amdhsa_exception_fp_ieee_underflow 0
		.amdhsa_exception_fp_ieee_inexact 0
		.amdhsa_exception_int_div_zero 0
	.end_amdhsa_kernel
	.section	.text._ZN2at6native6mbtopk10gatherTopKIfjLi3EEEvNS_4cuda6detail10TensorInfoIKT_T0_EES8_S8_bjS8_NS5_IS6_S8_EES8_NS5_IlS8_EES8_jjPS6_PjSD_j,"axG",@progbits,_ZN2at6native6mbtopk10gatherTopKIfjLi3EEEvNS_4cuda6detail10TensorInfoIKT_T0_EES8_S8_bjS8_NS5_IS6_S8_EES8_NS5_IlS8_EES8_jjPS6_PjSD_j,comdat
.Lfunc_end87:
	.size	_ZN2at6native6mbtopk10gatherTopKIfjLi3EEEvNS_4cuda6detail10TensorInfoIKT_T0_EES8_S8_bjS8_NS5_IS6_S8_EES8_NS5_IlS8_EES8_jjPS6_PjSD_j, .Lfunc_end87-_ZN2at6native6mbtopk10gatherTopKIfjLi3EEEvNS_4cuda6detail10TensorInfoIKT_T0_EES8_S8_bjS8_NS5_IS6_S8_EES8_NS5_IlS8_EES8_jjPS6_PjSD_j
                                        ; -- End function
	.section	.AMDGPU.csdata,"",@progbits
; Kernel info:
; codeLenInByte = 3176
; NumSgprs: 59
; NumVgprs: 24
; ScratchSize: 0
; MemoryBound: 0
; FloatMode: 240
; IeeeMode: 1
; LDSByteSize: 1068 bytes/workgroup (compile time only)
; SGPRBlocks: 7
; VGPRBlocks: 2
; NumSGPRsForWavesPerEU: 59
; NumVGPRsForWavesPerEU: 24
; Occupancy: 16
; WaveLimiterHint : 1
; COMPUTE_PGM_RSRC2:SCRATCH_EN: 0
; COMPUTE_PGM_RSRC2:USER_SGPR: 13
; COMPUTE_PGM_RSRC2:TRAP_HANDLER: 0
; COMPUTE_PGM_RSRC2:TGID_X_EN: 1
; COMPUTE_PGM_RSRC2:TGID_Y_EN: 1
; COMPUTE_PGM_RSRC2:TGID_Z_EN: 1
; COMPUTE_PGM_RSRC2:TIDIG_COMP_CNT: 0
	.section	.text._ZN2at6native6sbtopk10gatherTopKIfjLi3ELb0EEEvNS_4cuda6detail10TensorInfoIKT_T0_EES8_S8_bS8_S8_NS5_IS6_S8_EES8_NS5_IlS8_EES8_PS6_,"axG",@progbits,_ZN2at6native6sbtopk10gatherTopKIfjLi3ELb0EEEvNS_4cuda6detail10TensorInfoIKT_T0_EES8_S8_bS8_S8_NS5_IS6_S8_EES8_NS5_IlS8_EES8_PS6_,comdat
	.protected	_ZN2at6native6sbtopk10gatherTopKIfjLi3ELb0EEEvNS_4cuda6detail10TensorInfoIKT_T0_EES8_S8_bS8_S8_NS5_IS6_S8_EES8_NS5_IlS8_EES8_PS6_ ; -- Begin function _ZN2at6native6sbtopk10gatherTopKIfjLi3ELb0EEEvNS_4cuda6detail10TensorInfoIKT_T0_EES8_S8_bS8_S8_NS5_IS6_S8_EES8_NS5_IlS8_EES8_PS6_
	.globl	_ZN2at6native6sbtopk10gatherTopKIfjLi3ELb0EEEvNS_4cuda6detail10TensorInfoIKT_T0_EES8_S8_bS8_S8_NS5_IS6_S8_EES8_NS5_IlS8_EES8_PS6_
	.p2align	8
	.type	_ZN2at6native6sbtopk10gatherTopKIfjLi3ELb0EEEvNS_4cuda6detail10TensorInfoIKT_T0_EES8_S8_bS8_S8_NS5_IS6_S8_EES8_NS5_IlS8_EES8_PS6_,@function
_ZN2at6native6sbtopk10gatherTopKIfjLi3ELb0EEEvNS_4cuda6detail10TensorInfoIKT_T0_EES8_S8_bS8_S8_NS5_IS6_S8_EES8_NS5_IlS8_EES8_PS6_: ; @_ZN2at6native6sbtopk10gatherTopKIfjLi3ELb0EEEvNS_4cuda6detail10TensorInfoIKT_T0_EES8_S8_bS8_S8_NS5_IS6_S8_EES8_NS5_IlS8_EES8_PS6_
; %bb.0:
	s_clause 0x1
	s_load_b64 s[4:5], s[0:1], 0x2b8
	s_load_b128 s[36:39], s[0:1], 0xd8
	s_add_u32 s6, s0, 0x2b8
	s_addc_u32 s7, s1, 0
	s_waitcnt lgkmcnt(0)
	s_mul_i32 s2, s5, s15
	s_delay_alu instid0(SALU_CYCLE_1) | instskip(NEXT) | instid1(SALU_CYCLE_1)
	s_add_i32 s2, s2, s14
	s_mul_i32 s56, s2, s4
	s_delay_alu instid0(SALU_CYCLE_1) | instskip(NEXT) | instid1(SALU_CYCLE_1)
	s_add_i32 s56, s56, s13
	s_cmp_ge_u32 s56, s39
	s_cbranch_scc1 .LBB88_468
; %bb.1:
	s_clause 0x9
	s_load_b64 s[14:15], s[0:1], 0xc
	s_load_b64 s[50:51], s[0:1], 0xfc
	;; [unrolled: 1-line block ×4, first 2 shown]
	s_load_b128 s[40:43], s[0:1], 0x23c
	s_load_b64 s[30:31], s[0:1], 0x1d0
	s_load_b128 s[44:47], s[0:1], 0x15c
	s_load_b64 s[34:35], s[0:1], 0xf0
	s_load_b32 s52, s[0:1], 0xe8
	s_load_b128 s[8:11], s[0:1], 0x6c
	s_mov_b32 s55, 0
	s_waitcnt lgkmcnt(0)
	v_cvt_f32_u32_e32 v1, s15
	v_cvt_f32_u32_e32 v2, s14
	;; [unrolled: 1-line block ×4, first 2 shown]
	s_sub_i32 s11, 0, s15
	v_rcp_iflag_f32_e32 v1, v1
	v_rcp_iflag_f32_e32 v2, v2
	;; [unrolled: 1-line block ×4, first 2 shown]
	v_cvt_f32_u32_e32 v5, s49
	v_cvt_f32_u32_e32 v6, s48
	s_delay_alu instid0(VALU_DEP_2)
	v_rcp_iflag_f32_e32 v5, v5
	v_dual_mul_f32 v1, 0x4f7ffffe, v1 :: v_dual_mul_f32 v2, 0x4f7ffffe, v2
	s_waitcnt_depctr 0xfff
	v_dual_mul_f32 v3, 0x4f7ffffe, v3 :: v_dual_mul_f32 v4, 0x4f7ffffe, v4
	v_cvt_u32_f32_e32 v1, v1
	v_cvt_u32_f32_e32 v2, v2
	s_delay_alu instid0(VALU_DEP_3) | instskip(SKIP_1) | instid1(VALU_DEP_4)
	v_cvt_u32_f32_e32 v3, v3
	v_mul_f32_e32 v5, 0x4f7ffffe, v5
	v_readfirstlane_b32 s5, v1
	v_rcp_iflag_f32_e32 v1, v6
	s_delay_alu instid0(VALU_DEP_3) | instskip(SKIP_1) | instid1(VALU_DEP_3)
	v_readfirstlane_b32 s17, v3
	v_cvt_u32_f32_e32 v3, v4
	s_mul_i32 s11, s11, s5
	s_delay_alu instid0(SALU_CYCLE_1) | instskip(NEXT) | instid1(SALU_CYCLE_1)
	s_mul_hi_u32 s11, s5, s11
	s_add_i32 s5, s5, s11
	s_waitcnt_depctr 0xfff
	v_mul_f32_e32 v1, 0x4f7ffffe, v1
	s_mul_hi_u32 s5, s56, s5
	s_delay_alu instid0(SALU_CYCLE_1)
	s_mul_i32 s11, s5, s15
	s_add_i32 s12, s5, 1
	s_sub_i32 s11, s56, s11
	v_cvt_u32_f32_e32 v1, v1
	s_sub_i32 s16, s11, s15
	s_cmp_ge_u32 s11, s15
	s_cselect_b32 s5, s12, s5
	s_cselect_b32 s11, s16, s11
	s_add_i32 s12, s5, 1
	s_cmp_ge_u32 s11, s15
	v_readfirstlane_b32 s20, v1
	s_cselect_b32 s11, s12, s5
	s_sub_i32 s5, 0, s51
	v_readfirstlane_b32 s12, v2
	s_mul_i32 s5, s5, s17
	s_sub_i32 s16, 0, s14
	s_mul_hi_u32 s5, s17, s5
	v_cvt_u32_f32_e32 v2, v5
	s_add_i32 s17, s17, s5
	s_mul_i32 s16, s16, s12
	s_mul_hi_u32 s5, s56, s17
	s_mul_hi_u32 s16, s12, s16
	s_mul_i32 s17, s5, s51
	s_add_i32 s12, s12, s16
	s_sub_i32 s16, s56, s17
	s_add_i32 s17, s5, 1
	s_sub_i32 s18, s16, s51
	s_cmp_ge_u32 s16, s51
	v_readfirstlane_b32 s19, v2
	s_cselect_b32 s5, s17, s5
	s_cselect_b32 s16, s18, s16
	s_add_i32 s17, s5, 1
	s_cmp_ge_u32 s16, s51
	v_readfirstlane_b32 s16, v3
	s_cselect_b32 s58, s17, s5
	s_sub_i32 s5, 0, s49
	s_sub_i32 s17, 0, s50
	s_mul_i32 s5, s5, s19
	s_mul_i32 s17, s17, s16
	s_mul_hi_u32 s5, s19, s5
	s_mul_hi_u32 s17, s16, s17
	s_add_i32 s19, s19, s5
	s_add_i32 s16, s16, s17
	s_mul_hi_u32 s5, s56, s19
	s_mul_hi_u32 s12, s11, s12
	s_mul_i32 s18, s5, s49
	s_mul_hi_u32 s60, s58, s16
	s_sub_i32 s17, s56, s18
	s_add_i32 s18, s5, 1
	s_sub_i32 s19, s17, s49
	s_cmp_ge_u32 s17, s49
	s_cselect_b32 s5, s18, s5
	s_cselect_b32 s17, s19, s17
	s_add_i32 s18, s5, 1
	s_cmp_ge_u32 s17, s49
	s_cselect_b32 s57, s18, s5
	s_sub_i32 s5, 0, s48
	s_delay_alu instid0(SALU_CYCLE_1) | instskip(NEXT) | instid1(SALU_CYCLE_1)
	s_mul_i32 s5, s5, s20
	s_mul_hi_u32 s17, s20, s5
	v_cmp_eq_u32_e64 s5, 0, v0
	s_add_i32 s20, s20, s17
	s_delay_alu instid0(SALU_CYCLE_1) | instskip(NEXT) | instid1(VALU_DEP_1)
	s_mul_hi_u32 s59, s57, s20
	s_and_saveexec_b32 s16, s5
	s_cbranch_execz .LBB88_3
; %bb.2:
	v_dual_mov_b32 v1, 0 :: v_dual_mov_b32 v2, s36
	s_delay_alu instid0(VALU_DEP_1)
	v_mov_b32_e32 v3, v1
	ds_store_b96 v1, v[1:3] offset:4096
.LBB88_3:
	s_or_b32 exec_lo, exec_lo, s16
	s_mul_i32 s16, s12, s14
	s_mul_i32 s15, s11, s15
	s_sub_i32 s16, s11, s16
	s_sub_i32 s15, s56, s15
	s_add_i32 s17, s12, 1
	s_sub_i32 s18, s16, s14
	s_cmp_ge_u32 s16, s14
	s_waitcnt lgkmcnt(0)
	s_cselect_b32 s12, s17, s12
	s_cselect_b32 s16, s18, s16
	s_add_i32 s17, s12, 1
	s_cmp_ge_u32 s16, s14
	s_barrier
	buffer_gl0_inv
	s_load_b32 s16, s[6:7], 0xc
	s_cselect_b32 s12, s17, s12
	s_mul_i32 s15, s15, s10
	s_mul_i32 s14, s12, s14
	;; [unrolled: 1-line block ×3, first 2 shown]
	s_sub_i32 s11, s11, s14
	v_mbcnt_lo_u32_b32 v17, -1, 0
	s_mul_i32 s9, s11, s9
	v_cmp_gt_u32_e32 vcc_lo, 32, v0
	s_add_i32 s8, s9, s15
	v_mul_lo_u32 v9, v0, s52
	s_add_i32 s54, s8, s12
	v_dual_mov_b32 v29, 0 :: v_dual_lshlrev_b32 v26, 4, v0
	s_lshl_b64 s[8:9], s[54:55], 2
	v_lshl_or_b32 v27, v17, 2, 0xc00
	s_add_u32 s33, s2, s8
	s_addc_u32 s43, s3, s9
	s_bitcmp1_b32 s38, 0
	v_cmp_gt_i32_e64 s2, 4, v17
	s_cselect_b32 s3, -1, 0
	s_waitcnt lgkmcnt(0)
	s_and_b32 s47, s16, 0xffff
	s_xor_b32 s54, s3, -1
	s_lshl_b32 s61, s47, 2
	s_bfe_u32 s8, s16, 0xb0005
	v_cvt_f32_u32_e32 v1, s61
	s_and_b32 s62, vcc_lo, s2
	s_cmpk_gt_u32 s36, 0x300
	v_cvt_f32_u32_e32 v2, s47
	s_cselect_b32 s63, -1, 0
	v_rcp_iflag_f32_e32 v1, v1
	s_cmp_gt_u32 s47, 31
	v_lshlrev_b32_e32 v18, 2, v0
	s_cselect_b32 s64, -1, 0
	s_add_i32 s65, s47, -1
	v_dual_mov_b32 v15, 0 :: v_dual_lshlrev_b32 v24, 2, v9
	s_add_i32 s9, s65, s36
	s_cmp_lt_u32 s13, s4
	s_waitcnt_depctr 0xfff
	v_dual_mov_b32 v30, s37 :: v_dual_mul_f32 v1, 0x4f7ffffe, v1
	s_cselect_b32 s2, 12, 18
	v_mad_u64_u32 v[12:13], null, s52, v18, s[52:53]
	s_add_u32 s38, s6, s2
	s_delay_alu instid0(VALU_DEP_2)
	v_cvt_u32_f32_e32 v1, v1
	s_addc_u32 s39, s7, 0
	s_add_i32 s2, s8, -1
	s_bfe_u32 s66, s47, 0x30005
	s_cmp_gt_u32 s2, 6
	v_readfirstlane_b32 s2, v1
	s_cselect_b32 s67, -1, 0
	s_and_b32 s68, s8, 0x7f8
	s_cmp_lg_u32 s66, 0
	v_rcp_iflag_f32_e32 v1, v2
	s_cselect_b32 s69, -1, 0
	s_sub_i32 s4, 0, s61
	v_mov_b32_e32 v8, 0
	s_mul_i32 s6, s4, s2
	v_cmp_gt_u32_e64 s4, s36, v0
	s_mul_hi_u32 s6, s2, s6
	v_add_nc_u32_e32 v21, 0xc00, v18
	s_add_i32 s70, s2, s6
	v_cmp_eq_u32_e64 s2, 0, v17
	s_mul_hi_u32 s6, s36, s70
	s_waitcnt_depctr 0xfff
	v_mul_f32_e32 v3, 0x4f7ffffe, v1
	s_mul_i32 s6, s6, s61
	v_mov_b32_e32 v28, 0
	s_sub_i32 s6, s36, s6
	s_mul_i32 s53, s52, s47
	s_sub_i32 s7, s6, s61
	s_cmp_ge_u32 s6, s61
	v_cvt_u32_f32_e32 v3, v3
	s_cselect_b32 s6, s7, s6
	s_mov_b32 s82, 30
	s_sub_i32 s7, s6, s61
	s_cmp_ge_u32 s6, s61
	v_readfirstlane_b32 s8, v3
	s_cselect_b32 s10, s7, s6
	s_sub_i32 s6, 0, s47
	s_sub_i32 s71, s36, s10
	s_delay_alu instid0(SALU_CYCLE_1) | instskip(SKIP_3) | instid1(VALU_DEP_2)
	v_dual_mov_b32 v10, v8 :: v_dual_add_nc_u32 v19, s71, v0
	s_mul_i32 s6, s6, s8
	v_or_b32_e32 v3, 3, v18
	s_mul_hi_u32 s6, s8, s6
	v_lshlrev_b64 v[1:2], 2, v[9:10]
	v_mul_lo_u32 v7, v19, s52
	s_add_i32 s72, s8, s6
	v_mul_lo_u32 v23, s52, v3
	s_mul_hi_u32 s6, s9, s72
	v_mov_b32_e32 v13, 1.0
	v_add_co_u32 v5, vcc_lo, s33, v1
	v_lshrrev_b32_e32 v1, 3, v0
	v_add_co_ci_u32_e32 v6, vcc_lo, s43, v2, vcc_lo
	s_mul_i32 s7, s6, s47
	v_cmp_gt_u32_e64 s6, 2, v0
	s_delay_alu instid0(VALU_DEP_3)
	v_and_b32_e32 v20, 0x7c, v1
	v_lshlrev_b64 v[1:2], v17, -1
	s_sub_i32 s7, s9, s7
	s_mov_b32 s77, 0
	s_sub_i32 s8, s7, s47
	s_cmp_ge_u32 s7, s47
                                        ; implicit-def: $sgpr76
                                        ; implicit-def: $sgpr80
                                        ; implicit-def: $sgpr79
                                        ; implicit-def: $sgpr81
                                        ; implicit-def: $sgpr78
                                        ; implicit-def: $sgpr83
                                        ; implicit-def: $sgpr85
                                        ; implicit-def: $sgpr84
                                        ; implicit-def: $sgpr86
                                        ; implicit-def: $sgpr87
	s_delay_alu instid0(VALU_DEP_1)
	v_not_b32_e32 v16, v1
	v_lshlrev_b64 v[1:2], 2, v[7:8]
	s_cselect_b32 s8, s8, s7
	v_cmp_gt_u32_e64 s7, s71, v18
	s_sub_i32 s11, s8, s47
	s_cmp_ge_u32 s8, s47
	s_delay_alu instid0(VALU_DEP_2) | instskip(SKIP_4) | instid1(VALU_DEP_3)
	v_add_co_u32 v10, vcc_lo, s33, v1
	v_add3_u32 v1, s47, s36, v0
	v_add_co_ci_u32_e32 v11, vcc_lo, s43, v2, vcc_lo
	v_or_b32_e32 v2, 2, v18
	s_cselect_b32 s11, s11, s8
	v_subrev_nc_u32_e32 v1, s10, v1
	s_sub_i32 s73, s9, s11
	v_cmp_gt_u32_e64 s8, s36, v19
	v_mul_lo_u32 v22, s52, v2
	v_cmp_gt_u32_e64 s9, s73, v0
	v_mul_lo_u32 v25, s52, v1
	s_lshl_b32 s74, s53, 2
	s_lshl_b32 s75, s47, 4
	s_branch .LBB88_6
.LBB88_4:                               ;   in Loop: Header=BB88_6 Depth=1
	s_or_b32 exec_lo, exec_lo, s13
	v_dual_mov_b32 v28, v4 :: v_dual_mov_b32 v29, v3
	v_dual_mov_b32 v30, v31 :: v_dual_mov_b32 v15, v2
	s_and_not1_b32 s13, s87, exec_lo
	s_and_b32 s12, s12, exec_lo
	s_and_not1_b32 s86, s86, exec_lo
	s_or_b32 s87, s13, s12
	s_and_not1_b32 s84, s84, exec_lo
	s_and_not1_b32 s85, s85, exec_lo
	;; [unrolled: 1-line block ×3, first 2 shown]
	s_or_not1_b32 s12, s11, exec_lo
.LBB88_5:                               ;   in Loop: Header=BB88_6 Depth=1
	s_or_b32 exec_lo, exec_lo, s10
	s_delay_alu instid0(SALU_CYCLE_1) | instskip(NEXT) | instid1(SALU_CYCLE_1)
	s_and_b32 s10, exec_lo, s12
	s_or_b32 s55, s10, s55
	s_and_not1_b32 s10, s78, exec_lo
	s_and_b32 s11, s87, exec_lo
	s_and_not1_b32 s12, s81, exec_lo
	s_or_b32 s78, s10, s11
	s_and_b32 s10, s86, exec_lo
	s_and_not1_b32 s11, s79, exec_lo
	s_and_b32 s13, s84, exec_lo
	s_or_b32 s81, s12, s10
	s_or_b32 s79, s11, s13
	s_and_not1_b32 s10, s80, exec_lo
	s_and_b32 s11, s85, exec_lo
	s_and_not1_b32 s12, s76, exec_lo
	s_and_b32 s13, s83, exec_lo
	s_or_b32 s80, s10, s11
	s_or_b32 s76, s12, s13
	s_and_not1_b32 exec_lo, exec_lo, s55
	s_cbranch_execz .LBB88_406
.LBB88_6:                               ; =>This Loop Header: Depth=1
                                        ;     Child Loop BB88_14 Depth 2
                                        ;     Child Loop BB88_29 Depth 2
	;; [unrolled: 1-line block ×24, first 2 shown]
	ds_load_b64 v[1:2], v8 offset:4096
	s_waitcnt lgkmcnt(0)
	v_readfirstlane_b32 s88, v1
	s_delay_alu instid0(VALU_DEP_1)
	s_cmp_lg_u32 s88, 0
	s_cbranch_scc1 .LBB88_36
; %bb.7:                                ;   in Loop: Header=BB88_6 Depth=1
	s_and_b32 vcc_lo, exec_lo, s63
	s_cbranch_vccz .LBB88_22
; %bb.8:                                ;   in Loop: Header=BB88_6 Depth=1
	v_cmp_gt_u32_e32 vcc_lo, 0x301, v2
	s_mov_b32 s88, 0
	s_mov_b32 s10, 0
	s_cbranch_vccz .LBB88_23
; %bb.9:                                ;   in Loop: Header=BB88_6 Depth=1
	v_mov_b32_e32 v1, 0
	s_and_saveexec_b32 s10, s4
	s_cbranch_execz .LBB88_11
; %bb.10:                               ;   in Loop: Header=BB88_6 Depth=1
	global_load_b32 v1, v[5:6], off
.LBB88_11:                              ;   in Loop: Header=BB88_6 Depth=1
	s_or_b32 exec_lo, exec_lo, s10
	s_and_saveexec_b32 s12, s4
	s_cbranch_execz .LBB88_87
; %bb.12:                               ;   in Loop: Header=BB88_6 Depth=1
	global_load_u16 v2, v8, s[38:39]
	v_mov_b32_e32 v4, v0
	s_mov_b32 s13, 0
	s_waitcnt vmcnt(0)
	v_add_nc_u32_e32 v3, v0, v2
	s_delay_alu instid0(VALU_DEP_1)
	v_mul_lo_u32 v7, s52, v3
	v_mul_lo_u32 v3, s52, v2
	s_branch .LBB88_14
.LBB88_13:                              ;   in Loop: Header=BB88_14 Depth=2
	s_or_b32 exec_lo, exec_lo, s11
	v_add_nc_u32_e32 v7, v7, v3
	s_waitcnt vmcnt(0)
	v_mov_b32_e32 v1, v14
	s_and_not1_b32 exec_lo, exec_lo, s13
	s_cbranch_execz .LBB88_87
.LBB88_14:                              ;   Parent Loop BB88_6 Depth=1
                                        ; =>  This Inner Loop Header: Depth=2
	s_waitcnt lgkmcnt(0)
	v_dual_mov_b32 v31, 0 :: v_dual_add_nc_u32 v4, v4, v2
	v_mov_b32_e32 v14, 0
	s_mov_b32 s11, exec_lo
	s_delay_alu instid0(VALU_DEP_2)
	v_cmp_le_u32_e32 vcc_lo, s36, v4
	v_cmpx_gt_u32_e64 s36, v4
	s_cbranch_execz .LBB88_16
; %bb.15:                               ;   in Loop: Header=BB88_14 Depth=2
	v_lshlrev_b64 v[32:33], 2, v[7:8]
	s_delay_alu instid0(VALU_DEP_1) | instskip(NEXT) | instid1(VALU_DEP_1)
	v_add_co_u32 v32, s10, s33, v32
	v_add_co_ci_u32_e64 v33, s10, s43, v33, s10
	global_load_b32 v14, v[32:33], off
.LBB88_16:                              ;   in Loop: Header=BB88_14 Depth=2
	s_or_b32 exec_lo, exec_lo, s11
	v_cmp_lt_i32_e64 s10, -1, v1
	s_delay_alu instid0(VALU_DEP_1) | instskip(SKIP_1) | instid1(VALU_DEP_2)
	v_cndmask_b32_e64 v32, -1, 0x80000000, s10
	v_cmp_o_f32_e64 s10, v1, v1
	v_xor_b32_e32 v32, v32, v1
	s_delay_alu instid0(VALU_DEP_1) | instskip(NEXT) | instid1(VALU_DEP_1)
	v_cndmask_b32_e64 v32, -1, v32, s10
	v_and_b32_e32 v32, v32, v28
	s_delay_alu instid0(VALU_DEP_1) | instskip(NEXT) | instid1(VALU_DEP_1)
	v_cmp_eq_u32_e64 s10, v32, v29
	s_cmp_lg_u32 s10, 0
	s_cselect_b32 s11, -1, 0
	s_delay_alu instid0(SALU_CYCLE_1) | instskip(NEXT) | instid1(SALU_CYCLE_1)
	s_and_b32 s11, s2, s11
	s_and_saveexec_b32 s14, s11
	s_cbranch_execz .LBB88_20
; %bb.17:                               ;   in Loop: Header=BB88_14 Depth=2
	s_mov_b32 s17, exec_lo
	s_bcnt1_i32_b32 s15, s10
	v_mbcnt_lo_u32_b32 v31, s17, 0
	s_mov_b32 s16, exec_lo
                                        ; implicit-def: $vgpr32
	s_delay_alu instid0(VALU_DEP_1)
	v_cmpx_eq_u32_e32 0, v31
	s_cbranch_execz .LBB88_19
; %bb.18:                               ;   in Loop: Header=BB88_14 Depth=2
	s_bcnt1_i32_b32 s11, s17
	s_delay_alu instid0(SALU_CYCLE_1) | instskip(NEXT) | instid1(SALU_CYCLE_1)
	s_mul_i32 s11, s15, s11
	v_mov_b32_e32 v32, s11
	ds_add_rtn_u32 v32, v8, v32 offset:4104
.LBB88_19:                              ;   in Loop: Header=BB88_14 Depth=2
	s_or_b32 exec_lo, exec_lo, s16
	s_waitcnt lgkmcnt(0)
	v_readfirstlane_b32 s11, v32
	s_delay_alu instid0(VALU_DEP_1)
	v_mad_u32_u24 v31, s15, v31, s11
.LBB88_20:                              ;   in Loop: Header=BB88_14 Depth=2
	s_or_b32 exec_lo, exec_lo, s14
	ds_bpermute_b32 v31, v8, v31
	s_and_b32 s11, exec_lo, vcc_lo
	s_delay_alu instid0(SALU_CYCLE_1)
	s_or_b32 s13, s11, s13
	s_and_saveexec_b32 s11, s10
	s_cbranch_execz .LBB88_13
; %bb.21:                               ;   in Loop: Header=BB88_14 Depth=2
	v_and_b32_e32 v32, s10, v16
	s_delay_alu instid0(VALU_DEP_1) | instskip(NEXT) | instid1(VALU_DEP_1)
	v_bcnt_u32_b32 v32, v32, 0
	v_lshlrev_b32_e32 v32, 2, v32
	s_waitcnt lgkmcnt(0)
	s_delay_alu instid0(VALU_DEP_1)
	v_lshl_add_u32 v31, v31, 2, v32
	ds_store_b32 v31, v1
	s_branch .LBB88_13
.LBB88_22:                              ;   in Loop: Header=BB88_6 Depth=1
	s_mov_b32 s88, -1
	s_mov_b32 s10, 0
.LBB88_23:                              ;   in Loop: Header=BB88_6 Depth=1
	s_and_b32 vcc_lo, exec_lo, s88
	s_cbranch_vccz .LBB88_34
.LBB88_24:                              ;   in Loop: Header=BB88_6 Depth=1
	v_mov_b32_e32 v1, 0
	s_and_saveexec_b32 s10, s4
	s_cbranch_execz .LBB88_26
; %bb.25:                               ;   in Loop: Header=BB88_6 Depth=1
	global_load_b32 v1, v[5:6], off
.LBB88_26:                              ;   in Loop: Header=BB88_6 Depth=1
	s_or_b32 exec_lo, exec_lo, s10
	s_and_saveexec_b32 s11, s4
	s_cbranch_execz .LBB88_31
; %bb.27:                               ;   in Loop: Header=BB88_6 Depth=1
	global_load_u16 v2, v8, s[38:39]
	s_mov_b32 s12, 0
	v_dual_mov_b32 v14, v18 :: v_dual_mov_b32 v31, v0
	s_waitcnt vmcnt(0)
	v_add_nc_u32_e32 v3, v0, v2
	v_lshlrev_b32_e32 v4, 2, v2
	s_delay_alu instid0(VALU_DEP_2)
	v_mul_lo_u32 v7, s52, v3
	v_mul_lo_u32 v3, s52, v2
	s_set_inst_prefetch_distance 0x1
	s_branch .LBB88_29
	.p2align	6
.LBB88_28:                              ;   in Loop: Header=BB88_29 Depth=2
	s_or_b32 exec_lo, exec_lo, s13
	ds_store_b32 v14, v1
	s_waitcnt vmcnt(0)
	v_dual_mov_b32 v1, v32 :: v_dual_add_nc_u32 v14, v14, v4
	v_add_nc_u32_e32 v7, v7, v3
	s_and_b32 s10, exec_lo, vcc_lo
	s_delay_alu instid0(SALU_CYCLE_1) | instskip(NEXT) | instid1(SALU_CYCLE_1)
	s_or_b32 s12, s10, s12
	s_and_not1_b32 exec_lo, exec_lo, s12
	s_cbranch_execz .LBB88_31
.LBB88_29:                              ;   Parent Loop BB88_6 Depth=1
                                        ; =>  This Inner Loop Header: Depth=2
	v_dual_mov_b32 v32, 0 :: v_dual_add_nc_u32 v31, v31, v2
	s_mov_b32 s13, exec_lo
	s_delay_alu instid0(VALU_DEP_1)
	v_cmp_le_u32_e32 vcc_lo, s36, v31
	v_cmpx_gt_u32_e64 s36, v31
	s_cbranch_execz .LBB88_28
; %bb.30:                               ;   in Loop: Header=BB88_29 Depth=2
	v_lshlrev_b64 v[32:33], 2, v[7:8]
	s_delay_alu instid0(VALU_DEP_1) | instskip(NEXT) | instid1(VALU_DEP_1)
	v_add_co_u32 v32, s10, s33, v32
	v_add_co_ci_u32_e64 v33, s10, s43, v33, s10
	global_load_b32 v32, v[32:33], off
	s_branch .LBB88_28
.LBB88_31:                              ;   in Loop: Header=BB88_6 Depth=1
	s_set_inst_prefetch_distance 0x2
	s_or_b32 exec_lo, exec_lo, s11
	s_waitcnt vmcnt(0) lgkmcnt(0)
	s_barrier
	buffer_gl0_inv
	s_and_saveexec_b32 s10, s5
	s_cbranch_execz .LBB88_33
; %bb.32:                               ;   in Loop: Header=BB88_6 Depth=1
	v_mov_b32_e32 v1, s36
	ds_store_b32 v8, v1 offset:4096
.LBB88_33:                              ;   in Loop: Header=BB88_6 Depth=1
	s_or_b32 exec_lo, exec_lo, s10
	s_mov_b32 s10, -1
	s_waitcnt lgkmcnt(0)
	s_barrier
                                        ; implicit-def: $sgpr88
.LBB88_34:                              ;   in Loop: Header=BB88_6 Depth=1
	s_and_b32 vcc_lo, exec_lo, s10
	s_cbranch_vccz .LBB88_36
; %bb.35:                               ;   in Loop: Header=BB88_6 Depth=1
	buffer_gl0_inv
	ds_load_b32 v1, v8 offset:4096
	s_waitcnt lgkmcnt(0)
	v_readfirstlane_b32 s88, v1
.LBB88_36:                              ;   in Loop: Header=BB88_6 Depth=1
	s_delay_alu instid0(VALU_DEP_1)
	s_cmp_lt_i32 s88, 1
	s_cbranch_scc0 .LBB88_40
; %bb.37:                               ;   in Loop: Header=BB88_6 Depth=1
	v_dual_mov_b32 v1, 0 :: v_dual_mov_b32 v2, 0
	v_dual_mov_b32 v3, 0 :: v_dual_mov_b32 v4, 0
	s_mov_b32 s22, 0
	s_and_saveexec_b32 s21, s7
	s_cbranch_execnz .LBB88_41
; %bb.38:                               ;   in Loop: Header=BB88_6 Depth=1
	s_or_b32 exec_lo, exec_lo, s21
	v_mov_b32_e32 v31, 0
	s_and_saveexec_b32 s10, s8
	s_cbranch_execnz .LBB88_44
.LBB88_39:                              ;   in Loop: Header=BB88_6 Depth=1
	s_or_b32 exec_lo, exec_lo, s10
	s_and_saveexec_b32 s14, s8
	s_cbranch_execnz .LBB88_45
	s_branch .LBB88_50
.LBB88_40:                              ;   in Loop: Header=BB88_6 Depth=1
                                        ; implicit-def: $vgpr4
	s_cbranch_execnz .LBB88_51
	s_branch .LBB88_60
.LBB88_41:                              ;   in Loop: Header=BB88_6 Depth=1
	v_mov_b32_e32 v14, v18
	s_and_b32 s23, s82, 0xfe
	s_mov_b32 s24, 0
	s_mov_b32 s25, 0
	;; [unrolled: 1-line block ×5, first 2 shown]
.LBB88_42:                              ;   Parent Loop BB88_6 Depth=1
                                        ; =>  This Inner Loop Header: Depth=2
	v_add_nc_u32_e32 v7, s24, v24
	s_delay_alu instid0(VALU_DEP_1) | instskip(SKIP_1) | instid1(VALU_DEP_1)
	v_lshlrev_b64 v[1:2], 2, v[7:8]
	v_add_nc_u32_e32 v7, s24, v12
	v_lshlrev_b64 v[3:4], 2, v[7:8]
	v_add_nc_u32_e32 v7, s24, v22
	s_delay_alu instid0(VALU_DEP_4) | instskip(SKIP_1) | instid1(VALU_DEP_3)
	v_add_co_u32 v1, vcc_lo, s33, v1
	v_add_co_ci_u32_e32 v2, vcc_lo, s43, v2, vcc_lo
	v_lshlrev_b64 v[31:32], 2, v[7:8]
	v_add_nc_u32_e32 v7, s24, v23
	s_add_i32 s24, s24, s74
	global_load_b32 v33, v[1:2], off
	v_add_co_u32 v1, vcc_lo, s33, v3
	v_add_co_ci_u32_e32 v2, vcc_lo, s43, v4, vcc_lo
	v_add_co_u32 v31, vcc_lo, s33, v31
	v_add_co_ci_u32_e32 v32, vcc_lo, s43, v32, vcc_lo
	v_lshlrev_b64 v[3:4], 2, v[7:8]
	s_clause 0x1
	global_load_b32 v7, v[1:2], off
	global_load_b32 v31, v[31:32], off
	v_add_co_u32 v1, vcc_lo, s33, v3
	v_add_co_ci_u32_e32 v2, vcc_lo, s43, v4, vcc_lo
	global_load_b32 v1, v[1:2], off
	s_waitcnt vmcnt(3)
	v_cmp_lt_i32_e64 s10, -1, v33
	s_delay_alu instid0(VALU_DEP_1) | instskip(SKIP_2) | instid1(VALU_DEP_2)
	v_cndmask_b32_e64 v2, -1, 0x80000000, s10
	s_waitcnt vmcnt(2)
	v_cmp_lt_i32_e64 s10, -1, v7
	v_xor_b32_e32 v2, v2, v33
	s_waitcnt vmcnt(1)
	v_cmp_lt_i32_e64 s11, -1, v31
	s_delay_alu instid0(VALU_DEP_3) | instskip(SKIP_1) | instid1(VALU_DEP_3)
	v_cndmask_b32_e64 v3, -1, 0x80000000, s10
	v_cmp_o_f32_e64 s10, v33, v33
	v_cndmask_b32_e64 v4, -1, 0x80000000, s11
	s_delay_alu instid0(VALU_DEP_3) | instskip(NEXT) | instid1(VALU_DEP_3)
	v_xor_b32_e32 v3, v3, v7
	v_cndmask_b32_e64 v2, -1, v2, s10
	v_cmp_o_f32_e64 s10, v7, v7
	s_delay_alu instid0(VALU_DEP_4)
	v_xor_b32_e32 v4, v4, v31
	s_waitcnt vmcnt(0)
	v_cmp_o_f32_e64 s15, v1, v1
	v_and_b32_e32 v32, v2, v28
	v_cndmask_b32_e64 v3, -1, v3, s10
	v_cmp_lt_i32_e64 s10, -1, v1
	v_bfe_u32 v2, v2, s23, 2
	s_delay_alu instid0(VALU_DEP_2) | instskip(SKIP_1) | instid1(VALU_DEP_3)
	v_cndmask_b32_e64 v7, -1, 0x80000000, s10
	v_cmp_o_f32_e64 s10, v31, v31
	v_cmp_eq_u32_e64 s11, 0, v2
	v_and_b32_e32 v31, v3, v28
	v_bfe_u32 v3, v3, s23, 2
	v_xor_b32_e32 v7, v7, v1
	v_cndmask_b32_e64 v4, -1, v4, s10
	v_cmp_eq_u32_e64 s10, v32, v29
	v_cmp_eq_u32_e64 s12, 1, v2
	;; [unrolled: 1-line block ×4, first 2 shown]
	v_cndmask_b32_e64 v1, -1, v7, s15
	s_and_b32 s11, s10, s11
	v_and_b32_e32 v2, v4, v28
	v_bfe_u32 v4, v4, s23, 2
	v_cmp_eq_u32_e64 s15, v31, v29
	v_cmp_eq_u32_e64 s16, 0, v3
	v_cndmask_b32_e64 v7, 0, 1, s11
	v_cmp_eq_u32_e64 s11, 1, v3
	s_and_b32 s12, s10, s12
	s_and_b32 s13, s10, s13
	v_cndmask_b32_e64 v31, 0, 1, s12
	v_cmp_eq_u32_e64 s12, 2, v3
	v_cndmask_b32_e64 v32, 0, 1, s13
	v_cmp_eq_u32_e64 s13, 3, v3
	s_and_b32 s10, s10, s14
	v_cmp_eq_u32_e64 s14, 0, v4
	v_cndmask_b32_e64 v3, 0, 1, s10
	v_cmp_eq_u32_e64 s10, v2, v29
	v_and_b32_e32 v2, v1, v28
	v_bfe_u32 v1, v1, s23, 2
	s_and_b32 s16, s15, s16
	s_and_b32 s11, s15, s11
	v_cmp_ne_u32_e64 s17, 0, v7
	v_cndmask_b32_e64 v7, 0, 1, s16
	v_cmp_eq_u32_e64 s16, 1, v4
	v_cmp_ne_u32_e64 s18, 0, v31
	v_cndmask_b32_e64 v31, 0, 1, s11
	v_cmp_eq_u32_e64 s11, 2, v4
	s_and_b32 s12, s15, s12
	s_and_b32 s13, s15, s13
	v_cmp_ne_u32_e64 s19, 0, v32
	v_cndmask_b32_e64 v32, 0, 1, s12
	v_cmp_eq_u32_e64 s12, 3, v4
	v_cmp_ne_u32_e64 s20, 0, v3
	v_cndmask_b32_e64 v3, 0, 1, s13
	v_cmp_eq_u32_e64 s13, v2, v29
	v_cmp_eq_u32_e64 s15, 0, v1
	s_and_b32 s14, s10, s14
	s_and_b32 s16, s10, s16
	v_cndmask_b32_e64 v2, 0, 1, s14
	s_and_b32 s11, s10, s11
	s_bcnt1_i32_b32 s29, s17
	v_cmp_ne_u32_e64 s17, 0, v7
	v_cmp_eq_u32_e64 s14, 1, v1
	v_cndmask_b32_e64 v4, 0, 1, s16
	v_cmp_eq_u32_e64 s16, 2, v1
	v_cndmask_b32_e64 v7, 0, 1, s11
	v_cmp_eq_u32_e64 s11, 3, v1
	s_and_b32 s10, s10, s12
	s_and_b32 s12, s13, s15
	s_bcnt1_i32_b32 s91, s20
	v_cmp_ne_u32_e64 s20, 0, v3
	v_cndmask_b32_e64 v1, 0, 1, s10
	v_cmp_ne_u32_e64 s10, 0, v2
	v_cndmask_b32_e64 v2, 0, 1, s12
	s_and_b32 s14, s13, s14
	s_and_b32 s15, s13, s16
	;; [unrolled: 1-line block ×3, first 2 shown]
	v_cmp_ne_u32_e64 s12, 0, v4
	v_cndmask_b32_e64 v3, 0, 1, s14
	v_cndmask_b32_e64 v4, 0, 1, s15
	s_bcnt1_i32_b32 s16, s20
	v_cmp_ne_u32_e64 s15, 0, v1
	v_cndmask_b32_e64 v1, 0, 1, s11
	s_bcnt1_i32_b32 s20, s10
	v_cmp_ne_u32_e64 s10, 0, v2
	s_bcnt1_i32_b32 s89, s18
	v_cmp_ne_u32_e64 s18, 0, v31
	;; [unrolled: 2-line block ×3, first 2 shown]
	s_add_i32 s28, s29, s28
	s_bcnt1_i32_b32 s17, s17
	s_add_i32 s25, s91, s25
	v_cmp_ne_u32_e64 s14, 0, v7
	s_add_i32 s17, s28, s17
	s_add_i32 s16, s25, s16
	s_bcnt1_i32_b32 s25, s12
	v_cmp_ne_u32_e64 s11, 0, v3
	v_cmp_ne_u32_e64 s12, 0, v4
	;; [unrolled: 1-line block ×3, first 2 shown]
	s_add_i32 s17, s17, s20
	s_bcnt1_i32_b32 s10, s10
	s_add_i32 s27, s89, s27
	s_add_i32 s26, s90, s26
	s_bcnt1_i32_b32 s18, s18
	s_bcnt1_i32_b32 s19, s19
	s_add_i32 s28, s17, s10
	s_delay_alu instid0(SALU_CYCLE_1)
	v_dual_mov_b32 v1, s28 :: v_dual_add_nc_u32 v14, s61, v14
	s_add_i32 s18, s27, s18
	s_add_i32 s19, s26, s19
	s_bcnt1_i32_b32 s14, s14
	s_bcnt1_i32_b32 s15, s15
	s_add_i32 s18, s18, s25
	s_add_i32 s14, s19, s14
	;; [unrolled: 1-line block ×3, first 2 shown]
	s_bcnt1_i32_b32 s11, s11
	s_bcnt1_i32_b32 s12, s12
	;; [unrolled: 1-line block ×3, first 2 shown]
	v_cmp_le_u32_e32 vcc_lo, s71, v14
	s_add_i32 s27, s18, s11
	s_add_i32 s26, s14, s12
	;; [unrolled: 1-line block ×3, first 2 shown]
	v_dual_mov_b32 v2, s27 :: v_dual_mov_b32 v3, s26
	v_mov_b32_e32 v4, s25
	s_or_b32 s22, vcc_lo, s22
	s_delay_alu instid0(SALU_CYCLE_1)
	s_and_not1_b32 exec_lo, exec_lo, s22
	s_cbranch_execnz .LBB88_42
; %bb.43:                               ;   in Loop: Header=BB88_6 Depth=1
	s_or_b32 exec_lo, exec_lo, s22
	s_delay_alu instid0(SALU_CYCLE_1)
	s_or_b32 exec_lo, exec_lo, s21
	v_mov_b32_e32 v31, 0
	s_and_saveexec_b32 s10, s8
	s_cbranch_execz .LBB88_39
.LBB88_44:                              ;   in Loop: Header=BB88_6 Depth=1
	global_load_b32 v31, v[10:11], off
	s_or_b32 exec_lo, exec_lo, s10
	s_and_saveexec_b32 s14, s8
	s_cbranch_execz .LBB88_50
.LBB88_45:                              ;   in Loop: Header=BB88_6 Depth=1
	v_dual_mov_b32 v7, v25 :: v_dual_mov_b32 v14, v19
	s_and_b32 s16, s82, 0xfe
	s_mov_b32 s15, 0
	s_branch .LBB88_47
.LBB88_46:                              ;   in Loop: Header=BB88_47 Depth=2
	s_or_b32 exec_lo, exec_lo, s11
	s_waitcnt vmcnt(0)
	v_cmp_lt_i32_e64 s10, -1, v31
	s_and_b32 s11, exec_lo, vcc_lo
	v_add_nc_u32_e32 v7, s53, v7
	s_or_b32 s15, s11, s15
	s_delay_alu instid0(VALU_DEP_2) | instskip(SKIP_1) | instid1(VALU_DEP_2)
	v_cndmask_b32_e64 v33, -1, 0x80000000, s10
	v_cmp_o_f32_e64 s10, v31, v31
	v_xor_b32_e32 v33, v33, v31
	s_delay_alu instid0(VALU_DEP_1) | instskip(NEXT) | instid1(VALU_DEP_1)
	v_cndmask_b32_e64 v31, -1, v33, s10
	v_and_b32_e32 v33, v31, v28
	v_bfe_u32 v31, v31, s16, 2
	s_delay_alu instid0(VALU_DEP_2) | instskip(NEXT) | instid1(VALU_DEP_2)
	v_cmp_eq_u32_e32 vcc_lo, v33, v29
	v_cmp_eq_u32_e64 s10, 0, v31
	v_cmp_eq_u32_e64 s11, 1, v31
	v_cmp_eq_u32_e64 s12, 2, v31
	v_cmp_eq_u32_e64 s13, 3, v31
	s_delay_alu instid0(VALU_DEP_4) | instskip(NEXT) | instid1(SALU_CYCLE_1)
	s_and_b32 s10, vcc_lo, s10
	v_cndmask_b32_e64 v31, 0, 1, s10
	s_and_b32 s10, vcc_lo, s11
	s_delay_alu instid0(SALU_CYCLE_1) | instskip(SKIP_1) | instid1(SALU_CYCLE_1)
	v_cndmask_b32_e64 v33, 0, 1, s10
	s_and_b32 s10, vcc_lo, s12
	v_cndmask_b32_e64 v34, 0, 1, s10
	s_and_b32 s10, vcc_lo, s13
	v_cmp_ne_u32_e32 vcc_lo, 0, v31
	v_cndmask_b32_e64 v35, 0, 1, s10
	v_cmp_ne_u32_e64 s10, 0, v33
	v_cmp_ne_u32_e64 s11, 0, v34
	v_mov_b32_e32 v31, v32
	s_bcnt1_i32_b32 s13, vcc_lo
	v_cmp_ne_u32_e64 s12, 0, v35
	s_bcnt1_i32_b32 s10, s10
	s_bcnt1_i32_b32 s11, s11
	v_add_nc_u32_e32 v1, s13, v1
	v_add_nc_u32_e32 v2, s10, v2
	s_bcnt1_i32_b32 s12, s12
	v_add_nc_u32_e32 v3, s11, v3
	v_add_nc_u32_e32 v4, s12, v4
	s_and_not1_b32 exec_lo, exec_lo, s15
	s_cbranch_execz .LBB88_49
.LBB88_47:                              ;   Parent Loop BB88_6 Depth=1
                                        ; =>  This Inner Loop Header: Depth=2
	s_delay_alu instid0(VALU_DEP_1) | instskip(SKIP_2) | instid1(VALU_DEP_2)
	v_add_nc_u32_e32 v14, s47, v14
	v_mov_b32_e32 v32, 0
	s_mov_b32 s11, exec_lo
	v_cmp_le_u32_e32 vcc_lo, s36, v14
	v_cmpx_gt_u32_e64 s36, v14
	s_cbranch_execz .LBB88_46
; %bb.48:                               ;   in Loop: Header=BB88_47 Depth=2
	v_lshlrev_b64 v[32:33], 2, v[7:8]
	s_delay_alu instid0(VALU_DEP_1) | instskip(NEXT) | instid1(VALU_DEP_1)
	v_add_co_u32 v32, s10, s33, v32
	v_add_co_ci_u32_e64 v33, s10, s43, v33, s10
	global_load_b32 v32, v[32:33], off
	s_branch .LBB88_46
.LBB88_49:                              ;   in Loop: Header=BB88_6 Depth=1
	s_or_b32 exec_lo, exec_lo, s15
.LBB88_50:                              ;   in Loop: Header=BB88_6 Depth=1
	s_delay_alu instid0(SALU_CYCLE_1)
	s_or_b32 exec_lo, exec_lo, s14
	s_branch .LBB88_60
.LBB88_51:                              ;   in Loop: Header=BB88_6 Depth=1
	s_mul_hi_u32 s10, s88, s70
	v_dual_mov_b32 v1, 0 :: v_dual_mov_b32 v2, 0
	s_mul_i32 s10, s10, s61
	v_dual_mov_b32 v3, 0 :: v_dual_mov_b32 v4, 0
	s_sub_i32 s10, s88, s10
	s_mov_b32 s91, 0
	s_sub_i32 s11, s10, s61
	s_cmp_ge_u32 s10, s61
	s_mov_b32 s90, exec_lo
	s_cselect_b32 s10, s11, s10
	s_delay_alu instid0(SALU_CYCLE_1) | instskip(SKIP_2) | instid1(SALU_CYCLE_1)
	s_sub_i32 s11, s10, s61
	s_cmp_ge_u32 s10, s61
	s_cselect_b32 s10, s11, s10
	s_sub_i32 s89, s88, s10
	s_delay_alu instid0(SALU_CYCLE_1)
	v_cmpx_gt_u32_e64 s89, v18
	s_cbranch_execz .LBB88_55
; %bb.52:                               ;   in Loop: Header=BB88_6 Depth=1
	v_mov_b32_e32 v7, v26
	v_mov_b32_e32 v14, v18
	s_and_b32 s92, s82, 0xfe
	s_mov_b32 s93, 0
	s_mov_b32 s94, 0
	;; [unrolled: 1-line block ×4, first 2 shown]
.LBB88_53:                              ;   Parent Loop BB88_6 Depth=1
                                        ; =>  This Inner Loop Header: Depth=2
	ds_load_b128 v[1:4], v7
	s_waitcnt lgkmcnt(0)
	v_cmp_lt_i32_e64 s10, -1, v1
	v_cmp_o_f32_e64 s13, v1, v1
	v_cmp_o_f32_e64 s11, v3, v3
	;; [unrolled: 1-line block ×3, first 2 shown]
	s_waitcnt vmcnt(0)
	v_cndmask_b32_e64 v31, -1, 0x80000000, s10
	v_cmp_lt_i32_e64 s10, -1, v2
	s_delay_alu instid0(VALU_DEP_2) | instskip(NEXT) | instid1(VALU_DEP_2)
	v_xor_b32_e32 v31, v31, v1
	v_cndmask_b32_e64 v32, -1, 0x80000000, s10
	v_cmp_lt_i32_e64 s10, -1, v3
	s_delay_alu instid0(VALU_DEP_3) | instskip(NEXT) | instid1(VALU_DEP_3)
	v_cndmask_b32_e64 v1, -1, v31, s13
	v_xor_b32_e32 v32, v32, v2
	s_delay_alu instid0(VALU_DEP_3) | instskip(SKIP_1) | instid1(VALU_DEP_4)
	v_cndmask_b32_e64 v33, -1, 0x80000000, s10
	v_cmp_lt_i32_e64 s10, -1, v4
	v_and_b32_e32 v31, v1, v28
	v_bfe_u32 v1, v1, s92, 2
	s_delay_alu instid0(VALU_DEP_3) | instskip(SKIP_2) | instid1(VALU_DEP_4)
	v_cndmask_b32_e64 v34, -1, 0x80000000, s10
	v_cmp_o_f32_e64 s10, v2, v2
	v_xor_b32_e32 v2, v33, v3
	v_cmp_eq_u32_e64 s14, 0, v1
	v_cmp_eq_u32_e64 s18, 1, v1
	v_xor_b32_e32 v3, v34, v4
	v_cndmask_b32_e64 v4, -1, v32, s10
	v_cndmask_b32_e64 v2, -1, v2, s11
	v_cmp_eq_u32_e64 s10, v31, v29
	v_cmp_eq_u32_e64 s22, 2, v1
	v_cndmask_b32_e64 v3, -1, v3, s12
	v_and_b32_e32 v32, v4, v28
	v_bfe_u32 v4, v4, s92, 2
	v_and_b32_e32 v33, v2, v28
	v_bfe_u32 v2, v2, s92, 2
	;; [unrolled: 2-line block ×3, first 2 shown]
	v_cmp_eq_u32_e64 s11, v32, v29
	v_cmp_eq_u32_e64 s15, 0, v4
	;; [unrolled: 1-line block ×4, first 2 shown]
	s_and_b32 s14, s10, s14
	v_cmp_eq_u32_e64 s13, v34, v29
	v_cmp_eq_u32_e64 s17, 0, v3
	;; [unrolled: 1-line block ×3, first 2 shown]
	v_cndmask_b32_e64 v1, 0, 1, s14
	s_and_b32 s14, s11, s15
	v_cmp_eq_u32_e64 s20, 1, v2
	v_cmp_eq_u32_e64 s24, 2, v2
	;; [unrolled: 1-line block ×3, first 2 shown]
	v_cndmask_b32_e64 v2, 0, 1, s14
	s_and_b32 s14, s12, s16
	v_cmp_eq_u32_e64 s19, 1, v4
	v_cmp_eq_u32_e64 s21, 1, v3
	;; [unrolled: 1-line block ×4, first 2 shown]
	v_cndmask_b32_e64 v3, 0, 1, s14
	s_and_b32 s14, s13, s17
	v_cmp_eq_u32_e64 s23, 2, v4
	v_cmp_eq_u32_e64 s27, 3, v4
	v_cndmask_b32_e64 v4, 0, 1, s14
	s_and_b32 s14, s10, s18
	s_delay_alu instid0(SALU_CYCLE_1) | instskip(SKIP_1) | instid1(SALU_CYCLE_1)
	v_cndmask_b32_e64 v31, 0, 1, s14
	s_and_b32 s14, s11, s19
	v_cndmask_b32_e64 v32, 0, 1, s14
	s_and_b32 s14, s12, s20
	s_delay_alu instid0(SALU_CYCLE_1) | instskip(SKIP_1) | instid1(VALU_DEP_2)
	v_cndmask_b32_e64 v33, 0, 1, s14
	s_and_b32 s14, s13, s21
	v_cmp_ne_u32_e64 s15, 0, v32
	v_cndmask_b32_e64 v34, 0, 1, s14
	s_and_b32 s14, s10, s22
	s_and_b32 s10, s10, s26
	v_cndmask_b32_e64 v35, 0, 1, s14
	v_cndmask_b32_e64 v39, 0, 1, s10
	s_and_b32 s10, s11, s27
	s_and_b32 s14, s11, s23
	v_cndmask_b32_e64 v40, 0, 1, s10
	s_and_b32 s10, s12, s28
	v_cndmask_b32_e64 v36, 0, 1, s14
	v_cndmask_b32_e64 v41, 0, 1, s10
	s_and_b32 s10, s13, s29
	s_and_b32 s14, s12, s24
	v_cndmask_b32_e64 v42, 0, 1, s10
	v_cmp_ne_u32_e64 s10, 0, v1
	v_cmp_ne_u32_e64 s11, 0, v2
	v_cndmask_b32_e64 v37, 0, 1, s14
	s_and_b32 s14, s13, s25
	v_cmp_ne_u32_e64 s12, 0, v3
	v_cndmask_b32_e64 v38, 0, 1, s14
	v_cmp_ne_u32_e64 s14, 0, v31
	v_cmp_ne_u32_e64 s18, 0, v35
	;; [unrolled: 1-line block ×3, first 2 shown]
	s_bcnt1_i32_b32 s10, s10
	v_cmp_ne_u32_e64 s13, 0, v4
	v_cmp_ne_u32_e64 s19, 0, v36
	;; [unrolled: 1-line block ×3, first 2 shown]
	s_bcnt1_i32_b32 s11, s11
	s_add_i32 s10, s10, s96
	v_cmp_ne_u32_e64 s16, 0, v33
	v_cmp_ne_u32_e64 s20, 0, v37
	;; [unrolled: 1-line block ×3, first 2 shown]
	s_bcnt1_i32_b32 s12, s12
	s_add_i32 s10, s10, s11
	s_bcnt1_i32_b32 s14, s14
	s_bcnt1_i32_b32 s18, s18
	;; [unrolled: 1-line block ×3, first 2 shown]
	v_cmp_ne_u32_e64 s17, 0, v34
	v_cmp_ne_u32_e64 s21, 0, v38
	;; [unrolled: 1-line block ×3, first 2 shown]
	s_bcnt1_i32_b32 s13, s13
	s_add_i32 s10, s10, s12
	s_bcnt1_i32_b32 s15, s15
	s_bcnt1_i32_b32 s19, s19
	;; [unrolled: 1-line block ×3, first 2 shown]
	s_add_i32 s14, s14, s95
	s_add_i32 s18, s18, s94
	;; [unrolled: 1-line block ×4, first 2 shown]
	s_delay_alu instid0(SALU_CYCLE_1)
	v_dual_mov_b32 v1, s96 :: v_dual_add_nc_u32 v14, s61, v14
	s_bcnt1_i32_b32 s16, s16
	s_bcnt1_i32_b32 s20, s20
	;; [unrolled: 1-line block ×3, first 2 shown]
	s_add_i32 s11, s14, s15
	s_add_i32 s14, s18, s19
	;; [unrolled: 1-line block ×3, first 2 shown]
	s_bcnt1_i32_b32 s17, s17
	s_bcnt1_i32_b32 s21, s21
	;; [unrolled: 1-line block ×3, first 2 shown]
	s_add_i32 s11, s11, s16
	s_add_i32 s12, s14, s20
	;; [unrolled: 1-line block ×3, first 2 shown]
	v_cmp_le_u32_e32 vcc_lo, s89, v14
	s_add_i32 s95, s11, s17
	s_add_i32 s94, s12, s21
	;; [unrolled: 1-line block ×3, first 2 shown]
	v_dual_mov_b32 v2, s95 :: v_dual_add_nc_u32 v7, s75, v7
	v_dual_mov_b32 v3, s94 :: v_dual_mov_b32 v4, s93
	s_or_b32 s91, vcc_lo, s91
	s_delay_alu instid0(SALU_CYCLE_1)
	s_and_not1_b32 exec_lo, exec_lo, s91
	s_cbranch_execnz .LBB88_53
; %bb.54:                               ;   in Loop: Header=BB88_6 Depth=1
	s_or_b32 exec_lo, exec_lo, s91
.LBB88_55:                              ;   in Loop: Header=BB88_6 Depth=1
	s_delay_alu instid0(SALU_CYCLE_1) | instskip(SKIP_2) | instid1(VALU_DEP_1)
	s_or_b32 exec_lo, exec_lo, s90
	v_add_nc_u32_e32 v7, s89, v0
	s_mov_b32 s15, exec_lo
	v_cmpx_gt_u32_e64 s88, v7
	s_cbranch_execz .LBB88_59
; %bb.56:                               ;   in Loop: Header=BB88_6 Depth=1
	v_lshlrev_b32_e32 v14, 2, v7
	s_and_b32 s17, s82, 0xfe
	s_mov_b32 s16, 0
.LBB88_57:                              ;   Parent Loop BB88_6 Depth=1
                                        ; =>  This Inner Loop Header: Depth=2
	s_waitcnt vmcnt(0)
	ds_load_b32 v31, v14
	v_add_nc_u32_e32 v7, s47, v7
	v_add_nc_u32_e32 v14, s61, v14
	s_delay_alu instid0(VALU_DEP_2) | instskip(SKIP_2) | instid1(VALU_DEP_1)
	v_cmp_le_u32_e32 vcc_lo, s88, v7
	s_waitcnt lgkmcnt(0)
	v_cmp_lt_i32_e64 s10, -1, v31
	v_cndmask_b32_e64 v32, -1, 0x80000000, s10
	v_cmp_o_f32_e64 s10, v31, v31
	s_delay_alu instid0(VALU_DEP_2) | instskip(NEXT) | instid1(VALU_DEP_1)
	v_xor_b32_e32 v32, v32, v31
	v_cndmask_b32_e64 v31, -1, v32, s10
	s_delay_alu instid0(VALU_DEP_1) | instskip(SKIP_1) | instid1(VALU_DEP_2)
	v_and_b32_e32 v32, v31, v28
	v_bfe_u32 v31, v31, s17, 2
	v_cmp_eq_u32_e64 s10, v32, v29
	s_delay_alu instid0(VALU_DEP_2) | instskip(SKIP_3) | instid1(VALU_DEP_4)
	v_cmp_eq_u32_e64 s11, 0, v31
	v_cmp_eq_u32_e64 s12, 1, v31
	;; [unrolled: 1-line block ×4, first 2 shown]
	s_and_b32 s11, s10, s11
	s_delay_alu instid0(SALU_CYCLE_1) | instskip(SKIP_1) | instid1(SALU_CYCLE_1)
	v_cndmask_b32_e64 v31, 0, 1, s11
	s_and_b32 s11, s10, s12
	v_cndmask_b32_e64 v32, 0, 1, s11
	s_and_b32 s11, s10, s13
	s_and_b32 s10, s10, s14
	v_cndmask_b32_e64 v33, 0, 1, s11
	v_cndmask_b32_e64 v34, 0, 1, s10
	v_cmp_ne_u32_e64 s10, 0, v31
	v_cmp_ne_u32_e64 s11, 0, v32
	s_delay_alu instid0(VALU_DEP_4) | instskip(NEXT) | instid1(VALU_DEP_4)
	v_cmp_ne_u32_e64 s12, 0, v33
	v_cmp_ne_u32_e64 s13, 0, v34
	s_delay_alu instid0(VALU_DEP_4) | instskip(NEXT) | instid1(VALU_DEP_3)
	s_bcnt1_i32_b32 s10, s10
	s_bcnt1_i32_b32 s11, s11
	v_add_nc_u32_e32 v1, s10, v1
	s_bcnt1_i32_b32 s12, s12
	s_bcnt1_i32_b32 s13, s13
	v_add_nc_u32_e32 v2, s11, v2
	v_add_nc_u32_e32 v3, s12, v3
	;; [unrolled: 1-line block ×3, first 2 shown]
	s_or_b32 s16, vcc_lo, s16
	s_delay_alu instid0(SALU_CYCLE_1)
	s_and_not1_b32 exec_lo, exec_lo, s16
	s_cbranch_execnz .LBB88_57
; %bb.58:                               ;   in Loop: Header=BB88_6 Depth=1
	s_or_b32 exec_lo, exec_lo, s16
.LBB88_59:                              ;   in Loop: Header=BB88_6 Depth=1
	s_delay_alu instid0(SALU_CYCLE_1)
	s_or_b32 exec_lo, exec_lo, s15
.LBB88_60:                              ;   in Loop: Header=BB88_6 Depth=1
	s_lshl_b32 s10, s77, 7
	s_and_saveexec_b32 s11, s2
	s_cbranch_execz .LBB88_62
; %bb.61:                               ;   in Loop: Header=BB88_6 Depth=1
	v_or_b32_e32 v7, s10, v20
	s_delay_alu instid0(VALU_DEP_1)
	v_lshlrev_b32_e32 v7, 2, v7
	ds_store_b128 v7, v[1:4] offset:3072
.LBB88_62:                              ;   in Loop: Header=BB88_6 Depth=1
	s_or_b32 exec_lo, exec_lo, s11
	s_waitcnt vmcnt(0) lgkmcnt(0)
	s_barrier
	buffer_gl0_inv
	s_and_saveexec_b32 s11, s62
	s_cbranch_execz .LBB88_72
; %bb.63:                               ;   in Loop: Header=BB88_6 Depth=1
	v_mov_b32_e32 v1, 0
	s_and_not1_b32 vcc_lo, exec_lo, s64
	s_cbranch_vccnz .LBB88_71
; %bb.64:                               ;   in Loop: Header=BB88_6 Depth=1
	v_mov_b32_e32 v1, 0
	s_and_not1_b32 vcc_lo, exec_lo, s67
	s_mov_b32 s12, 0
	s_cbranch_vccnz .LBB88_68
; %bb.65:                               ;   in Loop: Header=BB88_6 Depth=1
	v_lshl_add_u32 v2, s77, 9, v27
	v_mov_b32_e32 v1, 0
	.p2align	6
.LBB88_66:                              ;   Parent Loop BB88_6 Depth=1
                                        ; =>  This Inner Loop Header: Depth=2
	ds_load_2addr_b32 v[3:4], v2 offset1:4
	ds_load_2addr_b32 v[31:32], v2 offset0:8 offset1:12
	ds_load_2addr_b32 v[33:34], v2 offset0:16 offset1:20
	;; [unrolled: 1-line block ×3, first 2 shown]
	v_add_nc_u32_e32 v2, 0x80, v2
	s_add_i32 s12, s12, 8
	s_delay_alu instid0(SALU_CYCLE_1) | instskip(SKIP_3) | instid1(VALU_DEP_1)
	s_cmp_eq_u32 s68, s12
	s_waitcnt lgkmcnt(3)
	v_add3_u32 v1, v3, v1, v4
	s_waitcnt lgkmcnt(2)
	v_add3_u32 v1, v31, v1, v32
	s_waitcnt lgkmcnt(1)
	s_delay_alu instid0(VALU_DEP_1) | instskip(SKIP_1) | instid1(VALU_DEP_1)
	v_add3_u32 v1, v33, v1, v34
	s_waitcnt lgkmcnt(0)
	v_add3_u32 v1, v35, v1, v36
	s_cbranch_scc0 .LBB88_66
; %bb.67:                               ;   in Loop: Header=BB88_6 Depth=1
	s_mov_b32 s12, s68
.LBB88_68:                              ;   in Loop: Header=BB88_6 Depth=1
	s_and_not1_b32 vcc_lo, exec_lo, s69
	s_cbranch_vccnz .LBB88_71
; %bb.69:                               ;   in Loop: Header=BB88_6 Depth=1
	s_lshl_b32 s13, s77, 9
	s_lshl_b32 s12, s12, 4
	s_delay_alu instid0(SALU_CYCLE_1)
	v_add3_u32 v2, s13, s12, v27
	s_mov_b32 s12, s66
.LBB88_70:                              ;   Parent Loop BB88_6 Depth=1
                                        ; =>  This Inner Loop Header: Depth=2
	ds_load_b32 v3, v2
	v_add_nc_u32_e32 v2, 16, v2
	s_add_i32 s12, s12, -1
	s_delay_alu instid0(SALU_CYCLE_1)
	s_cmp_lg_u32 s12, 0
	s_waitcnt lgkmcnt(0)
	v_add_nc_u32_e32 v1, v3, v1
	s_cbranch_scc1 .LBB88_70
.LBB88_71:                              ;   in Loop: Header=BB88_6 Depth=1
	v_add_lshl_u32 v2, s10, v17, 2
	ds_store_b32 v2, v1 offset:3072
.LBB88_72:                              ;   in Loop: Header=BB88_6 Depth=1
	s_or_b32 exec_lo, exec_lo, s11
	s_lshl_b32 s10, s10, 2
	s_waitcnt lgkmcnt(0)
	v_mov_b32_e32 v1, s10
	s_barrier
	buffer_gl0_inv
	s_and_b32 s17, s82, 0xfe
	v_cmp_eq_u32_e64 s10, 1, v30
	ds_load_b128 v[1:4], v1 offset:3072
	s_lshl_b32 s13, 3, s17
	s_and_not1_b32 vcc_lo, exec_lo, s54
	s_not_b32 s14, s13
	s_waitcnt lgkmcnt(0)
	v_readfirstlane_b32 s12, v1
	v_readfirstlane_b32 s16, v2
	;; [unrolled: 1-line block ×4, first 2 shown]
	s_cbranch_vccnz .LBB88_85
; %bb.73:                               ;   in Loop: Header=BB88_6 Depth=1
	s_cmp_eq_u32 s12, 1
	v_dual_mov_b32 v3, v29 :: v_dual_mov_b32 v4, v28
	v_mov_b32_e32 v2, v15
	s_cselect_b32 s11, -1, 0
	s_mov_b32 s26, -1
	s_and_b32 s25, s11, s10
                                        ; implicit-def: $sgpr15
                                        ; implicit-def: $sgpr22
                                        ; implicit-def: $sgpr21
	s_delay_alu instid0(SALU_CYCLE_1)
	s_and_saveexec_b32 s20, s25
	s_cbranch_execz .LBB88_104
; %bb.74:                               ;   in Loop: Header=BB88_6 Depth=1
	ds_load_b32 v1, v8 offset:4096
	s_waitcnt lgkmcnt(0)
	s_barrier
	buffer_gl0_inv
	v_readfirstlane_b32 s15, v1
	s_and_saveexec_b32 s11, s6
	s_cbranch_execz .LBB88_76
; %bb.75:                               ;   in Loop: Header=BB88_6 Depth=1
	ds_store_b32 v21, v8
.LBB88_76:                              ;   in Loop: Header=BB88_6 Depth=1
	s_or_b32 exec_lo, exec_lo, s11
	v_and_b32_e32 v3, s14, v29
	v_or_b32_e32 v4, s13, v28
	s_cmp_eq_u32 s15, 0
	s_waitcnt lgkmcnt(0)
	s_barrier
	buffer_gl0_inv
	s_cbranch_scc1 .LBB88_90
; %bb.77:                               ;   in Loop: Header=BB88_6 Depth=1
	s_add_i32 s11, s15, s65
                                        ; implicit-def: $vgpr2
	s_delay_alu instid0(SALU_CYCLE_1) | instskip(NEXT) | instid1(SALU_CYCLE_1)
	s_mul_hi_u32 s21, s11, s72
	s_mul_i32 s21, s21, s47
	s_delay_alu instid0(SALU_CYCLE_1) | instskip(NEXT) | instid1(SALU_CYCLE_1)
	s_sub_i32 s21, s11, s21
	s_sub_i32 s22, s21, s47
	s_cmp_ge_u32 s21, s47
	s_cselect_b32 s21, s22, s21
	s_delay_alu instid0(SALU_CYCLE_1) | instskip(SKIP_2) | instid1(SALU_CYCLE_1)
	s_sub_i32 s22, s21, s47
	s_cmp_ge_u32 s21, s47
	s_cselect_b32 s21, s22, s21
	s_sub_i32 s22, s11, s21
	s_mov_b32 s11, 0
	s_mov_b32 s21, exec_lo
	v_cmpx_gt_u32_e64 s22, v0
	s_cbranch_execz .LBB88_92
; %bb.78:                               ;   in Loop: Header=BB88_6 Depth=1
	v_mov_b32_e32 v7, v18
	v_mov_b32_e32 v31, v0
	s_mov_b32 s23, 0
                                        ; implicit-def: $sgpr24
	s_set_inst_prefetch_distance 0x1
	s_branch .LBB88_80
	.p2align	6
.LBB88_79:                              ;   in Loop: Header=BB88_80 Depth=2
	s_or_b32 exec_lo, exec_lo, s11
	s_waitcnt lgkmcnt(0)
	s_barrier
	buffer_gl0_inv
	ds_load_b64 v[1:2], v8 offset:3072
	v_add_nc_u32_e32 v31, s47, v31
	v_add_nc_u32_e32 v7, s61, v7
	s_waitcnt lgkmcnt(0)
	s_barrier
	buffer_gl0_inv
	v_cmp_le_u32_e32 vcc_lo, s22, v31
	v_cmp_neq_f32_e64 s11, 0, v1
	s_delay_alu instid0(VALU_DEP_1) | instskip(NEXT) | instid1(SALU_CYCLE_1)
	s_or_b32 s26, vcc_lo, s11
	s_and_b32 s26, exec_lo, s26
	s_delay_alu instid0(SALU_CYCLE_1) | instskip(SKIP_2) | instid1(SALU_CYCLE_1)
	s_or_b32 s23, s26, s23
	s_and_not1_b32 s24, s24, exec_lo
	s_and_b32 s11, s11, exec_lo
	s_or_b32 s24, s24, s11
	s_and_not1_b32 exec_lo, exec_lo, s23
	s_cbranch_execz .LBB88_91
.LBB88_80:                              ;   Parent Loop BB88_6 Depth=1
                                        ; =>  This Inner Loop Header: Depth=2
	s_delay_alu instid0(VALU_DEP_1)
	v_cmp_gt_u32_e32 vcc_lo, s15, v31
	v_mov_b32_e32 v14, 0
	s_and_saveexec_b32 s11, vcc_lo
	s_cbranch_execz .LBB88_82
; %bb.81:                               ;   in Loop: Header=BB88_80 Depth=2
	ds_load_b32 v14, v7
.LBB88_82:                              ;   in Loop: Header=BB88_80 Depth=2
	s_or_b32 exec_lo, exec_lo, s11
	s_and_saveexec_b32 s11, vcc_lo
	s_cbranch_execz .LBB88_79
; %bb.83:                               ;   in Loop: Header=BB88_80 Depth=2
	s_waitcnt lgkmcnt(0)
	v_cmp_lt_i32_e32 vcc_lo, -1, v14
	v_cndmask_b32_e64 v1, -1, 0x80000000, vcc_lo
	v_cmp_o_f32_e32 vcc_lo, v14, v14
	s_delay_alu instid0(VALU_DEP_2) | instskip(NEXT) | instid1(VALU_DEP_1)
	v_xor_b32_e32 v1, v1, v14
	v_cndmask_b32_e32 v1, -1, v1, vcc_lo
	s_delay_alu instid0(VALU_DEP_1) | instskip(NEXT) | instid1(VALU_DEP_1)
	v_and_b32_e32 v1, v1, v4
	v_cmp_eq_u32_e32 vcc_lo, v1, v3
	s_and_b32 exec_lo, exec_lo, vcc_lo
	s_cbranch_execz .LBB88_79
; %bb.84:                               ;   in Loop: Header=BB88_80 Depth=2
	ds_store_b64 v8, v[13:14] offset:3072
	s_branch .LBB88_79
.LBB88_85:                              ;   in Loop: Header=BB88_6 Depth=1
	s_mov_b32 s20, 0
	s_mov_b32 s11, 0
                                        ; implicit-def: $sgpr21
                                        ; implicit-def: $sgpr22
                                        ; implicit-def: $sgpr15
                                        ; implicit-def: $vgpr1
                                        ; implicit-def: $vgpr31
                                        ; implicit-def: $vgpr3
                                        ; implicit-def: $vgpr4
                                        ; implicit-def: $vgpr2
	s_cbranch_execnz .LBB88_240
.LBB88_86:                              ;   in Loop: Header=BB88_6 Depth=1
	s_mov_b32 s23, s15
	s_mov_b32 s24, s15
	s_and_saveexec_b32 s10, s20
	s_cbranch_execnz .LBB88_402
	s_branch .LBB88_403
.LBB88_87:                              ;   in Loop: Header=BB88_6 Depth=1
	s_or_b32 exec_lo, exec_lo, s12
	s_waitcnt vmcnt(0) lgkmcnt(0)
	s_barrier
	buffer_gl0_inv
	s_and_saveexec_b32 s10, s5
	s_cbranch_execz .LBB88_89
; %bb.88:                               ;   in Loop: Header=BB88_6 Depth=1
	ds_load_b32 v1, v8 offset:4104
	s_waitcnt lgkmcnt(0)
	ds_store_b32 v8, v1 offset:4096
.LBB88_89:                              ;   in Loop: Header=BB88_6 Depth=1
	s_or_b32 exec_lo, exec_lo, s10
	s_waitcnt lgkmcnt(0)
	s_mov_b32 s10, -1
	s_barrier
	s_and_b32 vcc_lo, exec_lo, s88
	s_cbranch_vccnz .LBB88_24
	s_branch .LBB88_34
.LBB88_90:                              ;   in Loop: Header=BB88_6 Depth=1
	s_mov_b32 s15, -1
	s_mov_b32 s11, 0
                                        ; implicit-def: $sgpr21
                                        ; implicit-def: $vgpr2
	s_mov_b32 s22, s15
	s_cbranch_execnz .LBB88_93
	s_branch .LBB88_103
.LBB88_91:                              ;   in Loop: Header=BB88_6 Depth=1
	s_set_inst_prefetch_distance 0x2
	s_or_b32 exec_lo, exec_lo, s23
	s_delay_alu instid0(SALU_CYCLE_1)
	s_and_b32 s11, s24, exec_lo
.LBB88_92:                              ;   in Loop: Header=BB88_6 Depth=1
	s_or_b32 exec_lo, exec_lo, s21
	s_mov_b32 s21, -1
	s_mov_b32 s15, 0
	s_delay_alu instid0(SALU_CYCLE_1)
	s_mov_b32 s22, s15
	s_branch .LBB88_103
.LBB88_93:                              ;   in Loop: Header=BB88_6 Depth=1
	s_mov_b32 s11, 0
                                        ; implicit-def: $vgpr2
	s_and_saveexec_b32 s15, s9
	s_cbranch_execz .LBB88_102
; %bb.94:                               ;   in Loop: Header=BB88_6 Depth=1
	v_mov_b32_e32 v7, v9
	v_mov_b32_e32 v31, v0
	s_mov_b32 s21, 0
                                        ; implicit-def: $sgpr22
	s_set_inst_prefetch_distance 0x1
	s_branch .LBB88_96
	.p2align	6
.LBB88_95:                              ;   in Loop: Header=BB88_96 Depth=2
	s_or_b32 exec_lo, exec_lo, s11
	s_waitcnt vmcnt(0) lgkmcnt(0)
	s_barrier
	buffer_gl0_inv
	ds_load_b64 v[1:2], v8 offset:3072
	v_add_nc_u32_e32 v31, s47, v31
	v_add_nc_u32_e32 v7, s53, v7
	s_waitcnt lgkmcnt(0)
	s_barrier
	buffer_gl0_inv
	v_cmp_le_u32_e32 vcc_lo, s73, v31
	v_cmp_neq_f32_e64 s11, 0, v1
	s_delay_alu instid0(VALU_DEP_1) | instskip(NEXT) | instid1(SALU_CYCLE_1)
	s_or_b32 s23, vcc_lo, s11
	s_and_b32 s23, exec_lo, s23
	s_delay_alu instid0(SALU_CYCLE_1) | instskip(SKIP_2) | instid1(SALU_CYCLE_1)
	s_or_b32 s21, s23, s21
	s_and_not1_b32 s22, s22, exec_lo
	s_and_b32 s11, s11, exec_lo
	s_or_b32 s22, s22, s11
	s_and_not1_b32 exec_lo, exec_lo, s21
	s_cbranch_execz .LBB88_101
.LBB88_96:                              ;   Parent Loop BB88_6 Depth=1
                                        ; =>  This Inner Loop Header: Depth=2
	s_delay_alu instid0(VALU_DEP_1)
	v_cmp_gt_u32_e32 vcc_lo, s36, v31
	v_mov_b32_e32 v14, 0
	s_and_saveexec_b32 s23, vcc_lo
	s_cbranch_execz .LBB88_98
; %bb.97:                               ;   in Loop: Header=BB88_96 Depth=2
	v_lshlrev_b64 v[1:2], 2, v[7:8]
	s_delay_alu instid0(VALU_DEP_1) | instskip(NEXT) | instid1(VALU_DEP_1)
	v_add_co_u32 v1, s11, s33, v1
	v_add_co_ci_u32_e64 v2, s11, s43, v2, s11
	global_load_b32 v14, v[1:2], off
.LBB88_98:                              ;   in Loop: Header=BB88_96 Depth=2
	s_or_b32 exec_lo, exec_lo, s23
	s_and_saveexec_b32 s11, vcc_lo
	s_cbranch_execz .LBB88_95
; %bb.99:                               ;   in Loop: Header=BB88_96 Depth=2
	s_waitcnt vmcnt(0)
	v_cmp_lt_i32_e32 vcc_lo, -1, v14
	v_cndmask_b32_e64 v1, -1, 0x80000000, vcc_lo
	v_cmp_o_f32_e32 vcc_lo, v14, v14
	s_delay_alu instid0(VALU_DEP_2) | instskip(NEXT) | instid1(VALU_DEP_1)
	v_xor_b32_e32 v1, v1, v14
	v_cndmask_b32_e32 v1, -1, v1, vcc_lo
	s_delay_alu instid0(VALU_DEP_1) | instskip(NEXT) | instid1(VALU_DEP_1)
	v_and_b32_e32 v1, v1, v4
	v_cmp_eq_u32_e32 vcc_lo, v1, v3
	s_and_b32 exec_lo, exec_lo, vcc_lo
	s_cbranch_execz .LBB88_95
; %bb.100:                              ;   in Loop: Header=BB88_96 Depth=2
	ds_store_b64 v8, v[13:14] offset:3072
	s_branch .LBB88_95
.LBB88_101:                             ;   in Loop: Header=BB88_6 Depth=1
	s_set_inst_prefetch_distance 0x2
	s_or_b32 exec_lo, exec_lo, s21
	s_delay_alu instid0(SALU_CYCLE_1)
	s_and_b32 s11, s22, exec_lo
.LBB88_102:                             ;   in Loop: Header=BB88_6 Depth=1
	s_or_b32 exec_lo, exec_lo, s15
	s_mov_b32 s22, -1
	s_mov_b32 s15, 0
	s_mov_b32 s21, 0
.LBB88_103:                             ;   in Loop: Header=BB88_6 Depth=1
	s_or_not1_b32 s26, s11, exec_lo
.LBB88_104:                             ;   in Loop: Header=BB88_6 Depth=1
	s_or_b32 exec_lo, exec_lo, s20
	s_mov_b32 s23, 0
	s_mov_b32 s20, 0
	;; [unrolled: 1-line block ×3, first 2 shown]
                                        ; implicit-def: $vgpr1
                                        ; implicit-def: $vgpr31
	s_and_saveexec_b32 s24, s26
	s_cbranch_execz .LBB88_239
; %bb.105:                              ;   in Loop: Header=BB88_6 Depth=1
	v_mov_b32_e32 v31, 1
	v_mov_b32_e32 v1, 1
	s_xor_b32 s25, s25, -1
	s_delay_alu instid0(SALU_CYCLE_1)
	s_and_saveexec_b32 s11, s25
	s_cbranch_execz .LBB88_115
; %bb.106:                              ;   in Loop: Header=BB88_6 Depth=1
	s_mov_b32 s25, exec_lo
                                        ; implicit-def: $sgpr26
                                        ; implicit-def: $sgpr20
	v_cmpx_ge_u32_e64 s12, v30
	s_xor_b32 s25, exec_lo, s25
	s_cbranch_execz .LBB88_112
; %bb.107:                              ;   in Loop: Header=BB88_6 Depth=1
	ds_load_b32 v1, v8 offset:4096
	s_waitcnt lgkmcnt(0)
	v_cmp_ne_u32_e32 vcc_lo, 0, v1
	s_cbranch_vccnz .LBB88_111
; %bb.108:                              ;   in Loop: Header=BB88_6 Depth=1
	s_and_saveexec_b32 s20, s5
	s_cbranch_execz .LBB88_110
; %bb.109:                              ;   in Loop: Header=BB88_6 Depth=1
	v_mov_b32_e32 v1, s12
	ds_store_b32 v8, v1 offset:4100
.LBB88_110:                             ;   in Loop: Header=BB88_6 Depth=1
	s_or_b32 exec_lo, exec_lo, s20
	s_waitcnt lgkmcnt(0)
	s_barrier
	buffer_gl0_inv
.LBB88_111:                             ;   in Loop: Header=BB88_6 Depth=1
	v_and_b32_e32 v3, s14, v3
	v_or_b32_e32 v4, s13, v4
	s_mov_b32 s20, 0
	s_mov_b32 s26, 8
.LBB88_112:                             ;   in Loop: Header=BB88_6 Depth=1
	s_or_saveexec_b32 s25, s25
	v_mov_b32_e32 v1, s26
	v_mov_b32_e32 v31, v30
	s_xor_b32 exec_lo, exec_lo, s25
; %bb.113:                              ;   in Loop: Header=BB88_6 Depth=1
	v_subrev_nc_u32_e32 v31, s12, v30
	v_mov_b32_e32 v1, 0
	s_or_b32 s20, s20, exec_lo
; %bb.114:                              ;   in Loop: Header=BB88_6 Depth=1
	s_or_b32 exec_lo, exec_lo, s25
	s_delay_alu instid0(SALU_CYCLE_1)
	s_and_b32 s20, s20, exec_lo
.LBB88_115:                             ;   in Loop: Header=BB88_6 Depth=1
	s_or_b32 exec_lo, exec_lo, s11
	s_mov_b32 s11, -1
                                        ; implicit-def: $sgpr25
                                        ; implicit-def: $sgpr27
                                        ; implicit-def: $sgpr28
	s_and_saveexec_b32 s26, s20
	s_delay_alu instid0(SALU_CYCLE_1)
	s_xor_b32 s20, exec_lo, s26
	s_cbranch_execz .LBB88_236
; %bb.116:                              ;   in Loop: Header=BB88_6 Depth=1
	v_cmp_eq_u32_e32 vcc_lo, 1, v31
	s_cmp_eq_u32 s16, 1
                                        ; implicit-def: $sgpr25
                                        ; implicit-def: $sgpr27
                                        ; implicit-def: $sgpr26
	s_cselect_b32 s11, -1, 0
	s_delay_alu instid0(SALU_CYCLE_1)
	s_and_b32 s29, s11, vcc_lo
	s_mov_b32 s11, -1
	s_and_saveexec_b32 s28, s29
	s_cbranch_execz .LBB88_142
; %bb.117:                              ;   in Loop: Header=BB88_6 Depth=1
	ds_load_b32 v1, v8 offset:4096
	s_waitcnt lgkmcnt(0)
	s_barrier
	buffer_gl0_inv
	v_readfirstlane_b32 s25, v1
	s_and_saveexec_b32 s11, s6
	s_cbranch_execz .LBB88_119
; %bb.118:                              ;   in Loop: Header=BB88_6 Depth=1
	ds_store_b32 v21, v8
.LBB88_119:                             ;   in Loop: Header=BB88_6 Depth=1
	s_or_b32 exec_lo, exec_lo, s11
	s_lshl_b32 s11, 1, s17
	v_or_b32_e32 v4, s13, v4
	v_and_or_b32 v3, v3, s14, s11
	s_cmp_eq_u32 s25, 0
	s_waitcnt lgkmcnt(0)
	s_barrier
	buffer_gl0_inv
	s_cbranch_scc1 .LBB88_128
; %bb.120:                              ;   in Loop: Header=BB88_6 Depth=1
	s_add_i32 s11, s25, s65
                                        ; implicit-def: $vgpr2
	s_delay_alu instid0(SALU_CYCLE_1) | instskip(NEXT) | instid1(SALU_CYCLE_1)
	s_mul_hi_u32 s26, s11, s72
	s_mul_i32 s26, s26, s47
	s_delay_alu instid0(SALU_CYCLE_1) | instskip(NEXT) | instid1(SALU_CYCLE_1)
	s_sub_i32 s26, s11, s26
	s_sub_i32 s27, s26, s47
	s_cmp_ge_u32 s26, s47
	s_cselect_b32 s26, s27, s26
	s_delay_alu instid0(SALU_CYCLE_1) | instskip(SKIP_2) | instid1(SALU_CYCLE_1)
	s_sub_i32 s27, s26, s47
	s_cmp_ge_u32 s26, s47
	s_cselect_b32 s26, s27, s26
	s_sub_i32 s27, s11, s26
	s_mov_b32 s11, 0
	s_mov_b32 s26, exec_lo
	v_cmpx_gt_u32_e64 s27, v0
	s_cbranch_execz .LBB88_130
; %bb.121:                              ;   in Loop: Header=BB88_6 Depth=1
	v_dual_mov_b32 v7, v18 :: v_dual_mov_b32 v32, v0
	s_mov_b32 s88, 0
                                        ; implicit-def: $sgpr89
	s_set_inst_prefetch_distance 0x1
	s_branch .LBB88_123
	.p2align	6
.LBB88_122:                             ;   in Loop: Header=BB88_123 Depth=2
	s_or_b32 exec_lo, exec_lo, s11
	s_waitcnt lgkmcnt(0)
	s_barrier
	buffer_gl0_inv
	ds_load_b64 v[1:2], v8 offset:3072
	v_add_nc_u32_e32 v32, s47, v32
	v_add_nc_u32_e32 v7, s61, v7
	s_waitcnt lgkmcnt(0)
	s_barrier
	buffer_gl0_inv
	v_cmp_le_u32_e32 vcc_lo, s27, v32
	v_cmp_neq_f32_e64 s11, 0, v1
	s_delay_alu instid0(VALU_DEP_1) | instskip(NEXT) | instid1(SALU_CYCLE_1)
	s_or_b32 s90, vcc_lo, s11
	s_and_b32 s90, exec_lo, s90
	s_delay_alu instid0(SALU_CYCLE_1) | instskip(SKIP_2) | instid1(SALU_CYCLE_1)
	s_or_b32 s88, s90, s88
	s_and_not1_b32 s89, s89, exec_lo
	s_and_b32 s11, s11, exec_lo
	s_or_b32 s89, s89, s11
	s_and_not1_b32 exec_lo, exec_lo, s88
	s_cbranch_execz .LBB88_129
.LBB88_123:                             ;   Parent Loop BB88_6 Depth=1
                                        ; =>  This Inner Loop Header: Depth=2
	s_delay_alu instid0(VALU_DEP_1)
	v_cmp_gt_u32_e32 vcc_lo, s25, v32
	v_mov_b32_e32 v14, 0
	s_and_saveexec_b32 s11, vcc_lo
	s_cbranch_execz .LBB88_125
; %bb.124:                              ;   in Loop: Header=BB88_123 Depth=2
	ds_load_b32 v14, v7
.LBB88_125:                             ;   in Loop: Header=BB88_123 Depth=2
	s_or_b32 exec_lo, exec_lo, s11
	s_and_saveexec_b32 s11, vcc_lo
	s_cbranch_execz .LBB88_122
; %bb.126:                              ;   in Loop: Header=BB88_123 Depth=2
	s_waitcnt lgkmcnt(0)
	v_cmp_lt_i32_e32 vcc_lo, -1, v14
	v_cndmask_b32_e64 v1, -1, 0x80000000, vcc_lo
	v_cmp_o_f32_e32 vcc_lo, v14, v14
	s_delay_alu instid0(VALU_DEP_2) | instskip(NEXT) | instid1(VALU_DEP_1)
	v_xor_b32_e32 v1, v1, v14
	v_cndmask_b32_e32 v1, -1, v1, vcc_lo
	s_delay_alu instid0(VALU_DEP_1) | instskip(NEXT) | instid1(VALU_DEP_1)
	v_and_b32_e32 v1, v1, v4
	v_cmp_eq_u32_e32 vcc_lo, v1, v3
	s_and_b32 exec_lo, exec_lo, vcc_lo
	s_cbranch_execz .LBB88_122
; %bb.127:                              ;   in Loop: Header=BB88_123 Depth=2
	ds_store_b64 v8, v[13:14] offset:3072
	s_branch .LBB88_122
.LBB88_128:                             ;   in Loop: Header=BB88_6 Depth=1
	s_mov_b32 s25, -1
	s_mov_b32 s11, 0
                                        ; implicit-def: $sgpr26
                                        ; implicit-def: $vgpr2
	s_mov_b32 s27, s25
	s_cbranch_execnz .LBB88_131
	s_branch .LBB88_141
.LBB88_129:                             ;   in Loop: Header=BB88_6 Depth=1
	s_set_inst_prefetch_distance 0x2
	s_or_b32 exec_lo, exec_lo, s88
	s_delay_alu instid0(SALU_CYCLE_1)
	s_and_b32 s11, s89, exec_lo
.LBB88_130:                             ;   in Loop: Header=BB88_6 Depth=1
	s_or_b32 exec_lo, exec_lo, s26
	s_mov_b32 s26, -1
	s_mov_b32 s25, 0
	s_delay_alu instid0(SALU_CYCLE_1)
	s_mov_b32 s27, s25
	s_branch .LBB88_141
.LBB88_131:                             ;   in Loop: Header=BB88_6 Depth=1
	s_mov_b32 s11, 0
                                        ; implicit-def: $vgpr2
	s_and_saveexec_b32 s25, s9
	s_cbranch_execz .LBB88_140
; %bb.132:                              ;   in Loop: Header=BB88_6 Depth=1
	v_dual_mov_b32 v7, v9 :: v_dual_mov_b32 v32, v0
	s_mov_b32 s26, 0
                                        ; implicit-def: $sgpr27
	s_set_inst_prefetch_distance 0x1
	s_branch .LBB88_134
	.p2align	6
.LBB88_133:                             ;   in Loop: Header=BB88_134 Depth=2
	s_or_b32 exec_lo, exec_lo, s11
	s_waitcnt vmcnt(0) lgkmcnt(0)
	s_barrier
	buffer_gl0_inv
	ds_load_b64 v[1:2], v8 offset:3072
	v_add_nc_u32_e32 v32, s47, v32
	v_add_nc_u32_e32 v7, s53, v7
	s_waitcnt lgkmcnt(0)
	s_barrier
	buffer_gl0_inv
	v_cmp_le_u32_e32 vcc_lo, s73, v32
	v_cmp_neq_f32_e64 s11, 0, v1
	s_delay_alu instid0(VALU_DEP_1) | instskip(NEXT) | instid1(SALU_CYCLE_1)
	s_or_b32 s88, vcc_lo, s11
	s_and_b32 s88, exec_lo, s88
	s_delay_alu instid0(SALU_CYCLE_1) | instskip(SKIP_2) | instid1(SALU_CYCLE_1)
	s_or_b32 s26, s88, s26
	s_and_not1_b32 s27, s27, exec_lo
	s_and_b32 s11, s11, exec_lo
	s_or_b32 s27, s27, s11
	s_and_not1_b32 exec_lo, exec_lo, s26
	s_cbranch_execz .LBB88_139
.LBB88_134:                             ;   Parent Loop BB88_6 Depth=1
                                        ; =>  This Inner Loop Header: Depth=2
	s_delay_alu instid0(VALU_DEP_1)
	v_cmp_gt_u32_e32 vcc_lo, s36, v32
	v_mov_b32_e32 v14, 0
	s_and_saveexec_b32 s88, vcc_lo
	s_cbranch_execz .LBB88_136
; %bb.135:                              ;   in Loop: Header=BB88_134 Depth=2
	v_lshlrev_b64 v[1:2], 2, v[7:8]
	s_delay_alu instid0(VALU_DEP_1) | instskip(NEXT) | instid1(VALU_DEP_1)
	v_add_co_u32 v1, s11, s33, v1
	v_add_co_ci_u32_e64 v2, s11, s43, v2, s11
	global_load_b32 v14, v[1:2], off
.LBB88_136:                             ;   in Loop: Header=BB88_134 Depth=2
	s_or_b32 exec_lo, exec_lo, s88
	s_and_saveexec_b32 s11, vcc_lo
	s_cbranch_execz .LBB88_133
; %bb.137:                              ;   in Loop: Header=BB88_134 Depth=2
	s_waitcnt vmcnt(0)
	v_cmp_lt_i32_e32 vcc_lo, -1, v14
	v_cndmask_b32_e64 v1, -1, 0x80000000, vcc_lo
	v_cmp_o_f32_e32 vcc_lo, v14, v14
	s_delay_alu instid0(VALU_DEP_2) | instskip(NEXT) | instid1(VALU_DEP_1)
	v_xor_b32_e32 v1, v1, v14
	v_cndmask_b32_e32 v1, -1, v1, vcc_lo
	s_delay_alu instid0(VALU_DEP_1) | instskip(NEXT) | instid1(VALU_DEP_1)
	v_and_b32_e32 v1, v1, v4
	v_cmp_eq_u32_e32 vcc_lo, v1, v3
	s_and_b32 exec_lo, exec_lo, vcc_lo
	s_cbranch_execz .LBB88_133
; %bb.138:                              ;   in Loop: Header=BB88_134 Depth=2
	ds_store_b64 v8, v[13:14] offset:3072
	s_branch .LBB88_133
.LBB88_139:                             ;   in Loop: Header=BB88_6 Depth=1
	s_set_inst_prefetch_distance 0x2
	s_or_b32 exec_lo, exec_lo, s26
	s_delay_alu instid0(SALU_CYCLE_1)
	s_and_b32 s11, s27, exec_lo
.LBB88_140:                             ;   in Loop: Header=BB88_6 Depth=1
	s_or_b32 exec_lo, exec_lo, s25
	s_mov_b32 s27, -1
	s_mov_b32 s25, 0
	s_mov_b32 s26, 0
.LBB88_141:                             ;   in Loop: Header=BB88_6 Depth=1
	s_or_not1_b32 s11, s11, exec_lo
.LBB88_142:                             ;   in Loop: Header=BB88_6 Depth=1
	s_or_b32 exec_lo, exec_lo, s28
	s_mov_b32 s88, 0
                                        ; implicit-def: $vgpr1
	s_and_saveexec_b32 s28, s11
	s_cbranch_execz .LBB88_235
; %bb.143:                              ;   in Loop: Header=BB88_6 Depth=1
	v_dual_mov_b32 v32, 1 :: v_dual_mov_b32 v1, 1
	s_xor_b32 s29, s29, -1
	s_mov_b32 s89, 0
	s_and_saveexec_b32 s11, s29
	s_cbranch_execz .LBB88_153
; %bb.144:                              ;   in Loop: Header=BB88_6 Depth=1
	s_mov_b32 s88, exec_lo
                                        ; implicit-def: $sgpr89
                                        ; implicit-def: $sgpr29
	v_cmpx_ge_u32_e64 s16, v31
	s_xor_b32 s88, exec_lo, s88
	s_cbranch_execz .LBB88_150
; %bb.145:                              ;   in Loop: Header=BB88_6 Depth=1
	ds_load_b32 v1, v8 offset:4096
	s_waitcnt lgkmcnt(0)
	v_cmp_ne_u32_e32 vcc_lo, 0, v1
	s_cbranch_vccnz .LBB88_149
; %bb.146:                              ;   in Loop: Header=BB88_6 Depth=1
	s_and_saveexec_b32 s29, s5
	s_cbranch_execz .LBB88_148
; %bb.147:                              ;   in Loop: Header=BB88_6 Depth=1
	v_mov_b32_e32 v1, s16
	ds_store_b32 v8, v1 offset:4100
.LBB88_148:                             ;   in Loop: Header=BB88_6 Depth=1
	s_or_b32 exec_lo, exec_lo, s29
	s_waitcnt lgkmcnt(0)
	s_barrier
	buffer_gl0_inv
.LBB88_149:                             ;   in Loop: Header=BB88_6 Depth=1
	s_lshl_b32 s29, 1, s17
	v_or_b32_e32 v4, s13, v4
	v_and_or_b32 v3, v3, s14, s29
	s_mov_b32 s29, 0
	s_mov_b32 s89, 8
.LBB88_150:                             ;   in Loop: Header=BB88_6 Depth=1
	s_or_saveexec_b32 s88, s88
	v_mov_b32_e32 v1, s89
	s_xor_b32 exec_lo, exec_lo, s88
; %bb.151:                              ;   in Loop: Header=BB88_6 Depth=1
	v_subrev_nc_u32_e32 v31, s16, v31
	v_mov_b32_e32 v1, 0
	s_or_b32 s29, s29, exec_lo
; %bb.152:                              ;   in Loop: Header=BB88_6 Depth=1
	s_or_b32 exec_lo, exec_lo, s88
	s_delay_alu instid0(VALU_DEP_2)
	v_mov_b32_e32 v32, v31
	s_and_b32 s89, s29, exec_lo
.LBB88_153:                             ;   in Loop: Header=BB88_6 Depth=1
	s_or_b32 exec_lo, exec_lo, s11
	s_mov_b32 s11, -1
                                        ; implicit-def: $sgpr88
                                        ; implicit-def: $sgpr90
                                        ; implicit-def: $sgpr91
	s_and_saveexec_b32 s29, s89
	s_cbranch_execz .LBB88_234
; %bb.154:                              ;   in Loop: Header=BB88_6 Depth=1
	v_cmp_eq_u32_e32 vcc_lo, 1, v32
	s_cmp_eq_u32 s18, 1
                                        ; implicit-def: $sgpr88
                                        ; implicit-def: $sgpr90
                                        ; implicit-def: $sgpr89
	s_cselect_b32 s11, -1, 0
	s_delay_alu instid0(SALU_CYCLE_1)
	s_and_b32 s92, s11, vcc_lo
	s_mov_b32 s11, -1
	s_and_saveexec_b32 s91, s92
	s_cbranch_execz .LBB88_180
; %bb.155:                              ;   in Loop: Header=BB88_6 Depth=1
	ds_load_b32 v1, v8 offset:4096
	s_waitcnt lgkmcnt(0)
	s_barrier
	buffer_gl0_inv
	v_readfirstlane_b32 s88, v1
	s_and_saveexec_b32 s11, s6
	s_cbranch_execz .LBB88_157
; %bb.156:                              ;   in Loop: Header=BB88_6 Depth=1
	ds_store_b32 v21, v8
.LBB88_157:                             ;   in Loop: Header=BB88_6 Depth=1
	s_or_b32 exec_lo, exec_lo, s11
	s_lshl_b32 s11, 2, s17
	v_or_b32_e32 v4, s13, v4
	v_and_or_b32 v3, v3, s14, s11
	s_cmp_eq_u32 s88, 0
	s_waitcnt lgkmcnt(0)
	s_barrier
	buffer_gl0_inv
	s_cbranch_scc1 .LBB88_166
; %bb.158:                              ;   in Loop: Header=BB88_6 Depth=1
	s_add_i32 s11, s88, s65
                                        ; implicit-def: $vgpr2
	s_delay_alu instid0(SALU_CYCLE_1) | instskip(NEXT) | instid1(SALU_CYCLE_1)
	s_mul_hi_u32 s89, s11, s72
	s_mul_i32 s89, s89, s47
	s_delay_alu instid0(SALU_CYCLE_1) | instskip(NEXT) | instid1(SALU_CYCLE_1)
	s_sub_i32 s89, s11, s89
	s_sub_i32 s90, s89, s47
	s_cmp_ge_u32 s89, s47
	s_cselect_b32 s89, s90, s89
	s_delay_alu instid0(SALU_CYCLE_1) | instskip(SKIP_2) | instid1(SALU_CYCLE_1)
	s_sub_i32 s90, s89, s47
	s_cmp_ge_u32 s89, s47
	s_cselect_b32 s89, s90, s89
	s_sub_i32 s90, s11, s89
	s_mov_b32 s11, 0
	s_mov_b32 s89, exec_lo
	v_cmpx_gt_u32_e64 s90, v0
	s_cbranch_execz .LBB88_168
; %bb.159:                              ;   in Loop: Header=BB88_6 Depth=1
	v_mov_b32_e32 v7, v18
	v_mov_b32_e32 v31, v0
	s_mov_b32 s93, 0
                                        ; implicit-def: $sgpr94
	s_set_inst_prefetch_distance 0x1
	s_branch .LBB88_161
	.p2align	6
.LBB88_160:                             ;   in Loop: Header=BB88_161 Depth=2
	s_or_b32 exec_lo, exec_lo, s11
	s_waitcnt lgkmcnt(0)
	s_barrier
	buffer_gl0_inv
	ds_load_b64 v[1:2], v8 offset:3072
	v_add_nc_u32_e32 v31, s47, v31
	v_add_nc_u32_e32 v7, s61, v7
	s_waitcnt lgkmcnt(0)
	s_barrier
	buffer_gl0_inv
	v_cmp_le_u32_e32 vcc_lo, s90, v31
	v_cmp_neq_f32_e64 s11, 0, v1
	s_delay_alu instid0(VALU_DEP_1) | instskip(NEXT) | instid1(SALU_CYCLE_1)
	s_or_b32 s95, vcc_lo, s11
	s_and_b32 s95, exec_lo, s95
	s_delay_alu instid0(SALU_CYCLE_1) | instskip(SKIP_2) | instid1(SALU_CYCLE_1)
	s_or_b32 s93, s95, s93
	s_and_not1_b32 s94, s94, exec_lo
	s_and_b32 s11, s11, exec_lo
	s_or_b32 s94, s94, s11
	s_and_not1_b32 exec_lo, exec_lo, s93
	s_cbranch_execz .LBB88_167
.LBB88_161:                             ;   Parent Loop BB88_6 Depth=1
                                        ; =>  This Inner Loop Header: Depth=2
	s_delay_alu instid0(VALU_DEP_1)
	v_cmp_gt_u32_e32 vcc_lo, s88, v31
	v_mov_b32_e32 v14, 0
	s_and_saveexec_b32 s11, vcc_lo
	s_cbranch_execz .LBB88_163
; %bb.162:                              ;   in Loop: Header=BB88_161 Depth=2
	ds_load_b32 v14, v7
.LBB88_163:                             ;   in Loop: Header=BB88_161 Depth=2
	s_or_b32 exec_lo, exec_lo, s11
	s_and_saveexec_b32 s11, vcc_lo
	s_cbranch_execz .LBB88_160
; %bb.164:                              ;   in Loop: Header=BB88_161 Depth=2
	s_waitcnt lgkmcnt(0)
	v_cmp_lt_i32_e32 vcc_lo, -1, v14
	v_cndmask_b32_e64 v1, -1, 0x80000000, vcc_lo
	v_cmp_o_f32_e32 vcc_lo, v14, v14
	s_delay_alu instid0(VALU_DEP_2) | instskip(NEXT) | instid1(VALU_DEP_1)
	v_xor_b32_e32 v1, v1, v14
	v_cndmask_b32_e32 v1, -1, v1, vcc_lo
	s_delay_alu instid0(VALU_DEP_1) | instskip(NEXT) | instid1(VALU_DEP_1)
	v_and_b32_e32 v1, v1, v4
	v_cmp_eq_u32_e32 vcc_lo, v1, v3
	s_and_b32 exec_lo, exec_lo, vcc_lo
	s_cbranch_execz .LBB88_160
; %bb.165:                              ;   in Loop: Header=BB88_161 Depth=2
	ds_store_b64 v8, v[13:14] offset:3072
	s_branch .LBB88_160
.LBB88_166:                             ;   in Loop: Header=BB88_6 Depth=1
	s_mov_b32 s88, -1
	s_mov_b32 s11, 0
                                        ; implicit-def: $sgpr89
                                        ; implicit-def: $vgpr2
	s_mov_b32 s90, s88
	s_cbranch_execnz .LBB88_169
	s_branch .LBB88_179
.LBB88_167:                             ;   in Loop: Header=BB88_6 Depth=1
	s_set_inst_prefetch_distance 0x2
	s_or_b32 exec_lo, exec_lo, s93
	s_delay_alu instid0(SALU_CYCLE_1)
	s_and_b32 s11, s94, exec_lo
.LBB88_168:                             ;   in Loop: Header=BB88_6 Depth=1
	s_or_b32 exec_lo, exec_lo, s89
	s_mov_b32 s89, -1
	s_mov_b32 s88, 0
	s_delay_alu instid0(SALU_CYCLE_1)
	s_mov_b32 s90, s88
	s_branch .LBB88_179
.LBB88_169:                             ;   in Loop: Header=BB88_6 Depth=1
	s_mov_b32 s11, 0
                                        ; implicit-def: $vgpr2
	s_and_saveexec_b32 s88, s9
	s_cbranch_execz .LBB88_178
; %bb.170:                              ;   in Loop: Header=BB88_6 Depth=1
	v_mov_b32_e32 v7, v9
	v_mov_b32_e32 v31, v0
	s_mov_b32 s89, 0
                                        ; implicit-def: $sgpr90
	s_set_inst_prefetch_distance 0x1
	s_branch .LBB88_172
	.p2align	6
.LBB88_171:                             ;   in Loop: Header=BB88_172 Depth=2
	s_or_b32 exec_lo, exec_lo, s11
	s_waitcnt vmcnt(0) lgkmcnt(0)
	s_barrier
	buffer_gl0_inv
	ds_load_b64 v[1:2], v8 offset:3072
	v_add_nc_u32_e32 v31, s47, v31
	v_add_nc_u32_e32 v7, s53, v7
	s_waitcnt lgkmcnt(0)
	s_barrier
	buffer_gl0_inv
	v_cmp_le_u32_e32 vcc_lo, s73, v31
	v_cmp_neq_f32_e64 s11, 0, v1
	s_delay_alu instid0(VALU_DEP_1) | instskip(NEXT) | instid1(SALU_CYCLE_1)
	s_or_b32 s93, vcc_lo, s11
	s_and_b32 s93, exec_lo, s93
	s_delay_alu instid0(SALU_CYCLE_1) | instskip(SKIP_2) | instid1(SALU_CYCLE_1)
	s_or_b32 s89, s93, s89
	s_and_not1_b32 s90, s90, exec_lo
	s_and_b32 s11, s11, exec_lo
	s_or_b32 s90, s90, s11
	s_and_not1_b32 exec_lo, exec_lo, s89
	s_cbranch_execz .LBB88_177
.LBB88_172:                             ;   Parent Loop BB88_6 Depth=1
                                        ; =>  This Inner Loop Header: Depth=2
	s_delay_alu instid0(VALU_DEP_1)
	v_cmp_gt_u32_e32 vcc_lo, s36, v31
	v_mov_b32_e32 v14, 0
	s_and_saveexec_b32 s93, vcc_lo
	s_cbranch_execz .LBB88_174
; %bb.173:                              ;   in Loop: Header=BB88_172 Depth=2
	v_lshlrev_b64 v[1:2], 2, v[7:8]
	s_delay_alu instid0(VALU_DEP_1) | instskip(NEXT) | instid1(VALU_DEP_1)
	v_add_co_u32 v1, s11, s33, v1
	v_add_co_ci_u32_e64 v2, s11, s43, v2, s11
	global_load_b32 v14, v[1:2], off
.LBB88_174:                             ;   in Loop: Header=BB88_172 Depth=2
	s_or_b32 exec_lo, exec_lo, s93
	s_and_saveexec_b32 s11, vcc_lo
	s_cbranch_execz .LBB88_171
; %bb.175:                              ;   in Loop: Header=BB88_172 Depth=2
	s_waitcnt vmcnt(0)
	v_cmp_lt_i32_e32 vcc_lo, -1, v14
	v_cndmask_b32_e64 v1, -1, 0x80000000, vcc_lo
	v_cmp_o_f32_e32 vcc_lo, v14, v14
	s_delay_alu instid0(VALU_DEP_2) | instskip(NEXT) | instid1(VALU_DEP_1)
	v_xor_b32_e32 v1, v1, v14
	v_cndmask_b32_e32 v1, -1, v1, vcc_lo
	s_delay_alu instid0(VALU_DEP_1) | instskip(NEXT) | instid1(VALU_DEP_1)
	v_and_b32_e32 v1, v1, v4
	v_cmp_eq_u32_e32 vcc_lo, v1, v3
	s_and_b32 exec_lo, exec_lo, vcc_lo
	s_cbranch_execz .LBB88_171
; %bb.176:                              ;   in Loop: Header=BB88_172 Depth=2
	ds_store_b64 v8, v[13:14] offset:3072
	s_branch .LBB88_171
.LBB88_177:                             ;   in Loop: Header=BB88_6 Depth=1
	s_set_inst_prefetch_distance 0x2
	s_or_b32 exec_lo, exec_lo, s89
	s_delay_alu instid0(SALU_CYCLE_1)
	s_and_b32 s11, s90, exec_lo
.LBB88_178:                             ;   in Loop: Header=BB88_6 Depth=1
	s_or_b32 exec_lo, exec_lo, s88
	s_mov_b32 s90, -1
	s_mov_b32 s88, 0
	s_mov_b32 s89, 0
.LBB88_179:                             ;   in Loop: Header=BB88_6 Depth=1
	s_or_not1_b32 s11, s11, exec_lo
.LBB88_180:                             ;   in Loop: Header=BB88_6 Depth=1
	s_or_b32 exec_lo, exec_lo, s91
	s_mov_b32 s93, 0
                                        ; implicit-def: $vgpr1
	s_and_saveexec_b32 s91, s11
	s_cbranch_execz .LBB88_233
; %bb.181:                              ;   in Loop: Header=BB88_6 Depth=1
	v_mov_b32_e32 v31, 1
	v_mov_b32_e32 v1, 1
	s_xor_b32 s92, s92, -1
	s_mov_b32 s94, 0
	s_and_saveexec_b32 s11, s92
	s_cbranch_execz .LBB88_191
; %bb.182:                              ;   in Loop: Header=BB88_6 Depth=1
	s_mov_b32 s93, exec_lo
                                        ; implicit-def: $sgpr94
                                        ; implicit-def: $sgpr92
	v_cmpx_ge_u32_e64 s18, v32
	s_xor_b32 s93, exec_lo, s93
	s_cbranch_execz .LBB88_188
; %bb.183:                              ;   in Loop: Header=BB88_6 Depth=1
	ds_load_b32 v1, v8 offset:4096
	s_waitcnt lgkmcnt(0)
	v_cmp_ne_u32_e32 vcc_lo, 0, v1
	s_cbranch_vccnz .LBB88_187
; %bb.184:                              ;   in Loop: Header=BB88_6 Depth=1
	s_and_saveexec_b32 s92, s5
	s_cbranch_execz .LBB88_186
; %bb.185:                              ;   in Loop: Header=BB88_6 Depth=1
	v_mov_b32_e32 v1, s18
	ds_store_b32 v8, v1 offset:4100
.LBB88_186:                             ;   in Loop: Header=BB88_6 Depth=1
	s_or_b32 exec_lo, exec_lo, s92
	s_waitcnt lgkmcnt(0)
	s_barrier
	buffer_gl0_inv
.LBB88_187:                             ;   in Loop: Header=BB88_6 Depth=1
	s_lshl_b32 s92, 2, s17
	v_or_b32_e32 v4, s13, v4
	v_and_or_b32 v3, v3, s14, s92
	s_mov_b32 s92, 0
	s_mov_b32 s94, 8
.LBB88_188:                             ;   in Loop: Header=BB88_6 Depth=1
	s_or_saveexec_b32 s93, s93
	v_mov_b32_e32 v1, s94
	s_xor_b32 exec_lo, exec_lo, s93
; %bb.189:                              ;   in Loop: Header=BB88_6 Depth=1
	v_subrev_nc_u32_e32 v32, s18, v32
	v_mov_b32_e32 v1, 0
	s_or_b32 s92, s92, exec_lo
; %bb.190:                              ;   in Loop: Header=BB88_6 Depth=1
	s_or_b32 exec_lo, exec_lo, s93
	s_delay_alu instid0(VALU_DEP_2)
	v_mov_b32_e32 v31, v32
	s_and_b32 s94, s92, exec_lo
.LBB88_191:                             ;   in Loop: Header=BB88_6 Depth=1
	s_or_b32 exec_lo, exec_lo, s11
	s_mov_b32 s93, -1
                                        ; implicit-def: $sgpr11
                                        ; implicit-def: $sgpr96
                                        ; implicit-def: $sgpr95
	s_and_saveexec_b32 s92, s94
	s_cbranch_execz .LBB88_232
; %bb.192:                              ;   in Loop: Header=BB88_6 Depth=1
	v_cmp_eq_u32_e32 vcc_lo, 1, v31
	s_cmp_eq_u32 s19, 1
	s_mov_b32 s97, -1
	s_cselect_b32 s11, -1, 0
                                        ; implicit-def: $sgpr96
                                        ; implicit-def: $sgpr95
	s_delay_alu instid0(SALU_CYCLE_1) | instskip(NEXT) | instid1(SALU_CYCLE_1)
	s_and_b32 s93, s11, vcc_lo
                                        ; implicit-def: $sgpr11
	s_and_saveexec_b32 s94, s93
	s_cbranch_execz .LBB88_219
; %bb.193:                              ;   in Loop: Header=BB88_6 Depth=1
	ds_load_b32 v1, v8 offset:4096
	s_waitcnt lgkmcnt(0)
	s_barrier
	buffer_gl0_inv
	v_readfirstlane_b32 s95, v1
	s_and_saveexec_b32 s11, s6
	s_cbranch_execz .LBB88_195
; %bb.194:                              ;   in Loop: Header=BB88_6 Depth=1
	ds_store_b32 v21, v8
.LBB88_195:                             ;   in Loop: Header=BB88_6 Depth=1
	s_or_b32 exec_lo, exec_lo, s11
	v_or_b32_e32 v3, s13, v3
	v_or_b32_e32 v4, s13, v4
	s_cmp_eq_u32 s95, 0
	s_waitcnt lgkmcnt(0)
	s_barrier
	buffer_gl0_inv
	s_cbranch_scc1 .LBB88_204
; %bb.196:                              ;   in Loop: Header=BB88_6 Depth=1
	s_add_i32 s11, s95, s65
                                        ; implicit-def: $vgpr2
	s_delay_alu instid0(SALU_CYCLE_1) | instskip(NEXT) | instid1(SALU_CYCLE_1)
	s_mul_hi_u32 s96, s11, s72
	s_mul_i32 s96, s96, s47
	s_delay_alu instid0(SALU_CYCLE_1) | instskip(NEXT) | instid1(SALU_CYCLE_1)
	s_sub_i32 s96, s11, s96
	s_sub_i32 s97, s96, s47
	s_cmp_ge_u32 s96, s47
	s_cselect_b32 s96, s97, s96
	s_delay_alu instid0(SALU_CYCLE_1)
	s_sub_i32 s97, s96, s47
	s_cmp_ge_u32 s96, s47
	s_cselect_b32 s96, s97, s96
	s_mov_b32 s97, 0
	s_sub_i32 s98, s11, s96
	s_mov_b32 s96, exec_lo
	v_cmpx_gt_u32_e64 s98, v0
	s_cbranch_execz .LBB88_206
; %bb.197:                              ;   in Loop: Header=BB88_6 Depth=1
	v_dual_mov_b32 v7, v18 :: v_dual_mov_b32 v32, v0
                                        ; implicit-def: $sgpr99
	s_set_inst_prefetch_distance 0x1
	s_branch .LBB88_199
	.p2align	6
.LBB88_198:                             ;   in Loop: Header=BB88_199 Depth=2
	s_or_b32 exec_lo, exec_lo, s11
	s_waitcnt lgkmcnt(0)
	s_barrier
	buffer_gl0_inv
	ds_load_b64 v[1:2], v8 offset:3072
	v_add_nc_u32_e32 v32, s47, v32
	v_add_nc_u32_e32 v7, s61, v7
	s_waitcnt lgkmcnt(0)
	s_barrier
	buffer_gl0_inv
	v_cmp_le_u32_e32 vcc_lo, s98, v32
	v_cmp_neq_f32_e64 s11, 0, v1
	s_delay_alu instid0(VALU_DEP_1) | instskip(NEXT) | instid1(SALU_CYCLE_1)
	s_or_b32 s100, vcc_lo, s11
	s_and_b32 s100, exec_lo, s100
	s_delay_alu instid0(SALU_CYCLE_1) | instskip(SKIP_2) | instid1(SALU_CYCLE_1)
	s_or_b32 s97, s100, s97
	s_and_not1_b32 s99, s99, exec_lo
	s_and_b32 s11, s11, exec_lo
	s_or_b32 s99, s99, s11
	s_and_not1_b32 exec_lo, exec_lo, s97
	s_cbranch_execz .LBB88_205
.LBB88_199:                             ;   Parent Loop BB88_6 Depth=1
                                        ; =>  This Inner Loop Header: Depth=2
	s_delay_alu instid0(VALU_DEP_1)
	v_cmp_gt_u32_e32 vcc_lo, s95, v32
	v_mov_b32_e32 v14, 0
	s_and_saveexec_b32 s11, vcc_lo
	s_cbranch_execz .LBB88_201
; %bb.200:                              ;   in Loop: Header=BB88_199 Depth=2
	ds_load_b32 v14, v7
.LBB88_201:                             ;   in Loop: Header=BB88_199 Depth=2
	s_or_b32 exec_lo, exec_lo, s11
	s_and_saveexec_b32 s11, vcc_lo
	s_cbranch_execz .LBB88_198
; %bb.202:                              ;   in Loop: Header=BB88_199 Depth=2
	s_waitcnt lgkmcnt(0)
	v_cmp_lt_i32_e32 vcc_lo, -1, v14
	v_cndmask_b32_e64 v1, -1, 0x80000000, vcc_lo
	v_cmp_o_f32_e32 vcc_lo, v14, v14
	s_delay_alu instid0(VALU_DEP_2) | instskip(NEXT) | instid1(VALU_DEP_1)
	v_xor_b32_e32 v1, v1, v14
	v_cndmask_b32_e32 v1, -1, v1, vcc_lo
	s_delay_alu instid0(VALU_DEP_1) | instskip(NEXT) | instid1(VALU_DEP_1)
	v_and_b32_e32 v1, v1, v4
	v_cmp_eq_u32_e32 vcc_lo, v1, v3
	s_and_b32 exec_lo, exec_lo, vcc_lo
	s_cbranch_execz .LBB88_198
; %bb.203:                              ;   in Loop: Header=BB88_199 Depth=2
	ds_store_b64 v8, v[13:14] offset:3072
	s_branch .LBB88_198
.LBB88_204:                             ;   in Loop: Header=BB88_6 Depth=1
	s_mov_b32 s11, -1
	s_mov_b32 s97, 0
                                        ; implicit-def: $sgpr95
                                        ; implicit-def: $vgpr2
	s_branch .LBB88_207
.LBB88_205:                             ;   in Loop: Header=BB88_6 Depth=1
	s_set_inst_prefetch_distance 0x2
	s_or_b32 exec_lo, exec_lo, s97
	s_delay_alu instid0(SALU_CYCLE_1)
	s_and_b32 s97, s99, exec_lo
.LBB88_206:                             ;   in Loop: Header=BB88_6 Depth=1
	s_or_b32 exec_lo, exec_lo, s96
	s_mov_b32 s95, -1
	s_mov_b32 s11, 0
.LBB88_207:                             ;   in Loop: Header=BB88_6 Depth=1
	s_delay_alu instid0(SALU_CYCLE_1)
	s_and_b32 vcc_lo, exec_lo, s11
	s_mov_b32 s96, s11
	s_cbranch_vccz .LBB88_218
; %bb.208:                              ;   in Loop: Header=BB88_6 Depth=1
	s_mov_b32 s97, 0
                                        ; implicit-def: $vgpr2
	s_and_saveexec_b32 s95, s9
	s_cbranch_execz .LBB88_217
; %bb.209:                              ;   in Loop: Header=BB88_6 Depth=1
	v_dual_mov_b32 v7, v9 :: v_dual_mov_b32 v32, v0
	s_mov_b32 s96, 0
                                        ; implicit-def: $sgpr97
	s_set_inst_prefetch_distance 0x1
	s_branch .LBB88_211
	.p2align	6
.LBB88_210:                             ;   in Loop: Header=BB88_211 Depth=2
	s_or_b32 exec_lo, exec_lo, s11
	s_waitcnt vmcnt(0) lgkmcnt(0)
	s_barrier
	buffer_gl0_inv
	ds_load_b64 v[1:2], v8 offset:3072
	v_add_nc_u32_e32 v32, s47, v32
	v_add_nc_u32_e32 v7, s53, v7
	s_waitcnt lgkmcnt(0)
	s_barrier
	buffer_gl0_inv
	v_cmp_le_u32_e32 vcc_lo, s73, v32
	v_cmp_neq_f32_e64 s11, 0, v1
	s_delay_alu instid0(VALU_DEP_1) | instskip(NEXT) | instid1(SALU_CYCLE_1)
	s_or_b32 s98, vcc_lo, s11
	s_and_b32 s98, exec_lo, s98
	s_delay_alu instid0(SALU_CYCLE_1) | instskip(SKIP_2) | instid1(SALU_CYCLE_1)
	s_or_b32 s96, s98, s96
	s_and_not1_b32 s97, s97, exec_lo
	s_and_b32 s11, s11, exec_lo
	s_or_b32 s97, s97, s11
	s_and_not1_b32 exec_lo, exec_lo, s96
	s_cbranch_execz .LBB88_216
.LBB88_211:                             ;   Parent Loop BB88_6 Depth=1
                                        ; =>  This Inner Loop Header: Depth=2
	s_delay_alu instid0(VALU_DEP_1)
	v_cmp_gt_u32_e32 vcc_lo, s36, v32
	v_mov_b32_e32 v14, 0
	s_and_saveexec_b32 s98, vcc_lo
	s_cbranch_execz .LBB88_213
; %bb.212:                              ;   in Loop: Header=BB88_211 Depth=2
	v_lshlrev_b64 v[1:2], 2, v[7:8]
	s_delay_alu instid0(VALU_DEP_1) | instskip(NEXT) | instid1(VALU_DEP_1)
	v_add_co_u32 v1, s11, s33, v1
	v_add_co_ci_u32_e64 v2, s11, s43, v2, s11
	global_load_b32 v14, v[1:2], off
.LBB88_213:                             ;   in Loop: Header=BB88_211 Depth=2
	s_or_b32 exec_lo, exec_lo, s98
	s_and_saveexec_b32 s11, vcc_lo
	s_cbranch_execz .LBB88_210
; %bb.214:                              ;   in Loop: Header=BB88_211 Depth=2
	s_waitcnt vmcnt(0)
	v_cmp_lt_i32_e32 vcc_lo, -1, v14
	v_cndmask_b32_e64 v1, -1, 0x80000000, vcc_lo
	v_cmp_o_f32_e32 vcc_lo, v14, v14
	s_delay_alu instid0(VALU_DEP_2) | instskip(NEXT) | instid1(VALU_DEP_1)
	v_xor_b32_e32 v1, v1, v14
	v_cndmask_b32_e32 v1, -1, v1, vcc_lo
	s_delay_alu instid0(VALU_DEP_1) | instskip(NEXT) | instid1(VALU_DEP_1)
	v_and_b32_e32 v1, v1, v4
	v_cmp_eq_u32_e32 vcc_lo, v1, v3
	s_and_b32 exec_lo, exec_lo, vcc_lo
	s_cbranch_execz .LBB88_210
; %bb.215:                              ;   in Loop: Header=BB88_211 Depth=2
	ds_store_b64 v8, v[13:14] offset:3072
	s_branch .LBB88_210
.LBB88_216:                             ;   in Loop: Header=BB88_6 Depth=1
	s_set_inst_prefetch_distance 0x2
	s_or_b32 exec_lo, exec_lo, s96
	s_delay_alu instid0(SALU_CYCLE_1)
	s_and_b32 s97, s97, exec_lo
.LBB88_217:                             ;   in Loop: Header=BB88_6 Depth=1
	s_or_b32 exec_lo, exec_lo, s95
	s_mov_b32 s96, -1
	s_mov_b32 s11, 0
	s_mov_b32 s95, 0
.LBB88_218:                             ;   in Loop: Header=BB88_6 Depth=1
	s_or_not1_b32 s97, s97, exec_lo
.LBB88_219:                             ;   in Loop: Header=BB88_6 Depth=1
	s_or_b32 exec_lo, exec_lo, s94
	s_mov_b32 s98, 0
                                        ; implicit-def: $vgpr1
                                        ; implicit-def: $vgpr7
	s_and_saveexec_b32 s94, s97
	s_cbranch_execz .LBB88_231
; %bb.220:                              ;   in Loop: Header=BB88_6 Depth=1
	v_mov_b32_e32 v1, 1
	v_mov_b32_e32 v7, 1
	s_xor_b32 s97, s93, -1
	s_delay_alu instid0(SALU_CYCLE_1)
	s_and_saveexec_b32 s93, s97
	s_cbranch_execz .LBB88_230
; %bb.221:                              ;   in Loop: Header=BB88_6 Depth=1
	s_mov_b32 s97, exec_lo
                                        ; implicit-def: $sgpr98
	v_cmpx_ge_u32_e64 s19, v31
	s_xor_b32 s97, exec_lo, s97
	s_cbranch_execz .LBB88_227
; %bb.222:                              ;   in Loop: Header=BB88_6 Depth=1
	ds_load_b32 v1, v8 offset:4096
	s_waitcnt lgkmcnt(0)
	v_cmp_ne_u32_e32 vcc_lo, 0, v1
	s_cbranch_vccnz .LBB88_226
; %bb.223:                              ;   in Loop: Header=BB88_6 Depth=1
	s_and_saveexec_b32 s98, s5
	s_cbranch_execz .LBB88_225
; %bb.224:                              ;   in Loop: Header=BB88_6 Depth=1
	v_mov_b32_e32 v1, s19
	ds_store_b32 v8, v1 offset:4100
.LBB88_225:                             ;   in Loop: Header=BB88_6 Depth=1
	s_or_b32 exec_lo, exec_lo, s98
	s_waitcnt lgkmcnt(0)
	s_barrier
	buffer_gl0_inv
.LBB88_226:                             ;   in Loop: Header=BB88_6 Depth=1
	v_or_b32_e32 v3, s13, v3
	v_or_b32_e32 v4, s13, v4
	s_mov_b32 s98, 8
.LBB88_227:                             ;   in Loop: Header=BB88_6 Depth=1
	s_or_saveexec_b32 s97, s97
	v_mov_b32_e32 v1, s98
	s_xor_b32 exec_lo, exec_lo, s97
; %bb.228:                              ;   in Loop: Header=BB88_6 Depth=1
	v_subrev_nc_u32_e32 v31, s19, v31
	v_mov_b32_e32 v1, 8
; %bb.229:                              ;   in Loop: Header=BB88_6 Depth=1
	s_or_b32 exec_lo, exec_lo, s97
	s_delay_alu instid0(VALU_DEP_2)
	v_mov_b32_e32 v7, v31
.LBB88_230:                             ;   in Loop: Header=BB88_6 Depth=1
	s_or_b32 exec_lo, exec_lo, s93
	s_delay_alu instid0(SALU_CYCLE_1)
	s_mov_b32 s98, exec_lo
.LBB88_231:                             ;   in Loop: Header=BB88_6 Depth=1
	s_or_b32 exec_lo, exec_lo, s94
	s_delay_alu instid0(VALU_DEP_1)
	v_mov_b32_e32 v31, v7
	s_or_not1_b32 s93, s98, exec_lo
.LBB88_232:                             ;   in Loop: Header=BB88_6 Depth=1
	s_or_b32 exec_lo, exec_lo, s92
	s_delay_alu instid0(SALU_CYCLE_1)
	s_and_not1_b32 s88, s88, exec_lo
	s_and_b32 s11, s11, exec_lo
	v_mov_b32_e32 v32, v31
	s_or_b32 s88, s88, s11
	s_and_not1_b32 s11, s90, exec_lo
	s_and_b32 s90, s96, exec_lo
	s_and_not1_b32 s89, s89, exec_lo
	s_and_b32 s92, s95, exec_lo
	s_or_b32 s90, s11, s90
	s_or_b32 s89, s89, s92
	s_and_b32 s93, s93, exec_lo
.LBB88_233:                             ;   in Loop: Header=BB88_6 Depth=1
	s_or_b32 exec_lo, exec_lo, s91
	s_delay_alu instid0(SALU_CYCLE_1)
	s_and_b32 s91, s88, exec_lo
	s_and_b32 s90, s90, exec_lo
	;; [unrolled: 1-line block ×3, first 2 shown]
	s_or_not1_b32 s11, s93, exec_lo
.LBB88_234:                             ;   in Loop: Header=BB88_6 Depth=1
	s_or_b32 exec_lo, exec_lo, s29
	s_delay_alu instid0(SALU_CYCLE_1)
	s_and_not1_b32 s25, s25, exec_lo
	s_and_b32 s29, s91, exec_lo
	v_mov_b32_e32 v31, v32
	s_or_b32 s25, s25, s29
	s_and_not1_b32 s27, s27, exec_lo
	s_and_b32 s29, s90, exec_lo
	s_and_not1_b32 s26, s26, exec_lo
	s_and_b32 s88, s88, exec_lo
	s_or_b32 s27, s27, s29
	s_or_b32 s26, s26, s88
	s_and_b32 s88, s11, exec_lo
.LBB88_235:                             ;   in Loop: Header=BB88_6 Depth=1
	s_or_b32 exec_lo, exec_lo, s28
	s_delay_alu instid0(SALU_CYCLE_1)
	s_and_b32 s28, s25, exec_lo
	s_and_b32 s27, s27, exec_lo
	;; [unrolled: 1-line block ×3, first 2 shown]
	s_or_not1_b32 s11, s88, exec_lo
.LBB88_236:                             ;   in Loop: Header=BB88_6 Depth=1
	s_or_b32 exec_lo, exec_lo, s20
	s_mov_b32 s20, 0
	s_mov_b32 s26, 0
	s_and_saveexec_b32 s29, s11
	s_delay_alu instid0(SALU_CYCLE_1)
	s_xor_b32 s29, exec_lo, s29
; %bb.237:                              ;   in Loop: Header=BB88_6 Depth=1
	v_cmp_ne_u32_e32 vcc_lo, 8, v1
	v_cmp_eq_u32_e64 s11, 8, v1
	s_and_not1_b32 s28, s28, exec_lo
	s_and_not1_b32 s27, s27, exec_lo
	;; [unrolled: 1-line block ×3, first 2 shown]
	s_and_b32 s26, vcc_lo, exec_lo
	s_and_b32 s20, s11, exec_lo
; %bb.238:                              ;   in Loop: Header=BB88_6 Depth=1
	s_or_b32 exec_lo, exec_lo, s29
	s_delay_alu instid0(SALU_CYCLE_1)
	s_and_not1_b32 s11, s15, exec_lo
	s_and_b32 s15, s28, exec_lo
	s_and_not1_b32 s21, s21, exec_lo
	s_or_b32 s15, s11, s15
	s_and_not1_b32 s11, s22, exec_lo
	s_and_b32 s22, s27, exec_lo
	s_and_b32 s25, s25, exec_lo
	s_or_b32 s22, s11, s22
	s_or_b32 s21, s21, s25
	s_and_b32 s11, s26, exec_lo
	s_and_b32 s20, s20, exec_lo
.LBB88_239:                             ;   in Loop: Header=BB88_6 Depth=1
	s_or_b32 exec_lo, exec_lo, s24
	s_delay_alu instid0(SALU_CYCLE_1)
	s_and_b32 vcc_lo, exec_lo, s23
	s_cbranch_vccz .LBB88_86
.LBB88_240:                             ;   in Loop: Header=BB88_6 Depth=1
	s_cmp_eq_u32 s19, 1
                                        ; implicit-def: $sgpr23
                                        ; implicit-def: $sgpr24
	s_cselect_b32 s15, -1, 0
	s_delay_alu instid0(SALU_CYCLE_1)
	s_and_b32 s22, s15, s10
	s_mov_b32 s10, -1
                                        ; implicit-def: $sgpr15
	s_and_saveexec_b32 s21, s22
	s_cbranch_execz .LBB88_266
; %bb.241:                              ;   in Loop: Header=BB88_6 Depth=1
	ds_load_b32 v1, v8 offset:4096
	s_waitcnt lgkmcnt(0)
	s_barrier
	buffer_gl0_inv
	v_readfirstlane_b32 s15, v1
	s_and_saveexec_b32 s10, s6
	s_cbranch_execz .LBB88_243
; %bb.242:                              ;   in Loop: Header=BB88_6 Depth=1
	ds_store_b32 v21, v8
.LBB88_243:                             ;   in Loop: Header=BB88_6 Depth=1
	s_or_b32 exec_lo, exec_lo, s10
	v_or_b32_e32 v29, s13, v29
	v_or_b32_e32 v28, s13, v28
	s_cmp_eq_u32 s15, 0
	s_waitcnt lgkmcnt(0)
	s_barrier
	buffer_gl0_inv
	s_cbranch_scc1 .LBB88_252
; %bb.244:                              ;   in Loop: Header=BB88_6 Depth=1
	s_add_i32 s10, s15, s65
                                        ; implicit-def: $vgpr15
	s_delay_alu instid0(SALU_CYCLE_1) | instskip(NEXT) | instid1(SALU_CYCLE_1)
	s_mul_hi_u32 s23, s10, s72
	s_mul_i32 s23, s23, s47
	s_delay_alu instid0(SALU_CYCLE_1) | instskip(NEXT) | instid1(SALU_CYCLE_1)
	s_sub_i32 s23, s10, s23
	s_sub_i32 s24, s23, s47
	s_cmp_ge_u32 s23, s47
	s_cselect_b32 s23, s24, s23
	s_delay_alu instid0(SALU_CYCLE_1) | instskip(SKIP_2) | instid1(SALU_CYCLE_1)
	s_sub_i32 s24, s23, s47
	s_cmp_ge_u32 s23, s47
	s_cselect_b32 s23, s24, s23
	s_sub_i32 s24, s10, s23
	s_mov_b32 s10, 0
	s_mov_b32 s23, exec_lo
	v_cmpx_gt_u32_e64 s24, v0
	s_cbranch_execz .LBB88_254
; %bb.245:                              ;   in Loop: Header=BB88_6 Depth=1
	v_dual_mov_b32 v1, v18 :: v_dual_mov_b32 v2, v0
	s_mov_b32 s25, 0
                                        ; implicit-def: $sgpr26
	s_set_inst_prefetch_distance 0x1
	s_branch .LBB88_247
	.p2align	6
.LBB88_246:                             ;   in Loop: Header=BB88_247 Depth=2
	s_or_b32 exec_lo, exec_lo, s10
	s_waitcnt lgkmcnt(0)
	s_barrier
	buffer_gl0_inv
	ds_load_b64 v[14:15], v8 offset:3072
	v_add_nc_u32_e32 v2, s47, v2
	v_add_nc_u32_e32 v1, s61, v1
	s_waitcnt lgkmcnt(0)
	s_barrier
	buffer_gl0_inv
	v_cmp_le_u32_e32 vcc_lo, s24, v2
	v_cmp_neq_f32_e64 s10, 0, v14
	s_delay_alu instid0(VALU_DEP_1) | instskip(NEXT) | instid1(SALU_CYCLE_1)
	s_or_b32 s27, vcc_lo, s10
	s_and_b32 s27, exec_lo, s27
	s_delay_alu instid0(SALU_CYCLE_1) | instskip(SKIP_2) | instid1(SALU_CYCLE_1)
	s_or_b32 s25, s27, s25
	s_and_not1_b32 s26, s26, exec_lo
	s_and_b32 s10, s10, exec_lo
	s_or_b32 s26, s26, s10
	s_and_not1_b32 exec_lo, exec_lo, s25
	s_cbranch_execz .LBB88_253
.LBB88_247:                             ;   Parent Loop BB88_6 Depth=1
                                        ; =>  This Inner Loop Header: Depth=2
	s_delay_alu instid0(VALU_DEP_1)
	v_cmp_gt_u32_e32 vcc_lo, s15, v2
	v_mov_b32_e32 v14, 0
	s_and_saveexec_b32 s10, vcc_lo
	s_cbranch_execz .LBB88_249
; %bb.248:                              ;   in Loop: Header=BB88_247 Depth=2
	ds_load_b32 v14, v1
.LBB88_249:                             ;   in Loop: Header=BB88_247 Depth=2
	s_or_b32 exec_lo, exec_lo, s10
	s_and_saveexec_b32 s10, vcc_lo
	s_cbranch_execz .LBB88_246
; %bb.250:                              ;   in Loop: Header=BB88_247 Depth=2
	s_waitcnt lgkmcnt(0)
	v_cmp_lt_i32_e32 vcc_lo, -1, v14
	v_cndmask_b32_e64 v3, -1, 0x80000000, vcc_lo
	v_cmp_o_f32_e32 vcc_lo, v14, v14
	s_delay_alu instid0(VALU_DEP_2) | instskip(NEXT) | instid1(VALU_DEP_1)
	v_xor_b32_e32 v3, v3, v14
	v_cndmask_b32_e32 v3, -1, v3, vcc_lo
	s_delay_alu instid0(VALU_DEP_1) | instskip(NEXT) | instid1(VALU_DEP_1)
	v_and_b32_e32 v3, v3, v28
	v_cmp_eq_u32_e32 vcc_lo, v3, v29
	s_and_b32 exec_lo, exec_lo, vcc_lo
	s_cbranch_execz .LBB88_246
; %bb.251:                              ;   in Loop: Header=BB88_247 Depth=2
	ds_store_b64 v8, v[13:14] offset:3072
	s_branch .LBB88_246
.LBB88_252:                             ;   in Loop: Header=BB88_6 Depth=1
	s_mov_b32 s23, -1
	s_mov_b32 s10, 0
                                        ; implicit-def: $sgpr24
                                        ; implicit-def: $vgpr15
	s_mov_b32 s15, s23
	s_cbranch_execnz .LBB88_255
	s_branch .LBB88_265
.LBB88_253:                             ;   in Loop: Header=BB88_6 Depth=1
	s_set_inst_prefetch_distance 0x2
	s_or_b32 exec_lo, exec_lo, s25
	s_delay_alu instid0(SALU_CYCLE_1)
	s_and_b32 s10, s26, exec_lo
.LBB88_254:                             ;   in Loop: Header=BB88_6 Depth=1
	s_or_b32 exec_lo, exec_lo, s23
	s_mov_b32 s23, 0
	s_mov_b32 s24, -1
	s_mov_b32 s15, s23
	s_branch .LBB88_265
.LBB88_255:                             ;   in Loop: Header=BB88_6 Depth=1
	s_mov_b32 s10, 0
                                        ; implicit-def: $vgpr15
	s_and_saveexec_b32 s15, s9
	s_cbranch_execz .LBB88_264
; %bb.256:                              ;   in Loop: Header=BB88_6 Depth=1
	v_mov_b32_e32 v7, v9
	v_mov_b32_e32 v1, v0
	s_mov_b32 s23, 0
                                        ; implicit-def: $sgpr24
	s_set_inst_prefetch_distance 0x1
	s_branch .LBB88_258
	.p2align	6
.LBB88_257:                             ;   in Loop: Header=BB88_258 Depth=2
	s_or_b32 exec_lo, exec_lo, s10
	s_waitcnt vmcnt(0) lgkmcnt(0)
	s_barrier
	buffer_gl0_inv
	ds_load_b64 v[14:15], v8 offset:3072
	v_add_nc_u32_e32 v1, s47, v1
	v_add_nc_u32_e32 v7, s53, v7
	s_waitcnt lgkmcnt(0)
	s_barrier
	buffer_gl0_inv
	v_cmp_le_u32_e32 vcc_lo, s73, v1
	v_cmp_neq_f32_e64 s10, 0, v14
	s_delay_alu instid0(VALU_DEP_1) | instskip(NEXT) | instid1(SALU_CYCLE_1)
	s_or_b32 s25, vcc_lo, s10
	s_and_b32 s25, exec_lo, s25
	s_delay_alu instid0(SALU_CYCLE_1) | instskip(SKIP_2) | instid1(SALU_CYCLE_1)
	s_or_b32 s23, s25, s23
	s_and_not1_b32 s24, s24, exec_lo
	s_and_b32 s10, s10, exec_lo
	s_or_b32 s24, s24, s10
	s_and_not1_b32 exec_lo, exec_lo, s23
	s_cbranch_execz .LBB88_263
.LBB88_258:                             ;   Parent Loop BB88_6 Depth=1
                                        ; =>  This Inner Loop Header: Depth=2
	s_delay_alu instid0(VALU_DEP_1)
	v_cmp_gt_u32_e32 vcc_lo, s36, v1
	v_mov_b32_e32 v14, 0
	s_and_saveexec_b32 s25, vcc_lo
	s_cbranch_execz .LBB88_260
; %bb.259:                              ;   in Loop: Header=BB88_258 Depth=2
	v_lshlrev_b64 v[2:3], 2, v[7:8]
	s_delay_alu instid0(VALU_DEP_1) | instskip(NEXT) | instid1(VALU_DEP_1)
	v_add_co_u32 v2, s10, s33, v2
	v_add_co_ci_u32_e64 v3, s10, s43, v3, s10
	global_load_b32 v14, v[2:3], off
.LBB88_260:                             ;   in Loop: Header=BB88_258 Depth=2
	s_or_b32 exec_lo, exec_lo, s25
	s_and_saveexec_b32 s10, vcc_lo
	s_cbranch_execz .LBB88_257
; %bb.261:                              ;   in Loop: Header=BB88_258 Depth=2
	s_waitcnt vmcnt(0)
	v_cmp_lt_i32_e32 vcc_lo, -1, v14
	v_cndmask_b32_e64 v2, -1, 0x80000000, vcc_lo
	v_cmp_o_f32_e32 vcc_lo, v14, v14
	s_delay_alu instid0(VALU_DEP_2) | instskip(NEXT) | instid1(VALU_DEP_1)
	v_xor_b32_e32 v2, v2, v14
	v_cndmask_b32_e32 v2, -1, v2, vcc_lo
	s_delay_alu instid0(VALU_DEP_1) | instskip(NEXT) | instid1(VALU_DEP_1)
	v_and_b32_e32 v2, v2, v28
	v_cmp_eq_u32_e32 vcc_lo, v2, v29
	s_and_b32 exec_lo, exec_lo, vcc_lo
	s_cbranch_execz .LBB88_257
; %bb.262:                              ;   in Loop: Header=BB88_258 Depth=2
	ds_store_b64 v8, v[13:14] offset:3072
	s_branch .LBB88_257
.LBB88_263:                             ;   in Loop: Header=BB88_6 Depth=1
	s_set_inst_prefetch_distance 0x2
	s_or_b32 exec_lo, exec_lo, s23
	s_delay_alu instid0(SALU_CYCLE_1)
	s_and_b32 s10, s24, exec_lo
.LBB88_264:                             ;   in Loop: Header=BB88_6 Depth=1
	s_or_b32 exec_lo, exec_lo, s15
	s_mov_b32 s24, 0
	s_mov_b32 s23, -1
	s_mov_b32 s15, 0
.LBB88_265:                             ;   in Loop: Header=BB88_6 Depth=1
	s_or_not1_b32 s10, s10, exec_lo
.LBB88_266:                             ;   in Loop: Header=BB88_6 Depth=1
	s_or_b32 exec_lo, exec_lo, s21
                                        ; implicit-def: $vgpr1
                                        ; implicit-def: $vgpr31
                                        ; implicit-def: $vgpr3
                                        ; implicit-def: $vgpr4
                                        ; implicit-def: $vgpr2
	s_and_saveexec_b32 s21, s10
	s_cbranch_execz .LBB88_401
; %bb.267:                              ;   in Loop: Header=BB88_6 Depth=1
	v_mov_b32_e32 v31, 1
	v_mov_b32_e32 v1, 1
	s_xor_b32 s22, s22, -1
	s_mov_b32 s28, 0
	s_and_saveexec_b32 s10, s22
	s_cbranch_execz .LBB88_277
; %bb.268:                              ;   in Loop: Header=BB88_6 Depth=1
	s_mov_b32 s25, exec_lo
                                        ; implicit-def: $sgpr26
                                        ; implicit-def: $sgpr22
	v_cmpx_ge_u32_e64 s19, v30
	s_xor_b32 s25, exec_lo, s25
	s_cbranch_execz .LBB88_274
; %bb.269:                              ;   in Loop: Header=BB88_6 Depth=1
	ds_load_b32 v1, v8 offset:4096
	s_waitcnt lgkmcnt(0)
	v_cmp_ne_u32_e32 vcc_lo, 0, v1
	s_cbranch_vccnz .LBB88_273
; %bb.270:                              ;   in Loop: Header=BB88_6 Depth=1
	s_and_saveexec_b32 s22, s5
	s_cbranch_execz .LBB88_272
; %bb.271:                              ;   in Loop: Header=BB88_6 Depth=1
	v_mov_b32_e32 v1, s19
	ds_store_b32 v8, v1 offset:4100
.LBB88_272:                             ;   in Loop: Header=BB88_6 Depth=1
	s_or_b32 exec_lo, exec_lo, s22
	s_waitcnt lgkmcnt(0)
	s_barrier
	buffer_gl0_inv
.LBB88_273:                             ;   in Loop: Header=BB88_6 Depth=1
	v_or_b32_e32 v29, s13, v29
	v_or_b32_e32 v28, s13, v28
	s_mov_b32 s22, 0
	s_mov_b32 s26, 5
.LBB88_274:                             ;   in Loop: Header=BB88_6 Depth=1
	s_or_saveexec_b32 s25, s25
	v_mov_b32_e32 v1, s26
	s_xor_b32 exec_lo, exec_lo, s25
; %bb.275:                              ;   in Loop: Header=BB88_6 Depth=1
	v_subrev_nc_u32_e32 v30, s19, v30
	v_mov_b32_e32 v1, 0
	s_or_b32 s22, s22, exec_lo
; %bb.276:                              ;   in Loop: Header=BB88_6 Depth=1
	s_or_b32 exec_lo, exec_lo, s25
	s_delay_alu instid0(VALU_DEP_2)
	v_mov_b32_e32 v31, v30
	s_and_b32 s28, s22, exec_lo
.LBB88_277:                             ;   in Loop: Header=BB88_6 Depth=1
	s_or_b32 exec_lo, exec_lo, s10
	s_mov_b32 s26, -1
                                        ; implicit-def: $sgpr22
                                        ; implicit-def: $sgpr25
                                        ; implicit-def: $sgpr27
	s_and_saveexec_b32 s10, s28
	s_delay_alu instid0(SALU_CYCLE_1)
	s_xor_b32 s19, exec_lo, s10
	s_cbranch_execz .LBB88_398
; %bb.278:                              ;   in Loop: Header=BB88_6 Depth=1
	v_cmp_eq_u32_e32 vcc_lo, 1, v31
	s_cmp_eq_u32 s18, 1
                                        ; implicit-def: $sgpr22
                                        ; implicit-def: $sgpr25
                                        ; implicit-def: $sgpr26
	s_cselect_b32 s10, -1, 0
	s_delay_alu instid0(SALU_CYCLE_1)
	s_and_b32 s28, s10, vcc_lo
	s_mov_b32 s10, -1
	s_and_saveexec_b32 s27, s28
	s_cbranch_execz .LBB88_304
; %bb.279:                              ;   in Loop: Header=BB88_6 Depth=1
	ds_load_b32 v1, v8 offset:4096
	s_waitcnt lgkmcnt(0)
	s_barrier
	buffer_gl0_inv
	v_readfirstlane_b32 s22, v1
	s_and_saveexec_b32 s10, s6
	s_cbranch_execz .LBB88_281
; %bb.280:                              ;   in Loop: Header=BB88_6 Depth=1
	ds_store_b32 v21, v8
.LBB88_281:                             ;   in Loop: Header=BB88_6 Depth=1
	s_or_b32 exec_lo, exec_lo, s10
	s_lshl_b32 s10, 2, s17
	v_or_b32_e32 v28, s13, v28
	v_and_or_b32 v29, v29, s14, s10
	s_cmp_eq_u32 s22, 0
	s_waitcnt lgkmcnt(0)
	s_barrier
	buffer_gl0_inv
	s_cbranch_scc1 .LBB88_290
; %bb.282:                              ;   in Loop: Header=BB88_6 Depth=1
	s_add_i32 s10, s22, s65
                                        ; implicit-def: $vgpr15
	s_delay_alu instid0(SALU_CYCLE_1) | instskip(NEXT) | instid1(SALU_CYCLE_1)
	s_mul_hi_u32 s25, s10, s72
	s_mul_i32 s25, s25, s47
	s_delay_alu instid0(SALU_CYCLE_1) | instskip(NEXT) | instid1(SALU_CYCLE_1)
	s_sub_i32 s25, s10, s25
	s_sub_i32 s26, s25, s47
	s_cmp_ge_u32 s25, s47
	s_cselect_b32 s25, s26, s25
	s_delay_alu instid0(SALU_CYCLE_1) | instskip(SKIP_2) | instid1(SALU_CYCLE_1)
	s_sub_i32 s26, s25, s47
	s_cmp_ge_u32 s25, s47
	s_cselect_b32 s25, s26, s25
	s_sub_i32 s26, s10, s25
	s_mov_b32 s10, 0
	s_mov_b32 s25, exec_lo
	v_cmpx_gt_u32_e64 s26, v0
	s_cbranch_execz .LBB88_292
; %bb.283:                              ;   in Loop: Header=BB88_6 Depth=1
	v_dual_mov_b32 v1, v18 :: v_dual_mov_b32 v2, v0
	s_mov_b32 s29, 0
                                        ; implicit-def: $sgpr88
	s_set_inst_prefetch_distance 0x1
	s_branch .LBB88_285
	.p2align	6
.LBB88_284:                             ;   in Loop: Header=BB88_285 Depth=2
	s_or_b32 exec_lo, exec_lo, s10
	s_waitcnt lgkmcnt(0)
	s_barrier
	buffer_gl0_inv
	ds_load_b64 v[14:15], v8 offset:3072
	v_add_nc_u32_e32 v2, s47, v2
	v_add_nc_u32_e32 v1, s61, v1
	s_waitcnt lgkmcnt(0)
	s_barrier
	buffer_gl0_inv
	v_cmp_le_u32_e32 vcc_lo, s26, v2
	v_cmp_neq_f32_e64 s10, 0, v14
	s_delay_alu instid0(VALU_DEP_1) | instskip(NEXT) | instid1(SALU_CYCLE_1)
	s_or_b32 s89, vcc_lo, s10
	s_and_b32 s89, exec_lo, s89
	s_delay_alu instid0(SALU_CYCLE_1) | instskip(SKIP_2) | instid1(SALU_CYCLE_1)
	s_or_b32 s29, s89, s29
	s_and_not1_b32 s88, s88, exec_lo
	s_and_b32 s10, s10, exec_lo
	s_or_b32 s88, s88, s10
	s_and_not1_b32 exec_lo, exec_lo, s29
	s_cbranch_execz .LBB88_291
.LBB88_285:                             ;   Parent Loop BB88_6 Depth=1
                                        ; =>  This Inner Loop Header: Depth=2
	s_delay_alu instid0(VALU_DEP_1)
	v_cmp_gt_u32_e32 vcc_lo, s22, v2
	v_mov_b32_e32 v14, 0
	s_and_saveexec_b32 s10, vcc_lo
	s_cbranch_execz .LBB88_287
; %bb.286:                              ;   in Loop: Header=BB88_285 Depth=2
	ds_load_b32 v14, v1
.LBB88_287:                             ;   in Loop: Header=BB88_285 Depth=2
	s_or_b32 exec_lo, exec_lo, s10
	s_and_saveexec_b32 s10, vcc_lo
	s_cbranch_execz .LBB88_284
; %bb.288:                              ;   in Loop: Header=BB88_285 Depth=2
	s_waitcnt lgkmcnt(0)
	v_cmp_lt_i32_e32 vcc_lo, -1, v14
	v_cndmask_b32_e64 v3, -1, 0x80000000, vcc_lo
	v_cmp_o_f32_e32 vcc_lo, v14, v14
	s_delay_alu instid0(VALU_DEP_2) | instskip(NEXT) | instid1(VALU_DEP_1)
	v_xor_b32_e32 v3, v3, v14
	v_cndmask_b32_e32 v3, -1, v3, vcc_lo
	s_delay_alu instid0(VALU_DEP_1) | instskip(NEXT) | instid1(VALU_DEP_1)
	v_and_b32_e32 v3, v3, v28
	v_cmp_eq_u32_e32 vcc_lo, v3, v29
	s_and_b32 exec_lo, exec_lo, vcc_lo
	s_cbranch_execz .LBB88_284
; %bb.289:                              ;   in Loop: Header=BB88_285 Depth=2
	ds_store_b64 v8, v[13:14] offset:3072
	s_branch .LBB88_284
.LBB88_290:                             ;   in Loop: Header=BB88_6 Depth=1
	s_mov_b32 s22, -1
	s_mov_b32 s10, 0
                                        ; implicit-def: $sgpr25
                                        ; implicit-def: $vgpr15
	s_mov_b32 s26, s22
	s_cbranch_execnz .LBB88_293
	s_branch .LBB88_303
.LBB88_291:                             ;   in Loop: Header=BB88_6 Depth=1
	s_set_inst_prefetch_distance 0x2
	s_or_b32 exec_lo, exec_lo, s29
	s_delay_alu instid0(SALU_CYCLE_1)
	s_and_b32 s10, s88, exec_lo
.LBB88_292:                             ;   in Loop: Header=BB88_6 Depth=1
	s_or_b32 exec_lo, exec_lo, s25
	s_mov_b32 s22, 0
	s_mov_b32 s25, -1
	s_mov_b32 s26, s22
	s_branch .LBB88_303
.LBB88_293:                             ;   in Loop: Header=BB88_6 Depth=1
	s_mov_b32 s10, 0
                                        ; implicit-def: $vgpr15
	s_and_saveexec_b32 s22, s9
	s_cbranch_execz .LBB88_302
; %bb.294:                              ;   in Loop: Header=BB88_6 Depth=1
	v_mov_b32_e32 v7, v9
	v_mov_b32_e32 v1, v0
	s_mov_b32 s25, 0
                                        ; implicit-def: $sgpr26
	s_set_inst_prefetch_distance 0x1
	s_branch .LBB88_296
	.p2align	6
.LBB88_295:                             ;   in Loop: Header=BB88_296 Depth=2
	s_or_b32 exec_lo, exec_lo, s10
	s_waitcnt vmcnt(0) lgkmcnt(0)
	s_barrier
	buffer_gl0_inv
	ds_load_b64 v[14:15], v8 offset:3072
	v_add_nc_u32_e32 v1, s47, v1
	v_add_nc_u32_e32 v7, s53, v7
	s_waitcnt lgkmcnt(0)
	s_barrier
	buffer_gl0_inv
	v_cmp_le_u32_e32 vcc_lo, s73, v1
	v_cmp_neq_f32_e64 s10, 0, v14
	s_delay_alu instid0(VALU_DEP_1) | instskip(NEXT) | instid1(SALU_CYCLE_1)
	s_or_b32 s29, vcc_lo, s10
	s_and_b32 s29, exec_lo, s29
	s_delay_alu instid0(SALU_CYCLE_1) | instskip(SKIP_2) | instid1(SALU_CYCLE_1)
	s_or_b32 s25, s29, s25
	s_and_not1_b32 s26, s26, exec_lo
	s_and_b32 s10, s10, exec_lo
	s_or_b32 s26, s26, s10
	s_and_not1_b32 exec_lo, exec_lo, s25
	s_cbranch_execz .LBB88_301
.LBB88_296:                             ;   Parent Loop BB88_6 Depth=1
                                        ; =>  This Inner Loop Header: Depth=2
	s_delay_alu instid0(VALU_DEP_1)
	v_cmp_gt_u32_e32 vcc_lo, s36, v1
	v_mov_b32_e32 v14, 0
	s_and_saveexec_b32 s29, vcc_lo
	s_cbranch_execz .LBB88_298
; %bb.297:                              ;   in Loop: Header=BB88_296 Depth=2
	v_lshlrev_b64 v[2:3], 2, v[7:8]
	s_delay_alu instid0(VALU_DEP_1) | instskip(NEXT) | instid1(VALU_DEP_1)
	v_add_co_u32 v2, s10, s33, v2
	v_add_co_ci_u32_e64 v3, s10, s43, v3, s10
	global_load_b32 v14, v[2:3], off
.LBB88_298:                             ;   in Loop: Header=BB88_296 Depth=2
	s_or_b32 exec_lo, exec_lo, s29
	s_and_saveexec_b32 s10, vcc_lo
	s_cbranch_execz .LBB88_295
; %bb.299:                              ;   in Loop: Header=BB88_296 Depth=2
	s_waitcnt vmcnt(0)
	v_cmp_lt_i32_e32 vcc_lo, -1, v14
	v_cndmask_b32_e64 v2, -1, 0x80000000, vcc_lo
	v_cmp_o_f32_e32 vcc_lo, v14, v14
	s_delay_alu instid0(VALU_DEP_2) | instskip(NEXT) | instid1(VALU_DEP_1)
	v_xor_b32_e32 v2, v2, v14
	v_cndmask_b32_e32 v2, -1, v2, vcc_lo
	s_delay_alu instid0(VALU_DEP_1) | instskip(NEXT) | instid1(VALU_DEP_1)
	v_and_b32_e32 v2, v2, v28
	v_cmp_eq_u32_e32 vcc_lo, v2, v29
	s_and_b32 exec_lo, exec_lo, vcc_lo
	s_cbranch_execz .LBB88_295
; %bb.300:                              ;   in Loop: Header=BB88_296 Depth=2
	ds_store_b64 v8, v[13:14] offset:3072
	s_branch .LBB88_295
.LBB88_301:                             ;   in Loop: Header=BB88_6 Depth=1
	s_set_inst_prefetch_distance 0x2
	s_or_b32 exec_lo, exec_lo, s25
	s_delay_alu instid0(SALU_CYCLE_1)
	s_and_b32 s10, s26, exec_lo
.LBB88_302:                             ;   in Loop: Header=BB88_6 Depth=1
	s_or_b32 exec_lo, exec_lo, s22
	s_mov_b32 s25, 0
	s_mov_b32 s22, -1
	s_mov_b32 s26, 0
.LBB88_303:                             ;   in Loop: Header=BB88_6 Depth=1
	s_or_not1_b32 s10, s10, exec_lo
.LBB88_304:                             ;   in Loop: Header=BB88_6 Depth=1
	s_or_b32 exec_lo, exec_lo, s27
	s_mov_b32 s29, 0
                                        ; implicit-def: $vgpr1
	s_and_saveexec_b32 s27, s10
	s_cbranch_execz .LBB88_397
; %bb.305:                              ;   in Loop: Header=BB88_6 Depth=1
	v_dual_mov_b32 v2, 1 :: v_dual_mov_b32 v1, 1
	s_xor_b32 s28, s28, -1
	s_mov_b32 s88, 0
	s_and_saveexec_b32 s10, s28
	s_cbranch_execz .LBB88_315
; %bb.306:                              ;   in Loop: Header=BB88_6 Depth=1
	s_mov_b32 s29, exec_lo
                                        ; implicit-def: $sgpr88
                                        ; implicit-def: $sgpr28
	v_cmpx_ge_u32_e64 s18, v31
	s_xor_b32 s29, exec_lo, s29
	s_cbranch_execz .LBB88_312
; %bb.307:                              ;   in Loop: Header=BB88_6 Depth=1
	ds_load_b32 v1, v8 offset:4096
	s_waitcnt lgkmcnt(0)
	v_cmp_ne_u32_e32 vcc_lo, 0, v1
	s_cbranch_vccnz .LBB88_311
; %bb.308:                              ;   in Loop: Header=BB88_6 Depth=1
	s_and_saveexec_b32 s28, s5
	s_cbranch_execz .LBB88_310
; %bb.309:                              ;   in Loop: Header=BB88_6 Depth=1
	v_mov_b32_e32 v1, s18
	ds_store_b32 v8, v1 offset:4100
.LBB88_310:                             ;   in Loop: Header=BB88_6 Depth=1
	s_or_b32 exec_lo, exec_lo, s28
	s_waitcnt lgkmcnt(0)
	s_barrier
	buffer_gl0_inv
.LBB88_311:                             ;   in Loop: Header=BB88_6 Depth=1
	s_lshl_b32 s28, 2, s17
	v_or_b32_e32 v28, s13, v28
	v_and_or_b32 v29, v29, s14, s28
	s_mov_b32 s28, 0
	s_mov_b32 s88, 5
.LBB88_312:                             ;   in Loop: Header=BB88_6 Depth=1
	s_or_saveexec_b32 s29, s29
	v_mov_b32_e32 v1, s88
	s_xor_b32 exec_lo, exec_lo, s29
; %bb.313:                              ;   in Loop: Header=BB88_6 Depth=1
	v_subrev_nc_u32_e32 v31, s18, v31
	v_mov_b32_e32 v1, 0
	s_or_b32 s28, s28, exec_lo
; %bb.314:                              ;   in Loop: Header=BB88_6 Depth=1
	s_or_b32 exec_lo, exec_lo, s29
	s_delay_alu instid0(VALU_DEP_2)
	v_mov_b32_e32 v2, v31
	s_and_b32 s88, s28, exec_lo
.LBB88_315:                             ;   in Loop: Header=BB88_6 Depth=1
	s_or_b32 exec_lo, exec_lo, s10
	s_mov_b32 s10, -1
                                        ; implicit-def: $sgpr28
                                        ; implicit-def: $sgpr29
                                        ; implicit-def: $sgpr89
	s_and_saveexec_b32 s18, s88
	s_cbranch_execz .LBB88_396
; %bb.316:                              ;   in Loop: Header=BB88_6 Depth=1
	v_cmp_eq_u32_e32 vcc_lo, 1, v2
	s_cmp_eq_u32 s16, 1
                                        ; implicit-def: $sgpr28
                                        ; implicit-def: $sgpr29
                                        ; implicit-def: $sgpr88
	s_cselect_b32 s10, -1, 0
	s_delay_alu instid0(SALU_CYCLE_1)
	s_and_b32 s90, s10, vcc_lo
	s_mov_b32 s10, -1
	s_and_saveexec_b32 s89, s90
	s_cbranch_execz .LBB88_342
; %bb.317:                              ;   in Loop: Header=BB88_6 Depth=1
	ds_load_b32 v1, v8 offset:4096
	s_waitcnt lgkmcnt(0)
	s_barrier
	buffer_gl0_inv
	v_readfirstlane_b32 s28, v1
	s_and_saveexec_b32 s10, s6
	s_cbranch_execz .LBB88_319
; %bb.318:                              ;   in Loop: Header=BB88_6 Depth=1
	ds_store_b32 v21, v8
.LBB88_319:                             ;   in Loop: Header=BB88_6 Depth=1
	s_or_b32 exec_lo, exec_lo, s10
	s_lshl_b32 s10, 1, s17
	v_or_b32_e32 v28, s13, v28
	v_and_or_b32 v29, v29, s14, s10
	s_cmp_eq_u32 s28, 0
	s_waitcnt lgkmcnt(0)
	s_barrier
	buffer_gl0_inv
	s_cbranch_scc1 .LBB88_328
; %bb.320:                              ;   in Loop: Header=BB88_6 Depth=1
	s_add_i32 s10, s28, s65
                                        ; implicit-def: $vgpr15
	s_delay_alu instid0(SALU_CYCLE_1) | instskip(NEXT) | instid1(SALU_CYCLE_1)
	s_mul_hi_u32 s29, s10, s72
	s_mul_i32 s29, s29, s47
	s_delay_alu instid0(SALU_CYCLE_1) | instskip(NEXT) | instid1(SALU_CYCLE_1)
	s_sub_i32 s29, s10, s29
	s_sub_i32 s88, s29, s47
	s_cmp_ge_u32 s29, s47
	s_cselect_b32 s29, s88, s29
	s_delay_alu instid0(SALU_CYCLE_1) | instskip(SKIP_2) | instid1(SALU_CYCLE_1)
	s_sub_i32 s88, s29, s47
	s_cmp_ge_u32 s29, s47
	s_cselect_b32 s29, s88, s29
	s_sub_i32 s88, s10, s29
	s_mov_b32 s10, 0
	s_mov_b32 s29, exec_lo
	v_cmpx_gt_u32_e64 s88, v0
	s_cbranch_execz .LBB88_330
; %bb.321:                              ;   in Loop: Header=BB88_6 Depth=1
	v_mov_b32_e32 v1, v18
	v_mov_b32_e32 v3, v0
	s_mov_b32 s91, 0
                                        ; implicit-def: $sgpr92
	s_set_inst_prefetch_distance 0x1
	s_branch .LBB88_323
	.p2align	6
.LBB88_322:                             ;   in Loop: Header=BB88_323 Depth=2
	s_or_b32 exec_lo, exec_lo, s10
	s_waitcnt lgkmcnt(0)
	s_barrier
	buffer_gl0_inv
	ds_load_b64 v[14:15], v8 offset:3072
	v_add_nc_u32_e32 v3, s47, v3
	v_add_nc_u32_e32 v1, s61, v1
	s_waitcnt lgkmcnt(0)
	s_barrier
	buffer_gl0_inv
	v_cmp_le_u32_e32 vcc_lo, s88, v3
	v_cmp_neq_f32_e64 s10, 0, v14
	s_delay_alu instid0(VALU_DEP_1) | instskip(NEXT) | instid1(SALU_CYCLE_1)
	s_or_b32 s93, vcc_lo, s10
	s_and_b32 s93, exec_lo, s93
	s_delay_alu instid0(SALU_CYCLE_1) | instskip(SKIP_2) | instid1(SALU_CYCLE_1)
	s_or_b32 s91, s93, s91
	s_and_not1_b32 s92, s92, exec_lo
	s_and_b32 s10, s10, exec_lo
	s_or_b32 s92, s92, s10
	s_and_not1_b32 exec_lo, exec_lo, s91
	s_cbranch_execz .LBB88_329
.LBB88_323:                             ;   Parent Loop BB88_6 Depth=1
                                        ; =>  This Inner Loop Header: Depth=2
	s_delay_alu instid0(VALU_DEP_1)
	v_cmp_gt_u32_e32 vcc_lo, s28, v3
	v_mov_b32_e32 v14, 0
	s_and_saveexec_b32 s10, vcc_lo
	s_cbranch_execz .LBB88_325
; %bb.324:                              ;   in Loop: Header=BB88_323 Depth=2
	ds_load_b32 v14, v1
.LBB88_325:                             ;   in Loop: Header=BB88_323 Depth=2
	s_or_b32 exec_lo, exec_lo, s10
	s_and_saveexec_b32 s10, vcc_lo
	s_cbranch_execz .LBB88_322
; %bb.326:                              ;   in Loop: Header=BB88_323 Depth=2
	s_waitcnt lgkmcnt(0)
	v_cmp_lt_i32_e32 vcc_lo, -1, v14
	v_cndmask_b32_e64 v4, -1, 0x80000000, vcc_lo
	v_cmp_o_f32_e32 vcc_lo, v14, v14
	s_delay_alu instid0(VALU_DEP_2) | instskip(NEXT) | instid1(VALU_DEP_1)
	v_xor_b32_e32 v4, v4, v14
	v_cndmask_b32_e32 v4, -1, v4, vcc_lo
	s_delay_alu instid0(VALU_DEP_1) | instskip(NEXT) | instid1(VALU_DEP_1)
	v_and_b32_e32 v4, v4, v28
	v_cmp_eq_u32_e32 vcc_lo, v4, v29
	s_and_b32 exec_lo, exec_lo, vcc_lo
	s_cbranch_execz .LBB88_322
; %bb.327:                              ;   in Loop: Header=BB88_323 Depth=2
	ds_store_b64 v8, v[13:14] offset:3072
	s_branch .LBB88_322
.LBB88_328:                             ;   in Loop: Header=BB88_6 Depth=1
	s_mov_b32 s28, -1
	s_mov_b32 s10, 0
                                        ; implicit-def: $sgpr29
                                        ; implicit-def: $vgpr15
	s_mov_b32 s88, s28
	s_cbranch_execnz .LBB88_331
	s_branch .LBB88_341
.LBB88_329:                             ;   in Loop: Header=BB88_6 Depth=1
	s_set_inst_prefetch_distance 0x2
	s_or_b32 exec_lo, exec_lo, s91
	s_delay_alu instid0(SALU_CYCLE_1)
	s_and_b32 s10, s92, exec_lo
.LBB88_330:                             ;   in Loop: Header=BB88_6 Depth=1
	s_or_b32 exec_lo, exec_lo, s29
	s_mov_b32 s28, 0
	s_mov_b32 s29, -1
	s_mov_b32 s88, s28
	s_branch .LBB88_341
.LBB88_331:                             ;   in Loop: Header=BB88_6 Depth=1
	s_mov_b32 s10, 0
                                        ; implicit-def: $vgpr15
	s_and_saveexec_b32 s28, s9
	s_cbranch_execz .LBB88_340
; %bb.332:                              ;   in Loop: Header=BB88_6 Depth=1
	v_mov_b32_e32 v7, v9
	v_mov_b32_e32 v1, v0
	s_mov_b32 s29, 0
                                        ; implicit-def: $sgpr88
	s_set_inst_prefetch_distance 0x1
	s_branch .LBB88_334
	.p2align	6
.LBB88_333:                             ;   in Loop: Header=BB88_334 Depth=2
	s_or_b32 exec_lo, exec_lo, s10
	s_waitcnt vmcnt(0) lgkmcnt(0)
	s_barrier
	buffer_gl0_inv
	ds_load_b64 v[14:15], v8 offset:3072
	v_add_nc_u32_e32 v1, s47, v1
	v_add_nc_u32_e32 v7, s53, v7
	s_waitcnt lgkmcnt(0)
	s_barrier
	buffer_gl0_inv
	v_cmp_le_u32_e32 vcc_lo, s73, v1
	v_cmp_neq_f32_e64 s10, 0, v14
	s_delay_alu instid0(VALU_DEP_1) | instskip(NEXT) | instid1(SALU_CYCLE_1)
	s_or_b32 s91, vcc_lo, s10
	s_and_b32 s91, exec_lo, s91
	s_delay_alu instid0(SALU_CYCLE_1) | instskip(SKIP_2) | instid1(SALU_CYCLE_1)
	s_or_b32 s29, s91, s29
	s_and_not1_b32 s88, s88, exec_lo
	s_and_b32 s10, s10, exec_lo
	s_or_b32 s88, s88, s10
	s_and_not1_b32 exec_lo, exec_lo, s29
	s_cbranch_execz .LBB88_339
.LBB88_334:                             ;   Parent Loop BB88_6 Depth=1
                                        ; =>  This Inner Loop Header: Depth=2
	s_delay_alu instid0(VALU_DEP_1)
	v_cmp_gt_u32_e32 vcc_lo, s36, v1
	v_mov_b32_e32 v14, 0
	s_and_saveexec_b32 s91, vcc_lo
	s_cbranch_execz .LBB88_336
; %bb.335:                              ;   in Loop: Header=BB88_334 Depth=2
	v_lshlrev_b64 v[3:4], 2, v[7:8]
	s_delay_alu instid0(VALU_DEP_1) | instskip(NEXT) | instid1(VALU_DEP_1)
	v_add_co_u32 v3, s10, s33, v3
	v_add_co_ci_u32_e64 v4, s10, s43, v4, s10
	global_load_b32 v14, v[3:4], off
.LBB88_336:                             ;   in Loop: Header=BB88_334 Depth=2
	s_or_b32 exec_lo, exec_lo, s91
	s_and_saveexec_b32 s10, vcc_lo
	s_cbranch_execz .LBB88_333
; %bb.337:                              ;   in Loop: Header=BB88_334 Depth=2
	s_waitcnt vmcnt(0)
	v_cmp_lt_i32_e32 vcc_lo, -1, v14
	v_cndmask_b32_e64 v3, -1, 0x80000000, vcc_lo
	v_cmp_o_f32_e32 vcc_lo, v14, v14
	s_delay_alu instid0(VALU_DEP_2) | instskip(NEXT) | instid1(VALU_DEP_1)
	v_xor_b32_e32 v3, v3, v14
	v_cndmask_b32_e32 v3, -1, v3, vcc_lo
	s_delay_alu instid0(VALU_DEP_1) | instskip(NEXT) | instid1(VALU_DEP_1)
	v_and_b32_e32 v3, v3, v28
	v_cmp_eq_u32_e32 vcc_lo, v3, v29
	s_and_b32 exec_lo, exec_lo, vcc_lo
	s_cbranch_execz .LBB88_333
; %bb.338:                              ;   in Loop: Header=BB88_334 Depth=2
	ds_store_b64 v8, v[13:14] offset:3072
	s_branch .LBB88_333
.LBB88_339:                             ;   in Loop: Header=BB88_6 Depth=1
	s_set_inst_prefetch_distance 0x2
	s_or_b32 exec_lo, exec_lo, s29
	s_delay_alu instid0(SALU_CYCLE_1)
	s_and_b32 s10, s88, exec_lo
.LBB88_340:                             ;   in Loop: Header=BB88_6 Depth=1
	s_or_b32 exec_lo, exec_lo, s28
	s_mov_b32 s29, 0
	s_mov_b32 s28, -1
	s_mov_b32 s88, 0
.LBB88_341:                             ;   in Loop: Header=BB88_6 Depth=1
	s_or_not1_b32 s10, s10, exec_lo
.LBB88_342:                             ;   in Loop: Header=BB88_6 Depth=1
	s_or_b32 exec_lo, exec_lo, s89
	s_mov_b32 s91, 0
                                        ; implicit-def: $vgpr1
	s_and_saveexec_b32 s89, s10
	s_cbranch_execz .LBB88_395
; %bb.343:                              ;   in Loop: Header=BB88_6 Depth=1
	v_mov_b32_e32 v3, 1
	v_mov_b32_e32 v1, 1
	s_xor_b32 s91, s90, -1
	s_mov_b32 s90, 0
	s_and_saveexec_b32 s10, s91
	s_cbranch_execz .LBB88_353
; %bb.344:                              ;   in Loop: Header=BB88_6 Depth=1
	s_mov_b32 s91, exec_lo
                                        ; implicit-def: $sgpr92
                                        ; implicit-def: $sgpr90
	v_cmpx_ge_u32_e64 s16, v2
	s_xor_b32 s91, exec_lo, s91
	s_cbranch_execz .LBB88_350
; %bb.345:                              ;   in Loop: Header=BB88_6 Depth=1
	ds_load_b32 v1, v8 offset:4096
	s_waitcnt lgkmcnt(0)
	v_cmp_ne_u32_e32 vcc_lo, 0, v1
	s_cbranch_vccnz .LBB88_349
; %bb.346:                              ;   in Loop: Header=BB88_6 Depth=1
	s_and_saveexec_b32 s90, s5
	s_cbranch_execz .LBB88_348
; %bb.347:                              ;   in Loop: Header=BB88_6 Depth=1
	v_mov_b32_e32 v1, s16
	ds_store_b32 v8, v1 offset:4100
.LBB88_348:                             ;   in Loop: Header=BB88_6 Depth=1
	s_or_b32 exec_lo, exec_lo, s90
	s_waitcnt lgkmcnt(0)
	s_barrier
	buffer_gl0_inv
.LBB88_349:                             ;   in Loop: Header=BB88_6 Depth=1
	s_lshl_b32 s17, 1, s17
	v_or_b32_e32 v28, s13, v28
	v_and_or_b32 v29, v29, s14, s17
	s_mov_b32 s90, 0
	s_mov_b32 s92, 5
.LBB88_350:                             ;   in Loop: Header=BB88_6 Depth=1
	s_or_saveexec_b32 s17, s91
	v_mov_b32_e32 v1, s92
	s_xor_b32 exec_lo, exec_lo, s17
; %bb.351:                              ;   in Loop: Header=BB88_6 Depth=1
	v_subrev_nc_u32_e32 v2, s16, v2
	v_mov_b32_e32 v1, 0
	s_or_b32 s90, s90, exec_lo
; %bb.352:                              ;   in Loop: Header=BB88_6 Depth=1
	s_or_b32 exec_lo, exec_lo, s17
	s_delay_alu instid0(VALU_DEP_2)
	v_mov_b32_e32 v3, v2
	s_and_b32 s90, s90, exec_lo
.LBB88_353:                             ;   in Loop: Header=BB88_6 Depth=1
	s_or_b32 exec_lo, exec_lo, s10
	s_mov_b32 s17, -1
                                        ; implicit-def: $sgpr10
                                        ; implicit-def: $sgpr91
                                        ; implicit-def: $sgpr92
	s_and_saveexec_b32 s16, s90
	s_cbranch_execz .LBB88_394
; %bb.354:                              ;   in Loop: Header=BB88_6 Depth=1
	v_cmp_eq_u32_e32 vcc_lo, 1, v3
	s_cmp_eq_u32 s12, 1
	s_mov_b32 s93, -1
	s_cselect_b32 s10, -1, 0
                                        ; implicit-def: $sgpr91
                                        ; implicit-def: $sgpr92
	s_delay_alu instid0(SALU_CYCLE_1) | instskip(NEXT) | instid1(SALU_CYCLE_1)
	s_and_b32 s17, s10, vcc_lo
                                        ; implicit-def: $sgpr10
	s_and_saveexec_b32 s90, s17
	s_cbranch_execz .LBB88_381
; %bb.355:                              ;   in Loop: Header=BB88_6 Depth=1
	ds_load_b32 v1, v8 offset:4096
	s_waitcnt lgkmcnt(0)
	s_barrier
	buffer_gl0_inv
	v_readfirstlane_b32 s91, v1
	s_and_saveexec_b32 s10, s6
	s_cbranch_execz .LBB88_357
; %bb.356:                              ;   in Loop: Header=BB88_6 Depth=1
	ds_store_b32 v21, v8
.LBB88_357:                             ;   in Loop: Header=BB88_6 Depth=1
	s_or_b32 exec_lo, exec_lo, s10
	v_and_b32_e32 v29, s14, v29
	v_or_b32_e32 v28, s13, v28
	s_cmp_eq_u32 s91, 0
	s_waitcnt lgkmcnt(0)
	s_barrier
	buffer_gl0_inv
	s_cbranch_scc1 .LBB88_366
; %bb.358:                              ;   in Loop: Header=BB88_6 Depth=1
	s_add_i32 s10, s91, s65
                                        ; implicit-def: $vgpr15
	s_delay_alu instid0(SALU_CYCLE_1) | instskip(NEXT) | instid1(SALU_CYCLE_1)
	s_mul_hi_u32 s92, s10, s72
	s_mul_i32 s92, s92, s47
	s_delay_alu instid0(SALU_CYCLE_1) | instskip(NEXT) | instid1(SALU_CYCLE_1)
	s_sub_i32 s92, s10, s92
	s_sub_i32 s93, s92, s47
	s_cmp_ge_u32 s92, s47
	s_cselect_b32 s92, s93, s92
	s_delay_alu instid0(SALU_CYCLE_1)
	s_sub_i32 s93, s92, s47
	s_cmp_ge_u32 s92, s47
	s_cselect_b32 s92, s93, s92
	s_mov_b32 s93, 0
	s_sub_i32 s94, s10, s92
	s_mov_b32 s92, exec_lo
	v_cmpx_gt_u32_e64 s94, v0
	s_cbranch_execz .LBB88_368
; %bb.359:                              ;   in Loop: Header=BB88_6 Depth=1
	v_dual_mov_b32 v1, v18 :: v_dual_mov_b32 v2, v0
                                        ; implicit-def: $sgpr95
	s_set_inst_prefetch_distance 0x1
	s_branch .LBB88_361
	.p2align	6
.LBB88_360:                             ;   in Loop: Header=BB88_361 Depth=2
	s_or_b32 exec_lo, exec_lo, s10
	s_waitcnt lgkmcnt(0)
	s_barrier
	buffer_gl0_inv
	ds_load_b64 v[14:15], v8 offset:3072
	v_add_nc_u32_e32 v2, s47, v2
	v_add_nc_u32_e32 v1, s61, v1
	s_waitcnt lgkmcnt(0)
	s_barrier
	buffer_gl0_inv
	v_cmp_le_u32_e32 vcc_lo, s94, v2
	v_cmp_neq_f32_e64 s10, 0, v14
	s_delay_alu instid0(VALU_DEP_1) | instskip(NEXT) | instid1(SALU_CYCLE_1)
	s_or_b32 s96, vcc_lo, s10
	s_and_b32 s96, exec_lo, s96
	s_delay_alu instid0(SALU_CYCLE_1) | instskip(SKIP_2) | instid1(SALU_CYCLE_1)
	s_or_b32 s93, s96, s93
	s_and_not1_b32 s95, s95, exec_lo
	s_and_b32 s10, s10, exec_lo
	s_or_b32 s95, s95, s10
	s_and_not1_b32 exec_lo, exec_lo, s93
	s_cbranch_execz .LBB88_367
.LBB88_361:                             ;   Parent Loop BB88_6 Depth=1
                                        ; =>  This Inner Loop Header: Depth=2
	s_delay_alu instid0(VALU_DEP_1)
	v_cmp_gt_u32_e32 vcc_lo, s91, v2
	v_mov_b32_e32 v14, 0
	s_and_saveexec_b32 s10, vcc_lo
	s_cbranch_execz .LBB88_363
; %bb.362:                              ;   in Loop: Header=BB88_361 Depth=2
	ds_load_b32 v14, v1
.LBB88_363:                             ;   in Loop: Header=BB88_361 Depth=2
	s_or_b32 exec_lo, exec_lo, s10
	s_and_saveexec_b32 s10, vcc_lo
	s_cbranch_execz .LBB88_360
; %bb.364:                              ;   in Loop: Header=BB88_361 Depth=2
	s_waitcnt lgkmcnt(0)
	v_cmp_lt_i32_e32 vcc_lo, -1, v14
	v_cndmask_b32_e64 v4, -1, 0x80000000, vcc_lo
	v_cmp_o_f32_e32 vcc_lo, v14, v14
	s_delay_alu instid0(VALU_DEP_2) | instskip(NEXT) | instid1(VALU_DEP_1)
	v_xor_b32_e32 v4, v4, v14
	v_cndmask_b32_e32 v4, -1, v4, vcc_lo
	s_delay_alu instid0(VALU_DEP_1) | instskip(NEXT) | instid1(VALU_DEP_1)
	v_and_b32_e32 v4, v4, v28
	v_cmp_eq_u32_e32 vcc_lo, v4, v29
	s_and_b32 exec_lo, exec_lo, vcc_lo
	s_cbranch_execz .LBB88_360
; %bb.365:                              ;   in Loop: Header=BB88_361 Depth=2
	ds_store_b64 v8, v[13:14] offset:3072
	s_branch .LBB88_360
.LBB88_366:                             ;   in Loop: Header=BB88_6 Depth=1
	s_mov_b32 s10, -1
	s_mov_b32 s93, 0
                                        ; implicit-def: $sgpr91
                                        ; implicit-def: $vgpr15
	s_branch .LBB88_369
.LBB88_367:                             ;   in Loop: Header=BB88_6 Depth=1
	s_set_inst_prefetch_distance 0x2
	s_or_b32 exec_lo, exec_lo, s93
	s_delay_alu instid0(SALU_CYCLE_1)
	s_and_b32 s93, s95, exec_lo
.LBB88_368:                             ;   in Loop: Header=BB88_6 Depth=1
	s_or_b32 exec_lo, exec_lo, s92
	s_mov_b32 s10, 0
	s_mov_b32 s91, -1
.LBB88_369:                             ;   in Loop: Header=BB88_6 Depth=1
	s_and_b32 vcc_lo, exec_lo, s10
	s_mov_b32 s92, s10
	s_cbranch_vccz .LBB88_380
; %bb.370:                              ;   in Loop: Header=BB88_6 Depth=1
	s_mov_b32 s93, 0
                                        ; implicit-def: $vgpr15
	s_and_saveexec_b32 s91, s9
	s_cbranch_execz .LBB88_379
; %bb.371:                              ;   in Loop: Header=BB88_6 Depth=1
	v_mov_b32_e32 v7, v9
	v_mov_b32_e32 v1, v0
	s_mov_b32 s92, 0
                                        ; implicit-def: $sgpr93
	s_set_inst_prefetch_distance 0x1
	s_branch .LBB88_373
	.p2align	6
.LBB88_372:                             ;   in Loop: Header=BB88_373 Depth=2
	s_or_b32 exec_lo, exec_lo, s10
	s_waitcnt vmcnt(0) lgkmcnt(0)
	s_barrier
	buffer_gl0_inv
	ds_load_b64 v[14:15], v8 offset:3072
	v_add_nc_u32_e32 v1, s47, v1
	v_add_nc_u32_e32 v7, s53, v7
	s_waitcnt lgkmcnt(0)
	s_barrier
	buffer_gl0_inv
	v_cmp_le_u32_e32 vcc_lo, s73, v1
	v_cmp_neq_f32_e64 s10, 0, v14
	s_delay_alu instid0(VALU_DEP_1) | instskip(NEXT) | instid1(SALU_CYCLE_1)
	s_or_b32 s94, vcc_lo, s10
	s_and_b32 s94, exec_lo, s94
	s_delay_alu instid0(SALU_CYCLE_1) | instskip(SKIP_2) | instid1(SALU_CYCLE_1)
	s_or_b32 s92, s94, s92
	s_and_not1_b32 s93, s93, exec_lo
	s_and_b32 s10, s10, exec_lo
	s_or_b32 s93, s93, s10
	s_and_not1_b32 exec_lo, exec_lo, s92
	s_cbranch_execz .LBB88_378
.LBB88_373:                             ;   Parent Loop BB88_6 Depth=1
                                        ; =>  This Inner Loop Header: Depth=2
	s_delay_alu instid0(VALU_DEP_1)
	v_cmp_gt_u32_e32 vcc_lo, s36, v1
	v_mov_b32_e32 v14, 0
	s_and_saveexec_b32 s94, vcc_lo
	s_cbranch_execz .LBB88_375
; %bb.374:                              ;   in Loop: Header=BB88_373 Depth=2
	v_lshlrev_b64 v[14:15], 2, v[7:8]
	s_delay_alu instid0(VALU_DEP_1) | instskip(NEXT) | instid1(VALU_DEP_1)
	v_add_co_u32 v14, s10, s33, v14
	v_add_co_ci_u32_e64 v15, s10, s43, v15, s10
	global_load_b32 v14, v[14:15], off
.LBB88_375:                             ;   in Loop: Header=BB88_373 Depth=2
	s_or_b32 exec_lo, exec_lo, s94
	s_and_saveexec_b32 s10, vcc_lo
	s_cbranch_execz .LBB88_372
; %bb.376:                              ;   in Loop: Header=BB88_373 Depth=2
	s_waitcnt vmcnt(0)
	v_cmp_lt_i32_e32 vcc_lo, -1, v14
	v_cndmask_b32_e64 v2, -1, 0x80000000, vcc_lo
	v_cmp_o_f32_e32 vcc_lo, v14, v14
	s_delay_alu instid0(VALU_DEP_2) | instskip(NEXT) | instid1(VALU_DEP_1)
	v_xor_b32_e32 v2, v2, v14
	v_cndmask_b32_e32 v2, -1, v2, vcc_lo
	s_delay_alu instid0(VALU_DEP_1) | instskip(NEXT) | instid1(VALU_DEP_1)
	v_and_b32_e32 v2, v2, v28
	v_cmp_eq_u32_e32 vcc_lo, v2, v29
	s_and_b32 exec_lo, exec_lo, vcc_lo
	s_cbranch_execz .LBB88_372
; %bb.377:                              ;   in Loop: Header=BB88_373 Depth=2
	ds_store_b64 v8, v[13:14] offset:3072
	s_branch .LBB88_372
.LBB88_378:                             ;   in Loop: Header=BB88_6 Depth=1
	s_set_inst_prefetch_distance 0x2
	s_or_b32 exec_lo, exec_lo, s92
	s_delay_alu instid0(SALU_CYCLE_1)
	s_and_b32 s93, s93, exec_lo
.LBB88_379:                             ;   in Loop: Header=BB88_6 Depth=1
	s_or_b32 exec_lo, exec_lo, s91
	s_mov_b32 s91, 0
	s_mov_b32 s10, -1
	s_mov_b32 s92, 0
.LBB88_380:                             ;   in Loop: Header=BB88_6 Depth=1
	s_or_not1_b32 s93, s93, exec_lo
.LBB88_381:                             ;   in Loop: Header=BB88_6 Depth=1
	s_or_b32 exec_lo, exec_lo, s90
	s_mov_b32 s94, 0
                                        ; implicit-def: $vgpr1
                                        ; implicit-def: $vgpr2
	s_and_saveexec_b32 s90, s93
	s_cbranch_execz .LBB88_393
; %bb.382:                              ;   in Loop: Header=BB88_6 Depth=1
	v_dual_mov_b32 v1, 1 :: v_dual_mov_b32 v2, 1
	s_xor_b32 s93, s17, -1
	s_delay_alu instid0(SALU_CYCLE_1)
	s_and_saveexec_b32 s17, s93
	s_cbranch_execz .LBB88_392
; %bb.383:                              ;   in Loop: Header=BB88_6 Depth=1
	s_mov_b32 s93, exec_lo
                                        ; implicit-def: $sgpr94
	v_cmpx_ge_u32_e64 s12, v3
	s_xor_b32 s93, exec_lo, s93
	s_cbranch_execz .LBB88_389
; %bb.384:                              ;   in Loop: Header=BB88_6 Depth=1
	ds_load_b32 v1, v8 offset:4096
	s_waitcnt lgkmcnt(0)
	v_cmp_ne_u32_e32 vcc_lo, 0, v1
	s_cbranch_vccnz .LBB88_388
; %bb.385:                              ;   in Loop: Header=BB88_6 Depth=1
	s_and_saveexec_b32 s94, s5
	s_cbranch_execz .LBB88_387
; %bb.386:                              ;   in Loop: Header=BB88_6 Depth=1
	v_mov_b32_e32 v1, s12
	ds_store_b32 v8, v1 offset:4100
.LBB88_387:                             ;   in Loop: Header=BB88_6 Depth=1
	s_or_b32 exec_lo, exec_lo, s94
	s_waitcnt lgkmcnt(0)
	s_barrier
	buffer_gl0_inv
.LBB88_388:                             ;   in Loop: Header=BB88_6 Depth=1
	v_and_b32_e32 v29, s14, v29
	v_or_b32_e32 v28, s13, v28
	s_mov_b32 s94, 5
.LBB88_389:                             ;   in Loop: Header=BB88_6 Depth=1
	s_or_saveexec_b32 s13, s93
	v_mov_b32_e32 v1, s94
	s_xor_b32 exec_lo, exec_lo, s13
; %bb.390:                              ;   in Loop: Header=BB88_6 Depth=1
	v_subrev_nc_u32_e32 v3, s12, v3
	v_mov_b32_e32 v1, 5
; %bb.391:                              ;   in Loop: Header=BB88_6 Depth=1
	s_or_b32 exec_lo, exec_lo, s13
	s_delay_alu instid0(VALU_DEP_2)
	v_mov_b32_e32 v2, v3
.LBB88_392:                             ;   in Loop: Header=BB88_6 Depth=1
	s_or_b32 exec_lo, exec_lo, s17
	s_delay_alu instid0(SALU_CYCLE_1)
	s_mov_b32 s94, exec_lo
.LBB88_393:                             ;   in Loop: Header=BB88_6 Depth=1
	s_or_b32 exec_lo, exec_lo, s90
	s_delay_alu instid0(VALU_DEP_1)
	v_mov_b32_e32 v3, v2
	s_or_not1_b32 s17, s94, exec_lo
.LBB88_394:                             ;   in Loop: Header=BB88_6 Depth=1
	s_or_b32 exec_lo, exec_lo, s16
	s_delay_alu instid0(SALU_CYCLE_1)
	s_and_not1_b32 s12, s28, exec_lo
	s_and_b32 s10, s10, exec_lo
	s_and_not1_b32 s13, s88, exec_lo
	s_or_b32 s28, s12, s10
	s_and_not1_b32 s10, s29, exec_lo
	s_and_b32 s12, s91, exec_lo
	s_and_b32 s14, s92, exec_lo
	v_mov_b32_e32 v2, v3
	s_or_b32 s29, s10, s12
	s_or_b32 s88, s13, s14
	s_and_b32 s91, s17, exec_lo
.LBB88_395:                             ;   in Loop: Header=BB88_6 Depth=1
	s_or_b32 exec_lo, exec_lo, s89
	s_delay_alu instid0(SALU_CYCLE_1)
	s_and_b32 s89, s28, exec_lo
	s_and_b32 s29, s29, exec_lo
	;; [unrolled: 1-line block ×3, first 2 shown]
	s_or_not1_b32 s10, s91, exec_lo
.LBB88_396:                             ;   in Loop: Header=BB88_6 Depth=1
	s_or_b32 exec_lo, exec_lo, s18
	s_delay_alu instid0(SALU_CYCLE_1)
	s_and_not1_b32 s12, s22, exec_lo
	s_and_b32 s13, s89, exec_lo
	s_and_not1_b32 s14, s26, exec_lo
	s_or_b32 s22, s12, s13
	s_and_not1_b32 s12, s25, exec_lo
	s_and_b32 s13, s29, exec_lo
	s_and_b32 s16, s28, exec_lo
	v_mov_b32_e32 v31, v2
	s_or_b32 s25, s12, s13
	s_or_b32 s26, s14, s16
	s_and_b32 s29, s10, exec_lo
.LBB88_397:                             ;   in Loop: Header=BB88_6 Depth=1
	s_or_b32 exec_lo, exec_lo, s27
	s_delay_alu instid0(SALU_CYCLE_1)
	s_and_b32 s27, s22, exec_lo
	s_and_b32 s25, s25, exec_lo
	;; [unrolled: 1-line block ×3, first 2 shown]
	s_or_not1_b32 s26, s29, exec_lo
.LBB88_398:                             ;   in Loop: Header=BB88_6 Depth=1
	s_or_b32 exec_lo, exec_lo, s19
	s_mov_b32 s10, s20
	s_mov_b32 s12, s11
	s_and_saveexec_b32 s13, s26
; %bb.399:                              ;   in Loop: Header=BB88_6 Depth=1
	v_cmp_eq_u32_e32 vcc_lo, 5, v1
	v_cmp_ne_u32_e64 s10, 5, v1
	s_and_not1_b32 s12, s11, exec_lo
	s_and_not1_b32 s14, s20, exec_lo
	;; [unrolled: 1-line block ×3, first 2 shown]
	s_and_b32 s16, vcc_lo, exec_lo
	s_and_b32 s10, s10, exec_lo
	s_and_not1_b32 s25, s25, exec_lo
	s_and_not1_b32 s22, s22, exec_lo
	s_or_b32 s12, s12, s10
	s_or_b32 s10, s14, s16
; %bb.400:                              ;   in Loop: Header=BB88_6 Depth=1
	s_or_b32 exec_lo, exec_lo, s13
	s_delay_alu instid0(SALU_CYCLE_1)
	s_and_not1_b32 s13, s23, exec_lo
	s_and_b32 s14, s27, exec_lo
	v_dual_mov_b32 v3, v29 :: v_dual_mov_b32 v4, v28
	s_or_b32 s23, s13, s14
	s_and_not1_b32 s13, s24, exec_lo
	s_and_b32 s14, s25, exec_lo
	v_mov_b32_e32 v2, v15
	s_and_not1_b32 s15, s15, exec_lo
	s_and_b32 s16, s22, exec_lo
	s_or_b32 s24, s13, s14
	s_and_not1_b32 s11, s11, exec_lo
	s_and_b32 s12, s12, exec_lo
	s_and_not1_b32 s13, s20, exec_lo
	s_and_b32 s10, s10, exec_lo
	s_or_b32 s15, s15, s16
	s_or_b32 s11, s11, s12
	;; [unrolled: 1-line block ×3, first 2 shown]
.LBB88_401:                             ;   in Loop: Header=BB88_6 Depth=1
	s_or_b32 exec_lo, exec_lo, s21
	s_mov_b32 s22, s15
	s_mov_b32 s21, s15
	s_and_saveexec_b32 s10, s20
.LBB88_402:                             ;   in Loop: Header=BB88_6 Depth=1
	v_mov_b32_e32 v1, 0
	s_and_not1_b32 s15, s15, exec_lo
	s_and_not1_b32 s23, s23, exec_lo
	s_and_not1_b32 s24, s24, exec_lo
	s_and_not1_b32 s22, s22, exec_lo
	s_and_not1_b32 s21, s21, exec_lo
	s_or_b32 s11, s11, exec_lo
.LBB88_403:                             ;   in Loop: Header=BB88_6 Depth=1
	s_or_b32 exec_lo, exec_lo, s10
	s_delay_alu instid0(SALU_CYCLE_1)
	s_and_not1_b32 s10, s87, exec_lo
	s_and_b32 s13, s15, exec_lo
	s_and_not1_b32 s14, s84, exec_lo
	s_or_b32 s87, s10, s13
	s_and_not1_b32 s10, s86, exec_lo
	s_and_b32 s13, s23, exec_lo
	s_and_b32 s15, s24, exec_lo
	s_or_b32 s86, s10, s13
	s_or_b32 s84, s14, s15
	s_and_not1_b32 s10, s85, exec_lo
	s_and_b32 s13, s22, exec_lo
	s_and_not1_b32 s14, s83, exec_lo
	s_and_b32 s15, s21, exec_lo
	s_mov_b32 s12, -1
	s_or_b32 s85, s10, s13
	s_or_b32 s83, s14, s15
                                        ; implicit-def: $vgpr28
                                        ; implicit-def: $vgpr29
                                        ; implicit-def: $vgpr30
                                        ; implicit-def: $vgpr15
	s_and_saveexec_b32 s10, s11
	s_delay_alu instid0(SALU_CYCLE_1)
	s_xor_b32 s10, exec_lo, s10
	s_cbranch_execz .LBB88_5
; %bb.404:                              ;   in Loop: Header=BB88_6 Depth=1
	s_mov_b32 s11, -1
	s_mov_b32 s13, exec_lo
	v_cmpx_eq_u32_e32 0, v1
	s_cbranch_execz .LBB88_4
; %bb.405:                              ;   in Loop: Header=BB88_6 Depth=1
	s_xor_b32 s77, s77, 1
	s_add_i32 s14, s82, -2
	s_cmp_eq_u32 s82, 0
	s_mov_b32 s82, s14
	s_cselect_b32 s11, -1, 0
	s_xor_b32 s12, exec_lo, -1
	s_or_not1_b32 s11, s11, exec_lo
	s_branch .LBB88_4
.LBB88_406:
	s_or_b32 exec_lo, exec_lo, s55
	s_xor_b32 s7, s81, -1
	s_xor_b32 s12, s79, -1
	;; [unrolled: 1-line block ×5, first 2 shown]
	s_mov_b32 s9, 0
	s_and_saveexec_b32 s10, s8
	s_delay_alu instid0(SALU_CYCLE_1)
	s_xor_b32 s8, exec_lo, s10
	s_cbranch_execz .LBB88_465
; %bb.407:
	s_mov_b32 s10, 0
	s_and_saveexec_b32 s9, s11
	s_delay_alu instid0(SALU_CYCLE_1)
	s_xor_b32 s9, exec_lo, s9
	s_cbranch_execz .LBB88_463
; %bb.408:
	;; [unrolled: 6-line block ×4, first 2 shown]
	s_and_saveexec_b32 s7, s6
	s_delay_alu instid0(SALU_CYCLE_1)
	s_xor_b32 s6, exec_lo, s7
; %bb.411:
	v_cmp_lt_i32_e32 vcc_lo, -1, v3
	v_cndmask_b32_e64 v1, 0x80000000, -1, vcc_lo
	s_delay_alu instid0(VALU_DEP_1)
	v_xor_b32_e32 v2, v1, v3
; %bb.412:
	s_or_b32 exec_lo, exec_lo, s6
	s_and_saveexec_b32 s6, s5
	s_cbranch_execz .LBB88_414
; %bb.413:
	v_mov_b32_e32 v1, 0
	ds_store_b32 v1, v1 offset:4108
.LBB88_414:
	s_or_b32 exec_lo, exec_lo, s6
	v_mov_b32_e32 v1, 0
	s_waitcnt lgkmcnt(0)
	s_barrier
	buffer_gl0_inv
	s_and_saveexec_b32 s5, s4
	s_cbranch_execz .LBB88_416
; %bb.415:
	global_load_b32 v1, v[5:6], off
.LBB88_416:
	s_or_b32 exec_lo, exec_lo, s5
	s_mul_i32 s7, s60, s50
	s_add_i32 s5, s36, 31
	s_mul_i32 s6, s58, s51
	s_sub_i32 s7, s58, s7
	s_and_not1_b32 s5, s5, 31
	s_sub_i32 s6, s56, s6
	s_add_i32 s12, s60, 1
	s_sub_i32 s13, s7, s50
	s_cmp_ge_u32 s7, s50
	s_mul_i32 s6, s6, s46
	s_cselect_b32 s12, s12, s60
	s_cselect_b32 s7, s13, s7
	s_add_i32 s13, s12, 1
	s_cmp_ge_u32 s7, s50
	v_cmp_lt_i32_e32 vcc_lo, -1, v2
	s_cselect_b32 s7, s13, s12
	s_mul_i32 s13, s57, s49
	s_mul_i32 s12, s7, s50
	;; [unrolled: 1-line block ×3, first 2 shown]
	s_sub_i32 s12, s58, s12
	v_cndmask_b32_e64 v3, -1, 0x80000000, vcc_lo
	s_mul_i32 s12, s12, s45
	v_cmp_o_f32_e32 vcc_lo, v2, v2
	s_add_i32 s6, s12, s6
	s_mul_i32 s12, s59, s48
	s_add_i32 s6, s6, s7
	s_sub_i32 s12, s57, s12
	s_sub_i32 s7, s56, s13
	s_add_i32 s13, s59, 1
	s_sub_i32 s14, s12, s48
	s_cmp_ge_u32 s12, s48
	v_xor_b32_e32 v3, v3, v2
	s_cselect_b32 s13, s13, s59
	s_cselect_b32 s12, s14, s12
	s_add_i32 s14, s13, 1
	s_cmp_ge_u32 s12, s48
	v_cndmask_b32_e32 v9, -1, v3, vcc_lo
	s_cselect_b32 s13, s14, s13
	v_add_nc_u32_e32 v3, s47, v0
	s_mul_i32 s12, s13, s48
	s_mul_i32 s7, s7, s42
	s_sub_i32 s14, s57, s12
	s_clause 0x1
	s_load_b32 s12, s[0:1], 0x1c8
	s_load_b32 s1, s[0:1], 0x2a8
	s_mul_i32 s0, s14, s41
	s_mul_i32 s13, s13, s40
	s_add_i32 s0, s0, s7
	s_mov_b32 s7, 0
	v_mul_lo_u32 v2, s52, v3
	s_lshl_b64 s[14:15], s[6:7], 2
	s_add_i32 s16, s0, s13
	s_mov_b32 s17, s7
	s_add_u32 s6, s34, s14
	s_addc_u32 s13, s35, s15
	s_lshl_b64 s[14:15], s[16:17], 3
	s_mov_b32 s18, -1
	s_add_u32 s14, s30, s14
	s_addc_u32 s15, s31, s15
	s_mov_b32 s16, 0
	s_mov_b32 s17, exec_lo
	v_cmpx_gt_u32_e64 s5, v0
	s_cbranch_execz .LBB88_434
; %bb.417:
	v_mul_lo_u32 v3, s52, v3
	v_dual_mov_b32 v4, 0 :: v_dual_mov_b32 v7, v0
                                        ; implicit-def: $sgpr18
                                        ; implicit-def: $vgpr11
	s_branch .LBB88_419
.LBB88_418:                             ;   in Loop: Header=BB88_419 Depth=1
	s_or_b32 exec_lo, exec_lo, s19
	s_xor_b32 s19, s21, -1
	s_and_b32 s0, exec_lo, s0
	s_waitcnt vmcnt(0)
	v_mov_b32_e32 v1, v12
	s_or_b32 s16, s0, s16
	v_mov_b32_e32 v7, v10
	s_and_not1_b32 s0, s18, exec_lo
	s_and_b32 s18, s19, exec_lo
	s_delay_alu instid0(SALU_CYCLE_1)
	s_or_b32 s18, s0, s18
	s_and_not1_b32 exec_lo, exec_lo, s16
	s_cbranch_execz .LBB88_433
.LBB88_419:                             ; =>This Inner Loop Header: Depth=1
	s_delay_alu instid0(VALU_DEP_1) | instskip(SKIP_2) | instid1(VALU_DEP_2)
	v_add_nc_u32_e32 v10, s47, v7
	v_mov_b32_e32 v12, 0
	s_mov_b32 s0, exec_lo
	v_cmpx_gt_u32_e64 s36, v10
	s_cbranch_execz .LBB88_421
; %bb.420:                              ;   in Loop: Header=BB88_419 Depth=1
	v_lshlrev_b64 v[12:13], 2, v[3:4]
	s_delay_alu instid0(VALU_DEP_1) | instskip(NEXT) | instid1(VALU_DEP_2)
	v_add_co_u32 v12, vcc_lo, s33, v12
	v_add_co_ci_u32_e32 v13, vcc_lo, s43, v13, vcc_lo
	global_load_b32 v12, v[12:13], off
.LBB88_421:                             ;   in Loop: Header=BB88_419 Depth=1
	s_or_b32 exec_lo, exec_lo, s0
	s_mov_b32 s19, 0
	s_mov_b32 s0, exec_lo
	v_cmpx_gt_u32_e64 s36, v7
	s_cbranch_execz .LBB88_423
; %bb.422:                              ;   in Loop: Header=BB88_419 Depth=1
	s_waitcnt vmcnt(0)
	v_cmp_lt_i32_e32 vcc_lo, -1, v1
	v_cndmask_b32_e64 v8, -1, 0x80000000, vcc_lo
	v_cmp_o_f32_e32 vcc_lo, v1, v1
	s_delay_alu instid0(VALU_DEP_2) | instskip(NEXT) | instid1(VALU_DEP_1)
	v_xor_b32_e32 v8, v8, v1
	v_cndmask_b32_e32 v8, -1, v8, vcc_lo
	s_delay_alu instid0(VALU_DEP_1) | instskip(SKIP_3) | instid1(VALU_DEP_1)
	v_cmp_gt_u32_e32 vcc_lo, v8, v9
	v_cndmask_b32_e64 v13, 0, 1, vcc_lo
	v_cmp_lt_u32_e32 vcc_lo, v8, v9
	v_cndmask_b32_e64 v8, 0, 1, vcc_lo
	v_cndmask_b32_e64 v8, v8, v13, s3
	s_delay_alu instid0(VALU_DEP_1) | instskip(NEXT) | instid1(VALU_DEP_1)
	v_and_b32_e32 v8, 1, v8
	v_cmp_eq_u32_e32 vcc_lo, 1, v8
	s_and_b32 s19, vcc_lo, exec_lo
.LBB88_423:                             ;   in Loop: Header=BB88_419 Depth=1
	s_or_b32 exec_lo, exec_lo, s0
	v_cndmask_b32_e64 v8, 0, 1, s19
	s_delay_alu instid0(VALU_DEP_1) | instskip(SKIP_2) | instid1(SALU_CYCLE_1)
	v_cmp_ne_u32_e32 vcc_lo, 0, v8
	s_cmp_lg_u32 vcc_lo, 0
	s_cselect_b32 s0, -1, 0
	s_and_b32 s0, s2, s0
	s_delay_alu instid0(SALU_CYCLE_1)
	s_and_saveexec_b32 s20, s0
	s_cbranch_execz .LBB88_427
; %bb.424:                              ;   in Loop: Header=BB88_419 Depth=1
	s_mov_b32 s23, exec_lo
	s_bcnt1_i32_b32 s21, vcc_lo
	v_mbcnt_lo_u32_b32 v8, s23, 0
	s_mov_b32 s22, exec_lo
                                        ; implicit-def: $vgpr11
	s_delay_alu instid0(VALU_DEP_1)
	v_cmpx_eq_u32_e32 0, v8
	s_cbranch_execz .LBB88_426
; %bb.425:                              ;   in Loop: Header=BB88_419 Depth=1
	s_bcnt1_i32_b32 s0, s23
	s_delay_alu instid0(SALU_CYCLE_1)
	s_mul_i32 s0, s21, s0
	s_waitcnt lgkmcnt(0)
	v_mov_b32_e32 v11, s0
	ds_add_rtn_u32 v11, v4, v11 offset:4108
.LBB88_426:                             ;   in Loop: Header=BB88_419 Depth=1
	s_or_b32 exec_lo, exec_lo, s22
	s_waitcnt lgkmcnt(0)
	v_readfirstlane_b32 s0, v11
	s_delay_alu instid0(VALU_DEP_1)
	v_mad_u32_u24 v11, s21, v8, s0
.LBB88_427:                             ;   in Loop: Header=BB88_419 Depth=1
	s_or_b32 exec_lo, exec_lo, s20
	s_waitcnt lgkmcnt(0)
	ds_bpermute_b32 v11, v4, v11
	s_mov_b32 s0, -1
	s_mov_b32 s22, -1
                                        ; implicit-def: $sgpr21
	s_and_saveexec_b32 s20, s19
	s_cbranch_execz .LBB88_431
; %bb.428:                              ;   in Loop: Header=BB88_419 Depth=1
	v_and_b32_e32 v8, vcc_lo, v16
	s_mov_b32 s19, 0
	s_mov_b32 s21, exec_lo
	s_waitcnt lgkmcnt(0)
	s_delay_alu instid0(VALU_DEP_1) | instskip(NEXT) | instid1(VALU_DEP_1)
	v_bcnt_u32_b32 v8, v8, v11
	v_cmpx_gt_u32_e64 s37, v8
	s_cbranch_execz .LBB88_430
; %bb.429:                              ;   in Loop: Header=BB88_419 Depth=1
	v_mul_lo_u32 v13, v8, s12
	v_mov_b32_e32 v14, v4
	v_mul_lo_u32 v17, v8, s1
	v_mov_b32_e32 v18, v4
	v_mov_b32_e32 v8, v4
	s_mov_b32 s19, exec_lo
	v_lshlrev_b64 v[13:14], 2, v[13:14]
	s_delay_alu instid0(VALU_DEP_3) | instskip(NEXT) | instid1(VALU_DEP_2)
	v_lshlrev_b64 v[17:18], 3, v[17:18]
	v_add_co_u32 v13, vcc_lo, s6, v13
	s_delay_alu instid0(VALU_DEP_3) | instskip(NEXT) | instid1(VALU_DEP_3)
	v_add_co_ci_u32_e32 v14, vcc_lo, s13, v14, vcc_lo
	v_add_co_u32 v17, vcc_lo, s14, v17
	s_delay_alu instid0(VALU_DEP_4)
	v_add_co_ci_u32_e32 v18, vcc_lo, s15, v18, vcc_lo
	s_waitcnt vmcnt(0)
	global_store_b32 v[13:14], v1, off
	global_store_b64 v[17:18], v[7:8], off
.LBB88_430:                             ;   in Loop: Header=BB88_419 Depth=1
	s_or_b32 exec_lo, exec_lo, s21
	s_mov_b32 s21, -1
	s_or_not1_b32 s22, s19, exec_lo
.LBB88_431:                             ;   in Loop: Header=BB88_419 Depth=1
	s_or_b32 exec_lo, exec_lo, s20
	s_and_saveexec_b32 s19, s22
	s_cbranch_execz .LBB88_418
; %bb.432:                              ;   in Loop: Header=BB88_419 Depth=1
	v_cmp_le_u32_e32 vcc_lo, s5, v10
	v_add_nc_u32_e32 v3, s53, v3
	s_and_not1_b32 s21, s21, exec_lo
	s_or_not1_b32 s0, vcc_lo, exec_lo
	s_branch .LBB88_418
.LBB88_433:
	s_or_b32 exec_lo, exec_lo, s16
	s_delay_alu instid0(SALU_CYCLE_1)
	s_mov_b32 s16, exec_lo
	s_or_not1_b32 s18, s18, exec_lo
.LBB88_434:
	s_or_b32 exec_lo, exec_lo, s17
	s_and_saveexec_b32 s3, s18
	s_cbranch_execz .LBB88_457
; %bb.435:
	v_mov_b32_e32 v3, 0
	v_mov_b32_e32 v7, 0
	s_waitcnt vmcnt(0) lgkmcnt(0)
	s_waitcnt_vscnt null, 0x0
	s_barrier
	buffer_gl0_inv
	s_and_saveexec_b32 s0, s4
	s_cbranch_execz .LBB88_437
; %bb.436:
	global_load_b32 v7, v[5:6], off
.LBB88_437:
	s_or_b32 exec_lo, exec_lo, s0
	s_mov_b32 s7, 0
                                        ; implicit-def: $sgpr4
                                        ; implicit-def: $sgpr17
                                        ; implicit-def: $sgpr18
                                        ; implicit-def: $vgpr4
	s_branch .LBB88_440
.LBB88_438:                             ;   in Loop: Header=BB88_440 Depth=1
	s_or_b32 exec_lo, exec_lo, s21
	v_mov_b32_e32 v0, v5
	v_mov_b32_e32 v7, v1
	s_and_not1_b32 s0, s18, exec_lo
	s_and_b32 s18, s23, exec_lo
	s_and_not1_b32 s17, s17, exec_lo
	s_and_b32 s20, s20, exec_lo
	s_or_b32 s18, s0, s18
	s_or_b32 s17, s17, s20
.LBB88_439:                             ;   in Loop: Header=BB88_440 Depth=1
	s_or_b32 exec_lo, exec_lo, s19
	s_xor_b32 s0, s18, -1
	s_and_b32 s19, exec_lo, s17
	s_delay_alu instid0(SALU_CYCLE_1) | instskip(SKIP_2) | instid1(SALU_CYCLE_1)
	s_or_b32 s7, s19, s7
	s_and_not1_b32 s4, s4, exec_lo
	s_and_b32 s0, s0, exec_lo
	s_or_b32 s4, s4, s0
	s_and_not1_b32 exec_lo, exec_lo, s7
	s_cbranch_execz .LBB88_455
.LBB88_440:                             ; =>This Inner Loop Header: Depth=1
	s_or_b32 s18, s18, exec_lo
	s_or_b32 s17, s17, exec_lo
	s_mov_b32 s19, exec_lo
	v_cmpx_gt_u32_e64 s5, v0
	s_cbranch_execz .LBB88_439
; %bb.441:                              ;   in Loop: Header=BB88_440 Depth=1
	v_dual_mov_b32 v6, 0 :: v_dual_add_nc_u32 v5, s47, v0
	s_mov_b32 s0, exec_lo
	s_delay_alu instid0(VALU_DEP_1)
	v_cmpx_gt_u32_e64 s36, v5
	s_cbranch_execz .LBB88_443
; %bb.442:                              ;   in Loop: Header=BB88_440 Depth=1
	v_lshlrev_b64 v[10:11], 2, v[2:3]
	s_delay_alu instid0(VALU_DEP_1) | instskip(NEXT) | instid1(VALU_DEP_2)
	v_add_co_u32 v10, vcc_lo, s33, v10
	v_add_co_ci_u32_e32 v11, vcc_lo, s43, v11, vcc_lo
	global_load_b32 v6, v[10:11], off
.LBB88_443:                             ;   in Loop: Header=BB88_440 Depth=1
	s_or_b32 exec_lo, exec_lo, s0
	s_waitcnt vmcnt(0)
	v_cmp_lt_i32_e32 vcc_lo, -1, v7
	v_cndmask_b32_e64 v1, -1, 0x80000000, vcc_lo
	v_cmp_o_f32_e32 vcc_lo, v7, v7
	s_delay_alu instid0(VALU_DEP_2) | instskip(NEXT) | instid1(VALU_DEP_1)
	v_xor_b32_e32 v1, v1, v7
	v_cndmask_b32_e32 v1, -1, v1, vcc_lo
	v_cmp_gt_u32_e32 vcc_lo, s36, v0
	s_delay_alu instid0(VALU_DEP_2) | instskip(NEXT) | instid1(VALU_DEP_1)
	v_cmp_eq_u32_e64 s0, v1, v9
	s_and_b32 s21, vcc_lo, s0
	s_delay_alu instid0(SALU_CYCLE_1) | instskip(NEXT) | instid1(VALU_DEP_1)
	v_cndmask_b32_e64 v1, 0, 1, s21
	v_cmp_ne_u32_e32 vcc_lo, 0, v1
	s_cmp_lg_u32 vcc_lo, 0
	s_cselect_b32 s0, -1, 0
	s_delay_alu instid0(SALU_CYCLE_1) | instskip(NEXT) | instid1(SALU_CYCLE_1)
	s_and_b32 s0, s2, s0
	s_and_saveexec_b32 s20, s0
	s_cbranch_execz .LBB88_447
; %bb.444:                              ;   in Loop: Header=BB88_440 Depth=1
	s_mov_b32 s24, exec_lo
	s_bcnt1_i32_b32 s22, vcc_lo
	v_mbcnt_lo_u32_b32 v1, s24, 0
	s_mov_b32 s23, exec_lo
                                        ; implicit-def: $vgpr4
	s_delay_alu instid0(VALU_DEP_1)
	v_cmpx_eq_u32_e32 0, v1
	s_cbranch_execz .LBB88_446
; %bb.445:                              ;   in Loop: Header=BB88_440 Depth=1
	s_bcnt1_i32_b32 s0, s24
	s_delay_alu instid0(SALU_CYCLE_1) | instskip(NEXT) | instid1(SALU_CYCLE_1)
	s_mul_i32 s0, s22, s0
	v_mov_b32_e32 v4, s0
	ds_add_rtn_u32 v4, v3, v4 offset:4108
.LBB88_446:                             ;   in Loop: Header=BB88_440 Depth=1
	s_or_b32 exec_lo, exec_lo, s23
	s_waitcnt lgkmcnt(0)
	v_readfirstlane_b32 s0, v4
	s_delay_alu instid0(VALU_DEP_1)
	v_mad_u32_u24 v4, s22, v1, s0
.LBB88_447:                             ;   in Loop: Header=BB88_440 Depth=1
	s_or_b32 exec_lo, exec_lo, s20
	ds_bpermute_b32 v4, v3, v4
	s_cmp_eq_u32 vcc_lo, 0
	s_mov_b32 s20, -1
	s_cselect_b32 s22, -1, 0
	s_mov_b32 s23, -1
	s_waitcnt lgkmcnt(0)
	v_cmp_gt_u32_e64 s0, s37, v4
	s_delay_alu instid0(VALU_DEP_1) | instskip(SKIP_3) | instid1(SALU_CYCLE_1)
	s_or_b32 s0, s22, s0
	s_mov_b32 s22, -1
	v_cndmask_b32_e64 v1, v7, v6, s0
	s_and_b32 s24, s21, s0
	s_and_saveexec_b32 s21, s24
	s_cbranch_execz .LBB88_453
; %bb.448:                              ;   in Loop: Header=BB88_440 Depth=1
	v_and_b32_e32 v1, vcc_lo, v16
	v_sub_nc_u32_e32 v8, s37, v4
	s_mov_b32 s24, -1
	s_mov_b32 s23, exec_lo
	s_delay_alu instid0(VALU_DEP_2) | instskip(NEXT) | instid1(VALU_DEP_1)
	v_bcnt_u32_b32 v1, v1, 0
	v_cmp_le_u32_e64 s22, v8, v1
	v_cmpx_gt_u32_e64 v8, v1
	s_cbranch_execz .LBB88_452
; %bb.449:                              ;   in Loop: Header=BB88_440 Depth=1
	v_add_nc_u32_e32 v1, v4, v1
	s_delay_alu instid0(VALU_DEP_3) | instskip(SKIP_1) | instid1(VALU_DEP_1)
	s_mov_b32 s25, s22
	s_mov_b32 s24, exec_lo
	v_cmpx_gt_u32_e64 s37, v1
	s_cbranch_execz .LBB88_451
; %bb.450:                              ;   in Loop: Header=BB88_440 Depth=1
	v_mul_lo_u32 v10, v1, s12
	v_mov_b32_e32 v11, v3
	v_mul_lo_u32 v12, v1, s1
	v_mov_b32_e32 v13, v3
	v_mov_b32_e32 v1, v3
	s_or_b32 s25, s22, exec_lo
	v_lshlrev_b64 v[10:11], 2, v[10:11]
	s_delay_alu instid0(VALU_DEP_3) | instskip(NEXT) | instid1(VALU_DEP_2)
	v_lshlrev_b64 v[12:13], 3, v[12:13]
	v_add_co_u32 v10, vcc_lo, s6, v10
	s_delay_alu instid0(VALU_DEP_3) | instskip(NEXT) | instid1(VALU_DEP_3)
	v_add_co_ci_u32_e32 v11, vcc_lo, s13, v11, vcc_lo
	v_add_co_u32 v12, vcc_lo, s14, v12
	s_delay_alu instid0(VALU_DEP_4)
	v_add_co_ci_u32_e32 v13, vcc_lo, s15, v13, vcc_lo
	global_store_b32 v[10:11], v7, off
	global_store_b64 v[12:13], v[0:1], off
.LBB88_451:                             ;   in Loop: Header=BB88_440 Depth=1
	s_or_b32 exec_lo, exec_lo, s24
	s_delay_alu instid0(SALU_CYCLE_1)
	s_and_not1_b32 s22, s22, exec_lo
	s_and_b32 s25, s25, exec_lo
	s_xor_b32 s24, exec_lo, -1
	s_or_b32 s22, s22, s25
.LBB88_452:                             ;   in Loop: Header=BB88_440 Depth=1
	s_or_b32 exec_lo, exec_lo, s23
	v_mov_b32_e32 v1, v6
	s_or_not1_b32 s23, s24, exec_lo
	s_or_b32 s0, s0, exec_lo
	s_or_not1_b32 s22, s22, exec_lo
.LBB88_453:                             ;   in Loop: Header=BB88_440 Depth=1
	s_or_b32 exec_lo, exec_lo, s21
	s_and_saveexec_b32 s21, s22
	s_cbranch_execz .LBB88_438
; %bb.454:                              ;   in Loop: Header=BB88_440 Depth=1
	v_add_nc_u32_e32 v2, s53, v2
	s_xor_b32 s0, s0, -1
	s_or_b32 s23, s23, exec_lo
	s_or_not1_b32 s20, s0, exec_lo
	s_branch .LBB88_438
.LBB88_455:
	s_or_b32 exec_lo, exec_lo, s7
	s_mov_b32 s0, 0
	s_and_saveexec_b32 s1, s4
	s_delay_alu instid0(SALU_CYCLE_1)
	s_xor_b32 s1, exec_lo, s1
	s_cbranch_execnz .LBB88_487
.LBB88_456:
	s_or_b32 exec_lo, exec_lo, s1
	s_delay_alu instid0(SALU_CYCLE_1)
	s_and_b32 s7, s0, exec_lo
	s_and_not1_b32 s16, s16, exec_lo
.LBB88_457:
	s_or_b32 exec_lo, exec_lo, s3
	s_and_saveexec_b32 s0, s16
	s_delay_alu instid0(SALU_CYCLE_1)
	s_xor_b32 s0, exec_lo, s0
	s_cbranch_execnz .LBB88_483
.LBB88_458:
	s_or_b32 exec_lo, exec_lo, s0
	s_waitcnt lgkmcnt(0)
	s_and_b32 s12, s7, exec_lo
.LBB88_459:
	s_and_not1_saveexec_b32 s0, s11
	s_cbranch_execnz .LBB88_479
.LBB88_460:
	s_or_b32 exec_lo, exec_lo, s0
	s_delay_alu instid0(SALU_CYCLE_1)
	s_and_b32 s11, s12, exec_lo
.LBB88_461:
	s_and_not1_saveexec_b32 s0, s10
	s_cbranch_execnz .LBB88_475
.LBB88_462:
	s_or_b32 exec_lo, exec_lo, s0
	s_delay_alu instid0(SALU_CYCLE_1)
	s_and_b32 s10, s11, exec_lo
.LBB88_463:
	s_and_not1_saveexec_b32 s0, s9
	s_cbranch_execnz .LBB88_471
.LBB88_464:
	s_or_b32 exec_lo, exec_lo, s0
	s_delay_alu instid0(SALU_CYCLE_1)
	s_and_b32 s9, s10, exec_lo
.LBB88_465:
	s_and_not1_saveexec_b32 s0, s8
	s_cbranch_execnz .LBB88_469
; %bb.466:
	s_or_b32 exec_lo, exec_lo, s0
	s_and_saveexec_b32 s0, s9
.LBB88_467:
	; divergent unreachable
.LBB88_468:
	s_nop 0
	s_sendmsg sendmsg(MSG_DEALLOC_VGPRS)
	s_endpgm
.LBB88_469:
	s_cbranch_execnz .LBB88_473
; %bb.470:
	s_or_b32 s9, s9, exec_lo
	s_or_b32 exec_lo, exec_lo, s0
	s_and_saveexec_b32 s0, s9
	s_cbranch_execnz .LBB88_467
	s_branch .LBB88_468
.LBB88_471:
	s_cbranch_execnz .LBB88_477
; %bb.472:
	s_or_b32 s10, s10, exec_lo
	s_branch .LBB88_464
.LBB88_473:
	s_trap 2
	s_sendmsg_rtn_b32 s0, sendmsg(MSG_RTN_GET_DOORBELL)
	s_mov_b32 ttmp2, m0
	s_waitcnt lgkmcnt(0)
	s_and_b32 s0, s0, 0x3ff
	s_delay_alu instid0(SALU_CYCLE_1) | instskip(NEXT) | instid1(SALU_CYCLE_1)
	s_bitset1_b32 s0, 10
	s_mov_b32 m0, s0
	s_sendmsg sendmsg(MSG_INTERRUPT)
	s_mov_b32 m0, ttmp2
.LBB88_474:                             ; =>This Inner Loop Header: Depth=1
	s_sethalt 5
	s_branch .LBB88_474
.LBB88_475:
	s_cbranch_execnz .LBB88_481
; %bb.476:
	s_or_b32 s11, s11, exec_lo
	s_branch .LBB88_462
.LBB88_477:
	s_trap 2
	s_sendmsg_rtn_b32 s0, sendmsg(MSG_RTN_GET_DOORBELL)
	s_mov_b32 ttmp2, m0
	s_waitcnt lgkmcnt(0)
	s_and_b32 s0, s0, 0x3ff
	s_delay_alu instid0(SALU_CYCLE_1) | instskip(NEXT) | instid1(SALU_CYCLE_1)
	s_bitset1_b32 s0, 10
	s_mov_b32 m0, s0
	s_sendmsg sendmsg(MSG_INTERRUPT)
	s_mov_b32 m0, ttmp2
.LBB88_478:                             ; =>This Inner Loop Header: Depth=1
	s_sethalt 5
	s_branch .LBB88_478
.LBB88_479:
	s_cbranch_execnz .LBB88_485
; %bb.480:
	s_or_b32 s12, s12, exec_lo
	s_branch .LBB88_460
.LBB88_481:
	s_trap 2
	s_sendmsg_rtn_b32 s0, sendmsg(MSG_RTN_GET_DOORBELL)
	s_mov_b32 ttmp2, m0
	s_waitcnt lgkmcnt(0)
	s_and_b32 s0, s0, 0x3ff
	s_delay_alu instid0(SALU_CYCLE_1) | instskip(NEXT) | instid1(SALU_CYCLE_1)
	s_bitset1_b32 s0, 10
	s_mov_b32 m0, s0
	s_sendmsg sendmsg(MSG_INTERRUPT)
	s_mov_b32 m0, ttmp2
.LBB88_482:                             ; =>This Inner Loop Header: Depth=1
	s_sethalt 5
	s_branch .LBB88_482
.LBB88_483:
	s_cbranch_execnz .LBB88_489
; %bb.484:
	s_or_b32 s7, s7, exec_lo
	s_branch .LBB88_458
.LBB88_485:
	s_trap 2
	s_sendmsg_rtn_b32 s0, sendmsg(MSG_RTN_GET_DOORBELL)
	s_mov_b32 ttmp2, m0
	s_waitcnt lgkmcnt(0)
	s_and_b32 s0, s0, 0x3ff
	s_delay_alu instid0(SALU_CYCLE_1) | instskip(NEXT) | instid1(SALU_CYCLE_1)
	s_bitset1_b32 s0, 10
	s_mov_b32 m0, s0
	s_sendmsg sendmsg(MSG_INTERRUPT)
	s_mov_b32 m0, ttmp2
.LBB88_486:                             ; =>This Inner Loop Header: Depth=1
	s_sethalt 5
	s_branch .LBB88_486
.LBB88_487:
	s_cbranch_execnz .LBB88_491
; %bb.488:
	s_mov_b32 s0, exec_lo
	s_branch .LBB88_456
.LBB88_489:
	s_trap 2
	s_sendmsg_rtn_b32 s0, sendmsg(MSG_RTN_GET_DOORBELL)
	s_mov_b32 ttmp2, m0
	s_waitcnt lgkmcnt(0)
	s_and_b32 s0, s0, 0x3ff
	s_delay_alu instid0(SALU_CYCLE_1) | instskip(NEXT) | instid1(SALU_CYCLE_1)
	s_bitset1_b32 s0, 10
	s_mov_b32 m0, s0
	s_sendmsg sendmsg(MSG_INTERRUPT)
	s_mov_b32 m0, ttmp2
.LBB88_490:                             ; =>This Inner Loop Header: Depth=1
	s_sethalt 5
	s_branch .LBB88_490
.LBB88_491:
	s_trap 2
	s_sendmsg_rtn_b32 s0, sendmsg(MSG_RTN_GET_DOORBELL)
	s_mov_b32 ttmp2, m0
	s_waitcnt lgkmcnt(0)
	s_and_b32 s0, s0, 0x3ff
	s_delay_alu instid0(SALU_CYCLE_1) | instskip(NEXT) | instid1(SALU_CYCLE_1)
	s_bitset1_b32 s0, 10
	s_mov_b32 m0, s0
	s_sendmsg sendmsg(MSG_INTERRUPT)
	s_mov_b32 m0, ttmp2
.LBB88_492:                             ; =>This Inner Loop Header: Depth=1
	s_sethalt 5
	s_branch .LBB88_492
	.section	.rodata,"a",@progbits
	.p2align	6, 0x0
	.amdhsa_kernel _ZN2at6native6sbtopk10gatherTopKIfjLi3ELb0EEEvNS_4cuda6detail10TensorInfoIKT_T0_EES8_S8_bS8_S8_NS5_IS6_S8_EES8_NS5_IlS8_EES8_PS6_
		.amdhsa_group_segment_fixed_size 4112
		.amdhsa_private_segment_fixed_size 0
		.amdhsa_kernarg_size 952
		.amdhsa_user_sgpr_count 13
		.amdhsa_user_sgpr_dispatch_ptr 0
		.amdhsa_user_sgpr_queue_ptr 0
		.amdhsa_user_sgpr_kernarg_segment_ptr 1
		.amdhsa_user_sgpr_dispatch_id 0
		.amdhsa_user_sgpr_private_segment_size 0
		.amdhsa_wavefront_size32 1
		.amdhsa_uses_dynamic_stack 0
		.amdhsa_enable_private_segment 0
		.amdhsa_system_sgpr_workgroup_id_x 1
		.amdhsa_system_sgpr_workgroup_id_y 1
		.amdhsa_system_sgpr_workgroup_id_z 1
		.amdhsa_system_sgpr_workgroup_info 0
		.amdhsa_system_vgpr_workitem_id 0
		.amdhsa_next_free_vgpr 43
		.amdhsa_next_free_sgpr 101
		.amdhsa_reserve_vcc 1
		.amdhsa_float_round_mode_32 0
		.amdhsa_float_round_mode_16_64 0
		.amdhsa_float_denorm_mode_32 3
		.amdhsa_float_denorm_mode_16_64 3
		.amdhsa_dx10_clamp 1
		.amdhsa_ieee_mode 1
		.amdhsa_fp16_overflow 0
		.amdhsa_workgroup_processor_mode 1
		.amdhsa_memory_ordered 1
		.amdhsa_forward_progress 0
		.amdhsa_shared_vgpr_count 0
		.amdhsa_exception_fp_ieee_invalid_op 0
		.amdhsa_exception_fp_denorm_src 0
		.amdhsa_exception_fp_ieee_div_zero 0
		.amdhsa_exception_fp_ieee_overflow 0
		.amdhsa_exception_fp_ieee_underflow 0
		.amdhsa_exception_fp_ieee_inexact 0
		.amdhsa_exception_int_div_zero 0
	.end_amdhsa_kernel
	.section	.text._ZN2at6native6sbtopk10gatherTopKIfjLi3ELb0EEEvNS_4cuda6detail10TensorInfoIKT_T0_EES8_S8_bS8_S8_NS5_IS6_S8_EES8_NS5_IlS8_EES8_PS6_,"axG",@progbits,_ZN2at6native6sbtopk10gatherTopKIfjLi3ELb0EEEvNS_4cuda6detail10TensorInfoIKT_T0_EES8_S8_bS8_S8_NS5_IS6_S8_EES8_NS5_IlS8_EES8_PS6_,comdat
.Lfunc_end88:
	.size	_ZN2at6native6sbtopk10gatherTopKIfjLi3ELb0EEEvNS_4cuda6detail10TensorInfoIKT_T0_EES8_S8_bS8_S8_NS5_IS6_S8_EES8_NS5_IlS8_EES8_PS6_, .Lfunc_end88-_ZN2at6native6sbtopk10gatherTopKIfjLi3ELb0EEEvNS_4cuda6detail10TensorInfoIKT_T0_EES8_S8_bS8_S8_NS5_IS6_S8_EES8_NS5_IlS8_EES8_PS6_
                                        ; -- End function
	.section	.AMDGPU.csdata,"",@progbits
; Kernel info:
; codeLenInByte = 16696
; NumSgprs: 103
; NumVgprs: 43
; ScratchSize: 0
; MemoryBound: 0
; FloatMode: 240
; IeeeMode: 1
; LDSByteSize: 4112 bytes/workgroup (compile time only)
; SGPRBlocks: 12
; VGPRBlocks: 5
; NumSGPRsForWavesPerEU: 103
; NumVGPRsForWavesPerEU: 43
; Occupancy: 16
; WaveLimiterHint : 1
; COMPUTE_PGM_RSRC2:SCRATCH_EN: 0
; COMPUTE_PGM_RSRC2:USER_SGPR: 13
; COMPUTE_PGM_RSRC2:TRAP_HANDLER: 0
; COMPUTE_PGM_RSRC2:TGID_X_EN: 1
; COMPUTE_PGM_RSRC2:TGID_Y_EN: 1
; COMPUTE_PGM_RSRC2:TGID_Z_EN: 1
; COMPUTE_PGM_RSRC2:TIDIG_COMP_CNT: 0
	.section	.text._ZN2at6native6mbtopk23computeBlockDigitCountsIfjjLin1EEEvNS_4cuda6detail10TensorInfoIKT_T0_EEjPjjS8_iijT1_PSB_Ps,"axG",@progbits,_ZN2at6native6mbtopk23computeBlockDigitCountsIfjjLin1EEEvNS_4cuda6detail10TensorInfoIKT_T0_EEjPjjS8_iijT1_PSB_Ps,comdat
	.protected	_ZN2at6native6mbtopk23computeBlockDigitCountsIfjjLin1EEEvNS_4cuda6detail10TensorInfoIKT_T0_EEjPjjS8_iijT1_PSB_Ps ; -- Begin function _ZN2at6native6mbtopk23computeBlockDigitCountsIfjjLin1EEEvNS_4cuda6detail10TensorInfoIKT_T0_EEjPjjS8_iijT1_PSB_Ps
	.globl	_ZN2at6native6mbtopk23computeBlockDigitCountsIfjjLin1EEEvNS_4cuda6detail10TensorInfoIKT_T0_EEjPjjS8_iijT1_PSB_Ps
	.p2align	8
	.type	_ZN2at6native6mbtopk23computeBlockDigitCountsIfjjLin1EEEvNS_4cuda6detail10TensorInfoIKT_T0_EEjPjjS8_iijT1_PSB_Ps,@function
_ZN2at6native6mbtopk23computeBlockDigitCountsIfjjLin1EEEvNS_4cuda6detail10TensorInfoIKT_T0_EEjPjjS8_iijT1_PSB_Ps: ; @_ZN2at6native6mbtopk23computeBlockDigitCountsIfjjLin1EEEvNS_4cuda6detail10TensorInfoIKT_T0_EEjPjjS8_iijT1_PSB_Ps
; %bb.0:
	s_clause 0x2
	s_load_b64 s[2:3], s[0:1], 0xf8
	s_load_b128 s[8:11], s[0:1], 0xe8
	s_load_b64 s[4:5], s[0:1], 0x110
	s_waitcnt lgkmcnt(0)
	v_cvt_f32_u32_e32 v1, s2
	s_sub_i32 s7, 0, s2
	s_mul_i32 s5, s5, s15
	s_delay_alu instid0(SALU_CYCLE_1) | instskip(NEXT) | instid1(VALU_DEP_1)
	s_add_i32 s5, s5, s14
	v_rcp_iflag_f32_e32 v1, v1
	s_mul_i32 s16, s5, s4
	s_delay_alu instid0(SALU_CYCLE_1) | instskip(SKIP_3) | instid1(VALU_DEP_1)
	s_add_i32 s16, s16, s13
	s_mov_b32 s13, 0
	s_waitcnt_depctr 0xfff
	v_mul_f32_e32 v1, 0x4f7ffffe, v1
	v_cvt_u32_f32_e32 v1, v1
	s_delay_alu instid0(VALU_DEP_1) | instskip(NEXT) | instid1(VALU_DEP_1)
	v_readfirstlane_b32 s6, v1
	s_mul_i32 s7, s7, s6
	s_delay_alu instid0(SALU_CYCLE_1) | instskip(NEXT) | instid1(SALU_CYCLE_1)
	s_mul_hi_u32 s4, s6, s7
	s_add_i32 s6, s6, s4
	s_delay_alu instid0(SALU_CYCLE_1) | instskip(NEXT) | instid1(SALU_CYCLE_1)
	s_mul_hi_u32 s4, s16, s6
	s_mul_i32 s5, s4, s2
	s_add_i32 s6, s4, 1
	s_sub_i32 s5, s16, s5
	s_delay_alu instid0(SALU_CYCLE_1)
	s_sub_i32 s7, s5, s2
	s_cmp_ge_u32 s5, s2
	s_cselect_b32 s4, s6, s4
	s_cselect_b32 s5, s7, s5
	s_add_i32 s6, s4, 1
	s_cmp_ge_u32 s5, s2
	s_cselect_b32 s12, s6, s4
	s_delay_alu instid0(SALU_CYCLE_1)
	s_cmp_ge_u32 s12, s8
	s_cbranch_scc1 .LBB89_32
; %bb.1:
	s_clause 0x1
	s_load_b128 s[4:7], s[0:1], 0x100
	s_load_b32 s8, s[0:1], 0xd0
	s_lshl_b64 s[14:15], s[12:13], 2
	s_mov_b32 s17, s12
	s_waitcnt lgkmcnt(0)
	s_add_u32 s4, s4, s14
	s_addc_u32 s5, s5, s15
	s_cmp_lt_i32 s8, 2
	s_cbranch_scc1 .LBB89_4
; %bb.2:
	s_add_i32 s18, s8, -1
	s_mov_b32 s19, 0
	s_add_i32 s8, s8, 1
	s_lshl_b64 s[14:15], s[18:19], 2
	s_mov_b32 s17, s12
	s_add_u32 s13, s14, s0
	s_addc_u32 s15, s15, s1
	s_add_u32 s14, s13, 8
	s_addc_u32 s15, s15, 0
	s_mov_b32 s13, s19
	s_set_inst_prefetch_distance 0x1
	.p2align	6
.LBB89_3:                               ; =>This Inner Loop Header: Depth=1
	s_clause 0x1
	s_load_b32 s18, s[14:15], 0x0
	s_load_b32 s19, s[14:15], 0x64
	s_mov_b32 s22, s17
	s_waitcnt lgkmcnt(0)
	v_cvt_f32_u32_e32 v1, s18
	s_sub_i32 s21, 0, s18
	s_waitcnt_depctr 0xfff
	v_rcp_iflag_f32_e32 v1, v1
	s_waitcnt_depctr 0xfff
	v_mul_f32_e32 v1, 0x4f7ffffe, v1
	s_delay_alu instid0(VALU_DEP_1) | instskip(NEXT) | instid1(VALU_DEP_1)
	v_cvt_u32_f32_e32 v1, v1
	v_readfirstlane_b32 s20, v1
	s_delay_alu instid0(VALU_DEP_1) | instskip(NEXT) | instid1(SALU_CYCLE_1)
	s_mul_i32 s21, s21, s20
	s_mul_hi_u32 s21, s20, s21
	s_delay_alu instid0(SALU_CYCLE_1) | instskip(NEXT) | instid1(SALU_CYCLE_1)
	s_add_i32 s20, s20, s21
	s_mul_hi_u32 s17, s17, s20
	s_delay_alu instid0(SALU_CYCLE_1) | instskip(SKIP_2) | instid1(SALU_CYCLE_1)
	s_mul_i32 s20, s17, s18
	s_add_i32 s21, s17, 1
	s_sub_i32 s20, s22, s20
	s_sub_i32 s23, s20, s18
	s_cmp_ge_u32 s20, s18
	s_cselect_b32 s17, s21, s17
	s_cselect_b32 s20, s23, s20
	s_add_i32 s21, s17, 1
	s_cmp_ge_u32 s20, s18
	s_cselect_b32 s17, s21, s17
	s_add_i32 s8, s8, -1
	s_mul_i32 s18, s17, s18
	s_delay_alu instid0(SALU_CYCLE_1) | instskip(NEXT) | instid1(SALU_CYCLE_1)
	s_sub_i32 s18, s22, s18
	s_mul_i32 s18, s19, s18
	s_delay_alu instid0(SALU_CYCLE_1)
	s_add_i32 s13, s18, s13
	s_add_u32 s14, s14, -4
	s_addc_u32 s15, s15, -1
	s_cmp_gt_u32 s8, 2
	s_cbranch_scc1 .LBB89_3
.LBB89_4:
	s_set_inst_prefetch_distance 0x2
	s_load_b32 s8, s[4:5], 0x0
	v_cmp_gt_u32_e32 vcc_lo, 0x100, v0
	v_lshlrev_b32_e32 v3, 2, v0
	s_and_saveexec_b32 s4, vcc_lo
	s_cbranch_execz .LBB89_6
; %bb.5:
	v_mov_b32_e32 v1, 0
	ds_store_b32 v3, v1
.LBB89_6:
	s_or_b32 exec_lo, exec_lo, s4
	s_load_b32 s14, s[0:1], 0xd8
	s_mul_i32 s4, s12, s2
	s_waitcnt lgkmcnt(0)
	s_sub_i32 s4, s16, s4
	s_barrier
	s_mul_i32 s5, s11, s4
	s_add_i32 s4, s4, 1
	s_lshl_b32 s12, s5, 8
	buffer_gl0_inv
	s_sub_i32 s5, s14, s12
	s_delay_alu instid0(SALU_CYCLE_1) | instskip(SKIP_3) | instid1(VALU_DEP_1)
	s_add_u32 s5, s5, 0xff
	s_addc_u32 s15, 0, 0
	s_cmp_lt_u32 s4, s2
	v_alignbit_b32 v1, s15, s5, 8
	v_readfirstlane_b32 s5, v1
	s_delay_alu instid0(VALU_DEP_1)
	s_cselect_b32 s11, s11, s5
	s_mov_b32 s5, 0
	s_cmp_lt_i32 s11, 1
	s_cbranch_scc1 .LBB89_28
; %bb.7:
	s_clause 0x1
	s_load_b32 s2, s[0:1], 0x6c
	s_load_b64 s[18:19], s[0:1], 0x0
	s_waitcnt lgkmcnt(0)
	s_mul_i32 s0, s2, s17
	s_delay_alu instid0(SALU_CYCLE_1) | instskip(NEXT) | instid1(SALU_CYCLE_1)
	s_add_i32 s4, s0, s13
	s_lshl_b64 s[20:21], s[4:5], 2
	s_delay_alu instid0(SALU_CYCLE_1)
	s_add_u32 s1, s18, s20
	s_addc_u32 s2, s19, s21
	s_and_b32 s4, s10, 0xff
	s_cmp_lt_u32 s11, 4
	s_cbranch_scc1 .LBB89_22
; %bb.8:
	v_add_nc_u32_e32 v1, s12, v0
	s_and_b32 s5, s11, 0x7ffffffc
	s_lshl_b32 s10, s9, 10
	s_mov_b32 s13, 0
	s_mov_b32 s15, 0
	v_dual_mov_b32 v9, 1 :: v_dual_add_nc_u32 v2, 0x200, v1
	s_delay_alu instid0(VALU_DEP_1) | instskip(SKIP_4) | instid1(VALU_DEP_3)
	v_mul_lo_u32 v6, s9, v2
	v_mov_b32_e32 v2, 0
	v_add_nc_u32_e32 v4, 0x300, v1
	v_add_nc_u32_e32 v7, 0x100, v1
	v_mul_lo_u32 v8, s9, v1
	v_mul_lo_u32 v5, s9, v4
	s_delay_alu instid0(VALU_DEP_3)
	v_mul_lo_u32 v7, s9, v7
	s_branch .LBB89_10
.LBB89_9:                               ;   in Loop: Header=BB89_10 Depth=1
	s_or_b32 exec_lo, exec_lo, s17
	v_add_nc_u32_e32 v4, 0x400, v4
	s_add_i32 s15, s15, 4
	s_add_i32 s13, s13, s10
	s_cmp_eq_u32 s5, s15
	s_cbranch_scc1 .LBB89_22
.LBB89_10:                              ; =>This Inner Loop Header: Depth=1
	v_add_nc_u32_e32 v1, 0xfffffd00, v4
	s_mov_b32 s17, exec_lo
	s_delay_alu instid0(VALU_DEP_1)
	v_cmpx_gt_u32_e64 s14, v1
	s_cbranch_execz .LBB89_13
; %bb.11:                               ;   in Loop: Header=BB89_10 Depth=1
	v_add_nc_u32_e32 v1, s13, v8
	s_delay_alu instid0(VALU_DEP_1) | instskip(NEXT) | instid1(VALU_DEP_1)
	v_lshlrev_b64 v[10:11], 2, v[1:2]
	v_add_co_u32 v10, s0, s1, v10
	s_delay_alu instid0(VALU_DEP_1) | instskip(SKIP_3) | instid1(VALU_DEP_1)
	v_add_co_ci_u32_e64 v11, s0, s2, v11, s0
	global_load_b32 v1, v[10:11], off
	s_waitcnt vmcnt(0)
	v_cmp_lt_i32_e64 s0, -1, v1
	v_cndmask_b32_e64 v10, -1, 0x80000000, s0
	v_cmp_o_f32_e64 s0, v1, v1
	s_delay_alu instid0(VALU_DEP_2) | instskip(NEXT) | instid1(VALU_DEP_1)
	v_xor_b32_e32 v10, v10, v1
	v_cndmask_b32_e64 v1, -1, v10, s0
	s_delay_alu instid0(VALU_DEP_1) | instskip(NEXT) | instid1(VALU_DEP_1)
	v_xor_b32_e32 v10, s8, v1
	v_and_b32_e32 v10, s3, v10
	s_delay_alu instid0(VALU_DEP_1) | instskip(NEXT) | instid1(VALU_DEP_1)
	v_cmp_eq_u32_e64 s0, 0, v10
	s_and_b32 exec_lo, exec_lo, s0
	s_cbranch_execz .LBB89_13
; %bb.12:                               ;   in Loop: Header=BB89_10 Depth=1
	v_bfe_u32 v1, v1, s4, 8
	s_delay_alu instid0(VALU_DEP_1)
	v_lshlrev_b32_e32 v1, 2, v1
	ds_add_u32 v1, v9
.LBB89_13:                              ;   in Loop: Header=BB89_10 Depth=1
	s_or_b32 exec_lo, exec_lo, s17
	v_add_nc_u32_e32 v1, 0xfffffe00, v4
	s_mov_b32 s17, exec_lo
	s_delay_alu instid0(VALU_DEP_1)
	v_cmpx_gt_u32_e64 s14, v1
	s_cbranch_execz .LBB89_16
; %bb.14:                               ;   in Loop: Header=BB89_10 Depth=1
	v_add_nc_u32_e32 v1, s13, v7
	s_delay_alu instid0(VALU_DEP_1) | instskip(NEXT) | instid1(VALU_DEP_1)
	v_lshlrev_b64 v[10:11], 2, v[1:2]
	v_add_co_u32 v10, s0, s1, v10
	s_delay_alu instid0(VALU_DEP_1) | instskip(SKIP_3) | instid1(VALU_DEP_1)
	v_add_co_ci_u32_e64 v11, s0, s2, v11, s0
	global_load_b32 v1, v[10:11], off
	s_waitcnt vmcnt(0)
	v_cmp_lt_i32_e64 s0, -1, v1
	v_cndmask_b32_e64 v10, -1, 0x80000000, s0
	v_cmp_o_f32_e64 s0, v1, v1
	s_delay_alu instid0(VALU_DEP_2) | instskip(NEXT) | instid1(VALU_DEP_1)
	v_xor_b32_e32 v10, v10, v1
	v_cndmask_b32_e64 v1, -1, v10, s0
	s_delay_alu instid0(VALU_DEP_1) | instskip(NEXT) | instid1(VALU_DEP_1)
	v_xor_b32_e32 v10, s8, v1
	v_and_b32_e32 v10, s3, v10
	s_delay_alu instid0(VALU_DEP_1) | instskip(NEXT) | instid1(VALU_DEP_1)
	v_cmp_eq_u32_e64 s0, 0, v10
	s_and_b32 exec_lo, exec_lo, s0
	s_cbranch_execz .LBB89_16
; %bb.15:                               ;   in Loop: Header=BB89_10 Depth=1
	v_bfe_u32 v1, v1, s4, 8
	s_delay_alu instid0(VALU_DEP_1)
	v_lshlrev_b32_e32 v1, 2, v1
	ds_add_u32 v1, v9
.LBB89_16:                              ;   in Loop: Header=BB89_10 Depth=1
	s_or_b32 exec_lo, exec_lo, s17
	;; [unrolled: 34-line block ×3, first 2 shown]
	s_delay_alu instid0(SALU_CYCLE_1)
	s_mov_b32 s17, exec_lo
	v_cmpx_gt_u32_e64 s14, v4
	s_cbranch_execz .LBB89_9
; %bb.20:                               ;   in Loop: Header=BB89_10 Depth=1
	v_add_nc_u32_e32 v1, s13, v5
	s_delay_alu instid0(VALU_DEP_1) | instskip(NEXT) | instid1(VALU_DEP_1)
	v_lshlrev_b64 v[10:11], 2, v[1:2]
	v_add_co_u32 v10, s0, s1, v10
	s_delay_alu instid0(VALU_DEP_1) | instskip(SKIP_3) | instid1(VALU_DEP_1)
	v_add_co_ci_u32_e64 v11, s0, s2, v11, s0
	global_load_b32 v1, v[10:11], off
	s_waitcnt vmcnt(0)
	v_cmp_lt_i32_e64 s0, -1, v1
	v_cndmask_b32_e64 v10, -1, 0x80000000, s0
	v_cmp_o_f32_e64 s0, v1, v1
	s_delay_alu instid0(VALU_DEP_2) | instskip(NEXT) | instid1(VALU_DEP_1)
	v_xor_b32_e32 v10, v10, v1
	v_cndmask_b32_e64 v1, -1, v10, s0
	s_delay_alu instid0(VALU_DEP_1) | instskip(NEXT) | instid1(VALU_DEP_1)
	v_xor_b32_e32 v10, s8, v1
	v_and_b32_e32 v10, s3, v10
	s_delay_alu instid0(VALU_DEP_1) | instskip(NEXT) | instid1(VALU_DEP_1)
	v_cmp_eq_u32_e64 s0, 0, v10
	s_and_b32 exec_lo, exec_lo, s0
	s_cbranch_execz .LBB89_9
; %bb.21:                               ;   in Loop: Header=BB89_10 Depth=1
	v_bfe_u32 v1, v1, s4, 8
	s_delay_alu instid0(VALU_DEP_1)
	v_lshlrev_b32_e32 v1, 2, v1
	ds_add_u32 v1, v9
	s_branch .LBB89_9
.LBB89_22:
	s_and_b32 s10, s11, 3
	s_delay_alu instid0(SALU_CYCLE_1)
	s_cmp_eq_u32 s10, 0
	s_cbranch_scc1 .LBB89_28
; %bb.23:
	s_lshl_b32 s0, s5, 8
	v_dual_mov_b32 v2, 0 :: v_dual_mov_b32 v5, 1
	v_add3_u32 v4, s0, s12, v0
	s_lshl_b32 s5, s9, 8
	s_delay_alu instid0(VALU_DEP_1)
	v_mul_lo_u32 v1, s9, v4
	s_set_inst_prefetch_distance 0x1
	s_branch .LBB89_25
	.p2align	6
.LBB89_24:                              ;   in Loop: Header=BB89_25 Depth=1
	s_or_b32 exec_lo, exec_lo, s9
	s_delay_alu instid0(VALU_DEP_2) | instskip(SKIP_2) | instid1(SALU_CYCLE_1)
	v_add_nc_u32_e32 v1, s5, v1
	v_add_nc_u32_e32 v4, 0x100, v4
	s_add_i32 s10, s10, -1
	s_cmp_lg_u32 s10, 0
	s_cbranch_scc0 .LBB89_28
.LBB89_25:                              ; =>This Inner Loop Header: Depth=1
	s_mov_b32 s9, exec_lo
	v_cmpx_gt_u32_e64 s14, v4
	s_cbranch_execz .LBB89_24
; %bb.26:                               ;   in Loop: Header=BB89_25 Depth=1
	s_delay_alu instid0(VALU_DEP_2) | instskip(NEXT) | instid1(VALU_DEP_1)
	v_lshlrev_b64 v[6:7], 2, v[1:2]
	v_add_co_u32 v6, s0, s1, v6
	s_delay_alu instid0(VALU_DEP_1) | instskip(SKIP_3) | instid1(VALU_DEP_1)
	v_add_co_ci_u32_e64 v7, s0, s2, v7, s0
	global_load_b32 v6, v[6:7], off
	s_waitcnt vmcnt(0)
	v_cmp_lt_i32_e64 s0, -1, v6
	v_cndmask_b32_e64 v7, -1, 0x80000000, s0
	v_cmp_o_f32_e64 s0, v6, v6
	s_delay_alu instid0(VALU_DEP_2) | instskip(NEXT) | instid1(VALU_DEP_1)
	v_xor_b32_e32 v7, v7, v6
	v_cndmask_b32_e64 v6, -1, v7, s0
	s_delay_alu instid0(VALU_DEP_1) | instskip(NEXT) | instid1(VALU_DEP_1)
	v_xor_b32_e32 v7, s8, v6
	v_and_b32_e32 v7, s3, v7
	s_delay_alu instid0(VALU_DEP_1) | instskip(NEXT) | instid1(VALU_DEP_1)
	v_cmp_eq_u32_e64 s0, 0, v7
	s_and_b32 exec_lo, exec_lo, s0
	s_cbranch_execz .LBB89_24
; %bb.27:                               ;   in Loop: Header=BB89_25 Depth=1
	v_bfe_u32 v6, v6, s4, 8
	s_delay_alu instid0(VALU_DEP_1)
	v_lshlrev_b32_e32 v6, 2, v6
	ds_add_u32 v6, v5
	s_branch .LBB89_24
.LBB89_28:
	s_set_inst_prefetch_distance 0x2
	v_mov_b32_e32 v1, 0
	s_waitcnt lgkmcnt(0)
	s_barrier
	buffer_gl0_inv
	s_and_saveexec_b32 s0, vcc_lo
	s_cbranch_execz .LBB89_30
; %bb.29:
	ds_load_b32 v1, v3
.LBB89_30:
	s_or_b32 exec_lo, exec_lo, s0
	s_and_saveexec_b32 s0, vcc_lo
	s_cbranch_execz .LBB89_32
; %bb.31:
	v_lshl_or_b32 v2, s16, 8, v0
	v_mov_b32_e32 v3, 0
	s_delay_alu instid0(VALU_DEP_1) | instskip(NEXT) | instid1(VALU_DEP_1)
	v_lshlrev_b64 v[2:3], 1, v[2:3]
	v_add_co_u32 v2, vcc_lo, s6, v2
	s_delay_alu instid0(VALU_DEP_2)
	v_add_co_ci_u32_e32 v3, vcc_lo, s7, v3, vcc_lo
	s_waitcnt lgkmcnt(0)
	global_store_b16 v[2:3], v1, off
.LBB89_32:
	s_nop 0
	s_sendmsg sendmsg(MSG_DEALLOC_VGPRS)
	s_endpgm
	.section	.rodata,"a",@progbits
	.p2align	6, 0x0
	.amdhsa_kernel _ZN2at6native6mbtopk23computeBlockDigitCountsIfjjLin1EEEvNS_4cuda6detail10TensorInfoIKT_T0_EEjPjjS8_iijT1_PSB_Ps
		.amdhsa_group_segment_fixed_size 1024
		.amdhsa_private_segment_fixed_size 0
		.amdhsa_kernarg_size 528
		.amdhsa_user_sgpr_count 13
		.amdhsa_user_sgpr_dispatch_ptr 0
		.amdhsa_user_sgpr_queue_ptr 0
		.amdhsa_user_sgpr_kernarg_segment_ptr 1
		.amdhsa_user_sgpr_dispatch_id 0
		.amdhsa_user_sgpr_private_segment_size 0
		.amdhsa_wavefront_size32 1
		.amdhsa_uses_dynamic_stack 0
		.amdhsa_enable_private_segment 0
		.amdhsa_system_sgpr_workgroup_id_x 1
		.amdhsa_system_sgpr_workgroup_id_y 1
		.amdhsa_system_sgpr_workgroup_id_z 1
		.amdhsa_system_sgpr_workgroup_info 0
		.amdhsa_system_vgpr_workitem_id 0
		.amdhsa_next_free_vgpr 12
		.amdhsa_next_free_sgpr 24
		.amdhsa_reserve_vcc 1
		.amdhsa_float_round_mode_32 0
		.amdhsa_float_round_mode_16_64 0
		.amdhsa_float_denorm_mode_32 3
		.amdhsa_float_denorm_mode_16_64 3
		.amdhsa_dx10_clamp 1
		.amdhsa_ieee_mode 1
		.amdhsa_fp16_overflow 0
		.amdhsa_workgroup_processor_mode 1
		.amdhsa_memory_ordered 1
		.amdhsa_forward_progress 0
		.amdhsa_shared_vgpr_count 0
		.amdhsa_exception_fp_ieee_invalid_op 0
		.amdhsa_exception_fp_denorm_src 0
		.amdhsa_exception_fp_ieee_div_zero 0
		.amdhsa_exception_fp_ieee_overflow 0
		.amdhsa_exception_fp_ieee_underflow 0
		.amdhsa_exception_fp_ieee_inexact 0
		.amdhsa_exception_int_div_zero 0
	.end_amdhsa_kernel
	.section	.text._ZN2at6native6mbtopk23computeBlockDigitCountsIfjjLin1EEEvNS_4cuda6detail10TensorInfoIKT_T0_EEjPjjS8_iijT1_PSB_Ps,"axG",@progbits,_ZN2at6native6mbtopk23computeBlockDigitCountsIfjjLin1EEEvNS_4cuda6detail10TensorInfoIKT_T0_EEjPjjS8_iijT1_PSB_Ps,comdat
.Lfunc_end89:
	.size	_ZN2at6native6mbtopk23computeBlockDigitCountsIfjjLin1EEEvNS_4cuda6detail10TensorInfoIKT_T0_EEjPjjS8_iijT1_PSB_Ps, .Lfunc_end89-_ZN2at6native6mbtopk23computeBlockDigitCountsIfjjLin1EEEvNS_4cuda6detail10TensorInfoIKT_T0_EEjPjjS8_iijT1_PSB_Ps
                                        ; -- End function
	.section	.AMDGPU.csdata,"",@progbits
; Kernel info:
; codeLenInByte = 1876
; NumSgprs: 26
; NumVgprs: 12
; ScratchSize: 0
; MemoryBound: 0
; FloatMode: 240
; IeeeMode: 1
; LDSByteSize: 1024 bytes/workgroup (compile time only)
; SGPRBlocks: 3
; VGPRBlocks: 1
; NumSGPRsForWavesPerEU: 26
; NumVGPRsForWavesPerEU: 12
; Occupancy: 16
; WaveLimiterHint : 1
; COMPUTE_PGM_RSRC2:SCRATCH_EN: 0
; COMPUTE_PGM_RSRC2:USER_SGPR: 13
; COMPUTE_PGM_RSRC2:TRAP_HANDLER: 0
; COMPUTE_PGM_RSRC2:TGID_X_EN: 1
; COMPUTE_PGM_RSRC2:TGID_Y_EN: 1
; COMPUTE_PGM_RSRC2:TGID_Z_EN: 1
; COMPUTE_PGM_RSRC2:TIDIG_COMP_CNT: 0
	.section	.text._ZN2at6native6mbtopk10gatherTopKIfjLin1EEEvNS_4cuda6detail10TensorInfoIKT_T0_EES8_S8_bjS8_NS5_IS6_S8_EES8_NS5_IlS8_EES8_jjPS6_PjSD_j,"axG",@progbits,_ZN2at6native6mbtopk10gatherTopKIfjLin1EEEvNS_4cuda6detail10TensorInfoIKT_T0_EES8_S8_bjS8_NS5_IS6_S8_EES8_NS5_IlS8_EES8_jjPS6_PjSD_j,comdat
	.protected	_ZN2at6native6mbtopk10gatherTopKIfjLin1EEEvNS_4cuda6detail10TensorInfoIKT_T0_EES8_S8_bjS8_NS5_IS6_S8_EES8_NS5_IlS8_EES8_jjPS6_PjSD_j ; -- Begin function _ZN2at6native6mbtopk10gatherTopKIfjLin1EEEvNS_4cuda6detail10TensorInfoIKT_T0_EES8_S8_bjS8_NS5_IS6_S8_EES8_NS5_IlS8_EES8_jjPS6_PjSD_j
	.globl	_ZN2at6native6mbtopk10gatherTopKIfjLin1EEEvNS_4cuda6detail10TensorInfoIKT_T0_EES8_S8_bjS8_NS5_IS6_S8_EES8_NS5_IlS8_EES8_jjPS6_PjSD_j
	.p2align	8
	.type	_ZN2at6native6mbtopk10gatherTopKIfjLin1EEEvNS_4cuda6detail10TensorInfoIKT_T0_EES8_S8_bjS8_NS5_IS6_S8_EES8_NS5_IlS8_EES8_jjPS6_PjSD_j,@function
_ZN2at6native6mbtopk10gatherTopKIfjLin1EEEvNS_4cuda6detail10TensorInfoIKT_T0_EES8_S8_bjS8_NS5_IS6_S8_EES8_NS5_IlS8_EES8_jjPS6_PjSD_j: ; @_ZN2at6native6mbtopk10gatherTopKIfjLin1EEEvNS_4cuda6detail10TensorInfoIKT_T0_EES8_S8_bjS8_NS5_IS6_S8_EES8_NS5_IlS8_EES8_jjPS6_PjSD_j
; %bb.0:
	s_clause 0x1
	s_load_b64 s[2:3], s[0:1], 0x2d8
	s_load_b32 s4, s[0:1], 0x2d0
	s_waitcnt lgkmcnt(0)
	s_mul_i32 s3, s3, s15
	s_delay_alu instid0(SALU_CYCLE_1) | instskip(NEXT) | instid1(SALU_CYCLE_1)
	s_add_i32 s3, s3, s14
	s_mul_i32 s2, s3, s2
	s_delay_alu instid0(SALU_CYCLE_1) | instskip(NEXT) | instid1(SALU_CYCLE_1)
	s_add_i32 s13, s2, s13
	s_cmp_ge_u32 s13, s4
	s_cbranch_scc1 .LBB90_49
; %bb.1:
	s_clause 0x1
	s_load_b128 s[4:7], s[0:1], 0x2a8
	s_load_b32 s2, s[0:1], 0xd0
	s_mov_b32 s17, 0
	s_waitcnt lgkmcnt(0)
	v_cvt_f32_u32_e32 v1, s6
	s_sub_i32 s7, 0, s6
	s_delay_alu instid0(VALU_DEP_1) | instskip(SKIP_2) | instid1(VALU_DEP_1)
	v_rcp_iflag_f32_e32 v1, v1
	s_waitcnt_depctr 0xfff
	v_mul_f32_e32 v1, 0x4f7ffffe, v1
	v_cvt_u32_f32_e32 v1, v1
	s_delay_alu instid0(VALU_DEP_1) | instskip(NEXT) | instid1(VALU_DEP_1)
	v_readfirstlane_b32 s3, v1
	s_mul_i32 s7, s7, s3
	s_delay_alu instid0(SALU_CYCLE_1) | instskip(NEXT) | instid1(SALU_CYCLE_1)
	s_mul_hi_u32 s7, s3, s7
	s_add_i32 s3, s3, s7
	s_delay_alu instid0(SALU_CYCLE_1) | instskip(NEXT) | instid1(SALU_CYCLE_1)
	s_mul_hi_u32 s3, s13, s3
	s_mul_i32 s7, s3, s6
	s_add_i32 s8, s3, 1
	s_sub_i32 s7, s13, s7
	s_delay_alu instid0(SALU_CYCLE_1)
	s_sub_i32 s9, s7, s6
	s_cmp_ge_u32 s7, s6
	s_cselect_b32 s3, s8, s3
	s_cselect_b32 s7, s9, s7
	s_add_i32 s8, s3, 1
	s_cmp_ge_u32 s7, s6
	s_cselect_b32 s18, s8, s3
	s_cmp_lt_i32 s2, 2
	s_mov_b32 s16, s18
	s_cbranch_scc1 .LBB90_4
; %bb.2:
	s_add_i32 s16, s2, -1
	s_add_i32 s7, s2, 1
	s_lshl_b64 s[8:9], s[16:17], 2
	s_mov_b32 s16, s18
	s_add_u32 s2, s8, s0
	s_addc_u32 s3, s9, s1
	s_add_u32 s2, s2, 8
	s_addc_u32 s3, s3, 0
	s_set_inst_prefetch_distance 0x1
	.p2align	6
.LBB90_3:                               ; =>This Inner Loop Header: Depth=1
	s_clause 0x1
	s_load_b32 s8, s[2:3], 0x0
	s_load_b32 s9, s[2:3], 0x64
	s_mov_b32 s12, s16
	s_waitcnt lgkmcnt(0)
	v_cvt_f32_u32_e32 v1, s8
	s_sub_i32 s11, 0, s8
	s_waitcnt_depctr 0xfff
	v_rcp_iflag_f32_e32 v1, v1
	s_waitcnt_depctr 0xfff
	v_mul_f32_e32 v1, 0x4f7ffffe, v1
	s_delay_alu instid0(VALU_DEP_1) | instskip(NEXT) | instid1(VALU_DEP_1)
	v_cvt_u32_f32_e32 v1, v1
	v_readfirstlane_b32 s10, v1
	s_delay_alu instid0(VALU_DEP_1) | instskip(NEXT) | instid1(SALU_CYCLE_1)
	s_mul_i32 s11, s11, s10
	s_mul_hi_u32 s11, s10, s11
	s_delay_alu instid0(SALU_CYCLE_1) | instskip(NEXT) | instid1(SALU_CYCLE_1)
	s_add_i32 s10, s10, s11
	s_mul_hi_u32 s10, s16, s10
	s_delay_alu instid0(SALU_CYCLE_1) | instskip(SKIP_2) | instid1(SALU_CYCLE_1)
	s_mul_i32 s11, s10, s8
	s_add_i32 s14, s10, 1
	s_sub_i32 s11, s16, s11
	s_sub_i32 s15, s11, s8
	s_cmp_ge_u32 s11, s8
	s_cselect_b32 s10, s14, s10
	s_cselect_b32 s11, s15, s11
	s_add_i32 s14, s10, 1
	s_cmp_ge_u32 s11, s8
	s_cselect_b32 s16, s14, s10
	s_add_i32 s7, s7, -1
	s_mul_i32 s8, s16, s8
	s_delay_alu instid0(SALU_CYCLE_1) | instskip(NEXT) | instid1(SALU_CYCLE_1)
	s_sub_i32 s8, s12, s8
	s_mul_i32 s8, s9, s8
	s_delay_alu instid0(SALU_CYCLE_1)
	s_add_i32 s17, s8, s17
	s_add_u32 s2, s2, -4
	s_addc_u32 s3, s3, -1
	s_cmp_gt_u32 s7, 2
	s_cbranch_scc1 .LBB90_3
.LBB90_4:
	s_set_inst_prefetch_distance 0x2
	s_load_b32 s7, s[0:1], 0x1c0
	s_add_u32 s2, s0, 0xf0
	s_addc_u32 s3, s1, 0
	s_mov_b32 s21, 0
	s_mov_b32 s20, s18
	s_waitcnt lgkmcnt(0)
	s_cmp_lt_i32 s7, 2
	s_cbranch_scc1 .LBB90_7
; %bb.5:
	s_add_i32 s20, s7, -1
	s_add_i32 s7, s7, 1
	s_lshl_b64 s[8:9], s[20:21], 2
	s_mov_b32 s20, s18
	s_add_u32 s8, s8, s2
	s_addc_u32 s9, s9, s3
	s_add_u32 s8, s8, 8
	s_addc_u32 s9, s9, 0
	s_set_inst_prefetch_distance 0x1
	.p2align	6
.LBB90_6:                               ; =>This Inner Loop Header: Depth=1
	s_clause 0x1
	s_load_b32 s10, s[8:9], 0x0
	s_load_b32 s11, s[8:9], 0x64
	s_mov_b32 s15, s20
	s_waitcnt lgkmcnt(0)
	v_cvt_f32_u32_e32 v1, s10
	s_sub_i32 s14, 0, s10
	s_waitcnt_depctr 0xfff
	v_rcp_iflag_f32_e32 v1, v1
	s_waitcnt_depctr 0xfff
	v_mul_f32_e32 v1, 0x4f7ffffe, v1
	s_delay_alu instid0(VALU_DEP_1) | instskip(NEXT) | instid1(VALU_DEP_1)
	v_cvt_u32_f32_e32 v1, v1
	v_readfirstlane_b32 s12, v1
	s_delay_alu instid0(VALU_DEP_1) | instskip(NEXT) | instid1(SALU_CYCLE_1)
	s_mul_i32 s14, s14, s12
	s_mul_hi_u32 s14, s12, s14
	s_delay_alu instid0(SALU_CYCLE_1) | instskip(NEXT) | instid1(SALU_CYCLE_1)
	s_add_i32 s12, s12, s14
	s_mul_hi_u32 s12, s20, s12
	s_delay_alu instid0(SALU_CYCLE_1) | instskip(SKIP_2) | instid1(SALU_CYCLE_1)
	s_mul_i32 s14, s12, s10
	s_add_i32 s19, s12, 1
	s_sub_i32 s14, s20, s14
	s_sub_i32 s20, s14, s10
	s_cmp_ge_u32 s14, s10
	s_cselect_b32 s12, s19, s12
	s_cselect_b32 s14, s20, s14
	s_add_i32 s19, s12, 1
	s_cmp_ge_u32 s14, s10
	s_cselect_b32 s20, s19, s12
	s_add_i32 s7, s7, -1
	s_mul_i32 s10, s20, s10
	s_delay_alu instid0(SALU_CYCLE_1) | instskip(NEXT) | instid1(SALU_CYCLE_1)
	s_sub_i32 s10, s15, s10
	s_mul_i32 s10, s11, s10
	s_delay_alu instid0(SALU_CYCLE_1)
	s_add_i32 s21, s10, s21
	s_add_u32 s8, s8, -4
	s_addc_u32 s9, s9, -1
	s_cmp_gt_u32 s7, 2
	s_cbranch_scc1 .LBB90_6
.LBB90_7:
	s_set_inst_prefetch_distance 0x2
	s_clause 0x1
	s_load_b32 s33, s[0:1], 0x6c
	s_load_b32 s7, s[0:1], 0x2a0
	s_add_u32 s8, s0, 0x1d0
	s_addc_u32 s9, s1, 0
	s_mov_b32 s23, 0
	s_mov_b32 s22, s18
	s_waitcnt lgkmcnt(0)
	s_cmp_lt_i32 s7, 2
	s_cbranch_scc1 .LBB90_10
; %bb.8:
	s_add_i32 s22, s7, -1
	s_add_i32 s7, s7, 1
	s_lshl_b64 s[10:11], s[22:23], 2
	s_mov_b32 s22, s18
	s_add_u32 s8, s10, s8
	s_addc_u32 s9, s11, s9
	s_add_u32 s8, s8, 8
	s_addc_u32 s9, s9, 0
	s_set_inst_prefetch_distance 0x1
	.p2align	6
.LBB90_9:                               ; =>This Inner Loop Header: Depth=1
	s_clause 0x1
	s_load_b32 s10, s[8:9], 0x0
	s_load_b32 s11, s[8:9], 0x64
	s_mov_b32 s15, s22
	s_waitcnt lgkmcnt(0)
	v_cvt_f32_u32_e32 v1, s10
	s_sub_i32 s14, 0, s10
	s_waitcnt_depctr 0xfff
	v_rcp_iflag_f32_e32 v1, v1
	s_waitcnt_depctr 0xfff
	v_mul_f32_e32 v1, 0x4f7ffffe, v1
	s_delay_alu instid0(VALU_DEP_1) | instskip(NEXT) | instid1(VALU_DEP_1)
	v_cvt_u32_f32_e32 v1, v1
	v_readfirstlane_b32 s12, v1
	s_delay_alu instid0(VALU_DEP_1) | instskip(NEXT) | instid1(SALU_CYCLE_1)
	s_mul_i32 s14, s14, s12
	s_mul_hi_u32 s14, s12, s14
	s_delay_alu instid0(SALU_CYCLE_1) | instskip(NEXT) | instid1(SALU_CYCLE_1)
	s_add_i32 s12, s12, s14
	s_mul_hi_u32 s12, s22, s12
	s_delay_alu instid0(SALU_CYCLE_1) | instskip(SKIP_2) | instid1(SALU_CYCLE_1)
	s_mul_i32 s14, s12, s10
	s_add_i32 s19, s12, 1
	s_sub_i32 s14, s22, s14
	s_sub_i32 s22, s14, s10
	s_cmp_ge_u32 s14, s10
	s_cselect_b32 s12, s19, s12
	s_cselect_b32 s14, s22, s14
	s_add_i32 s19, s12, 1
	s_cmp_ge_u32 s14, s10
	s_cselect_b32 s22, s19, s12
	s_add_i32 s7, s7, -1
	s_mul_i32 s10, s22, s10
	s_delay_alu instid0(SALU_CYCLE_1) | instskip(NEXT) | instid1(SALU_CYCLE_1)
	s_sub_i32 s10, s15, s10
	s_mul_i32 s10, s11, s10
	s_delay_alu instid0(SALU_CYCLE_1)
	s_add_i32 s23, s10, s23
	s_add_u32 s8, s8, -4
	s_addc_u32 s9, s9, -1
	s_cmp_gt_u32 s7, 2
	s_cbranch_scc1 .LBB90_9
.LBB90_10:
	s_set_inst_prefetch_distance 0x2
	s_clause 0x1
	s_load_b32 s36, s[2:3], 0x6c
	s_load_b128 s[8:11], s[0:1], 0x2b8
	s_mov_b32 s19, 0
	s_mul_i32 s12, s18, s6
	s_lshl_b64 s[2:3], s[18:19], 2
	s_sub_i32 s7, s13, s12
	s_waitcnt lgkmcnt(0)
	s_add_u32 s2, s8, s2
	s_addc_u32 s3, s9, s3
	s_clause 0x2
	s_load_b64 s[28:29], s[0:1], 0x0
	s_load_b64 s[26:27], s[0:1], 0xf0
	s_load_b64 s[24:25], s[0:1], 0x1d0
	s_load_b32 s18, s[2:3], 0x0
	v_cmp_ne_u32_e64 s2, 0, v0
	v_cmp_eq_u32_e64 s3, 0, v0
	s_delay_alu instid0(VALU_DEP_1)
	s_and_saveexec_b32 s37, s3
	s_cbranch_execz .LBB90_26
; %bb.11:
	s_load_b64 s[8:9], s[0:1], 0x2c8
	s_mov_b32 s13, s19
	s_mov_b32 s38, 0
	s_lshl_b64 s[30:31], s[12:13], 2
	s_mov_b32 s39, 0
	s_add_u32 s12, s10, s30
	s_addc_u32 s13, s11, s31
	s_waitcnt lgkmcnt(0)
	s_add_u32 s14, s8, s30
	s_addc_u32 s15, s9, s31
	s_cmp_lt_u32 s6, 4
	s_cbranch_scc1 .LBB90_23
; %bb.12:
	s_mov_b32 s40, 0
.LBB90_13:                              ; =>This Inner Loop Header: Depth=1
	s_add_u32 s12, s10, s30
	s_addc_u32 s13, s11, s31
	s_add_u32 s34, s8, s30
	s_load_b128 s[12:15], s[12:13], 0x0
	s_addc_u32 s35, s9, s31
	s_cmp_ge_u32 s40, s7
	s_cbranch_scc0 .LBB90_20
; %bb.14:                               ;   in Loop: Header=BB90_13 Depth=1
	s_add_i32 s41, s40, 1
	s_delay_alu instid0(SALU_CYCLE_1)
	s_cmp_ge_u32 s41, s7
	s_cbranch_scc0 .LBB90_21
.LBB90_15:                              ;   in Loop: Header=BB90_13 Depth=1
	s_add_i32 s41, s41, 1
	s_delay_alu instid0(SALU_CYCLE_1)
	s_cmp_ge_u32 s41, s7
	s_cbranch_scc0 .LBB90_22
.LBB90_16:                              ;   in Loop: Header=BB90_13 Depth=1
	s_add_i32 s41, s41, 1
	s_delay_alu instid0(SALU_CYCLE_1)
	s_cmp_ge_u32 s41, s7
	s_cbranch_scc1 .LBB90_18
.LBB90_17:                              ;   in Loop: Header=BB90_13 Depth=1
	s_load_b32 s34, s[34:35], 0xc
	s_waitcnt lgkmcnt(0)
	s_add_i32 s19, s19, s15
	s_add_i32 s38, s34, s38
.LBB90_18:                              ;   in Loop: Header=BB90_13 Depth=1
	s_waitcnt lgkmcnt(0)
	s_add_i32 s12, s12, s39
	s_delay_alu instid0(SALU_CYCLE_1) | instskip(NEXT) | instid1(SALU_CYCLE_1)
	s_add_i32 s12, s12, s13
	s_add_i32 s12, s12, s14
	s_delay_alu instid0(SALU_CYCLE_1)
	s_add_i32 s39, s12, s15
	s_add_u32 s10, s10, 16
	s_addc_u32 s11, s11, 0
	s_add_u32 s8, s8, 16
	s_addc_u32 s9, s9, 0
	s_add_i32 s35, s41, 4
	s_add_u32 s14, s8, s30
	s_addc_u32 s15, s9, s31
	s_add_u32 s12, s10, s30
	s_addc_u32 s13, s11, s31
	s_add_i32 s34, s41, 1
	s_cmp_ge_u32 s35, s6
	s_cbranch_scc1 .LBB90_24
; %bb.19:                               ;   in Loop: Header=BB90_13 Depth=1
	s_mov_b32 s40, s34
	s_branch .LBB90_13
.LBB90_20:                              ;   in Loop: Header=BB90_13 Depth=1
	s_load_b32 s41, s[34:35], 0x0
	s_waitcnt lgkmcnt(0)
	s_add_i32 s19, s12, s19
	s_add_i32 s38, s41, s38
	;; [unrolled: 1-line block ×3, first 2 shown]
	s_delay_alu instid0(SALU_CYCLE_1)
	s_cmp_ge_u32 s41, s7
	s_cbranch_scc1 .LBB90_15
.LBB90_21:                              ;   in Loop: Header=BB90_13 Depth=1
	s_load_b32 s42, s[34:35], 0x4
	s_waitcnt lgkmcnt(0)
	s_add_i32 s19, s19, s13
	s_add_i32 s38, s42, s38
	;; [unrolled: 1-line block ×3, first 2 shown]
	s_delay_alu instid0(SALU_CYCLE_1)
	s_cmp_ge_u32 s41, s7
	s_cbranch_scc1 .LBB90_16
.LBB90_22:                              ;   in Loop: Header=BB90_13 Depth=1
	s_load_b32 s42, s[34:35], 0x8
	s_waitcnt lgkmcnt(0)
	s_add_i32 s19, s19, s14
	s_add_i32 s38, s42, s38
	s_add_i32 s41, s41, 1
	s_delay_alu instid0(SALU_CYCLE_1)
	s_cmp_ge_u32 s41, s7
	s_cbranch_scc0 .LBB90_17
	s_branch .LBB90_18
.LBB90_23:
	s_mov_b32 s8, 0
	s_delay_alu instid0(SALU_CYCLE_1)
	s_cmp_ge_u32 s8, s6
	s_cbranch_scc0 .LBB90_47
	s_branch .LBB90_25
.LBB90_24:
	s_add_i32 s8, s40, 4
	s_delay_alu instid0(SALU_CYCLE_1)
	s_cmp_ge_u32 s8, s6
	s_cbranch_scc0 .LBB90_47
.LBB90_25:
	v_dual_mov_b32 v1, s38 :: v_dual_mov_b32 v2, s39
	v_dual_mov_b32 v3, s19 :: v_dual_mov_b32 v4, 0
	ds_store_b96 v4, v[1:3] offset:1056
.LBB90_26:
	s_or_b32 exec_lo, exec_lo, s37
	s_clause 0x1
	s_load_b32 s12, s[0:1], 0x23c
	s_load_b128 s[8:11], s[0:1], 0xd8
	s_waitcnt lgkmcnt(0)
	s_mul_i32 s11, s5, s7
	s_add_i32 s7, s7, 1
	s_lshl_b32 s19, s11, 8
	s_barrier
	buffer_gl0_inv
	s_sub_i32 s11, s8, s19
	s_delay_alu instid0(SALU_CYCLE_1) | instskip(SKIP_4) | instid1(VALU_DEP_1)
	s_add_u32 s11, s11, 0xff
	s_addc_u32 s13, 0, 0
	s_cmp_lt_u32 s7, s6
	v_alignbit_b32 v1, s13, s11, 8
	s_mov_b32 s7, 0
	v_readfirstlane_b32 s11, v1
	s_delay_alu instid0(VALU_DEP_1) | instskip(NEXT) | instid1(SALU_CYCLE_1)
	s_cselect_b32 s5, s5, s11
	s_cmp_eq_u32 s5, 0
	s_cbranch_scc1 .LBB90_49
; %bb.27:
	s_mul_i32 s6, s36, s20
	s_mul_i32 s11, s33, s16
	s_add_i32 s14, s6, s21
	s_mul_i32 s12, s12, s22
	s_add_i32 s6, s11, s17
	v_mov_b32_e32 v5, 0
	s_add_i32 s16, s12, s23
	s_lshl_b64 s[12:13], s[6:7], 2
	s_mov_b32 s15, s7
	s_add_u32 s6, s28, s12
	s_addc_u32 s11, s29, s13
	s_lshl_b64 s[12:13], s[14:15], 2
	ds_load_b96 v[1:3], v5 offset:1056
	s_mov_b32 s17, s7
	s_add_u32 s12, s26, s12
	s_addc_u32 s7, s27, s13
	s_lshl_b64 s[14:15], s[16:17], 3
	s_load_b32 s16, s[0:1], 0xe8
	s_add_u32 s13, s24, s14
	s_addc_u32 s14, s25, s15
	s_cmp_gt_i32 s18, -1
	v_cmp_o_f32_e64 s15, s18, s18
	s_cselect_b32 s17, 0x80000000, -1
	v_lshrrev_b32_e32 v4, 5, v0
	s_xor_b32 s17, s17, s18
	v_add_nc_u32_e32 v9, -1, v0
	s_and_b32 s15, s15, exec_lo
	s_cselect_b32 s15, s17, -1
	s_bitcmp1_b32 s10, 0
	s_load_b32 s10, s[0:1], 0x1c8
	v_add_lshl_u32 v7, v4, v0, 2
	v_lshrrev_b32_e32 v4, 2, v0
	s_waitcnt lgkmcnt(0)
	v_add_nc_u32_e32 v6, v1, v2
	v_lshlrev_b32_e32 v2, 3, v0
	v_add_nc_u32_e32 v1, s19, v0
	v_lshrrev_b32_e32 v10, 5, v9
	v_mbcnt_lo_u32_b32 v8, -1, 0
	v_cmp_gt_u32_e64 s0, 32, v0
	v_add_lshl_u32 v0, v4, v2, 2
	v_mul_lo_u32 v4, s16, v1
	v_add_lshl_u32 v9, v10, v9, 2
	v_and_b32_e32 v10, 15, v8
	v_bfe_i32 v11, v8, 4, 1
	v_add_nc_u32_e32 v12, -1, v8
	s_cselect_b32 s1, -1, 0
	s_lshl_b32 s16, s16, 8
                                        ; implicit-def: $vgpr13
	s_branch .LBB90_30
.LBB90_28:                              ;   in Loop: Header=BB90_30 Depth=1
	s_or_b32 exec_lo, exec_lo, s17
	v_add_nc_u32_e32 v6, v16, v6
.LBB90_29:                              ;   in Loop: Header=BB90_30 Depth=1
	v_add_nc_u32_e32 v3, v15, v3
	v_add_nc_u32_e32 v4, s16, v4
	;; [unrolled: 1-line block ×3, first 2 shown]
	s_add_i32 s5, s5, -1
	s_delay_alu instid0(SALU_CYCLE_1)
	s_cmp_lg_u32 s5, 0
	s_cbranch_scc0 .LBB90_49
.LBB90_30:                              ; =>This Inner Loop Header: Depth=1
	v_mov_b32_e32 v2, 0
	v_mov_b32_e32 v14, 0
	s_mov_b32 s17, exec_lo
	v_cmpx_gt_u32_e64 s8, v1
	s_cbranch_execz .LBB90_32
; %bb.31:                               ;   in Loop: Header=BB90_30 Depth=1
	v_lshlrev_b64 v[13:14], 2, v[4:5]
	s_delay_alu instid0(VALU_DEP_1) | instskip(NEXT) | instid1(VALU_DEP_2)
	v_add_co_u32 v13, vcc_lo, s6, v13
	v_add_co_ci_u32_e32 v14, vcc_lo, s11, v14, vcc_lo
	global_load_b32 v13, v[13:14], off
	s_waitcnt vmcnt(0)
	v_cmp_lt_i32_e32 vcc_lo, -1, v13
	v_cndmask_b32_e64 v2, -1, 0x80000000, vcc_lo
	v_cmp_o_f32_e32 vcc_lo, v13, v13
	s_delay_alu instid0(VALU_DEP_2) | instskip(NEXT) | instid1(VALU_DEP_1)
	v_xor_b32_e32 v2, v2, v13
	v_cndmask_b32_e32 v14, -1, v2, vcc_lo
	s_delay_alu instid0(VALU_DEP_1) | instskip(SKIP_4) | instid1(VALU_DEP_2)
	v_cmp_lt_u32_e32 vcc_lo, s15, v14
	v_cndmask_b32_e64 v2, 0, 1, vcc_lo
	v_cmp_gt_u32_e32 vcc_lo, s15, v14
	v_cndmask_b32_e64 v15, 0, 1, vcc_lo
	v_cmp_eq_u32_e32 vcc_lo, s15, v14
	v_cndmask_b32_e64 v2, v15, v2, s1
	v_cndmask_b32_e64 v14, 0, 1, vcc_lo
	s_delay_alu instid0(VALU_DEP_2)
	v_and_b32_e32 v2, 1, v2
.LBB90_32:                              ;   in Loop: Header=BB90_30 Depth=1
	s_or_b32 exec_lo, exec_lo, s17
	ds_store_b32 v7, v2
	s_waitcnt lgkmcnt(0)
	s_waitcnt_vscnt null, 0x0
	s_barrier
	buffer_gl0_inv
	s_and_saveexec_b32 s17, s0
	s_cbranch_execz .LBB90_34
; %bb.33:                               ;   in Loop: Header=BB90_30 Depth=1
	ds_load_2addr_b32 v[15:16], v0 offset1:1
	ds_load_2addr_b32 v[17:18], v0 offset0:2 offset1:3
	ds_load_2addr_b32 v[19:20], v0 offset0:4 offset1:5
	;; [unrolled: 1-line block ×3, first 2 shown]
	v_cmp_ne_u32_e32 vcc_lo, 0, v10
	; wave barrier
	s_waitcnt lgkmcnt(3)
	v_add_nc_u32_e32 v16, v16, v15
	s_waitcnt lgkmcnt(2)
	s_delay_alu instid0(VALU_DEP_1) | instskip(SKIP_1) | instid1(VALU_DEP_1)
	v_add3_u32 v16, v16, v17, v18
	s_waitcnt lgkmcnt(1)
	v_add3_u32 v16, v16, v19, v20
	s_waitcnt lgkmcnt(0)
	s_delay_alu instid0(VALU_DEP_1) | instskip(NEXT) | instid1(VALU_DEP_1)
	v_add3_u32 v16, v16, v21, v22
	v_mov_b32_dpp v17, v16 row_shr:1 row_mask:0xf bank_mask:0xf
	s_delay_alu instid0(VALU_DEP_1) | instskip(SKIP_1) | instid1(VALU_DEP_2)
	v_cndmask_b32_e32 v17, 0, v17, vcc_lo
	v_cmp_lt_u32_e32 vcc_lo, 1, v10
	v_add_nc_u32_e32 v16, v17, v16
	s_delay_alu instid0(VALU_DEP_1) | instskip(NEXT) | instid1(VALU_DEP_1)
	v_mov_b32_dpp v17, v16 row_shr:2 row_mask:0xf bank_mask:0xf
	v_cndmask_b32_e32 v17, 0, v17, vcc_lo
	v_cmp_lt_u32_e32 vcc_lo, 3, v10
	s_delay_alu instid0(VALU_DEP_2) | instskip(NEXT) | instid1(VALU_DEP_1)
	v_add_nc_u32_e32 v16, v16, v17
	v_mov_b32_dpp v17, v16 row_shr:4 row_mask:0xf bank_mask:0xf
	s_delay_alu instid0(VALU_DEP_1) | instskip(SKIP_1) | instid1(VALU_DEP_2)
	v_cndmask_b32_e32 v17, 0, v17, vcc_lo
	v_cmp_lt_u32_e32 vcc_lo, 7, v10
	v_add_nc_u32_e32 v16, v16, v17
	s_delay_alu instid0(VALU_DEP_1) | instskip(NEXT) | instid1(VALU_DEP_1)
	v_mov_b32_dpp v17, v16 row_shr:8 row_mask:0xf bank_mask:0xf
	v_cndmask_b32_e32 v17, 0, v17, vcc_lo
	v_cmp_gt_i32_e32 vcc_lo, 0, v12
	v_cndmask_b32_e32 v18, v12, v8, vcc_lo
	s_delay_alu instid0(VALU_DEP_1) | instskip(NEXT) | instid1(VALU_DEP_4)
	v_lshlrev_b32_e32 v18, 2, v18
	v_add_nc_u32_e32 v16, v16, v17
	ds_swizzle_b32 v17, v16 offset:swizzle(BROADCAST,32,15)
	s_waitcnt lgkmcnt(0)
	v_and_b32_e32 v17, v11, v17
	s_delay_alu instid0(VALU_DEP_1) | instskip(SKIP_3) | instid1(VALU_DEP_1)
	v_add_nc_u32_e32 v16, v16, v17
	ds_bpermute_b32 v16, v18, v16
	s_waitcnt lgkmcnt(0)
	v_add_nc_u32_e32 v15, v16, v15
	v_cndmask_b32_e64 v21, v15, v2, s3
	ds_store_b32 v0, v21
	; wave barrier
	ds_load_2addr_b32 v[15:16], v0 offset0:1 offset1:2
	ds_load_2addr_b32 v[17:18], v0 offset0:3 offset1:4
	;; [unrolled: 1-line block ×3, first 2 shown]
	ds_load_b32 v22, v0 offset:28
	s_waitcnt lgkmcnt(3)
	v_add_nc_u32_e32 v15, v15, v21
	s_delay_alu instid0(VALU_DEP_1) | instskip(SKIP_1) | instid1(VALU_DEP_1)
	v_add_nc_u32_e32 v16, v16, v15
	s_waitcnt lgkmcnt(2)
	v_add_nc_u32_e32 v17, v17, v16
	s_delay_alu instid0(VALU_DEP_1) | instskip(SKIP_1) | instid1(VALU_DEP_1)
	v_add_nc_u32_e32 v18, v18, v17
	s_waitcnt lgkmcnt(1)
	v_add_nc_u32_e32 v19, v19, v18
	s_delay_alu instid0(VALU_DEP_1) | instskip(SKIP_1) | instid1(VALU_DEP_1)
	v_add_nc_u32_e32 v20, v20, v19
	s_waitcnt lgkmcnt(0)
	v_add_nc_u32_e32 v21, v22, v20
	ds_store_2addr_b32 v0, v15, v16 offset0:1 offset1:2
	ds_store_2addr_b32 v0, v17, v18 offset0:3 offset1:4
	;; [unrolled: 1-line block ×3, first 2 shown]
	ds_store_b32 v0, v21 offset:28
.LBB90_34:                              ;   in Loop: Header=BB90_30 Depth=1
	s_or_b32 exec_lo, exec_lo, s17
	v_mov_b32_e32 v16, 0
	s_waitcnt lgkmcnt(0)
	s_barrier
	buffer_gl0_inv
	s_and_saveexec_b32 s17, s2
	s_cbranch_execz .LBB90_36
; %bb.35:                               ;   in Loop: Header=BB90_30 Depth=1
	ds_load_b32 v16, v9
.LBB90_36:                              ;   in Loop: Header=BB90_30 Depth=1
	s_or_b32 exec_lo, exec_lo, s17
	ds_load_b32 v15, v5 offset:1048
	s_mov_b32 s17, exec_lo
	s_waitcnt lgkmcnt(0)
	s_barrier
	buffer_gl0_inv
	v_cmpx_ne_u32_e32 0, v2
	s_cbranch_execz .LBB90_38
; %bb.37:                               ;   in Loop: Header=BB90_30 Depth=1
	v_dual_mov_b32 v17, v5 :: v_dual_add_nc_u32 v2, v16, v3
	v_mov_b32_e32 v19, v5
	s_delay_alu instid0(VALU_DEP_2) | instskip(SKIP_2) | instid1(VALU_DEP_3)
	v_mul_lo_u32 v16, v2, s10
	v_mul_lo_u32 v18, v2, s4
	v_mov_b32_e32 v2, v5
	v_lshlrev_b64 v[16:17], 2, v[16:17]
	s_delay_alu instid0(VALU_DEP_3) | instskip(NEXT) | instid1(VALU_DEP_2)
	v_lshlrev_b64 v[18:19], 3, v[18:19]
	v_add_co_u32 v16, vcc_lo, s12, v16
	s_delay_alu instid0(VALU_DEP_3) | instskip(NEXT) | instid1(VALU_DEP_3)
	v_add_co_ci_u32_e32 v17, vcc_lo, s7, v17, vcc_lo
	v_add_co_u32 v18, vcc_lo, s13, v18
	s_delay_alu instid0(VALU_DEP_4)
	v_add_co_ci_u32_e32 v19, vcc_lo, s14, v19, vcc_lo
	global_store_b32 v[16:17], v13, off
	global_store_b64 v[18:19], v[1:2], off
.LBB90_38:                              ;   in Loop: Header=BB90_30 Depth=1
	s_or_b32 exec_lo, exec_lo, s17
	v_cmp_le_u32_e32 vcc_lo, s9, v6
	s_cbranch_vccnz .LBB90_29
; %bb.39:                               ;   in Loop: Header=BB90_30 Depth=1
	ds_store_b32 v7, v14
	s_waitcnt lgkmcnt(0)
	s_waitcnt_vscnt null, 0x0
	s_barrier
	buffer_gl0_inv
	s_and_saveexec_b32 s17, s0
	s_cbranch_execz .LBB90_41
; %bb.40:                               ;   in Loop: Header=BB90_30 Depth=1
	ds_load_2addr_b32 v[16:17], v0 offset1:1
	ds_load_2addr_b32 v[18:19], v0 offset0:2 offset1:3
	ds_load_2addr_b32 v[20:21], v0 offset0:4 offset1:5
	ds_load_2addr_b32 v[22:23], v0 offset0:6 offset1:7
	v_cmp_ne_u32_e32 vcc_lo, 0, v10
	; wave barrier
	s_waitcnt lgkmcnt(3)
	v_add_nc_u32_e32 v2, v17, v16
	s_waitcnt lgkmcnt(2)
	s_delay_alu instid0(VALU_DEP_1) | instskip(SKIP_1) | instid1(VALU_DEP_1)
	v_add3_u32 v2, v2, v18, v19
	s_waitcnt lgkmcnt(1)
	v_add3_u32 v2, v2, v20, v21
	s_waitcnt lgkmcnt(0)
	s_delay_alu instid0(VALU_DEP_1) | instskip(NEXT) | instid1(VALU_DEP_1)
	v_add3_u32 v2, v2, v22, v23
	v_mov_b32_dpp v17, v2 row_shr:1 row_mask:0xf bank_mask:0xf
	s_delay_alu instid0(VALU_DEP_1) | instskip(SKIP_1) | instid1(VALU_DEP_2)
	v_cndmask_b32_e32 v17, 0, v17, vcc_lo
	v_cmp_lt_u32_e32 vcc_lo, 1, v10
	v_add_nc_u32_e32 v2, v17, v2
	s_delay_alu instid0(VALU_DEP_1) | instskip(NEXT) | instid1(VALU_DEP_1)
	v_mov_b32_dpp v17, v2 row_shr:2 row_mask:0xf bank_mask:0xf
	v_cndmask_b32_e32 v17, 0, v17, vcc_lo
	v_cmp_lt_u32_e32 vcc_lo, 3, v10
	s_delay_alu instid0(VALU_DEP_2) | instskip(NEXT) | instid1(VALU_DEP_1)
	v_add_nc_u32_e32 v2, v2, v17
	v_mov_b32_dpp v17, v2 row_shr:4 row_mask:0xf bank_mask:0xf
	s_delay_alu instid0(VALU_DEP_1) | instskip(SKIP_1) | instid1(VALU_DEP_2)
	v_cndmask_b32_e32 v17, 0, v17, vcc_lo
	v_cmp_lt_u32_e32 vcc_lo, 7, v10
	v_add_nc_u32_e32 v2, v2, v17
	s_delay_alu instid0(VALU_DEP_1) | instskip(NEXT) | instid1(VALU_DEP_1)
	v_mov_b32_dpp v17, v2 row_shr:8 row_mask:0xf bank_mask:0xf
	v_cndmask_b32_e32 v17, 0, v17, vcc_lo
	v_cmp_gt_i32_e32 vcc_lo, 0, v12
	v_cndmask_b32_e32 v18, v12, v8, vcc_lo
	s_delay_alu instid0(VALU_DEP_1) | instskip(NEXT) | instid1(VALU_DEP_4)
	v_lshlrev_b32_e32 v18, 2, v18
	v_add_nc_u32_e32 v2, v2, v17
	ds_swizzle_b32 v17, v2 offset:swizzle(BROADCAST,32,15)
	s_waitcnt lgkmcnt(0)
	v_and_b32_e32 v17, v11, v17
	s_delay_alu instid0(VALU_DEP_1) | instskip(SKIP_3) | instid1(VALU_DEP_1)
	v_add_nc_u32_e32 v2, v2, v17
	ds_bpermute_b32 v2, v18, v2
	s_waitcnt lgkmcnt(0)
	v_add_nc_u32_e32 v2, v2, v16
	v_cndmask_b32_e64 v2, v2, v14, s3
	ds_store_b32 v0, v2
	; wave barrier
	ds_load_2addr_b32 v[16:17], v0 offset0:1 offset1:2
	ds_load_2addr_b32 v[18:19], v0 offset0:3 offset1:4
	;; [unrolled: 1-line block ×3, first 2 shown]
	ds_load_b32 v22, v0 offset:28
	s_waitcnt lgkmcnt(3)
	v_add_nc_u32_e32 v2, v16, v2
	s_delay_alu instid0(VALU_DEP_1) | instskip(SKIP_1) | instid1(VALU_DEP_1)
	v_add_nc_u32_e32 v16, v17, v2
	s_waitcnt lgkmcnt(2)
	v_add_nc_u32_e32 v17, v18, v16
	s_delay_alu instid0(VALU_DEP_1) | instskip(SKIP_1) | instid1(VALU_DEP_1)
	v_add_nc_u32_e32 v18, v19, v17
	;; [unrolled: 4-line block ×3, first 2 shown]
	s_waitcnt lgkmcnt(0)
	v_add_nc_u32_e32 v21, v22, v20
	ds_store_2addr_b32 v0, v2, v16 offset0:1 offset1:2
	ds_store_2addr_b32 v0, v17, v18 offset0:3 offset1:4
	;; [unrolled: 1-line block ×3, first 2 shown]
	ds_store_b32 v0, v21 offset:28
.LBB90_41:                              ;   in Loop: Header=BB90_30 Depth=1
	s_or_b32 exec_lo, exec_lo, s17
	v_mov_b32_e32 v2, 0
	s_waitcnt lgkmcnt(0)
	s_barrier
	buffer_gl0_inv
	s_and_saveexec_b32 s17, s2
	s_cbranch_execz .LBB90_43
; %bb.42:                               ;   in Loop: Header=BB90_30 Depth=1
	ds_load_b32 v2, v9
.LBB90_43:                              ;   in Loop: Header=BB90_30 Depth=1
	s_or_b32 exec_lo, exec_lo, s17
	ds_load_b32 v16, v5 offset:1048
	s_mov_b32 s17, exec_lo
	s_waitcnt lgkmcnt(0)
	s_barrier
	buffer_gl0_inv
	v_cmpx_ne_u32_e32 0, v14
	s_cbranch_execz .LBB90_28
; %bb.44:                               ;   in Loop: Header=BB90_30 Depth=1
	v_add_nc_u32_e32 v2, v2, v6
	s_delay_alu instid0(VALU_DEP_1)
	v_cmp_gt_u32_e32 vcc_lo, s9, v2
	s_and_b32 exec_lo, exec_lo, vcc_lo
	s_cbranch_execz .LBB90_28
; %bb.45:                               ;   in Loop: Header=BB90_30 Depth=1
	v_mul_lo_u32 v17, v2, s10
	v_mov_b32_e32 v18, v5
	v_mul_lo_u32 v19, v2, s4
	v_mov_b32_e32 v20, v5
	v_mov_b32_e32 v2, v5
	s_delay_alu instid0(VALU_DEP_4) | instskip(NEXT) | instid1(VALU_DEP_3)
	v_lshlrev_b64 v[17:18], 2, v[17:18]
	v_lshlrev_b64 v[19:20], 3, v[19:20]
	s_delay_alu instid0(VALU_DEP_2) | instskip(NEXT) | instid1(VALU_DEP_3)
	v_add_co_u32 v17, vcc_lo, s12, v17
	v_add_co_ci_u32_e32 v18, vcc_lo, s7, v18, vcc_lo
	s_delay_alu instid0(VALU_DEP_3) | instskip(NEXT) | instid1(VALU_DEP_4)
	v_add_co_u32 v19, vcc_lo, s13, v19
	v_add_co_ci_u32_e32 v20, vcc_lo, s14, v20, vcc_lo
	global_store_b32 v[17:18], v13, off
	global_store_b64 v[19:20], v[1:2], off
	s_branch .LBB90_28
	.p2align	6
.LBB90_46:                              ;   in Loop: Header=BB90_47 Depth=1
	s_add_u32 s12, s12, 4
	s_addc_u32 s13, s13, 0
	s_waitcnt lgkmcnt(0)
	s_add_i32 s39, s9, s39
	s_add_u32 s14, s14, 4
	s_addc_u32 s15, s15, 0
	s_add_i32 s8, s8, 1
	s_delay_alu instid0(SALU_CYCLE_1)
	s_cmp_lt_u32 s8, s6
	s_cbranch_scc0 .LBB90_25
.LBB90_47:                              ; =>This Inner Loop Header: Depth=1
	s_load_b32 s9, s[12:13], 0x0
	s_cmp_ge_u32 s8, s7
	s_cbranch_scc1 .LBB90_46
; %bb.48:                               ;   in Loop: Header=BB90_47 Depth=1
	s_load_b32 s10, s[14:15], 0x0
	s_waitcnt lgkmcnt(0)
	s_add_i32 s19, s9, s19
	s_add_i32 s38, s10, s38
	s_branch .LBB90_46
.LBB90_49:
	s_nop 0
	s_sendmsg sendmsg(MSG_DEALLOC_VGPRS)
	s_endpgm
	.section	.rodata,"a",@progbits
	.p2align	6, 0x0
	.amdhsa_kernel _ZN2at6native6mbtopk10gatherTopKIfjLin1EEEvNS_4cuda6detail10TensorInfoIKT_T0_EES8_S8_bjS8_NS5_IS6_S8_EES8_NS5_IlS8_EES8_jjPS6_PjSD_j
		.amdhsa_group_segment_fixed_size 1068
		.amdhsa_private_segment_fixed_size 0
		.amdhsa_kernarg_size 984
		.amdhsa_user_sgpr_count 13
		.amdhsa_user_sgpr_dispatch_ptr 0
		.amdhsa_user_sgpr_queue_ptr 0
		.amdhsa_user_sgpr_kernarg_segment_ptr 1
		.amdhsa_user_sgpr_dispatch_id 0
		.amdhsa_user_sgpr_private_segment_size 0
		.amdhsa_wavefront_size32 1
		.amdhsa_uses_dynamic_stack 0
		.amdhsa_enable_private_segment 0
		.amdhsa_system_sgpr_workgroup_id_x 1
		.amdhsa_system_sgpr_workgroup_id_y 1
		.amdhsa_system_sgpr_workgroup_id_z 1
		.amdhsa_system_sgpr_workgroup_info 0
		.amdhsa_system_vgpr_workitem_id 0
		.amdhsa_next_free_vgpr 24
		.amdhsa_next_free_sgpr 43
		.amdhsa_reserve_vcc 1
		.amdhsa_float_round_mode_32 0
		.amdhsa_float_round_mode_16_64 0
		.amdhsa_float_denorm_mode_32 3
		.amdhsa_float_denorm_mode_16_64 3
		.amdhsa_dx10_clamp 1
		.amdhsa_ieee_mode 1
		.amdhsa_fp16_overflow 0
		.amdhsa_workgroup_processor_mode 1
		.amdhsa_memory_ordered 1
		.amdhsa_forward_progress 0
		.amdhsa_shared_vgpr_count 0
		.amdhsa_exception_fp_ieee_invalid_op 0
		.amdhsa_exception_fp_denorm_src 0
		.amdhsa_exception_fp_ieee_div_zero 0
		.amdhsa_exception_fp_ieee_overflow 0
		.amdhsa_exception_fp_ieee_underflow 0
		.amdhsa_exception_fp_ieee_inexact 0
		.amdhsa_exception_int_div_zero 0
	.end_amdhsa_kernel
	.section	.text._ZN2at6native6mbtopk10gatherTopKIfjLin1EEEvNS_4cuda6detail10TensorInfoIKT_T0_EES8_S8_bjS8_NS5_IS6_S8_EES8_NS5_IlS8_EES8_jjPS6_PjSD_j,"axG",@progbits,_ZN2at6native6mbtopk10gatherTopKIfjLin1EEEvNS_4cuda6detail10TensorInfoIKT_T0_EES8_S8_bjS8_NS5_IS6_S8_EES8_NS5_IlS8_EES8_jjPS6_PjSD_j,comdat
.Lfunc_end90:
	.size	_ZN2at6native6mbtopk10gatherTopKIfjLin1EEEvNS_4cuda6detail10TensorInfoIKT_T0_EES8_S8_bjS8_NS5_IS6_S8_EES8_NS5_IlS8_EES8_jjPS6_PjSD_j, .Lfunc_end90-_ZN2at6native6mbtopk10gatherTopKIfjLin1EEEvNS_4cuda6detail10TensorInfoIKT_T0_EES8_S8_bjS8_NS5_IS6_S8_EES8_NS5_IlS8_EES8_jjPS6_PjSD_j
                                        ; -- End function
	.section	.AMDGPU.csdata,"",@progbits
; Kernel info:
; codeLenInByte = 3332
; NumSgprs: 45
; NumVgprs: 24
; ScratchSize: 0
; MemoryBound: 0
; FloatMode: 240
; IeeeMode: 1
; LDSByteSize: 1068 bytes/workgroup (compile time only)
; SGPRBlocks: 5
; VGPRBlocks: 2
; NumSGPRsForWavesPerEU: 45
; NumVGPRsForWavesPerEU: 24
; Occupancy: 16
; WaveLimiterHint : 1
; COMPUTE_PGM_RSRC2:SCRATCH_EN: 0
; COMPUTE_PGM_RSRC2:USER_SGPR: 13
; COMPUTE_PGM_RSRC2:TRAP_HANDLER: 0
; COMPUTE_PGM_RSRC2:TGID_X_EN: 1
; COMPUTE_PGM_RSRC2:TGID_Y_EN: 1
; COMPUTE_PGM_RSRC2:TGID_Z_EN: 1
; COMPUTE_PGM_RSRC2:TIDIG_COMP_CNT: 0
	.section	.text._ZN2at6native6sbtopk10gatherTopKIfjLin1ELb0EEEvNS_4cuda6detail10TensorInfoIKT_T0_EES8_S8_bS8_S8_NS5_IS6_S8_EES8_NS5_IlS8_EES8_PS6_,"axG",@progbits,_ZN2at6native6sbtopk10gatherTopKIfjLin1ELb0EEEvNS_4cuda6detail10TensorInfoIKT_T0_EES8_S8_bS8_S8_NS5_IS6_S8_EES8_NS5_IlS8_EES8_PS6_,comdat
	.protected	_ZN2at6native6sbtopk10gatherTopKIfjLin1ELb0EEEvNS_4cuda6detail10TensorInfoIKT_T0_EES8_S8_bS8_S8_NS5_IS6_S8_EES8_NS5_IlS8_EES8_PS6_ ; -- Begin function _ZN2at6native6sbtopk10gatherTopKIfjLin1ELb0EEEvNS_4cuda6detail10TensorInfoIKT_T0_EES8_S8_bS8_S8_NS5_IS6_S8_EES8_NS5_IlS8_EES8_PS6_
	.globl	_ZN2at6native6sbtopk10gatherTopKIfjLin1ELb0EEEvNS_4cuda6detail10TensorInfoIKT_T0_EES8_S8_bS8_S8_NS5_IS6_S8_EES8_NS5_IlS8_EES8_PS6_
	.p2align	8
	.type	_ZN2at6native6sbtopk10gatherTopKIfjLin1ELb0EEEvNS_4cuda6detail10TensorInfoIKT_T0_EES8_S8_bS8_S8_NS5_IS6_S8_EES8_NS5_IlS8_EES8_PS6_,@function
_ZN2at6native6sbtopk10gatherTopKIfjLin1ELb0EEEvNS_4cuda6detail10TensorInfoIKT_T0_EES8_S8_bS8_S8_NS5_IS6_S8_EES8_NS5_IlS8_EES8_PS6_: ; @_ZN2at6native6sbtopk10gatherTopKIfjLin1ELb0EEEvNS_4cuda6detail10TensorInfoIKT_T0_EES8_S8_bS8_S8_NS5_IS6_S8_EES8_NS5_IlS8_EES8_PS6_
; %bb.0:
	s_clause 0x1
	s_load_b64 s[4:5], s[0:1], 0x2b8
	s_load_b128 s[36:39], s[0:1], 0xd8
	s_add_u32 s6, s0, 0x2b8
	s_addc_u32 s7, s1, 0
	s_waitcnt lgkmcnt(0)
	s_mul_i32 s2, s5, s15
	s_delay_alu instid0(SALU_CYCLE_1) | instskip(NEXT) | instid1(SALU_CYCLE_1)
	s_add_i32 s2, s2, s14
	s_mul_i32 s2, s2, s4
	s_delay_alu instid0(SALU_CYCLE_1) | instskip(NEXT) | instid1(SALU_CYCLE_1)
	s_add_i32 s48, s2, s13
	s_cmp_ge_u32 s48, s39
	s_cbranch_scc1 .LBB91_477
; %bb.1:
	s_clause 0x1
	s_load_b32 s5, s[0:1], 0xd0
	s_load_b32 s30, s[0:1], 0xe8
	s_mov_b32 s3, 0
	s_mov_b32 s2, s48
	s_waitcnt lgkmcnt(0)
	s_cmp_lt_i32 s5, 2
	s_cbranch_scc1 .LBB91_4
; %bb.2:
	s_add_i32 s2, s5, -1
	s_add_i32 s5, s5, 1
	s_lshl_b64 s[8:9], s[2:3], 2
	s_delay_alu instid0(SALU_CYCLE_1)
	s_add_u32 s2, s8, s0
	s_addc_u32 s9, s9, s1
	s_add_u32 s8, s2, 8
	s_addc_u32 s9, s9, 0
	s_mov_b32 s2, s48
	s_set_inst_prefetch_distance 0x1
	.p2align	6
.LBB91_3:                               ; =>This Inner Loop Header: Depth=1
	s_clause 0x1
	s_load_b32 s10, s[8:9], 0x0
	s_load_b32 s11, s[8:9], 0x64
	s_mov_b32 s15, s2
	s_waitcnt lgkmcnt(0)
	v_cvt_f32_u32_e32 v1, s10
	s_sub_i32 s14, 0, s10
	s_waitcnt_depctr 0xfff
	v_rcp_iflag_f32_e32 v1, v1
	s_waitcnt_depctr 0xfff
	v_mul_f32_e32 v1, 0x4f7ffffe, v1
	s_delay_alu instid0(VALU_DEP_1) | instskip(NEXT) | instid1(VALU_DEP_1)
	v_cvt_u32_f32_e32 v1, v1
	v_readfirstlane_b32 s12, v1
	s_delay_alu instid0(VALU_DEP_1) | instskip(NEXT) | instid1(SALU_CYCLE_1)
	s_mul_i32 s14, s14, s12
	s_mul_hi_u32 s14, s12, s14
	s_delay_alu instid0(SALU_CYCLE_1) | instskip(NEXT) | instid1(SALU_CYCLE_1)
	s_add_i32 s12, s12, s14
	s_mul_hi_u32 s2, s2, s12
	s_delay_alu instid0(SALU_CYCLE_1) | instskip(SKIP_2) | instid1(SALU_CYCLE_1)
	s_mul_i32 s12, s2, s10
	s_add_i32 s14, s2, 1
	s_sub_i32 s12, s15, s12
	s_sub_i32 s16, s12, s10
	s_cmp_ge_u32 s12, s10
	s_cselect_b32 s2, s14, s2
	s_cselect_b32 s12, s16, s12
	s_add_i32 s14, s2, 1
	s_cmp_ge_u32 s12, s10
	s_cselect_b32 s2, s14, s2
	s_add_i32 s5, s5, -1
	s_mul_i32 s10, s2, s10
	s_delay_alu instid0(SALU_CYCLE_1) | instskip(NEXT) | instid1(SALU_CYCLE_1)
	s_sub_i32 s10, s15, s10
	s_mul_i32 s10, s11, s10
	s_delay_alu instid0(SALU_CYCLE_1)
	s_add_i32 s3, s10, s3
	s_add_u32 s8, s8, -4
	s_addc_u32 s9, s9, -1
	s_cmp_gt_u32 s5, 2
	s_cbranch_scc1 .LBB91_3
.LBB91_4:
	s_set_inst_prefetch_distance 0x2
	s_load_b32 s5, s[0:1], 0x1c0
	s_add_u32 s8, s0, 0xf0
	s_addc_u32 s9, s1, 0
	s_mov_b32 s35, 0
	s_mov_b32 s49, s48
	s_waitcnt lgkmcnt(0)
	s_cmp_lt_i32 s5, 2
	s_cbranch_scc1 .LBB91_7
; %bb.5:
	s_add_i32 s34, s5, -1
	s_add_i32 s5, s5, 1
	s_lshl_b64 s[10:11], s[34:35], 2
	s_mov_b32 s49, s48
	s_add_u32 s10, s10, s8
	s_addc_u32 s11, s11, s9
	s_add_u32 s10, s10, 8
	s_addc_u32 s11, s11, 0
	s_set_inst_prefetch_distance 0x1
	.p2align	6
.LBB91_6:                               ; =>This Inner Loop Header: Depth=1
	s_clause 0x1
	s_load_b32 s12, s[10:11], 0x0
	s_load_b32 s14, s[10:11], 0x64
	s_mov_b32 s17, s49
	s_waitcnt lgkmcnt(0)
	v_cvt_f32_u32_e32 v1, s12
	s_sub_i32 s16, 0, s12
	s_waitcnt_depctr 0xfff
	v_rcp_iflag_f32_e32 v1, v1
	s_waitcnt_depctr 0xfff
	v_mul_f32_e32 v1, 0x4f7ffffe, v1
	s_delay_alu instid0(VALU_DEP_1) | instskip(NEXT) | instid1(VALU_DEP_1)
	v_cvt_u32_f32_e32 v1, v1
	v_readfirstlane_b32 s15, v1
	s_delay_alu instid0(VALU_DEP_1) | instskip(NEXT) | instid1(SALU_CYCLE_1)
	s_mul_i32 s16, s16, s15
	s_mul_hi_u32 s16, s15, s16
	s_delay_alu instid0(SALU_CYCLE_1) | instskip(NEXT) | instid1(SALU_CYCLE_1)
	s_add_i32 s15, s15, s16
	s_mul_hi_u32 s15, s49, s15
	s_delay_alu instid0(SALU_CYCLE_1) | instskip(SKIP_2) | instid1(SALU_CYCLE_1)
	s_mul_i32 s16, s15, s12
	s_add_i32 s18, s15, 1
	s_sub_i32 s16, s49, s16
	s_sub_i32 s19, s16, s12
	s_cmp_ge_u32 s16, s12
	s_cselect_b32 s15, s18, s15
	s_cselect_b32 s16, s19, s16
	s_add_i32 s18, s15, 1
	s_cmp_ge_u32 s16, s12
	s_cselect_b32 s49, s18, s15
	s_add_i32 s5, s5, -1
	s_mul_i32 s12, s49, s12
	s_delay_alu instid0(SALU_CYCLE_1) | instskip(NEXT) | instid1(SALU_CYCLE_1)
	s_sub_i32 s12, s17, s12
	s_mul_i32 s12, s14, s12
	s_delay_alu instid0(SALU_CYCLE_1)
	s_add_i32 s35, s12, s35
	s_add_u32 s10, s10, -4
	s_addc_u32 s11, s11, -1
	s_cmp_gt_u32 s5, 2
	s_cbranch_scc1 .LBB91_6
.LBB91_7:
	s_set_inst_prefetch_distance 0x2
	s_clause 0x1
	s_load_b32 s12, s[0:1], 0x6c
	s_load_b32 s5, s[0:1], 0x2a0
	s_add_u32 s10, s0, 0x1d0
	s_addc_u32 s11, s1, 0
	s_mov_b32 s41, 0
	s_waitcnt lgkmcnt(0)
	s_cmp_lt_i32 s5, 2
	s_cbranch_scc1 .LBB91_10
; %bb.8:
	s_add_i32 s40, s5, -1
	s_add_i32 s5, s5, 1
	s_lshl_b64 s[14:15], s[40:41], 2
	s_delay_alu instid0(SALU_CYCLE_1)
	s_add_u32 s10, s14, s10
	s_addc_u32 s11, s15, s11
	s_add_u32 s10, s10, 8
	s_addc_u32 s11, s11, 0
	s_set_inst_prefetch_distance 0x1
	.p2align	6
.LBB91_9:                               ; =>This Inner Loop Header: Depth=1
	s_clause 0x1
	s_load_b32 s14, s[10:11], 0x0
	s_load_b32 s15, s[10:11], 0x64
	s_mov_b32 s18, s48
	s_waitcnt lgkmcnt(0)
	v_cvt_f32_u32_e32 v1, s14
	s_sub_i32 s17, 0, s14
	s_waitcnt_depctr 0xfff
	v_rcp_iflag_f32_e32 v1, v1
	s_waitcnt_depctr 0xfff
	v_mul_f32_e32 v1, 0x4f7ffffe, v1
	s_delay_alu instid0(VALU_DEP_1) | instskip(NEXT) | instid1(VALU_DEP_1)
	v_cvt_u32_f32_e32 v1, v1
	v_readfirstlane_b32 s16, v1
	s_delay_alu instid0(VALU_DEP_1) | instskip(NEXT) | instid1(SALU_CYCLE_1)
	s_mul_i32 s17, s17, s16
	s_mul_hi_u32 s17, s16, s17
	s_delay_alu instid0(SALU_CYCLE_1) | instskip(NEXT) | instid1(SALU_CYCLE_1)
	s_add_i32 s16, s16, s17
	s_mul_hi_u32 s16, s48, s16
	s_delay_alu instid0(SALU_CYCLE_1) | instskip(SKIP_2) | instid1(SALU_CYCLE_1)
	s_mul_i32 s17, s16, s14
	s_add_i32 s19, s16, 1
	s_sub_i32 s17, s48, s17
	s_sub_i32 s20, s17, s14
	s_cmp_ge_u32 s17, s14
	s_cselect_b32 s16, s19, s16
	s_cselect_b32 s17, s20, s17
	s_add_i32 s19, s16, 1
	s_cmp_ge_u32 s17, s14
	s_cselect_b32 s48, s19, s16
	s_add_i32 s5, s5, -1
	s_mul_i32 s14, s48, s14
	s_delay_alu instid0(SALU_CYCLE_1) | instskip(NEXT) | instid1(SALU_CYCLE_1)
	s_sub_i32 s14, s18, s14
	s_mul_i32 s14, s15, s14
	s_delay_alu instid0(SALU_CYCLE_1)
	s_add_i32 s41, s14, s41
	s_add_u32 s10, s10, -4
	s_addc_u32 s11, s11, -1
	s_cmp_gt_u32 s5, 2
	s_cbranch_scc1 .LBB91_9
.LBB91_10:
	s_set_inst_prefetch_distance 0x2
	s_clause 0x3
	s_load_b32 s50, s[8:9], 0x6c
	s_load_b64 s[8:9], s[0:1], 0x0
	s_load_b64 s[44:45], s[0:1], 0xf0
	;; [unrolled: 1-line block ×3, first 2 shown]
	v_cmp_eq_u32_e64 s5, 0, v0
	s_mov_b32 s47, 0
	s_delay_alu instid0(VALU_DEP_1)
	s_and_saveexec_b32 s10, s5
	s_cbranch_execz .LBB91_12
; %bb.11:
	v_dual_mov_b32 v1, 0 :: v_dual_mov_b32 v2, s36
	s_delay_alu instid0(VALU_DEP_1)
	v_mov_b32_e32 v3, v1
	ds_store_b96 v1, v[1:3] offset:4096
.LBB91_12:
	s_or_b32 exec_lo, exec_lo, s10
	s_waitcnt lgkmcnt(0)
	s_barrier
	buffer_gl0_inv
	s_load_b32 s14, s[6:7], 0xc
	s_mul_i32 s2, s12, s2
	v_mbcnt_lo_u32_b32 v17, -1, 0
	s_add_i32 s46, s2, s3
	v_cmp_gt_u32_e32 vcc_lo, 32, v0
	s_lshl_b64 s[10:11], s[46:47], 2
	v_mul_lo_u32 v7, v0, s30
	s_add_u32 s31, s8, s10
	s_addc_u32 s33, s9, s11
	s_bitcmp1_b32 s38, 0
	v_cmp_gt_i32_e64 s2, 4, v17
	s_cselect_b32 s3, -1, 0
	s_load_b32 s46, s[0:1], 0x23c
	s_xor_b32 s52, s3, -1
	v_dual_mov_b32 v15, 0 :: v_dual_lshlrev_b32 v24, 2, v7
	s_and_b32 s51, vcc_lo, s2
	v_dual_mov_b32 v29, 0 :: v_dual_lshlrev_b32 v26, 4, v0
	v_lshl_or_b32 v27, v17, 2, 0xc00
	s_waitcnt lgkmcnt(0)
	s_and_b32 s34, s14, 0xffff
	s_bfe_u32 s2, s14, 0xb0005
	s_lshl_b32 s53, s34, 2
	s_cmpk_gt_u32 s36, 0x300
	v_cvt_f32_u32_e32 v1, s53
	s_cselect_b32 s54, -1, 0
	s_cmp_gt_u32 s34, 31
	v_cvt_f32_u32_e32 v2, s34
	s_cselect_b32 s55, -1, 0
	v_rcp_iflag_f32_e32 v1, v1
	s_add_i32 s56, s34, -1
	v_lshlrev_b32_e32 v18, 2, v0
	s_add_i32 s9, s56, s36
	s_cmp_lt_u32 s13, s4
	v_rcp_iflag_f32_e32 v2, v2
	s_cselect_b32 s4, 12, 18
	v_mov_b32_e32 v9, 0
	s_add_u32 s38, s6, s4
	s_addc_u32 s39, s7, 0
	s_waitcnt_depctr 0xfff
	v_mul_f32_e32 v1, 0x4f7ffffe, v1
	s_add_i32 s4, s2, -1
	s_bfe_u32 s57, s34, 0x30005
	s_cmp_gt_u32 s4, 6
	v_mad_u64_u32 v[12:13], null, s30, v18, s[30:31]
	v_mul_f32_e32 v2, 0x4f7ffffe, v2
	v_cvt_u32_f32_e32 v1, v1
	s_cselect_b32 s58, -1, 0
	s_and_b32 s59, s2, 0x7f8
	s_cmp_lg_u32 s57, 0
	v_cvt_u32_f32_e32 v2, v2
	v_readfirstlane_b32 s2, v1
	s_cselect_b32 s60, -1, 0
	s_sub_i32 s6, 0, s53
	v_lshrrev_b32_e32 v1, 3, v0
	v_mov_b32_e32 v8, v9
	s_mul_i32 s6, s6, s2
	v_cmp_gt_u32_e64 s4, s36, v0
	s_mul_hi_u32 s6, s2, s6
	v_and_b32_e32 v19, 0x7c, v1
	s_add_i32 s61, s2, s6
	v_cmp_gt_u32_e64 s6, 2, v0
	s_mul_hi_u32 s2, s36, s61
	v_dual_mov_b32 v13, 1.0 :: v_dual_add_nc_u32 v20, 0xc00, v18
	s_mul_i32 s7, s2, s53
	v_cmp_eq_u32_e64 s2, 0, v17
	s_sub_i32 s7, s36, s7
	v_mov_b32_e32 v28, 0
	s_sub_i32 s8, s7, s53
	s_cmp_ge_u32 s7, s53
	s_mul_i32 s40, s30, s34
	s_cselect_b32 s7, s8, s7
	v_readfirstlane_b32 s8, v2
	s_sub_i32 s10, s7, s53
	s_cmp_ge_u32 s7, s53
	v_lshlrev_b64 v[1:2], v17, -1
	s_cselect_b32 s10, s10, s7
	v_lshlrev_b64 v[2:3], 2, v[7:8]
	s_sub_i32 s62, s36, s10
	s_delay_alu instid0(SALU_CYCLE_1)
	v_dual_mov_b32 v30, s37 :: v_dual_add_nc_u32 v21, s62, v0
	s_sub_i32 s7, 0, s34
	v_not_b32_e32 v16, v1
	s_mul_i32 s7, s7, s8
	v_add_co_u32 v5, vcc_lo, s31, v2
	v_mul_lo_u32 v8, v21, s30
	s_mul_hi_u32 s7, s8, s7
	v_add_co_ci_u32_e32 v6, vcc_lo, s33, v3, vcc_lo
	s_add_i32 s63, s8, s7
	v_or_b32_e32 v3, 3, v18
	s_mul_hi_u32 s7, s9, s63
	s_mov_b32 s73, 30
	s_delay_alu instid0(VALU_DEP_3)
	v_lshlrev_b64 v[1:2], 2, v[8:9]
	s_mul_i32 s7, s7, s34
	v_mul_lo_u32 v23, s30, v3
	s_sub_i32 s7, s9, s7
	s_mov_b32 s68, 0
	s_sub_i32 s8, s7, s34
	v_add_co_u32 v10, vcc_lo, s31, v1
	v_add3_u32 v1, s34, s36, v0
	s_cmp_ge_u32 s7, s34
	v_add_co_ci_u32_e32 v11, vcc_lo, s33, v2, vcc_lo
	s_cselect_b32 s8, s8, s7
	v_or_b32_e32 v2, 2, v18
	v_subrev_nc_u32_e32 v1, s10, v1
	s_sub_i32 s11, s8, s34
	s_cmp_ge_u32 s8, s34
	v_cmp_gt_u32_e64 s7, s62, v18
	s_cselect_b32 s11, s11, s8
	v_mul_lo_u32 v22, s30, v2
	v_mul_lo_u32 v25, s30, v1
	s_sub_i32 s64, s9, s11
	v_cmp_gt_u32_e64 s8, s36, v21
	v_cmp_gt_u32_e64 s9, s64, v0
	s_lshl_b32 s65, s40, 2
	s_lshl_b32 s66, s34, 4
                                        ; implicit-def: $sgpr67
                                        ; implicit-def: $sgpr71
                                        ; implicit-def: $sgpr70
                                        ; implicit-def: $sgpr72
                                        ; implicit-def: $sgpr69
                                        ; implicit-def: $sgpr74
                                        ; implicit-def: $sgpr76
                                        ; implicit-def: $sgpr75
                                        ; implicit-def: $sgpr77
                                        ; implicit-def: $sgpr78
	s_branch .LBB91_15
.LBB91_13:                              ;   in Loop: Header=BB91_15 Depth=1
	s_or_b32 exec_lo, exec_lo, s13
	v_dual_mov_b32 v28, v4 :: v_dual_mov_b32 v29, v3
	v_dual_mov_b32 v30, v31 :: v_dual_mov_b32 v15, v2
	s_and_not1_b32 s13, s78, exec_lo
	s_and_b32 s12, s12, exec_lo
	s_and_not1_b32 s77, s77, exec_lo
	s_or_b32 s78, s13, s12
	s_and_not1_b32 s75, s75, exec_lo
	s_and_not1_b32 s76, s76, exec_lo
	s_and_not1_b32 s74, s74, exec_lo
	s_or_not1_b32 s12, s11, exec_lo
.LBB91_14:                              ;   in Loop: Header=BB91_15 Depth=1
	s_or_b32 exec_lo, exec_lo, s10
	s_delay_alu instid0(SALU_CYCLE_1) | instskip(NEXT) | instid1(SALU_CYCLE_1)
	s_and_b32 s10, exec_lo, s12
	s_or_b32 s47, s10, s47
	s_and_not1_b32 s10, s69, exec_lo
	s_and_b32 s11, s78, exec_lo
	s_and_not1_b32 s12, s72, exec_lo
	s_or_b32 s69, s10, s11
	s_and_b32 s10, s77, exec_lo
	s_and_not1_b32 s11, s70, exec_lo
	s_and_b32 s13, s75, exec_lo
	s_or_b32 s72, s12, s10
	s_or_b32 s70, s11, s13
	s_and_not1_b32 s10, s71, exec_lo
	s_and_b32 s11, s76, exec_lo
	s_and_not1_b32 s12, s67, exec_lo
	s_and_b32 s13, s74, exec_lo
	s_or_b32 s71, s10, s11
	s_or_b32 s67, s12, s13
	s_and_not1_b32 exec_lo, exec_lo, s47
	s_cbranch_execz .LBB91_415
.LBB91_15:                              ; =>This Loop Header: Depth=1
                                        ;     Child Loop BB91_23 Depth 2
                                        ;     Child Loop BB91_38 Depth 2
	;; [unrolled: 1-line block ×24, first 2 shown]
	ds_load_b64 v[1:2], v9 offset:4096
	s_waitcnt lgkmcnt(0)
	v_readfirstlane_b32 s79, v1
	s_delay_alu instid0(VALU_DEP_1)
	s_cmp_lg_u32 s79, 0
	s_cbranch_scc1 .LBB91_45
; %bb.16:                               ;   in Loop: Header=BB91_15 Depth=1
	s_and_b32 vcc_lo, exec_lo, s54
	s_cbranch_vccz .LBB91_31
; %bb.17:                               ;   in Loop: Header=BB91_15 Depth=1
	v_cmp_gt_u32_e32 vcc_lo, 0x301, v2
	s_mov_b32 s79, 0
	s_mov_b32 s10, 0
	s_cbranch_vccz .LBB91_32
; %bb.18:                               ;   in Loop: Header=BB91_15 Depth=1
	v_mov_b32_e32 v1, 0
	s_and_saveexec_b32 s10, s4
	s_cbranch_execz .LBB91_20
; %bb.19:                               ;   in Loop: Header=BB91_15 Depth=1
	global_load_b32 v1, v[5:6], off
.LBB91_20:                              ;   in Loop: Header=BB91_15 Depth=1
	s_or_b32 exec_lo, exec_lo, s10
	s_and_saveexec_b32 s12, s4
	s_cbranch_execz .LBB91_96
; %bb.21:                               ;   in Loop: Header=BB91_15 Depth=1
	global_load_u16 v2, v9, s[38:39]
	v_mov_b32_e32 v4, v0
	s_mov_b32 s13, 0
	s_waitcnt vmcnt(0)
	v_add_nc_u32_e32 v3, v0, v2
	s_delay_alu instid0(VALU_DEP_1)
	v_mul_lo_u32 v8, s30, v3
	v_mul_lo_u32 v3, s30, v2
	s_branch .LBB91_23
.LBB91_22:                              ;   in Loop: Header=BB91_23 Depth=2
	s_or_b32 exec_lo, exec_lo, s11
	s_waitcnt vmcnt(0)
	v_dual_mov_b32 v1, v14 :: v_dual_add_nc_u32 v8, v8, v3
	s_and_not1_b32 exec_lo, exec_lo, s13
	s_cbranch_execz .LBB91_96
.LBB91_23:                              ;   Parent Loop BB91_15 Depth=1
                                        ; =>  This Inner Loop Header: Depth=2
	s_waitcnt lgkmcnt(0)
	v_dual_mov_b32 v31, 0 :: v_dual_add_nc_u32 v4, v4, v2
	v_mov_b32_e32 v14, 0
	s_mov_b32 s11, exec_lo
	s_delay_alu instid0(VALU_DEP_2)
	v_cmp_le_u32_e32 vcc_lo, s36, v4
	v_cmpx_gt_u32_e64 s36, v4
	s_cbranch_execz .LBB91_25
; %bb.24:                               ;   in Loop: Header=BB91_23 Depth=2
	v_lshlrev_b64 v[32:33], 2, v[8:9]
	s_delay_alu instid0(VALU_DEP_1) | instskip(NEXT) | instid1(VALU_DEP_1)
	v_add_co_u32 v32, s10, s31, v32
	v_add_co_ci_u32_e64 v33, s10, s33, v33, s10
	global_load_b32 v14, v[32:33], off
.LBB91_25:                              ;   in Loop: Header=BB91_23 Depth=2
	s_or_b32 exec_lo, exec_lo, s11
	v_cmp_lt_i32_e64 s10, -1, v1
	s_delay_alu instid0(VALU_DEP_1) | instskip(SKIP_1) | instid1(VALU_DEP_2)
	v_cndmask_b32_e64 v32, -1, 0x80000000, s10
	v_cmp_o_f32_e64 s10, v1, v1
	v_xor_b32_e32 v32, v32, v1
	s_delay_alu instid0(VALU_DEP_1) | instskip(NEXT) | instid1(VALU_DEP_1)
	v_cndmask_b32_e64 v32, -1, v32, s10
	v_and_b32_e32 v32, v32, v28
	s_delay_alu instid0(VALU_DEP_1) | instskip(NEXT) | instid1(VALU_DEP_1)
	v_cmp_eq_u32_e64 s10, v32, v29
	s_cmp_lg_u32 s10, 0
	s_cselect_b32 s11, -1, 0
	s_delay_alu instid0(SALU_CYCLE_1) | instskip(NEXT) | instid1(SALU_CYCLE_1)
	s_and_b32 s11, s2, s11
	s_and_saveexec_b32 s14, s11
	s_cbranch_execz .LBB91_29
; %bb.26:                               ;   in Loop: Header=BB91_23 Depth=2
	s_mov_b32 s17, exec_lo
	s_bcnt1_i32_b32 s15, s10
	v_mbcnt_lo_u32_b32 v31, s17, 0
	s_mov_b32 s16, exec_lo
                                        ; implicit-def: $vgpr32
	s_delay_alu instid0(VALU_DEP_1)
	v_cmpx_eq_u32_e32 0, v31
	s_cbranch_execz .LBB91_28
; %bb.27:                               ;   in Loop: Header=BB91_23 Depth=2
	s_bcnt1_i32_b32 s11, s17
	s_delay_alu instid0(SALU_CYCLE_1) | instskip(NEXT) | instid1(SALU_CYCLE_1)
	s_mul_i32 s11, s15, s11
	v_mov_b32_e32 v32, s11
	ds_add_rtn_u32 v32, v9, v32 offset:4104
.LBB91_28:                              ;   in Loop: Header=BB91_23 Depth=2
	s_or_b32 exec_lo, exec_lo, s16
	s_waitcnt lgkmcnt(0)
	v_readfirstlane_b32 s11, v32
	s_delay_alu instid0(VALU_DEP_1)
	v_mad_u32_u24 v31, s15, v31, s11
.LBB91_29:                              ;   in Loop: Header=BB91_23 Depth=2
	s_or_b32 exec_lo, exec_lo, s14
	ds_bpermute_b32 v31, v9, v31
	s_and_b32 s11, exec_lo, vcc_lo
	s_delay_alu instid0(SALU_CYCLE_1)
	s_or_b32 s13, s11, s13
	s_and_saveexec_b32 s11, s10
	s_cbranch_execz .LBB91_22
; %bb.30:                               ;   in Loop: Header=BB91_23 Depth=2
	v_and_b32_e32 v32, s10, v16
	s_delay_alu instid0(VALU_DEP_1) | instskip(NEXT) | instid1(VALU_DEP_1)
	v_bcnt_u32_b32 v32, v32, 0
	v_lshlrev_b32_e32 v32, 2, v32
	s_waitcnt lgkmcnt(0)
	s_delay_alu instid0(VALU_DEP_1)
	v_lshl_add_u32 v31, v31, 2, v32
	ds_store_b32 v31, v1
	s_branch .LBB91_22
.LBB91_31:                              ;   in Loop: Header=BB91_15 Depth=1
	s_mov_b32 s79, -1
	s_mov_b32 s10, 0
.LBB91_32:                              ;   in Loop: Header=BB91_15 Depth=1
	s_and_b32 vcc_lo, exec_lo, s79
	s_cbranch_vccz .LBB91_43
.LBB91_33:                              ;   in Loop: Header=BB91_15 Depth=1
	v_mov_b32_e32 v1, 0
	s_and_saveexec_b32 s10, s4
	s_cbranch_execz .LBB91_35
; %bb.34:                               ;   in Loop: Header=BB91_15 Depth=1
	global_load_b32 v1, v[5:6], off
.LBB91_35:                              ;   in Loop: Header=BB91_15 Depth=1
	s_or_b32 exec_lo, exec_lo, s10
	s_and_saveexec_b32 s11, s4
	s_cbranch_execz .LBB91_40
; %bb.36:                               ;   in Loop: Header=BB91_15 Depth=1
	global_load_u16 v2, v9, s[38:39]
	s_mov_b32 s12, 0
	v_dual_mov_b32 v14, v18 :: v_dual_mov_b32 v31, v0
	s_waitcnt vmcnt(0)
	v_add_nc_u32_e32 v3, v0, v2
	v_lshlrev_b32_e32 v4, 2, v2
	s_delay_alu instid0(VALU_DEP_2)
	v_mul_lo_u32 v8, s30, v3
	v_mul_lo_u32 v3, s30, v2
	s_set_inst_prefetch_distance 0x1
	s_branch .LBB91_38
	.p2align	6
.LBB91_37:                              ;   in Loop: Header=BB91_38 Depth=2
	s_or_b32 exec_lo, exec_lo, s13
	ds_store_b32 v14, v1
	s_waitcnt vmcnt(0)
	v_dual_mov_b32 v1, v32 :: v_dual_add_nc_u32 v14, v14, v4
	v_add_nc_u32_e32 v8, v8, v3
	s_and_b32 s10, exec_lo, vcc_lo
	s_delay_alu instid0(SALU_CYCLE_1) | instskip(NEXT) | instid1(SALU_CYCLE_1)
	s_or_b32 s12, s10, s12
	s_and_not1_b32 exec_lo, exec_lo, s12
	s_cbranch_execz .LBB91_40
.LBB91_38:                              ;   Parent Loop BB91_15 Depth=1
                                        ; =>  This Inner Loop Header: Depth=2
	v_dual_mov_b32 v32, 0 :: v_dual_add_nc_u32 v31, v31, v2
	s_mov_b32 s13, exec_lo
	s_delay_alu instid0(VALU_DEP_1)
	v_cmp_le_u32_e32 vcc_lo, s36, v31
	v_cmpx_gt_u32_e64 s36, v31
	s_cbranch_execz .LBB91_37
; %bb.39:                               ;   in Loop: Header=BB91_38 Depth=2
	v_lshlrev_b64 v[32:33], 2, v[8:9]
	s_delay_alu instid0(VALU_DEP_1) | instskip(NEXT) | instid1(VALU_DEP_1)
	v_add_co_u32 v32, s10, s31, v32
	v_add_co_ci_u32_e64 v33, s10, s33, v33, s10
	global_load_b32 v32, v[32:33], off
	s_branch .LBB91_37
.LBB91_40:                              ;   in Loop: Header=BB91_15 Depth=1
	s_set_inst_prefetch_distance 0x2
	s_or_b32 exec_lo, exec_lo, s11
	s_waitcnt vmcnt(0) lgkmcnt(0)
	s_barrier
	buffer_gl0_inv
	s_and_saveexec_b32 s10, s5
	s_cbranch_execz .LBB91_42
; %bb.41:                               ;   in Loop: Header=BB91_15 Depth=1
	v_mov_b32_e32 v1, s36
	ds_store_b32 v9, v1 offset:4096
.LBB91_42:                              ;   in Loop: Header=BB91_15 Depth=1
	s_or_b32 exec_lo, exec_lo, s10
	s_mov_b32 s10, -1
	s_waitcnt lgkmcnt(0)
	s_barrier
                                        ; implicit-def: $sgpr79
.LBB91_43:                              ;   in Loop: Header=BB91_15 Depth=1
	s_and_b32 vcc_lo, exec_lo, s10
	s_cbranch_vccz .LBB91_45
; %bb.44:                               ;   in Loop: Header=BB91_15 Depth=1
	buffer_gl0_inv
	ds_load_b32 v1, v9 offset:4096
	s_waitcnt lgkmcnt(0)
	v_readfirstlane_b32 s79, v1
.LBB91_45:                              ;   in Loop: Header=BB91_15 Depth=1
	s_delay_alu instid0(VALU_DEP_1)
	s_cmp_lt_i32 s79, 1
	s_cbranch_scc0 .LBB91_49
; %bb.46:                               ;   in Loop: Header=BB91_15 Depth=1
	v_dual_mov_b32 v1, 0 :: v_dual_mov_b32 v2, 0
	v_dual_mov_b32 v3, 0 :: v_dual_mov_b32 v4, 0
	s_mov_b32 s22, 0
	s_and_saveexec_b32 s21, s7
	s_cbranch_execnz .LBB91_50
; %bb.47:                               ;   in Loop: Header=BB91_15 Depth=1
	s_or_b32 exec_lo, exec_lo, s21
	v_mov_b32_e32 v31, 0
	s_and_saveexec_b32 s10, s8
	s_cbranch_execnz .LBB91_53
.LBB91_48:                              ;   in Loop: Header=BB91_15 Depth=1
	s_or_b32 exec_lo, exec_lo, s10
	s_and_saveexec_b32 s14, s8
	s_cbranch_execnz .LBB91_54
	s_branch .LBB91_59
.LBB91_49:                              ;   in Loop: Header=BB91_15 Depth=1
                                        ; implicit-def: $vgpr4
	s_cbranch_execnz .LBB91_60
	s_branch .LBB91_69
.LBB91_50:                              ;   in Loop: Header=BB91_15 Depth=1
	v_mov_b32_e32 v14, v18
	s_and_b32 s23, s73, 0xfe
	s_mov_b32 s24, 0
	s_mov_b32 s25, 0
	;; [unrolled: 1-line block ×5, first 2 shown]
.LBB91_51:                              ;   Parent Loop BB91_15 Depth=1
                                        ; =>  This Inner Loop Header: Depth=2
	v_add_nc_u32_e32 v8, s24, v24
	v_add_nc_u32_e32 v14, s53, v14
	s_delay_alu instid0(VALU_DEP_2) | instskip(SKIP_1) | instid1(VALU_DEP_1)
	v_lshlrev_b64 v[1:2], 2, v[8:9]
	v_add_nc_u32_e32 v8, s24, v12
	v_lshlrev_b64 v[3:4], 2, v[8:9]
	v_add_nc_u32_e32 v8, s24, v22
	s_delay_alu instid0(VALU_DEP_4) | instskip(SKIP_1) | instid1(VALU_DEP_3)
	v_add_co_u32 v1, vcc_lo, s31, v1
	v_add_co_ci_u32_e32 v2, vcc_lo, s33, v2, vcc_lo
	v_lshlrev_b64 v[31:32], 2, v[8:9]
	v_add_nc_u32_e32 v8, s24, v23
	s_add_i32 s24, s24, s65
	global_load_b32 v33, v[1:2], off
	v_add_co_u32 v1, vcc_lo, s31, v3
	v_add_co_ci_u32_e32 v2, vcc_lo, s33, v4, vcc_lo
	v_add_co_u32 v31, vcc_lo, s31, v31
	v_add_co_ci_u32_e32 v32, vcc_lo, s33, v32, vcc_lo
	v_lshlrev_b64 v[3:4], 2, v[8:9]
	s_clause 0x1
	global_load_b32 v8, v[1:2], off
	global_load_b32 v31, v[31:32], off
	v_add_co_u32 v1, vcc_lo, s31, v3
	v_add_co_ci_u32_e32 v2, vcc_lo, s33, v4, vcc_lo
	v_cmp_le_u32_e32 vcc_lo, s62, v14
	global_load_b32 v1, v[1:2], off
	s_waitcnt vmcnt(3)
	v_cmp_lt_i32_e64 s10, -1, v33
	s_delay_alu instid0(VALU_DEP_1) | instskip(SKIP_2) | instid1(VALU_DEP_2)
	v_cndmask_b32_e64 v2, -1, 0x80000000, s10
	s_waitcnt vmcnt(2)
	v_cmp_lt_i32_e64 s10, -1, v8
	v_xor_b32_e32 v2, v2, v33
	s_waitcnt vmcnt(1)
	v_cmp_lt_i32_e64 s11, -1, v31
	s_delay_alu instid0(VALU_DEP_3) | instskip(SKIP_1) | instid1(VALU_DEP_3)
	v_cndmask_b32_e64 v3, -1, 0x80000000, s10
	v_cmp_o_f32_e64 s10, v33, v33
	v_cndmask_b32_e64 v4, -1, 0x80000000, s11
	s_delay_alu instid0(VALU_DEP_3) | instskip(NEXT) | instid1(VALU_DEP_3)
	v_xor_b32_e32 v3, v3, v8
	v_cndmask_b32_e64 v2, -1, v2, s10
	v_cmp_o_f32_e64 s10, v8, v8
	s_delay_alu instid0(VALU_DEP_4)
	v_xor_b32_e32 v4, v4, v31
	s_waitcnt vmcnt(0)
	v_cmp_o_f32_e64 s15, v1, v1
	v_and_b32_e32 v32, v2, v28
	v_cndmask_b32_e64 v3, -1, v3, s10
	v_cmp_lt_i32_e64 s10, -1, v1
	v_bfe_u32 v2, v2, s23, 2
	s_delay_alu instid0(VALU_DEP_2) | instskip(SKIP_1) | instid1(VALU_DEP_3)
	v_cndmask_b32_e64 v8, -1, 0x80000000, s10
	v_cmp_o_f32_e64 s10, v31, v31
	v_cmp_eq_u32_e64 s11, 0, v2
	v_and_b32_e32 v31, v3, v28
	v_bfe_u32 v3, v3, s23, 2
	v_xor_b32_e32 v8, v8, v1
	v_cndmask_b32_e64 v4, -1, v4, s10
	v_cmp_eq_u32_e64 s10, v32, v29
	v_cmp_eq_u32_e64 s12, 1, v2
	;; [unrolled: 1-line block ×4, first 2 shown]
	v_cndmask_b32_e64 v1, -1, v8, s15
	s_and_b32 s11, s10, s11
	v_cmp_eq_u32_e64 s15, v31, v29
	v_cmp_eq_u32_e64 s16, 0, v3
	v_cndmask_b32_e64 v8, 0, 1, s11
	v_cmp_eq_u32_e64 s11, 1, v3
	s_and_b32 s12, s10, s12
	v_and_b32_e32 v2, v4, v28
	v_bfe_u32 v4, v4, s23, 2
	v_cndmask_b32_e64 v31, 0, 1, s12
	v_cmp_eq_u32_e64 s12, 2, v3
	s_and_b32 s13, s10, s13
	s_and_b32 s10, s10, s14
	v_cndmask_b32_e64 v32, 0, 1, s13
	s_and_b32 s16, s15, s16
	s_and_b32 s11, s15, s11
	v_cmp_eq_u32_e64 s13, 3, v3
	v_cndmask_b32_e64 v3, 0, 1, s10
	v_cmp_eq_u32_e64 s10, v2, v29
	v_cmp_eq_u32_e64 s14, 0, v4
	v_cmp_ne_u32_e64 s17, 0, v8
	v_cndmask_b32_e64 v8, 0, 1, s16
	v_cmp_eq_u32_e64 s16, 1, v4
	v_cmp_ne_u32_e64 s18, 0, v31
	v_cndmask_b32_e64 v31, 0, 1, s11
	v_cmp_eq_u32_e64 s11, 2, v4
	s_and_b32 s12, s15, s12
	v_and_b32_e32 v2, v1, v28
	v_bfe_u32 v1, v1, s23, 2
	v_cmp_ne_u32_e64 s19, 0, v32
	v_cndmask_b32_e64 v32, 0, 1, s12
	v_cmp_eq_u32_e64 s12, 3, v4
	s_and_b32 s13, s15, s13
	s_and_b32 s14, s10, s14
	;; [unrolled: 1-line block ×4, first 2 shown]
	v_cmp_ne_u32_e64 s20, 0, v3
	v_cndmask_b32_e64 v3, 0, 1, s13
	v_cmp_eq_u32_e64 s13, v2, v29
	v_cmp_eq_u32_e64 s15, 0, v1
	s_bcnt1_i32_b32 s29, s17
	v_cmp_ne_u32_e64 s17, 0, v8
	v_cndmask_b32_e64 v2, 0, 1, s14
	v_cmp_eq_u32_e64 s14, 1, v1
	v_cndmask_b32_e64 v4, 0, 1, s16
	v_cmp_eq_u32_e64 s16, 2, v1
	;; [unrolled: 2-line block ×3, first 2 shown]
	s_and_b32 s10, s10, s12
	s_bcnt1_i32_b32 s82, s20
	v_cndmask_b32_e64 v1, 0, 1, s10
	v_cmp_ne_u32_e64 s20, 0, v3
	s_and_b32 s12, s13, s15
	s_and_b32 s14, s13, s14
	;; [unrolled: 1-line block ×4, first 2 shown]
	v_cmp_ne_u32_e64 s10, 0, v2
	v_cndmask_b32_e64 v2, 0, 1, s12
	v_cmp_ne_u32_e64 s12, 0, v4
	v_cndmask_b32_e64 v3, 0, 1, s14
	v_cndmask_b32_e64 v4, 0, 1, s15
	v_cmp_ne_u32_e64 s15, 0, v1
	v_cndmask_b32_e64 v1, 0, 1, s11
	s_bcnt1_i32_b32 s80, s18
	v_cmp_ne_u32_e64 s18, 0, v31
	s_bcnt1_i32_b32 s81, s19
	v_cmp_ne_u32_e64 s19, 0, v32
	s_add_i32 s25, s82, s25
	v_cmp_ne_u32_e64 s14, 0, v8
	s_bcnt1_i32_b32 s16, s20
	s_bcnt1_i32_b32 s20, s10
	s_add_i32 s16, s25, s16
	v_cmp_ne_u32_e64 s10, 0, v2
	s_bcnt1_i32_b32 s25, s12
	v_cmp_ne_u32_e64 s11, 0, v3
	v_cmp_ne_u32_e64 s12, 0, v4
	;; [unrolled: 1-line block ×3, first 2 shown]
	s_add_i32 s28, s29, s28
	s_add_i32 s27, s80, s27
	;; [unrolled: 1-line block ×3, first 2 shown]
	s_bcnt1_i32_b32 s17, s17
	s_bcnt1_i32_b32 s18, s18
	;; [unrolled: 1-line block ×3, first 2 shown]
	s_add_i32 s17, s28, s17
	s_add_i32 s18, s27, s18
	;; [unrolled: 1-line block ×3, first 2 shown]
	s_bcnt1_i32_b32 s14, s14
	s_bcnt1_i32_b32 s15, s15
	s_add_i32 s17, s17, s20
	s_add_i32 s18, s18, s25
	s_add_i32 s14, s19, s14
	s_add_i32 s15, s16, s15
	s_bcnt1_i32_b32 s10, s10
	s_bcnt1_i32_b32 s11, s11
	s_bcnt1_i32_b32 s12, s12
	s_bcnt1_i32_b32 s13, s13
	s_add_i32 s28, s17, s10
	s_add_i32 s27, s18, s11
	;; [unrolled: 1-line block ×3, first 2 shown]
	v_mov_b32_e32 v2, s27
	s_add_i32 s25, s15, s13
	v_mov_b32_e32 v1, s28
	v_dual_mov_b32 v3, s26 :: v_dual_mov_b32 v4, s25
	s_or_b32 s22, vcc_lo, s22
	s_delay_alu instid0(SALU_CYCLE_1)
	s_and_not1_b32 exec_lo, exec_lo, s22
	s_cbranch_execnz .LBB91_51
; %bb.52:                               ;   in Loop: Header=BB91_15 Depth=1
	s_or_b32 exec_lo, exec_lo, s22
	s_delay_alu instid0(SALU_CYCLE_1)
	s_or_b32 exec_lo, exec_lo, s21
	v_mov_b32_e32 v31, 0
	s_and_saveexec_b32 s10, s8
	s_cbranch_execz .LBB91_48
.LBB91_53:                              ;   in Loop: Header=BB91_15 Depth=1
	global_load_b32 v31, v[10:11], off
	s_or_b32 exec_lo, exec_lo, s10
	s_and_saveexec_b32 s14, s8
	s_cbranch_execz .LBB91_59
.LBB91_54:                              ;   in Loop: Header=BB91_15 Depth=1
	v_mov_b32_e32 v8, v25
	v_mov_b32_e32 v14, v21
	s_and_b32 s16, s73, 0xfe
	s_mov_b32 s15, 0
	s_branch .LBB91_56
.LBB91_55:                              ;   in Loop: Header=BB91_56 Depth=2
	s_or_b32 exec_lo, exec_lo, s11
	s_waitcnt vmcnt(0)
	v_cmp_lt_i32_e64 s10, -1, v31
	s_and_b32 s11, exec_lo, vcc_lo
	v_add_nc_u32_e32 v8, s40, v8
	s_or_b32 s15, s11, s15
	s_delay_alu instid0(VALU_DEP_2) | instskip(SKIP_1) | instid1(VALU_DEP_2)
	v_cndmask_b32_e64 v33, -1, 0x80000000, s10
	v_cmp_o_f32_e64 s10, v31, v31
	v_xor_b32_e32 v33, v33, v31
	s_delay_alu instid0(VALU_DEP_1) | instskip(NEXT) | instid1(VALU_DEP_1)
	v_cndmask_b32_e64 v31, -1, v33, s10
	v_and_b32_e32 v33, v31, v28
	v_bfe_u32 v31, v31, s16, 2
	s_delay_alu instid0(VALU_DEP_2) | instskip(NEXT) | instid1(VALU_DEP_2)
	v_cmp_eq_u32_e32 vcc_lo, v33, v29
	v_cmp_eq_u32_e64 s10, 0, v31
	v_cmp_eq_u32_e64 s11, 1, v31
	;; [unrolled: 1-line block ×4, first 2 shown]
	s_delay_alu instid0(VALU_DEP_4) | instskip(NEXT) | instid1(SALU_CYCLE_1)
	s_and_b32 s10, vcc_lo, s10
	v_cndmask_b32_e64 v31, 0, 1, s10
	s_and_b32 s10, vcc_lo, s11
	s_delay_alu instid0(SALU_CYCLE_1) | instskip(SKIP_1) | instid1(SALU_CYCLE_1)
	v_cndmask_b32_e64 v33, 0, 1, s10
	s_and_b32 s10, vcc_lo, s12
	v_cndmask_b32_e64 v34, 0, 1, s10
	s_and_b32 s10, vcc_lo, s13
	v_cmp_ne_u32_e32 vcc_lo, 0, v31
	v_mov_b32_e32 v31, v32
	v_cndmask_b32_e64 v35, 0, 1, s10
	v_cmp_ne_u32_e64 s10, 0, v33
	v_cmp_ne_u32_e64 s11, 0, v34
	s_bcnt1_i32_b32 s13, vcc_lo
	s_delay_alu instid0(VALU_DEP_3) | instskip(NEXT) | instid1(VALU_DEP_3)
	v_cmp_ne_u32_e64 s12, 0, v35
	s_bcnt1_i32_b32 s10, s10
	s_delay_alu instid0(VALU_DEP_2)
	s_bcnt1_i32_b32 s11, s11
	v_add_nc_u32_e32 v1, s13, v1
	v_add_nc_u32_e32 v2, s10, v2
	s_bcnt1_i32_b32 s12, s12
	v_add_nc_u32_e32 v3, s11, v3
	v_add_nc_u32_e32 v4, s12, v4
	s_and_not1_b32 exec_lo, exec_lo, s15
	s_cbranch_execz .LBB91_58
.LBB91_56:                              ;   Parent Loop BB91_15 Depth=1
                                        ; =>  This Inner Loop Header: Depth=2
	s_delay_alu instid0(VALU_DEP_1) | instskip(SKIP_2) | instid1(VALU_DEP_2)
	v_add_nc_u32_e32 v14, s34, v14
	v_mov_b32_e32 v32, 0
	s_mov_b32 s11, exec_lo
	v_cmp_le_u32_e32 vcc_lo, s36, v14
	v_cmpx_gt_u32_e64 s36, v14
	s_cbranch_execz .LBB91_55
; %bb.57:                               ;   in Loop: Header=BB91_56 Depth=2
	v_lshlrev_b64 v[32:33], 2, v[8:9]
	s_delay_alu instid0(VALU_DEP_1) | instskip(NEXT) | instid1(VALU_DEP_1)
	v_add_co_u32 v32, s10, s31, v32
	v_add_co_ci_u32_e64 v33, s10, s33, v33, s10
	global_load_b32 v32, v[32:33], off
	s_branch .LBB91_55
.LBB91_58:                              ;   in Loop: Header=BB91_15 Depth=1
	s_or_b32 exec_lo, exec_lo, s15
.LBB91_59:                              ;   in Loop: Header=BB91_15 Depth=1
	s_delay_alu instid0(SALU_CYCLE_1)
	s_or_b32 exec_lo, exec_lo, s14
	s_branch .LBB91_69
.LBB91_60:                              ;   in Loop: Header=BB91_15 Depth=1
	s_mul_hi_u32 s10, s79, s61
	v_dual_mov_b32 v1, 0 :: v_dual_mov_b32 v2, 0
	s_mul_i32 s10, s10, s53
	v_dual_mov_b32 v3, 0 :: v_dual_mov_b32 v4, 0
	s_sub_i32 s10, s79, s10
	s_mov_b32 s82, 0
	s_sub_i32 s11, s10, s53
	s_cmp_ge_u32 s10, s53
	s_mov_b32 s81, exec_lo
	s_cselect_b32 s10, s11, s10
	s_delay_alu instid0(SALU_CYCLE_1) | instskip(SKIP_2) | instid1(SALU_CYCLE_1)
	s_sub_i32 s11, s10, s53
	s_cmp_ge_u32 s10, s53
	s_cselect_b32 s10, s11, s10
	s_sub_i32 s80, s79, s10
	s_delay_alu instid0(SALU_CYCLE_1)
	v_cmpx_gt_u32_e64 s80, v18
	s_cbranch_execz .LBB91_64
; %bb.61:                               ;   in Loop: Header=BB91_15 Depth=1
	v_mov_b32_e32 v8, v26
	v_mov_b32_e32 v14, v18
	s_and_b32 s83, s73, 0xfe
	s_mov_b32 s84, 0
	s_mov_b32 s85, 0
	s_mov_b32 s86, 0
	s_mov_b32 s87, 0
.LBB91_62:                              ;   Parent Loop BB91_15 Depth=1
                                        ; =>  This Inner Loop Header: Depth=2
	ds_load_b128 v[1:4], v8
	s_waitcnt lgkmcnt(0)
	v_cmp_lt_i32_e64 s10, -1, v1
	v_cmp_o_f32_e64 s13, v1, v1
	v_cmp_o_f32_e64 s11, v3, v3
	;; [unrolled: 1-line block ×3, first 2 shown]
	s_waitcnt vmcnt(0)
	v_cndmask_b32_e64 v31, -1, 0x80000000, s10
	v_cmp_lt_i32_e64 s10, -1, v2
	s_delay_alu instid0(VALU_DEP_2) | instskip(NEXT) | instid1(VALU_DEP_2)
	v_xor_b32_e32 v31, v31, v1
	v_cndmask_b32_e64 v32, -1, 0x80000000, s10
	v_cmp_lt_i32_e64 s10, -1, v3
	s_delay_alu instid0(VALU_DEP_3) | instskip(NEXT) | instid1(VALU_DEP_3)
	v_cndmask_b32_e64 v1, -1, v31, s13
	v_xor_b32_e32 v32, v32, v2
	s_delay_alu instid0(VALU_DEP_3) | instskip(SKIP_1) | instid1(VALU_DEP_4)
	v_cndmask_b32_e64 v33, -1, 0x80000000, s10
	v_cmp_lt_i32_e64 s10, -1, v4
	v_and_b32_e32 v31, v1, v28
	v_bfe_u32 v1, v1, s83, 2
	s_delay_alu instid0(VALU_DEP_3) | instskip(SKIP_2) | instid1(VALU_DEP_4)
	v_cndmask_b32_e64 v34, -1, 0x80000000, s10
	v_cmp_o_f32_e64 s10, v2, v2
	v_xor_b32_e32 v2, v33, v3
	v_cmp_eq_u32_e64 s14, 0, v1
	v_cmp_eq_u32_e64 s18, 1, v1
	v_xor_b32_e32 v3, v34, v4
	v_cndmask_b32_e64 v4, -1, v32, s10
	v_cndmask_b32_e64 v2, -1, v2, s11
	v_cmp_eq_u32_e64 s10, v31, v29
	v_cmp_eq_u32_e64 s22, 2, v1
	v_cndmask_b32_e64 v3, -1, v3, s12
	v_and_b32_e32 v32, v4, v28
	v_bfe_u32 v4, v4, s83, 2
	v_and_b32_e32 v33, v2, v28
	v_bfe_u32 v2, v2, s83, 2
	;; [unrolled: 2-line block ×3, first 2 shown]
	v_cmp_eq_u32_e64 s11, v32, v29
	v_cmp_eq_u32_e64 s15, 0, v4
	;; [unrolled: 1-line block ×4, first 2 shown]
	s_and_b32 s14, s10, s14
	v_cmp_eq_u32_e64 s13, v34, v29
	v_cmp_eq_u32_e64 s17, 0, v3
	;; [unrolled: 1-line block ×3, first 2 shown]
	v_cndmask_b32_e64 v1, 0, 1, s14
	s_and_b32 s14, s11, s15
	v_cmp_eq_u32_e64 s20, 1, v2
	v_cmp_eq_u32_e64 s24, 2, v2
	v_cmp_eq_u32_e64 s28, 3, v2
	v_cndmask_b32_e64 v2, 0, 1, s14
	s_and_b32 s14, s12, s16
	v_cmp_eq_u32_e64 s19, 1, v4
	v_cmp_eq_u32_e64 s21, 1, v3
	;; [unrolled: 1-line block ×4, first 2 shown]
	v_cndmask_b32_e64 v3, 0, 1, s14
	s_and_b32 s14, s13, s17
	v_cmp_eq_u32_e64 s23, 2, v4
	v_cmp_eq_u32_e64 s27, 3, v4
	v_cndmask_b32_e64 v4, 0, 1, s14
	s_and_b32 s14, s10, s18
	s_delay_alu instid0(SALU_CYCLE_1) | instskip(SKIP_1) | instid1(SALU_CYCLE_1)
	v_cndmask_b32_e64 v31, 0, 1, s14
	s_and_b32 s14, s11, s19
	v_cndmask_b32_e64 v32, 0, 1, s14
	s_and_b32 s14, s12, s20
	s_delay_alu instid0(SALU_CYCLE_1) | instskip(SKIP_1) | instid1(VALU_DEP_2)
	v_cndmask_b32_e64 v33, 0, 1, s14
	s_and_b32 s14, s13, s21
	v_cmp_ne_u32_e64 s15, 0, v32
	v_cndmask_b32_e64 v34, 0, 1, s14
	s_and_b32 s14, s10, s22
	s_and_b32 s10, s10, s26
	v_cndmask_b32_e64 v35, 0, 1, s14
	v_cndmask_b32_e64 v39, 0, 1, s10
	s_and_b32 s10, s11, s27
	s_and_b32 s14, s11, s23
	v_cndmask_b32_e64 v40, 0, 1, s10
	s_and_b32 s10, s12, s28
	v_cndmask_b32_e64 v36, 0, 1, s14
	v_cndmask_b32_e64 v41, 0, 1, s10
	s_and_b32 s10, s13, s29
	s_and_b32 s14, s12, s24
	v_cndmask_b32_e64 v42, 0, 1, s10
	v_cmp_ne_u32_e64 s10, 0, v1
	v_cmp_ne_u32_e64 s11, 0, v2
	v_cndmask_b32_e64 v37, 0, 1, s14
	s_and_b32 s14, s13, s25
	v_cmp_ne_u32_e64 s12, 0, v3
	v_cndmask_b32_e64 v38, 0, 1, s14
	v_cmp_ne_u32_e64 s14, 0, v31
	v_cmp_ne_u32_e64 s18, 0, v35
	;; [unrolled: 1-line block ×3, first 2 shown]
	s_bcnt1_i32_b32 s10, s10
	v_cmp_ne_u32_e64 s13, 0, v4
	v_cmp_ne_u32_e64 s19, 0, v36
	;; [unrolled: 1-line block ×3, first 2 shown]
	s_bcnt1_i32_b32 s11, s11
	s_add_i32 s10, s10, s87
	v_cmp_ne_u32_e64 s16, 0, v33
	v_cmp_ne_u32_e64 s20, 0, v37
	;; [unrolled: 1-line block ×3, first 2 shown]
	s_bcnt1_i32_b32 s12, s12
	s_add_i32 s10, s10, s11
	s_bcnt1_i32_b32 s14, s14
	s_bcnt1_i32_b32 s18, s18
	;; [unrolled: 1-line block ×3, first 2 shown]
	v_cmp_ne_u32_e64 s17, 0, v34
	v_cmp_ne_u32_e64 s21, 0, v38
	;; [unrolled: 1-line block ×3, first 2 shown]
	s_bcnt1_i32_b32 s13, s13
	s_add_i32 s10, s10, s12
	s_bcnt1_i32_b32 s15, s15
	s_bcnt1_i32_b32 s19, s19
	;; [unrolled: 1-line block ×3, first 2 shown]
	s_add_i32 s14, s14, s86
	s_add_i32 s18, s18, s85
	;; [unrolled: 1-line block ×4, first 2 shown]
	s_delay_alu instid0(SALU_CYCLE_1)
	v_dual_mov_b32 v1, s87 :: v_dual_add_nc_u32 v14, s53, v14
	s_bcnt1_i32_b32 s16, s16
	s_bcnt1_i32_b32 s20, s20
	;; [unrolled: 1-line block ×3, first 2 shown]
	s_add_i32 s11, s14, s15
	s_add_i32 s14, s18, s19
	;; [unrolled: 1-line block ×3, first 2 shown]
	s_bcnt1_i32_b32 s17, s17
	s_bcnt1_i32_b32 s21, s21
	;; [unrolled: 1-line block ×3, first 2 shown]
	s_add_i32 s11, s11, s16
	s_add_i32 s12, s14, s20
	;; [unrolled: 1-line block ×3, first 2 shown]
	v_cmp_le_u32_e32 vcc_lo, s80, v14
	s_add_i32 s86, s11, s17
	s_add_i32 s85, s12, s21
	;; [unrolled: 1-line block ×3, first 2 shown]
	v_dual_mov_b32 v3, s85 :: v_dual_add_nc_u32 v8, s66, v8
	v_mov_b32_e32 v2, s86
	v_mov_b32_e32 v4, s84
	s_or_b32 s82, vcc_lo, s82
	s_delay_alu instid0(SALU_CYCLE_1)
	s_and_not1_b32 exec_lo, exec_lo, s82
	s_cbranch_execnz .LBB91_62
; %bb.63:                               ;   in Loop: Header=BB91_15 Depth=1
	s_or_b32 exec_lo, exec_lo, s82
.LBB91_64:                              ;   in Loop: Header=BB91_15 Depth=1
	s_delay_alu instid0(SALU_CYCLE_1) | instskip(SKIP_2) | instid1(VALU_DEP_1)
	s_or_b32 exec_lo, exec_lo, s81
	v_add_nc_u32_e32 v8, s80, v0
	s_mov_b32 s15, exec_lo
	v_cmpx_gt_u32_e64 s79, v8
	s_cbranch_execz .LBB91_68
; %bb.65:                               ;   in Loop: Header=BB91_15 Depth=1
	v_lshlrev_b32_e32 v14, 2, v8
	s_and_b32 s17, s73, 0xfe
	s_mov_b32 s16, 0
.LBB91_66:                              ;   Parent Loop BB91_15 Depth=1
                                        ; =>  This Inner Loop Header: Depth=2
	s_waitcnt vmcnt(0)
	ds_load_b32 v31, v14
	v_add_nc_u32_e32 v8, s34, v8
	v_add_nc_u32_e32 v14, s53, v14
	s_delay_alu instid0(VALU_DEP_2) | instskip(SKIP_2) | instid1(VALU_DEP_1)
	v_cmp_le_u32_e32 vcc_lo, s79, v8
	s_waitcnt lgkmcnt(0)
	v_cmp_lt_i32_e64 s10, -1, v31
	v_cndmask_b32_e64 v32, -1, 0x80000000, s10
	v_cmp_o_f32_e64 s10, v31, v31
	s_delay_alu instid0(VALU_DEP_2) | instskip(NEXT) | instid1(VALU_DEP_1)
	v_xor_b32_e32 v32, v32, v31
	v_cndmask_b32_e64 v31, -1, v32, s10
	s_delay_alu instid0(VALU_DEP_1) | instskip(SKIP_1) | instid1(VALU_DEP_2)
	v_and_b32_e32 v32, v31, v28
	v_bfe_u32 v31, v31, s17, 2
	v_cmp_eq_u32_e64 s10, v32, v29
	s_delay_alu instid0(VALU_DEP_2) | instskip(SKIP_3) | instid1(VALU_DEP_4)
	v_cmp_eq_u32_e64 s11, 0, v31
	v_cmp_eq_u32_e64 s12, 1, v31
	v_cmp_eq_u32_e64 s13, 2, v31
	v_cmp_eq_u32_e64 s14, 3, v31
	s_and_b32 s11, s10, s11
	s_delay_alu instid0(SALU_CYCLE_1) | instskip(SKIP_1) | instid1(SALU_CYCLE_1)
	v_cndmask_b32_e64 v31, 0, 1, s11
	s_and_b32 s11, s10, s12
	v_cndmask_b32_e64 v32, 0, 1, s11
	s_and_b32 s11, s10, s13
	s_and_b32 s10, s10, s14
	v_cndmask_b32_e64 v33, 0, 1, s11
	v_cndmask_b32_e64 v34, 0, 1, s10
	v_cmp_ne_u32_e64 s10, 0, v31
	v_cmp_ne_u32_e64 s11, 0, v32
	s_delay_alu instid0(VALU_DEP_4) | instskip(NEXT) | instid1(VALU_DEP_4)
	v_cmp_ne_u32_e64 s12, 0, v33
	v_cmp_ne_u32_e64 s13, 0, v34
	s_delay_alu instid0(VALU_DEP_4) | instskip(NEXT) | instid1(VALU_DEP_3)
	s_bcnt1_i32_b32 s10, s10
	s_bcnt1_i32_b32 s11, s11
	v_add_nc_u32_e32 v1, s10, v1
	s_bcnt1_i32_b32 s12, s12
	s_bcnt1_i32_b32 s13, s13
	v_add_nc_u32_e32 v2, s11, v2
	v_add_nc_u32_e32 v3, s12, v3
	;; [unrolled: 1-line block ×3, first 2 shown]
	s_or_b32 s16, vcc_lo, s16
	s_delay_alu instid0(SALU_CYCLE_1)
	s_and_not1_b32 exec_lo, exec_lo, s16
	s_cbranch_execnz .LBB91_66
; %bb.67:                               ;   in Loop: Header=BB91_15 Depth=1
	s_or_b32 exec_lo, exec_lo, s16
.LBB91_68:                              ;   in Loop: Header=BB91_15 Depth=1
	s_delay_alu instid0(SALU_CYCLE_1)
	s_or_b32 exec_lo, exec_lo, s15
.LBB91_69:                              ;   in Loop: Header=BB91_15 Depth=1
	s_lshl_b32 s10, s68, 7
	s_and_saveexec_b32 s11, s2
	s_cbranch_execz .LBB91_71
; %bb.70:                               ;   in Loop: Header=BB91_15 Depth=1
	v_or_b32_e32 v8, s10, v19
	s_delay_alu instid0(VALU_DEP_1)
	v_lshlrev_b32_e32 v8, 2, v8
	ds_store_b128 v8, v[1:4] offset:3072
.LBB91_71:                              ;   in Loop: Header=BB91_15 Depth=1
	s_or_b32 exec_lo, exec_lo, s11
	s_waitcnt vmcnt(0) lgkmcnt(0)
	s_barrier
	buffer_gl0_inv
	s_and_saveexec_b32 s11, s51
	s_cbranch_execz .LBB91_81
; %bb.72:                               ;   in Loop: Header=BB91_15 Depth=1
	v_mov_b32_e32 v1, 0
	s_and_not1_b32 vcc_lo, exec_lo, s55
	s_cbranch_vccnz .LBB91_80
; %bb.73:                               ;   in Loop: Header=BB91_15 Depth=1
	v_mov_b32_e32 v1, 0
	s_and_not1_b32 vcc_lo, exec_lo, s58
	s_mov_b32 s12, 0
	s_cbranch_vccnz .LBB91_77
; %bb.74:                               ;   in Loop: Header=BB91_15 Depth=1
	v_lshl_add_u32 v2, s68, 9, v27
	v_mov_b32_e32 v1, 0
	.p2align	6
.LBB91_75:                              ;   Parent Loop BB91_15 Depth=1
                                        ; =>  This Inner Loop Header: Depth=2
	ds_load_2addr_b32 v[3:4], v2 offset1:4
	ds_load_2addr_b32 v[31:32], v2 offset0:8 offset1:12
	ds_load_2addr_b32 v[33:34], v2 offset0:16 offset1:20
	;; [unrolled: 1-line block ×3, first 2 shown]
	v_add_nc_u32_e32 v2, 0x80, v2
	s_add_i32 s12, s12, 8
	s_delay_alu instid0(SALU_CYCLE_1) | instskip(SKIP_3) | instid1(VALU_DEP_1)
	s_cmp_eq_u32 s59, s12
	s_waitcnt lgkmcnt(3)
	v_add3_u32 v1, v3, v1, v4
	s_waitcnt lgkmcnt(2)
	v_add3_u32 v1, v31, v1, v32
	s_waitcnt lgkmcnt(1)
	s_delay_alu instid0(VALU_DEP_1) | instskip(SKIP_1) | instid1(VALU_DEP_1)
	v_add3_u32 v1, v33, v1, v34
	s_waitcnt lgkmcnt(0)
	v_add3_u32 v1, v35, v1, v36
	s_cbranch_scc0 .LBB91_75
; %bb.76:                               ;   in Loop: Header=BB91_15 Depth=1
	s_mov_b32 s12, s59
.LBB91_77:                              ;   in Loop: Header=BB91_15 Depth=1
	s_and_not1_b32 vcc_lo, exec_lo, s60
	s_cbranch_vccnz .LBB91_80
; %bb.78:                               ;   in Loop: Header=BB91_15 Depth=1
	s_lshl_b32 s13, s68, 9
	s_lshl_b32 s12, s12, 4
	s_delay_alu instid0(SALU_CYCLE_1)
	v_add3_u32 v2, s13, s12, v27
	s_mov_b32 s12, s57
.LBB91_79:                              ;   Parent Loop BB91_15 Depth=1
                                        ; =>  This Inner Loop Header: Depth=2
	ds_load_b32 v3, v2
	v_add_nc_u32_e32 v2, 16, v2
	s_add_i32 s12, s12, -1
	s_delay_alu instid0(SALU_CYCLE_1)
	s_cmp_lg_u32 s12, 0
	s_waitcnt lgkmcnt(0)
	v_add_nc_u32_e32 v1, v3, v1
	s_cbranch_scc1 .LBB91_79
.LBB91_80:                              ;   in Loop: Header=BB91_15 Depth=1
	v_add_lshl_u32 v2, s10, v17, 2
	ds_store_b32 v2, v1 offset:3072
.LBB91_81:                              ;   in Loop: Header=BB91_15 Depth=1
	s_or_b32 exec_lo, exec_lo, s11
	s_lshl_b32 s10, s10, 2
	s_waitcnt lgkmcnt(0)
	v_mov_b32_e32 v1, s10
	s_barrier
	buffer_gl0_inv
	s_and_b32 s17, s73, 0xfe
	v_cmp_eq_u32_e64 s10, 1, v30
	ds_load_b128 v[1:4], v1 offset:3072
	s_lshl_b32 s13, 3, s17
	s_and_not1_b32 vcc_lo, exec_lo, s52
	s_not_b32 s14, s13
	s_waitcnt lgkmcnt(0)
	v_readfirstlane_b32 s12, v1
	v_readfirstlane_b32 s16, v2
	v_readfirstlane_b32 s18, v3
	v_readfirstlane_b32 s19, v4
	s_cbranch_vccnz .LBB91_94
; %bb.82:                               ;   in Loop: Header=BB91_15 Depth=1
	s_cmp_eq_u32 s12, 1
	v_dual_mov_b32 v3, v29 :: v_dual_mov_b32 v4, v28
	v_mov_b32_e32 v2, v15
	s_cselect_b32 s11, -1, 0
	s_mov_b32 s26, -1
	s_and_b32 s25, s11, s10
                                        ; implicit-def: $sgpr15
                                        ; implicit-def: $sgpr22
                                        ; implicit-def: $sgpr21
	s_delay_alu instid0(SALU_CYCLE_1)
	s_and_saveexec_b32 s20, s25
	s_cbranch_execz .LBB91_113
; %bb.83:                               ;   in Loop: Header=BB91_15 Depth=1
	ds_load_b32 v1, v9 offset:4096
	s_waitcnt lgkmcnt(0)
	s_barrier
	buffer_gl0_inv
	v_readfirstlane_b32 s15, v1
	s_and_saveexec_b32 s11, s6
	s_cbranch_execz .LBB91_85
; %bb.84:                               ;   in Loop: Header=BB91_15 Depth=1
	ds_store_b32 v20, v9
.LBB91_85:                              ;   in Loop: Header=BB91_15 Depth=1
	s_or_b32 exec_lo, exec_lo, s11
	v_and_b32_e32 v3, s14, v29
	v_or_b32_e32 v4, s13, v28
	s_cmp_eq_u32 s15, 0
	s_waitcnt lgkmcnt(0)
	s_barrier
	buffer_gl0_inv
	s_cbranch_scc1 .LBB91_99
; %bb.86:                               ;   in Loop: Header=BB91_15 Depth=1
	s_add_i32 s11, s15, s56
                                        ; implicit-def: $vgpr2
	s_delay_alu instid0(SALU_CYCLE_1) | instskip(NEXT) | instid1(SALU_CYCLE_1)
	s_mul_hi_u32 s21, s11, s63
	s_mul_i32 s21, s21, s34
	s_delay_alu instid0(SALU_CYCLE_1) | instskip(NEXT) | instid1(SALU_CYCLE_1)
	s_sub_i32 s21, s11, s21
	s_sub_i32 s22, s21, s34
	s_cmp_ge_u32 s21, s34
	s_cselect_b32 s21, s22, s21
	s_delay_alu instid0(SALU_CYCLE_1) | instskip(SKIP_2) | instid1(SALU_CYCLE_1)
	s_sub_i32 s22, s21, s34
	s_cmp_ge_u32 s21, s34
	s_cselect_b32 s21, s22, s21
	s_sub_i32 s22, s11, s21
	s_mov_b32 s11, 0
	s_mov_b32 s21, exec_lo
	v_cmpx_gt_u32_e64 s22, v0
	s_cbranch_execz .LBB91_101
; %bb.87:                               ;   in Loop: Header=BB91_15 Depth=1
	v_dual_mov_b32 v8, v18 :: v_dual_mov_b32 v31, v0
	s_mov_b32 s23, 0
                                        ; implicit-def: $sgpr24
	s_set_inst_prefetch_distance 0x1
	s_branch .LBB91_89
	.p2align	6
.LBB91_88:                              ;   in Loop: Header=BB91_89 Depth=2
	s_or_b32 exec_lo, exec_lo, s11
	s_waitcnt lgkmcnt(0)
	s_barrier
	buffer_gl0_inv
	ds_load_b64 v[1:2], v9 offset:3072
	v_add_nc_u32_e32 v31, s34, v31
	v_add_nc_u32_e32 v8, s53, v8
	s_waitcnt lgkmcnt(0)
	s_barrier
	buffer_gl0_inv
	v_cmp_le_u32_e32 vcc_lo, s22, v31
	v_cmp_neq_f32_e64 s11, 0, v1
	s_delay_alu instid0(VALU_DEP_1) | instskip(NEXT) | instid1(SALU_CYCLE_1)
	s_or_b32 s26, vcc_lo, s11
	s_and_b32 s26, exec_lo, s26
	s_delay_alu instid0(SALU_CYCLE_1) | instskip(SKIP_2) | instid1(SALU_CYCLE_1)
	s_or_b32 s23, s26, s23
	s_and_not1_b32 s24, s24, exec_lo
	s_and_b32 s11, s11, exec_lo
	s_or_b32 s24, s24, s11
	s_and_not1_b32 exec_lo, exec_lo, s23
	s_cbranch_execz .LBB91_100
.LBB91_89:                              ;   Parent Loop BB91_15 Depth=1
                                        ; =>  This Inner Loop Header: Depth=2
	s_delay_alu instid0(VALU_DEP_1)
	v_cmp_gt_u32_e32 vcc_lo, s15, v31
	v_mov_b32_e32 v14, 0
	s_and_saveexec_b32 s11, vcc_lo
	s_cbranch_execz .LBB91_91
; %bb.90:                               ;   in Loop: Header=BB91_89 Depth=2
	ds_load_b32 v14, v8
.LBB91_91:                              ;   in Loop: Header=BB91_89 Depth=2
	s_or_b32 exec_lo, exec_lo, s11
	s_and_saveexec_b32 s11, vcc_lo
	s_cbranch_execz .LBB91_88
; %bb.92:                               ;   in Loop: Header=BB91_89 Depth=2
	s_waitcnt lgkmcnt(0)
	v_cmp_lt_i32_e32 vcc_lo, -1, v14
	v_cndmask_b32_e64 v1, -1, 0x80000000, vcc_lo
	v_cmp_o_f32_e32 vcc_lo, v14, v14
	s_delay_alu instid0(VALU_DEP_2) | instskip(NEXT) | instid1(VALU_DEP_1)
	v_xor_b32_e32 v1, v1, v14
	v_cndmask_b32_e32 v1, -1, v1, vcc_lo
	s_delay_alu instid0(VALU_DEP_1) | instskip(NEXT) | instid1(VALU_DEP_1)
	v_and_b32_e32 v1, v1, v4
	v_cmp_eq_u32_e32 vcc_lo, v1, v3
	s_and_b32 exec_lo, exec_lo, vcc_lo
	s_cbranch_execz .LBB91_88
; %bb.93:                               ;   in Loop: Header=BB91_89 Depth=2
	ds_store_b64 v9, v[13:14] offset:3072
	s_branch .LBB91_88
.LBB91_94:                              ;   in Loop: Header=BB91_15 Depth=1
	s_mov_b32 s20, 0
	s_mov_b32 s11, 0
                                        ; implicit-def: $sgpr21
                                        ; implicit-def: $sgpr22
                                        ; implicit-def: $sgpr15
                                        ; implicit-def: $vgpr1
                                        ; implicit-def: $vgpr31
                                        ; implicit-def: $vgpr3
                                        ; implicit-def: $vgpr4
                                        ; implicit-def: $vgpr2
	s_cbranch_execnz .LBB91_249
.LBB91_95:                              ;   in Loop: Header=BB91_15 Depth=1
	s_mov_b32 s23, s15
	s_mov_b32 s24, s15
	s_and_saveexec_b32 s10, s20
	s_cbranch_execnz .LBB91_411
	s_branch .LBB91_412
.LBB91_96:                              ;   in Loop: Header=BB91_15 Depth=1
	s_or_b32 exec_lo, exec_lo, s12
	s_waitcnt vmcnt(0) lgkmcnt(0)
	s_barrier
	buffer_gl0_inv
	s_and_saveexec_b32 s10, s5
	s_cbranch_execz .LBB91_98
; %bb.97:                               ;   in Loop: Header=BB91_15 Depth=1
	ds_load_b32 v1, v9 offset:4104
	s_waitcnt lgkmcnt(0)
	ds_store_b32 v9, v1 offset:4096
.LBB91_98:                              ;   in Loop: Header=BB91_15 Depth=1
	s_or_b32 exec_lo, exec_lo, s10
	s_waitcnt lgkmcnt(0)
	s_mov_b32 s10, -1
	s_barrier
	s_and_b32 vcc_lo, exec_lo, s79
	s_cbranch_vccnz .LBB91_33
	s_branch .LBB91_43
.LBB91_99:                              ;   in Loop: Header=BB91_15 Depth=1
	s_mov_b32 s15, -1
	s_mov_b32 s11, 0
                                        ; implicit-def: $sgpr21
                                        ; implicit-def: $vgpr2
	s_mov_b32 s22, s15
	s_cbranch_execnz .LBB91_102
	s_branch .LBB91_112
.LBB91_100:                             ;   in Loop: Header=BB91_15 Depth=1
	s_set_inst_prefetch_distance 0x2
	s_or_b32 exec_lo, exec_lo, s23
	s_delay_alu instid0(SALU_CYCLE_1)
	s_and_b32 s11, s24, exec_lo
.LBB91_101:                             ;   in Loop: Header=BB91_15 Depth=1
	s_or_b32 exec_lo, exec_lo, s21
	s_mov_b32 s21, -1
	s_mov_b32 s15, 0
	s_delay_alu instid0(SALU_CYCLE_1)
	s_mov_b32 s22, s15
	s_branch .LBB91_112
.LBB91_102:                             ;   in Loop: Header=BB91_15 Depth=1
	s_mov_b32 s11, 0
                                        ; implicit-def: $vgpr2
	s_and_saveexec_b32 s15, s9
	s_cbranch_execz .LBB91_111
; %bb.103:                              ;   in Loop: Header=BB91_15 Depth=1
	v_dual_mov_b32 v8, v7 :: v_dual_mov_b32 v31, v0
	s_mov_b32 s21, 0
                                        ; implicit-def: $sgpr22
	s_set_inst_prefetch_distance 0x1
	s_branch .LBB91_105
	.p2align	6
.LBB91_104:                             ;   in Loop: Header=BB91_105 Depth=2
	s_or_b32 exec_lo, exec_lo, s11
	s_waitcnt vmcnt(0) lgkmcnt(0)
	s_barrier
	buffer_gl0_inv
	ds_load_b64 v[1:2], v9 offset:3072
	v_add_nc_u32_e32 v31, s34, v31
	v_add_nc_u32_e32 v8, s40, v8
	s_waitcnt lgkmcnt(0)
	s_barrier
	buffer_gl0_inv
	v_cmp_le_u32_e32 vcc_lo, s64, v31
	v_cmp_neq_f32_e64 s11, 0, v1
	s_delay_alu instid0(VALU_DEP_1) | instskip(NEXT) | instid1(SALU_CYCLE_1)
	s_or_b32 s23, vcc_lo, s11
	s_and_b32 s23, exec_lo, s23
	s_delay_alu instid0(SALU_CYCLE_1) | instskip(SKIP_2) | instid1(SALU_CYCLE_1)
	s_or_b32 s21, s23, s21
	s_and_not1_b32 s22, s22, exec_lo
	s_and_b32 s11, s11, exec_lo
	s_or_b32 s22, s22, s11
	s_and_not1_b32 exec_lo, exec_lo, s21
	s_cbranch_execz .LBB91_110
.LBB91_105:                             ;   Parent Loop BB91_15 Depth=1
                                        ; =>  This Inner Loop Header: Depth=2
	s_delay_alu instid0(VALU_DEP_1)
	v_cmp_gt_u32_e32 vcc_lo, s36, v31
	v_mov_b32_e32 v14, 0
	s_and_saveexec_b32 s23, vcc_lo
	s_cbranch_execz .LBB91_107
; %bb.106:                              ;   in Loop: Header=BB91_105 Depth=2
	v_lshlrev_b64 v[1:2], 2, v[8:9]
	s_delay_alu instid0(VALU_DEP_1) | instskip(NEXT) | instid1(VALU_DEP_1)
	v_add_co_u32 v1, s11, s31, v1
	v_add_co_ci_u32_e64 v2, s11, s33, v2, s11
	global_load_b32 v14, v[1:2], off
.LBB91_107:                             ;   in Loop: Header=BB91_105 Depth=2
	s_or_b32 exec_lo, exec_lo, s23
	s_and_saveexec_b32 s11, vcc_lo
	s_cbranch_execz .LBB91_104
; %bb.108:                              ;   in Loop: Header=BB91_105 Depth=2
	s_waitcnt vmcnt(0)
	v_cmp_lt_i32_e32 vcc_lo, -1, v14
	v_cndmask_b32_e64 v1, -1, 0x80000000, vcc_lo
	v_cmp_o_f32_e32 vcc_lo, v14, v14
	s_delay_alu instid0(VALU_DEP_2) | instskip(NEXT) | instid1(VALU_DEP_1)
	v_xor_b32_e32 v1, v1, v14
	v_cndmask_b32_e32 v1, -1, v1, vcc_lo
	s_delay_alu instid0(VALU_DEP_1) | instskip(NEXT) | instid1(VALU_DEP_1)
	v_and_b32_e32 v1, v1, v4
	v_cmp_eq_u32_e32 vcc_lo, v1, v3
	s_and_b32 exec_lo, exec_lo, vcc_lo
	s_cbranch_execz .LBB91_104
; %bb.109:                              ;   in Loop: Header=BB91_105 Depth=2
	ds_store_b64 v9, v[13:14] offset:3072
	s_branch .LBB91_104
.LBB91_110:                             ;   in Loop: Header=BB91_15 Depth=1
	s_set_inst_prefetch_distance 0x2
	s_or_b32 exec_lo, exec_lo, s21
	s_delay_alu instid0(SALU_CYCLE_1)
	s_and_b32 s11, s22, exec_lo
.LBB91_111:                             ;   in Loop: Header=BB91_15 Depth=1
	s_or_b32 exec_lo, exec_lo, s15
	s_mov_b32 s22, -1
	s_mov_b32 s15, 0
	s_mov_b32 s21, 0
.LBB91_112:                             ;   in Loop: Header=BB91_15 Depth=1
	s_or_not1_b32 s26, s11, exec_lo
.LBB91_113:                             ;   in Loop: Header=BB91_15 Depth=1
	s_or_b32 exec_lo, exec_lo, s20
	s_mov_b32 s23, 0
	s_mov_b32 s20, 0
	;; [unrolled: 1-line block ×3, first 2 shown]
                                        ; implicit-def: $vgpr1
                                        ; implicit-def: $vgpr31
	s_and_saveexec_b32 s24, s26
	s_cbranch_execz .LBB91_248
; %bb.114:                              ;   in Loop: Header=BB91_15 Depth=1
	v_mov_b32_e32 v31, 1
	v_mov_b32_e32 v1, 1
	s_xor_b32 s25, s25, -1
	s_delay_alu instid0(SALU_CYCLE_1)
	s_and_saveexec_b32 s11, s25
	s_cbranch_execz .LBB91_124
; %bb.115:                              ;   in Loop: Header=BB91_15 Depth=1
	s_mov_b32 s25, exec_lo
                                        ; implicit-def: $sgpr26
                                        ; implicit-def: $sgpr20
	v_cmpx_ge_u32_e64 s12, v30
	s_xor_b32 s25, exec_lo, s25
	s_cbranch_execz .LBB91_121
; %bb.116:                              ;   in Loop: Header=BB91_15 Depth=1
	ds_load_b32 v1, v9 offset:4096
	s_waitcnt lgkmcnt(0)
	v_cmp_ne_u32_e32 vcc_lo, 0, v1
	s_cbranch_vccnz .LBB91_120
; %bb.117:                              ;   in Loop: Header=BB91_15 Depth=1
	s_and_saveexec_b32 s20, s5
	s_cbranch_execz .LBB91_119
; %bb.118:                              ;   in Loop: Header=BB91_15 Depth=1
	v_mov_b32_e32 v1, s12
	ds_store_b32 v9, v1 offset:4100
.LBB91_119:                             ;   in Loop: Header=BB91_15 Depth=1
	s_or_b32 exec_lo, exec_lo, s20
	s_waitcnt lgkmcnt(0)
	s_barrier
	buffer_gl0_inv
.LBB91_120:                             ;   in Loop: Header=BB91_15 Depth=1
	v_and_b32_e32 v3, s14, v3
	v_or_b32_e32 v4, s13, v4
	s_mov_b32 s20, 0
	s_mov_b32 s26, 8
.LBB91_121:                             ;   in Loop: Header=BB91_15 Depth=1
	s_or_saveexec_b32 s25, s25
	v_mov_b32_e32 v1, s26
	v_mov_b32_e32 v31, v30
	s_xor_b32 exec_lo, exec_lo, s25
; %bb.122:                              ;   in Loop: Header=BB91_15 Depth=1
	v_subrev_nc_u32_e32 v31, s12, v30
	v_mov_b32_e32 v1, 0
	s_or_b32 s20, s20, exec_lo
; %bb.123:                              ;   in Loop: Header=BB91_15 Depth=1
	s_or_b32 exec_lo, exec_lo, s25
	s_delay_alu instid0(SALU_CYCLE_1)
	s_and_b32 s20, s20, exec_lo
.LBB91_124:                             ;   in Loop: Header=BB91_15 Depth=1
	s_or_b32 exec_lo, exec_lo, s11
	s_mov_b32 s11, -1
                                        ; implicit-def: $sgpr25
                                        ; implicit-def: $sgpr27
                                        ; implicit-def: $sgpr28
	s_and_saveexec_b32 s26, s20
	s_delay_alu instid0(SALU_CYCLE_1)
	s_xor_b32 s20, exec_lo, s26
	s_cbranch_execz .LBB91_245
; %bb.125:                              ;   in Loop: Header=BB91_15 Depth=1
	v_cmp_eq_u32_e32 vcc_lo, 1, v31
	s_cmp_eq_u32 s16, 1
                                        ; implicit-def: $sgpr25
                                        ; implicit-def: $sgpr27
                                        ; implicit-def: $sgpr26
	s_cselect_b32 s11, -1, 0
	s_delay_alu instid0(SALU_CYCLE_1)
	s_and_b32 s29, s11, vcc_lo
	s_mov_b32 s11, -1
	s_and_saveexec_b32 s28, s29
	s_cbranch_execz .LBB91_151
; %bb.126:                              ;   in Loop: Header=BB91_15 Depth=1
	ds_load_b32 v1, v9 offset:4096
	s_waitcnt lgkmcnt(0)
	s_barrier
	buffer_gl0_inv
	v_readfirstlane_b32 s25, v1
	s_and_saveexec_b32 s11, s6
	s_cbranch_execz .LBB91_128
; %bb.127:                              ;   in Loop: Header=BB91_15 Depth=1
	ds_store_b32 v20, v9
.LBB91_128:                             ;   in Loop: Header=BB91_15 Depth=1
	s_or_b32 exec_lo, exec_lo, s11
	s_lshl_b32 s11, 1, s17
	v_or_b32_e32 v4, s13, v4
	v_and_or_b32 v3, v3, s14, s11
	s_cmp_eq_u32 s25, 0
	s_waitcnt lgkmcnt(0)
	s_barrier
	buffer_gl0_inv
	s_cbranch_scc1 .LBB91_137
; %bb.129:                              ;   in Loop: Header=BB91_15 Depth=1
	s_add_i32 s11, s25, s56
                                        ; implicit-def: $vgpr2
	s_delay_alu instid0(SALU_CYCLE_1) | instskip(NEXT) | instid1(SALU_CYCLE_1)
	s_mul_hi_u32 s26, s11, s63
	s_mul_i32 s26, s26, s34
	s_delay_alu instid0(SALU_CYCLE_1) | instskip(NEXT) | instid1(SALU_CYCLE_1)
	s_sub_i32 s26, s11, s26
	s_sub_i32 s27, s26, s34
	s_cmp_ge_u32 s26, s34
	s_cselect_b32 s26, s27, s26
	s_delay_alu instid0(SALU_CYCLE_1) | instskip(SKIP_2) | instid1(SALU_CYCLE_1)
	s_sub_i32 s27, s26, s34
	s_cmp_ge_u32 s26, s34
	s_cselect_b32 s26, s27, s26
	s_sub_i32 s27, s11, s26
	s_mov_b32 s11, 0
	s_mov_b32 s26, exec_lo
	v_cmpx_gt_u32_e64 s27, v0
	s_cbranch_execz .LBB91_139
; %bb.130:                              ;   in Loop: Header=BB91_15 Depth=1
	v_mov_b32_e32 v8, v18
	v_mov_b32_e32 v32, v0
	s_mov_b32 s79, 0
                                        ; implicit-def: $sgpr80
	s_set_inst_prefetch_distance 0x1
	s_branch .LBB91_132
	.p2align	6
.LBB91_131:                             ;   in Loop: Header=BB91_132 Depth=2
	s_or_b32 exec_lo, exec_lo, s11
	s_waitcnt lgkmcnt(0)
	s_barrier
	buffer_gl0_inv
	ds_load_b64 v[1:2], v9 offset:3072
	v_add_nc_u32_e32 v32, s34, v32
	v_add_nc_u32_e32 v8, s53, v8
	s_waitcnt lgkmcnt(0)
	s_barrier
	buffer_gl0_inv
	v_cmp_le_u32_e32 vcc_lo, s27, v32
	v_cmp_neq_f32_e64 s11, 0, v1
	s_delay_alu instid0(VALU_DEP_1) | instskip(NEXT) | instid1(SALU_CYCLE_1)
	s_or_b32 s81, vcc_lo, s11
	s_and_b32 s81, exec_lo, s81
	s_delay_alu instid0(SALU_CYCLE_1) | instskip(SKIP_2) | instid1(SALU_CYCLE_1)
	s_or_b32 s79, s81, s79
	s_and_not1_b32 s80, s80, exec_lo
	s_and_b32 s11, s11, exec_lo
	s_or_b32 s80, s80, s11
	s_and_not1_b32 exec_lo, exec_lo, s79
	s_cbranch_execz .LBB91_138
.LBB91_132:                             ;   Parent Loop BB91_15 Depth=1
                                        ; =>  This Inner Loop Header: Depth=2
	s_delay_alu instid0(VALU_DEP_1)
	v_cmp_gt_u32_e32 vcc_lo, s25, v32
	v_mov_b32_e32 v14, 0
	s_and_saveexec_b32 s11, vcc_lo
	s_cbranch_execz .LBB91_134
; %bb.133:                              ;   in Loop: Header=BB91_132 Depth=2
	ds_load_b32 v14, v8
.LBB91_134:                             ;   in Loop: Header=BB91_132 Depth=2
	s_or_b32 exec_lo, exec_lo, s11
	s_and_saveexec_b32 s11, vcc_lo
	s_cbranch_execz .LBB91_131
; %bb.135:                              ;   in Loop: Header=BB91_132 Depth=2
	s_waitcnt lgkmcnt(0)
	v_cmp_lt_i32_e32 vcc_lo, -1, v14
	v_cndmask_b32_e64 v1, -1, 0x80000000, vcc_lo
	v_cmp_o_f32_e32 vcc_lo, v14, v14
	s_delay_alu instid0(VALU_DEP_2) | instskip(NEXT) | instid1(VALU_DEP_1)
	v_xor_b32_e32 v1, v1, v14
	v_cndmask_b32_e32 v1, -1, v1, vcc_lo
	s_delay_alu instid0(VALU_DEP_1) | instskip(NEXT) | instid1(VALU_DEP_1)
	v_and_b32_e32 v1, v1, v4
	v_cmp_eq_u32_e32 vcc_lo, v1, v3
	s_and_b32 exec_lo, exec_lo, vcc_lo
	s_cbranch_execz .LBB91_131
; %bb.136:                              ;   in Loop: Header=BB91_132 Depth=2
	ds_store_b64 v9, v[13:14] offset:3072
	s_branch .LBB91_131
.LBB91_137:                             ;   in Loop: Header=BB91_15 Depth=1
	s_mov_b32 s25, -1
	s_mov_b32 s11, 0
                                        ; implicit-def: $sgpr26
                                        ; implicit-def: $vgpr2
	s_mov_b32 s27, s25
	s_cbranch_execnz .LBB91_140
	s_branch .LBB91_150
.LBB91_138:                             ;   in Loop: Header=BB91_15 Depth=1
	s_set_inst_prefetch_distance 0x2
	s_or_b32 exec_lo, exec_lo, s79
	s_delay_alu instid0(SALU_CYCLE_1)
	s_and_b32 s11, s80, exec_lo
.LBB91_139:                             ;   in Loop: Header=BB91_15 Depth=1
	s_or_b32 exec_lo, exec_lo, s26
	s_mov_b32 s26, -1
	s_mov_b32 s25, 0
	s_delay_alu instid0(SALU_CYCLE_1)
	s_mov_b32 s27, s25
	s_branch .LBB91_150
.LBB91_140:                             ;   in Loop: Header=BB91_15 Depth=1
	s_mov_b32 s11, 0
                                        ; implicit-def: $vgpr2
	s_and_saveexec_b32 s25, s9
	s_cbranch_execz .LBB91_149
; %bb.141:                              ;   in Loop: Header=BB91_15 Depth=1
	v_mov_b32_e32 v8, v7
	v_mov_b32_e32 v32, v0
	s_mov_b32 s26, 0
                                        ; implicit-def: $sgpr27
	s_set_inst_prefetch_distance 0x1
	s_branch .LBB91_143
	.p2align	6
.LBB91_142:                             ;   in Loop: Header=BB91_143 Depth=2
	s_or_b32 exec_lo, exec_lo, s11
	s_waitcnt vmcnt(0) lgkmcnt(0)
	s_barrier
	buffer_gl0_inv
	ds_load_b64 v[1:2], v9 offset:3072
	v_add_nc_u32_e32 v32, s34, v32
	v_add_nc_u32_e32 v8, s40, v8
	s_waitcnt lgkmcnt(0)
	s_barrier
	buffer_gl0_inv
	v_cmp_le_u32_e32 vcc_lo, s64, v32
	v_cmp_neq_f32_e64 s11, 0, v1
	s_delay_alu instid0(VALU_DEP_1) | instskip(NEXT) | instid1(SALU_CYCLE_1)
	s_or_b32 s79, vcc_lo, s11
	s_and_b32 s79, exec_lo, s79
	s_delay_alu instid0(SALU_CYCLE_1) | instskip(SKIP_2) | instid1(SALU_CYCLE_1)
	s_or_b32 s26, s79, s26
	s_and_not1_b32 s27, s27, exec_lo
	s_and_b32 s11, s11, exec_lo
	s_or_b32 s27, s27, s11
	s_and_not1_b32 exec_lo, exec_lo, s26
	s_cbranch_execz .LBB91_148
.LBB91_143:                             ;   Parent Loop BB91_15 Depth=1
                                        ; =>  This Inner Loop Header: Depth=2
	s_delay_alu instid0(VALU_DEP_1)
	v_cmp_gt_u32_e32 vcc_lo, s36, v32
	v_mov_b32_e32 v14, 0
	s_and_saveexec_b32 s79, vcc_lo
	s_cbranch_execz .LBB91_145
; %bb.144:                              ;   in Loop: Header=BB91_143 Depth=2
	v_lshlrev_b64 v[1:2], 2, v[8:9]
	s_delay_alu instid0(VALU_DEP_1) | instskip(NEXT) | instid1(VALU_DEP_1)
	v_add_co_u32 v1, s11, s31, v1
	v_add_co_ci_u32_e64 v2, s11, s33, v2, s11
	global_load_b32 v14, v[1:2], off
.LBB91_145:                             ;   in Loop: Header=BB91_143 Depth=2
	s_or_b32 exec_lo, exec_lo, s79
	s_and_saveexec_b32 s11, vcc_lo
	s_cbranch_execz .LBB91_142
; %bb.146:                              ;   in Loop: Header=BB91_143 Depth=2
	s_waitcnt vmcnt(0)
	v_cmp_lt_i32_e32 vcc_lo, -1, v14
	v_cndmask_b32_e64 v1, -1, 0x80000000, vcc_lo
	v_cmp_o_f32_e32 vcc_lo, v14, v14
	s_delay_alu instid0(VALU_DEP_2) | instskip(NEXT) | instid1(VALU_DEP_1)
	v_xor_b32_e32 v1, v1, v14
	v_cndmask_b32_e32 v1, -1, v1, vcc_lo
	s_delay_alu instid0(VALU_DEP_1) | instskip(NEXT) | instid1(VALU_DEP_1)
	v_and_b32_e32 v1, v1, v4
	v_cmp_eq_u32_e32 vcc_lo, v1, v3
	s_and_b32 exec_lo, exec_lo, vcc_lo
	s_cbranch_execz .LBB91_142
; %bb.147:                              ;   in Loop: Header=BB91_143 Depth=2
	ds_store_b64 v9, v[13:14] offset:3072
	s_branch .LBB91_142
.LBB91_148:                             ;   in Loop: Header=BB91_15 Depth=1
	s_set_inst_prefetch_distance 0x2
	s_or_b32 exec_lo, exec_lo, s26
	s_delay_alu instid0(SALU_CYCLE_1)
	s_and_b32 s11, s27, exec_lo
.LBB91_149:                             ;   in Loop: Header=BB91_15 Depth=1
	s_or_b32 exec_lo, exec_lo, s25
	s_mov_b32 s27, -1
	s_mov_b32 s25, 0
	s_mov_b32 s26, 0
.LBB91_150:                             ;   in Loop: Header=BB91_15 Depth=1
	s_or_not1_b32 s11, s11, exec_lo
.LBB91_151:                             ;   in Loop: Header=BB91_15 Depth=1
	s_or_b32 exec_lo, exec_lo, s28
	s_mov_b32 s79, 0
                                        ; implicit-def: $vgpr1
	s_and_saveexec_b32 s28, s11
	s_cbranch_execz .LBB91_244
; %bb.152:                              ;   in Loop: Header=BB91_15 Depth=1
	v_dual_mov_b32 v32, 1 :: v_dual_mov_b32 v1, 1
	s_xor_b32 s29, s29, -1
	s_mov_b32 s80, 0
	s_and_saveexec_b32 s11, s29
	s_cbranch_execz .LBB91_162
; %bb.153:                              ;   in Loop: Header=BB91_15 Depth=1
	s_mov_b32 s79, exec_lo
                                        ; implicit-def: $sgpr80
                                        ; implicit-def: $sgpr29
	v_cmpx_ge_u32_e64 s16, v31
	s_xor_b32 s79, exec_lo, s79
	s_cbranch_execz .LBB91_159
; %bb.154:                              ;   in Loop: Header=BB91_15 Depth=1
	ds_load_b32 v1, v9 offset:4096
	s_waitcnt lgkmcnt(0)
	v_cmp_ne_u32_e32 vcc_lo, 0, v1
	s_cbranch_vccnz .LBB91_158
; %bb.155:                              ;   in Loop: Header=BB91_15 Depth=1
	s_and_saveexec_b32 s29, s5
	s_cbranch_execz .LBB91_157
; %bb.156:                              ;   in Loop: Header=BB91_15 Depth=1
	v_mov_b32_e32 v1, s16
	ds_store_b32 v9, v1 offset:4100
.LBB91_157:                             ;   in Loop: Header=BB91_15 Depth=1
	s_or_b32 exec_lo, exec_lo, s29
	s_waitcnt lgkmcnt(0)
	s_barrier
	buffer_gl0_inv
.LBB91_158:                             ;   in Loop: Header=BB91_15 Depth=1
	s_lshl_b32 s29, 1, s17
	v_or_b32_e32 v4, s13, v4
	v_and_or_b32 v3, v3, s14, s29
	s_mov_b32 s29, 0
	s_mov_b32 s80, 8
.LBB91_159:                             ;   in Loop: Header=BB91_15 Depth=1
	s_or_saveexec_b32 s79, s79
	v_mov_b32_e32 v1, s80
	s_xor_b32 exec_lo, exec_lo, s79
; %bb.160:                              ;   in Loop: Header=BB91_15 Depth=1
	v_subrev_nc_u32_e32 v31, s16, v31
	v_mov_b32_e32 v1, 0
	s_or_b32 s29, s29, exec_lo
; %bb.161:                              ;   in Loop: Header=BB91_15 Depth=1
	s_or_b32 exec_lo, exec_lo, s79
	s_delay_alu instid0(VALU_DEP_2)
	v_mov_b32_e32 v32, v31
	s_and_b32 s80, s29, exec_lo
.LBB91_162:                             ;   in Loop: Header=BB91_15 Depth=1
	s_or_b32 exec_lo, exec_lo, s11
	s_mov_b32 s11, -1
                                        ; implicit-def: $sgpr79
                                        ; implicit-def: $sgpr81
                                        ; implicit-def: $sgpr82
	s_and_saveexec_b32 s29, s80
	s_cbranch_execz .LBB91_243
; %bb.163:                              ;   in Loop: Header=BB91_15 Depth=1
	v_cmp_eq_u32_e32 vcc_lo, 1, v32
	s_cmp_eq_u32 s18, 1
                                        ; implicit-def: $sgpr79
                                        ; implicit-def: $sgpr81
                                        ; implicit-def: $sgpr80
	s_cselect_b32 s11, -1, 0
	s_delay_alu instid0(SALU_CYCLE_1)
	s_and_b32 s83, s11, vcc_lo
	s_mov_b32 s11, -1
	s_and_saveexec_b32 s82, s83
	s_cbranch_execz .LBB91_189
; %bb.164:                              ;   in Loop: Header=BB91_15 Depth=1
	ds_load_b32 v1, v9 offset:4096
	s_waitcnt lgkmcnt(0)
	s_barrier
	buffer_gl0_inv
	v_readfirstlane_b32 s79, v1
	s_and_saveexec_b32 s11, s6
	s_cbranch_execz .LBB91_166
; %bb.165:                              ;   in Loop: Header=BB91_15 Depth=1
	ds_store_b32 v20, v9
.LBB91_166:                             ;   in Loop: Header=BB91_15 Depth=1
	s_or_b32 exec_lo, exec_lo, s11
	s_lshl_b32 s11, 2, s17
	v_or_b32_e32 v4, s13, v4
	v_and_or_b32 v3, v3, s14, s11
	s_cmp_eq_u32 s79, 0
	s_waitcnt lgkmcnt(0)
	s_barrier
	buffer_gl0_inv
	s_cbranch_scc1 .LBB91_175
; %bb.167:                              ;   in Loop: Header=BB91_15 Depth=1
	s_add_i32 s11, s79, s56
                                        ; implicit-def: $vgpr2
	s_delay_alu instid0(SALU_CYCLE_1) | instskip(NEXT) | instid1(SALU_CYCLE_1)
	s_mul_hi_u32 s80, s11, s63
	s_mul_i32 s80, s80, s34
	s_delay_alu instid0(SALU_CYCLE_1) | instskip(NEXT) | instid1(SALU_CYCLE_1)
	s_sub_i32 s80, s11, s80
	s_sub_i32 s81, s80, s34
	s_cmp_ge_u32 s80, s34
	s_cselect_b32 s80, s81, s80
	s_delay_alu instid0(SALU_CYCLE_1) | instskip(SKIP_2) | instid1(SALU_CYCLE_1)
	s_sub_i32 s81, s80, s34
	s_cmp_ge_u32 s80, s34
	s_cselect_b32 s80, s81, s80
	s_sub_i32 s81, s11, s80
	s_mov_b32 s11, 0
	s_mov_b32 s80, exec_lo
	v_cmpx_gt_u32_e64 s81, v0
	s_cbranch_execz .LBB91_177
; %bb.168:                              ;   in Loop: Header=BB91_15 Depth=1
	v_dual_mov_b32 v8, v18 :: v_dual_mov_b32 v31, v0
	s_mov_b32 s84, 0
                                        ; implicit-def: $sgpr85
	s_set_inst_prefetch_distance 0x1
	s_branch .LBB91_170
	.p2align	6
.LBB91_169:                             ;   in Loop: Header=BB91_170 Depth=2
	s_or_b32 exec_lo, exec_lo, s11
	s_waitcnt lgkmcnt(0)
	s_barrier
	buffer_gl0_inv
	ds_load_b64 v[1:2], v9 offset:3072
	v_add_nc_u32_e32 v31, s34, v31
	v_add_nc_u32_e32 v8, s53, v8
	s_waitcnt lgkmcnt(0)
	s_barrier
	buffer_gl0_inv
	v_cmp_le_u32_e32 vcc_lo, s81, v31
	v_cmp_neq_f32_e64 s11, 0, v1
	s_delay_alu instid0(VALU_DEP_1) | instskip(NEXT) | instid1(SALU_CYCLE_1)
	s_or_b32 s86, vcc_lo, s11
	s_and_b32 s86, exec_lo, s86
	s_delay_alu instid0(SALU_CYCLE_1) | instskip(SKIP_2) | instid1(SALU_CYCLE_1)
	s_or_b32 s84, s86, s84
	s_and_not1_b32 s85, s85, exec_lo
	s_and_b32 s11, s11, exec_lo
	s_or_b32 s85, s85, s11
	s_and_not1_b32 exec_lo, exec_lo, s84
	s_cbranch_execz .LBB91_176
.LBB91_170:                             ;   Parent Loop BB91_15 Depth=1
                                        ; =>  This Inner Loop Header: Depth=2
	s_delay_alu instid0(VALU_DEP_1)
	v_cmp_gt_u32_e32 vcc_lo, s79, v31
	v_mov_b32_e32 v14, 0
	s_and_saveexec_b32 s11, vcc_lo
	s_cbranch_execz .LBB91_172
; %bb.171:                              ;   in Loop: Header=BB91_170 Depth=2
	ds_load_b32 v14, v8
.LBB91_172:                             ;   in Loop: Header=BB91_170 Depth=2
	s_or_b32 exec_lo, exec_lo, s11
	s_and_saveexec_b32 s11, vcc_lo
	s_cbranch_execz .LBB91_169
; %bb.173:                              ;   in Loop: Header=BB91_170 Depth=2
	s_waitcnt lgkmcnt(0)
	v_cmp_lt_i32_e32 vcc_lo, -1, v14
	v_cndmask_b32_e64 v1, -1, 0x80000000, vcc_lo
	v_cmp_o_f32_e32 vcc_lo, v14, v14
	s_delay_alu instid0(VALU_DEP_2) | instskip(NEXT) | instid1(VALU_DEP_1)
	v_xor_b32_e32 v1, v1, v14
	v_cndmask_b32_e32 v1, -1, v1, vcc_lo
	s_delay_alu instid0(VALU_DEP_1) | instskip(NEXT) | instid1(VALU_DEP_1)
	v_and_b32_e32 v1, v1, v4
	v_cmp_eq_u32_e32 vcc_lo, v1, v3
	s_and_b32 exec_lo, exec_lo, vcc_lo
	s_cbranch_execz .LBB91_169
; %bb.174:                              ;   in Loop: Header=BB91_170 Depth=2
	ds_store_b64 v9, v[13:14] offset:3072
	s_branch .LBB91_169
.LBB91_175:                             ;   in Loop: Header=BB91_15 Depth=1
	s_mov_b32 s79, -1
	s_mov_b32 s11, 0
                                        ; implicit-def: $sgpr80
                                        ; implicit-def: $vgpr2
	s_mov_b32 s81, s79
	s_cbranch_execnz .LBB91_178
	s_branch .LBB91_188
.LBB91_176:                             ;   in Loop: Header=BB91_15 Depth=1
	s_set_inst_prefetch_distance 0x2
	s_or_b32 exec_lo, exec_lo, s84
	s_delay_alu instid0(SALU_CYCLE_1)
	s_and_b32 s11, s85, exec_lo
.LBB91_177:                             ;   in Loop: Header=BB91_15 Depth=1
	s_or_b32 exec_lo, exec_lo, s80
	s_mov_b32 s80, -1
	s_mov_b32 s79, 0
	s_delay_alu instid0(SALU_CYCLE_1)
	s_mov_b32 s81, s79
	s_branch .LBB91_188
.LBB91_178:                             ;   in Loop: Header=BB91_15 Depth=1
	s_mov_b32 s11, 0
                                        ; implicit-def: $vgpr2
	s_and_saveexec_b32 s79, s9
	s_cbranch_execz .LBB91_187
; %bb.179:                              ;   in Loop: Header=BB91_15 Depth=1
	v_dual_mov_b32 v8, v7 :: v_dual_mov_b32 v31, v0
	s_mov_b32 s80, 0
                                        ; implicit-def: $sgpr81
	s_set_inst_prefetch_distance 0x1
	s_branch .LBB91_181
	.p2align	6
.LBB91_180:                             ;   in Loop: Header=BB91_181 Depth=2
	s_or_b32 exec_lo, exec_lo, s11
	s_waitcnt vmcnt(0) lgkmcnt(0)
	s_barrier
	buffer_gl0_inv
	ds_load_b64 v[1:2], v9 offset:3072
	v_add_nc_u32_e32 v31, s34, v31
	v_add_nc_u32_e32 v8, s40, v8
	s_waitcnt lgkmcnt(0)
	s_barrier
	buffer_gl0_inv
	v_cmp_le_u32_e32 vcc_lo, s64, v31
	v_cmp_neq_f32_e64 s11, 0, v1
	s_delay_alu instid0(VALU_DEP_1) | instskip(NEXT) | instid1(SALU_CYCLE_1)
	s_or_b32 s84, vcc_lo, s11
	s_and_b32 s84, exec_lo, s84
	s_delay_alu instid0(SALU_CYCLE_1) | instskip(SKIP_2) | instid1(SALU_CYCLE_1)
	s_or_b32 s80, s84, s80
	s_and_not1_b32 s81, s81, exec_lo
	s_and_b32 s11, s11, exec_lo
	s_or_b32 s81, s81, s11
	s_and_not1_b32 exec_lo, exec_lo, s80
	s_cbranch_execz .LBB91_186
.LBB91_181:                             ;   Parent Loop BB91_15 Depth=1
                                        ; =>  This Inner Loop Header: Depth=2
	s_delay_alu instid0(VALU_DEP_1)
	v_cmp_gt_u32_e32 vcc_lo, s36, v31
	v_mov_b32_e32 v14, 0
	s_and_saveexec_b32 s84, vcc_lo
	s_cbranch_execz .LBB91_183
; %bb.182:                              ;   in Loop: Header=BB91_181 Depth=2
	v_lshlrev_b64 v[1:2], 2, v[8:9]
	s_delay_alu instid0(VALU_DEP_1) | instskip(NEXT) | instid1(VALU_DEP_1)
	v_add_co_u32 v1, s11, s31, v1
	v_add_co_ci_u32_e64 v2, s11, s33, v2, s11
	global_load_b32 v14, v[1:2], off
.LBB91_183:                             ;   in Loop: Header=BB91_181 Depth=2
	s_or_b32 exec_lo, exec_lo, s84
	s_and_saveexec_b32 s11, vcc_lo
	s_cbranch_execz .LBB91_180
; %bb.184:                              ;   in Loop: Header=BB91_181 Depth=2
	s_waitcnt vmcnt(0)
	v_cmp_lt_i32_e32 vcc_lo, -1, v14
	v_cndmask_b32_e64 v1, -1, 0x80000000, vcc_lo
	v_cmp_o_f32_e32 vcc_lo, v14, v14
	s_delay_alu instid0(VALU_DEP_2) | instskip(NEXT) | instid1(VALU_DEP_1)
	v_xor_b32_e32 v1, v1, v14
	v_cndmask_b32_e32 v1, -1, v1, vcc_lo
	s_delay_alu instid0(VALU_DEP_1) | instskip(NEXT) | instid1(VALU_DEP_1)
	v_and_b32_e32 v1, v1, v4
	v_cmp_eq_u32_e32 vcc_lo, v1, v3
	s_and_b32 exec_lo, exec_lo, vcc_lo
	s_cbranch_execz .LBB91_180
; %bb.185:                              ;   in Loop: Header=BB91_181 Depth=2
	ds_store_b64 v9, v[13:14] offset:3072
	s_branch .LBB91_180
.LBB91_186:                             ;   in Loop: Header=BB91_15 Depth=1
	s_set_inst_prefetch_distance 0x2
	s_or_b32 exec_lo, exec_lo, s80
	s_delay_alu instid0(SALU_CYCLE_1)
	s_and_b32 s11, s81, exec_lo
.LBB91_187:                             ;   in Loop: Header=BB91_15 Depth=1
	s_or_b32 exec_lo, exec_lo, s79
	s_mov_b32 s81, -1
	s_mov_b32 s79, 0
	s_mov_b32 s80, 0
.LBB91_188:                             ;   in Loop: Header=BB91_15 Depth=1
	s_or_not1_b32 s11, s11, exec_lo
.LBB91_189:                             ;   in Loop: Header=BB91_15 Depth=1
	s_or_b32 exec_lo, exec_lo, s82
	s_mov_b32 s84, 0
                                        ; implicit-def: $vgpr1
	s_and_saveexec_b32 s82, s11
	s_cbranch_execz .LBB91_242
; %bb.190:                              ;   in Loop: Header=BB91_15 Depth=1
	v_mov_b32_e32 v31, 1
	v_mov_b32_e32 v1, 1
	s_xor_b32 s83, s83, -1
	s_mov_b32 s85, 0
	s_and_saveexec_b32 s11, s83
	s_cbranch_execz .LBB91_200
; %bb.191:                              ;   in Loop: Header=BB91_15 Depth=1
	s_mov_b32 s84, exec_lo
                                        ; implicit-def: $sgpr85
                                        ; implicit-def: $sgpr83
	v_cmpx_ge_u32_e64 s18, v32
	s_xor_b32 s84, exec_lo, s84
	s_cbranch_execz .LBB91_197
; %bb.192:                              ;   in Loop: Header=BB91_15 Depth=1
	ds_load_b32 v1, v9 offset:4096
	s_waitcnt lgkmcnt(0)
	v_cmp_ne_u32_e32 vcc_lo, 0, v1
	s_cbranch_vccnz .LBB91_196
; %bb.193:                              ;   in Loop: Header=BB91_15 Depth=1
	s_and_saveexec_b32 s83, s5
	s_cbranch_execz .LBB91_195
; %bb.194:                              ;   in Loop: Header=BB91_15 Depth=1
	v_mov_b32_e32 v1, s18
	ds_store_b32 v9, v1 offset:4100
.LBB91_195:                             ;   in Loop: Header=BB91_15 Depth=1
	s_or_b32 exec_lo, exec_lo, s83
	s_waitcnt lgkmcnt(0)
	s_barrier
	buffer_gl0_inv
.LBB91_196:                             ;   in Loop: Header=BB91_15 Depth=1
	s_lshl_b32 s83, 2, s17
	v_or_b32_e32 v4, s13, v4
	v_and_or_b32 v3, v3, s14, s83
	s_mov_b32 s83, 0
	s_mov_b32 s85, 8
.LBB91_197:                             ;   in Loop: Header=BB91_15 Depth=1
	s_or_saveexec_b32 s84, s84
	v_mov_b32_e32 v1, s85
	s_xor_b32 exec_lo, exec_lo, s84
; %bb.198:                              ;   in Loop: Header=BB91_15 Depth=1
	v_subrev_nc_u32_e32 v32, s18, v32
	v_mov_b32_e32 v1, 0
	s_or_b32 s83, s83, exec_lo
; %bb.199:                              ;   in Loop: Header=BB91_15 Depth=1
	s_or_b32 exec_lo, exec_lo, s84
	s_delay_alu instid0(VALU_DEP_2)
	v_mov_b32_e32 v31, v32
	s_and_b32 s85, s83, exec_lo
.LBB91_200:                             ;   in Loop: Header=BB91_15 Depth=1
	s_or_b32 exec_lo, exec_lo, s11
	s_mov_b32 s84, -1
                                        ; implicit-def: $sgpr11
                                        ; implicit-def: $sgpr87
                                        ; implicit-def: $sgpr86
	s_and_saveexec_b32 s83, s85
	s_cbranch_execz .LBB91_241
; %bb.201:                              ;   in Loop: Header=BB91_15 Depth=1
	v_cmp_eq_u32_e32 vcc_lo, 1, v31
	s_cmp_eq_u32 s19, 1
	s_mov_b32 s88, -1
	s_cselect_b32 s11, -1, 0
                                        ; implicit-def: $sgpr87
                                        ; implicit-def: $sgpr86
	s_delay_alu instid0(SALU_CYCLE_1) | instskip(NEXT) | instid1(SALU_CYCLE_1)
	s_and_b32 s84, s11, vcc_lo
                                        ; implicit-def: $sgpr11
	s_and_saveexec_b32 s85, s84
	s_cbranch_execz .LBB91_228
; %bb.202:                              ;   in Loop: Header=BB91_15 Depth=1
	ds_load_b32 v1, v9 offset:4096
	s_waitcnt lgkmcnt(0)
	s_barrier
	buffer_gl0_inv
	v_readfirstlane_b32 s86, v1
	s_and_saveexec_b32 s11, s6
	s_cbranch_execz .LBB91_204
; %bb.203:                              ;   in Loop: Header=BB91_15 Depth=1
	ds_store_b32 v20, v9
.LBB91_204:                             ;   in Loop: Header=BB91_15 Depth=1
	s_or_b32 exec_lo, exec_lo, s11
	v_or_b32_e32 v3, s13, v3
	v_or_b32_e32 v4, s13, v4
	s_cmp_eq_u32 s86, 0
	s_waitcnt lgkmcnt(0)
	s_barrier
	buffer_gl0_inv
	s_cbranch_scc1 .LBB91_213
; %bb.205:                              ;   in Loop: Header=BB91_15 Depth=1
	s_add_i32 s11, s86, s56
                                        ; implicit-def: $vgpr2
	s_delay_alu instid0(SALU_CYCLE_1) | instskip(NEXT) | instid1(SALU_CYCLE_1)
	s_mul_hi_u32 s87, s11, s63
	s_mul_i32 s87, s87, s34
	s_delay_alu instid0(SALU_CYCLE_1) | instskip(NEXT) | instid1(SALU_CYCLE_1)
	s_sub_i32 s87, s11, s87
	s_sub_i32 s88, s87, s34
	s_cmp_ge_u32 s87, s34
	s_cselect_b32 s87, s88, s87
	s_delay_alu instid0(SALU_CYCLE_1)
	s_sub_i32 s88, s87, s34
	s_cmp_ge_u32 s87, s34
	s_cselect_b32 s87, s88, s87
	s_mov_b32 s88, 0
	s_sub_i32 s89, s11, s87
	s_mov_b32 s87, exec_lo
	v_cmpx_gt_u32_e64 s89, v0
	s_cbranch_execz .LBB91_215
; %bb.206:                              ;   in Loop: Header=BB91_15 Depth=1
	v_mov_b32_e32 v8, v18
	v_mov_b32_e32 v32, v0
                                        ; implicit-def: $sgpr90
	s_set_inst_prefetch_distance 0x1
	s_branch .LBB91_208
	.p2align	6
.LBB91_207:                             ;   in Loop: Header=BB91_208 Depth=2
	s_or_b32 exec_lo, exec_lo, s11
	s_waitcnt lgkmcnt(0)
	s_barrier
	buffer_gl0_inv
	ds_load_b64 v[1:2], v9 offset:3072
	v_add_nc_u32_e32 v32, s34, v32
	v_add_nc_u32_e32 v8, s53, v8
	s_waitcnt lgkmcnt(0)
	s_barrier
	buffer_gl0_inv
	v_cmp_le_u32_e32 vcc_lo, s89, v32
	v_cmp_neq_f32_e64 s11, 0, v1
	s_delay_alu instid0(VALU_DEP_1) | instskip(NEXT) | instid1(SALU_CYCLE_1)
	s_or_b32 s91, vcc_lo, s11
	s_and_b32 s91, exec_lo, s91
	s_delay_alu instid0(SALU_CYCLE_1) | instskip(SKIP_2) | instid1(SALU_CYCLE_1)
	s_or_b32 s88, s91, s88
	s_and_not1_b32 s90, s90, exec_lo
	s_and_b32 s11, s11, exec_lo
	s_or_b32 s90, s90, s11
	s_and_not1_b32 exec_lo, exec_lo, s88
	s_cbranch_execz .LBB91_214
.LBB91_208:                             ;   Parent Loop BB91_15 Depth=1
                                        ; =>  This Inner Loop Header: Depth=2
	s_delay_alu instid0(VALU_DEP_1)
	v_cmp_gt_u32_e32 vcc_lo, s86, v32
	v_mov_b32_e32 v14, 0
	s_and_saveexec_b32 s11, vcc_lo
	s_cbranch_execz .LBB91_210
; %bb.209:                              ;   in Loop: Header=BB91_208 Depth=2
	ds_load_b32 v14, v8
.LBB91_210:                             ;   in Loop: Header=BB91_208 Depth=2
	s_or_b32 exec_lo, exec_lo, s11
	s_and_saveexec_b32 s11, vcc_lo
	s_cbranch_execz .LBB91_207
; %bb.211:                              ;   in Loop: Header=BB91_208 Depth=2
	s_waitcnt lgkmcnt(0)
	v_cmp_lt_i32_e32 vcc_lo, -1, v14
	v_cndmask_b32_e64 v1, -1, 0x80000000, vcc_lo
	v_cmp_o_f32_e32 vcc_lo, v14, v14
	s_delay_alu instid0(VALU_DEP_2) | instskip(NEXT) | instid1(VALU_DEP_1)
	v_xor_b32_e32 v1, v1, v14
	v_cndmask_b32_e32 v1, -1, v1, vcc_lo
	s_delay_alu instid0(VALU_DEP_1) | instskip(NEXT) | instid1(VALU_DEP_1)
	v_and_b32_e32 v1, v1, v4
	v_cmp_eq_u32_e32 vcc_lo, v1, v3
	s_and_b32 exec_lo, exec_lo, vcc_lo
	s_cbranch_execz .LBB91_207
; %bb.212:                              ;   in Loop: Header=BB91_208 Depth=2
	ds_store_b64 v9, v[13:14] offset:3072
	s_branch .LBB91_207
.LBB91_213:                             ;   in Loop: Header=BB91_15 Depth=1
	s_mov_b32 s11, -1
	s_mov_b32 s88, 0
                                        ; implicit-def: $sgpr86
                                        ; implicit-def: $vgpr2
	s_branch .LBB91_216
.LBB91_214:                             ;   in Loop: Header=BB91_15 Depth=1
	s_set_inst_prefetch_distance 0x2
	s_or_b32 exec_lo, exec_lo, s88
	s_delay_alu instid0(SALU_CYCLE_1)
	s_and_b32 s88, s90, exec_lo
.LBB91_215:                             ;   in Loop: Header=BB91_15 Depth=1
	s_or_b32 exec_lo, exec_lo, s87
	s_mov_b32 s86, -1
	s_mov_b32 s11, 0
.LBB91_216:                             ;   in Loop: Header=BB91_15 Depth=1
	s_delay_alu instid0(SALU_CYCLE_1)
	s_and_b32 vcc_lo, exec_lo, s11
	s_mov_b32 s87, s11
	s_cbranch_vccz .LBB91_227
; %bb.217:                              ;   in Loop: Header=BB91_15 Depth=1
	s_mov_b32 s88, 0
                                        ; implicit-def: $vgpr2
	s_and_saveexec_b32 s86, s9
	s_cbranch_execz .LBB91_226
; %bb.218:                              ;   in Loop: Header=BB91_15 Depth=1
	v_mov_b32_e32 v8, v7
	v_mov_b32_e32 v32, v0
	s_mov_b32 s87, 0
                                        ; implicit-def: $sgpr88
	s_set_inst_prefetch_distance 0x1
	s_branch .LBB91_220
	.p2align	6
.LBB91_219:                             ;   in Loop: Header=BB91_220 Depth=2
	s_or_b32 exec_lo, exec_lo, s11
	s_waitcnt vmcnt(0) lgkmcnt(0)
	s_barrier
	buffer_gl0_inv
	ds_load_b64 v[1:2], v9 offset:3072
	v_add_nc_u32_e32 v32, s34, v32
	v_add_nc_u32_e32 v8, s40, v8
	s_waitcnt lgkmcnt(0)
	s_barrier
	buffer_gl0_inv
	v_cmp_le_u32_e32 vcc_lo, s64, v32
	v_cmp_neq_f32_e64 s11, 0, v1
	s_delay_alu instid0(VALU_DEP_1) | instskip(NEXT) | instid1(SALU_CYCLE_1)
	s_or_b32 s89, vcc_lo, s11
	s_and_b32 s89, exec_lo, s89
	s_delay_alu instid0(SALU_CYCLE_1) | instskip(SKIP_2) | instid1(SALU_CYCLE_1)
	s_or_b32 s87, s89, s87
	s_and_not1_b32 s88, s88, exec_lo
	s_and_b32 s11, s11, exec_lo
	s_or_b32 s88, s88, s11
	s_and_not1_b32 exec_lo, exec_lo, s87
	s_cbranch_execz .LBB91_225
.LBB91_220:                             ;   Parent Loop BB91_15 Depth=1
                                        ; =>  This Inner Loop Header: Depth=2
	s_delay_alu instid0(VALU_DEP_1)
	v_cmp_gt_u32_e32 vcc_lo, s36, v32
	v_mov_b32_e32 v14, 0
	s_and_saveexec_b32 s89, vcc_lo
	s_cbranch_execz .LBB91_222
; %bb.221:                              ;   in Loop: Header=BB91_220 Depth=2
	v_lshlrev_b64 v[1:2], 2, v[8:9]
	s_delay_alu instid0(VALU_DEP_1) | instskip(NEXT) | instid1(VALU_DEP_1)
	v_add_co_u32 v1, s11, s31, v1
	v_add_co_ci_u32_e64 v2, s11, s33, v2, s11
	global_load_b32 v14, v[1:2], off
.LBB91_222:                             ;   in Loop: Header=BB91_220 Depth=2
	s_or_b32 exec_lo, exec_lo, s89
	s_and_saveexec_b32 s11, vcc_lo
	s_cbranch_execz .LBB91_219
; %bb.223:                              ;   in Loop: Header=BB91_220 Depth=2
	s_waitcnt vmcnt(0)
	v_cmp_lt_i32_e32 vcc_lo, -1, v14
	v_cndmask_b32_e64 v1, -1, 0x80000000, vcc_lo
	v_cmp_o_f32_e32 vcc_lo, v14, v14
	s_delay_alu instid0(VALU_DEP_2) | instskip(NEXT) | instid1(VALU_DEP_1)
	v_xor_b32_e32 v1, v1, v14
	v_cndmask_b32_e32 v1, -1, v1, vcc_lo
	s_delay_alu instid0(VALU_DEP_1) | instskip(NEXT) | instid1(VALU_DEP_1)
	v_and_b32_e32 v1, v1, v4
	v_cmp_eq_u32_e32 vcc_lo, v1, v3
	s_and_b32 exec_lo, exec_lo, vcc_lo
	s_cbranch_execz .LBB91_219
; %bb.224:                              ;   in Loop: Header=BB91_220 Depth=2
	ds_store_b64 v9, v[13:14] offset:3072
	s_branch .LBB91_219
.LBB91_225:                             ;   in Loop: Header=BB91_15 Depth=1
	s_set_inst_prefetch_distance 0x2
	s_or_b32 exec_lo, exec_lo, s87
	s_delay_alu instid0(SALU_CYCLE_1)
	s_and_b32 s88, s88, exec_lo
.LBB91_226:                             ;   in Loop: Header=BB91_15 Depth=1
	s_or_b32 exec_lo, exec_lo, s86
	s_mov_b32 s87, -1
	s_mov_b32 s11, 0
	s_mov_b32 s86, 0
.LBB91_227:                             ;   in Loop: Header=BB91_15 Depth=1
	s_or_not1_b32 s88, s88, exec_lo
.LBB91_228:                             ;   in Loop: Header=BB91_15 Depth=1
	s_or_b32 exec_lo, exec_lo, s85
	s_mov_b32 s89, 0
                                        ; implicit-def: $vgpr1
                                        ; implicit-def: $vgpr8
	s_and_saveexec_b32 s85, s88
	s_cbranch_execz .LBB91_240
; %bb.229:                              ;   in Loop: Header=BB91_15 Depth=1
	v_dual_mov_b32 v1, 1 :: v_dual_mov_b32 v8, 1
	s_xor_b32 s88, s84, -1
	s_delay_alu instid0(SALU_CYCLE_1)
	s_and_saveexec_b32 s84, s88
	s_cbranch_execz .LBB91_239
; %bb.230:                              ;   in Loop: Header=BB91_15 Depth=1
	s_mov_b32 s88, exec_lo
                                        ; implicit-def: $sgpr89
	v_cmpx_ge_u32_e64 s19, v31
	s_xor_b32 s88, exec_lo, s88
	s_cbranch_execz .LBB91_236
; %bb.231:                              ;   in Loop: Header=BB91_15 Depth=1
	ds_load_b32 v1, v9 offset:4096
	s_waitcnt lgkmcnt(0)
	v_cmp_ne_u32_e32 vcc_lo, 0, v1
	s_cbranch_vccnz .LBB91_235
; %bb.232:                              ;   in Loop: Header=BB91_15 Depth=1
	s_and_saveexec_b32 s89, s5
	s_cbranch_execz .LBB91_234
; %bb.233:                              ;   in Loop: Header=BB91_15 Depth=1
	v_mov_b32_e32 v1, s19
	ds_store_b32 v9, v1 offset:4100
.LBB91_234:                             ;   in Loop: Header=BB91_15 Depth=1
	s_or_b32 exec_lo, exec_lo, s89
	s_waitcnt lgkmcnt(0)
	s_barrier
	buffer_gl0_inv
.LBB91_235:                             ;   in Loop: Header=BB91_15 Depth=1
	v_or_b32_e32 v3, s13, v3
	v_or_b32_e32 v4, s13, v4
	s_mov_b32 s89, 8
.LBB91_236:                             ;   in Loop: Header=BB91_15 Depth=1
	s_or_saveexec_b32 s88, s88
	v_mov_b32_e32 v1, s89
	s_xor_b32 exec_lo, exec_lo, s88
; %bb.237:                              ;   in Loop: Header=BB91_15 Depth=1
	v_subrev_nc_u32_e32 v31, s19, v31
	v_mov_b32_e32 v1, 8
; %bb.238:                              ;   in Loop: Header=BB91_15 Depth=1
	s_or_b32 exec_lo, exec_lo, s88
	s_delay_alu instid0(VALU_DEP_2)
	v_mov_b32_e32 v8, v31
.LBB91_239:                             ;   in Loop: Header=BB91_15 Depth=1
	s_or_b32 exec_lo, exec_lo, s84
	s_delay_alu instid0(SALU_CYCLE_1)
	s_mov_b32 s89, exec_lo
.LBB91_240:                             ;   in Loop: Header=BB91_15 Depth=1
	s_or_b32 exec_lo, exec_lo, s85
	s_delay_alu instid0(VALU_DEP_1)
	v_mov_b32_e32 v31, v8
	s_or_not1_b32 s84, s89, exec_lo
.LBB91_241:                             ;   in Loop: Header=BB91_15 Depth=1
	s_or_b32 exec_lo, exec_lo, s83
	s_delay_alu instid0(SALU_CYCLE_1)
	s_and_not1_b32 s79, s79, exec_lo
	s_and_b32 s11, s11, exec_lo
	v_mov_b32_e32 v32, v31
	s_or_b32 s79, s79, s11
	s_and_not1_b32 s11, s81, exec_lo
	s_and_b32 s81, s87, exec_lo
	s_and_not1_b32 s80, s80, exec_lo
	s_and_b32 s83, s86, exec_lo
	s_or_b32 s81, s11, s81
	s_or_b32 s80, s80, s83
	s_and_b32 s84, s84, exec_lo
.LBB91_242:                             ;   in Loop: Header=BB91_15 Depth=1
	s_or_b32 exec_lo, exec_lo, s82
	s_delay_alu instid0(SALU_CYCLE_1)
	s_and_b32 s82, s79, exec_lo
	s_and_b32 s81, s81, exec_lo
	;; [unrolled: 1-line block ×3, first 2 shown]
	s_or_not1_b32 s11, s84, exec_lo
.LBB91_243:                             ;   in Loop: Header=BB91_15 Depth=1
	s_or_b32 exec_lo, exec_lo, s29
	s_delay_alu instid0(SALU_CYCLE_1)
	s_and_not1_b32 s25, s25, exec_lo
	s_and_b32 s29, s82, exec_lo
	v_mov_b32_e32 v31, v32
	s_or_b32 s25, s25, s29
	s_and_not1_b32 s27, s27, exec_lo
	s_and_b32 s29, s81, exec_lo
	s_and_not1_b32 s26, s26, exec_lo
	s_and_b32 s79, s79, exec_lo
	s_or_b32 s27, s27, s29
	s_or_b32 s26, s26, s79
	s_and_b32 s79, s11, exec_lo
.LBB91_244:                             ;   in Loop: Header=BB91_15 Depth=1
	s_or_b32 exec_lo, exec_lo, s28
	s_delay_alu instid0(SALU_CYCLE_1)
	s_and_b32 s28, s25, exec_lo
	s_and_b32 s27, s27, exec_lo
	;; [unrolled: 1-line block ×3, first 2 shown]
	s_or_not1_b32 s11, s79, exec_lo
.LBB91_245:                             ;   in Loop: Header=BB91_15 Depth=1
	s_or_b32 exec_lo, exec_lo, s20
	s_mov_b32 s20, 0
	s_mov_b32 s26, 0
	s_and_saveexec_b32 s29, s11
	s_delay_alu instid0(SALU_CYCLE_1)
	s_xor_b32 s29, exec_lo, s29
; %bb.246:                              ;   in Loop: Header=BB91_15 Depth=1
	v_cmp_ne_u32_e32 vcc_lo, 8, v1
	v_cmp_eq_u32_e64 s11, 8, v1
	s_and_not1_b32 s28, s28, exec_lo
	s_and_not1_b32 s27, s27, exec_lo
	;; [unrolled: 1-line block ×3, first 2 shown]
	s_and_b32 s26, vcc_lo, exec_lo
	s_and_b32 s20, s11, exec_lo
; %bb.247:                              ;   in Loop: Header=BB91_15 Depth=1
	s_or_b32 exec_lo, exec_lo, s29
	s_delay_alu instid0(SALU_CYCLE_1)
	s_and_not1_b32 s11, s15, exec_lo
	s_and_b32 s15, s28, exec_lo
	s_and_not1_b32 s21, s21, exec_lo
	s_or_b32 s15, s11, s15
	s_and_not1_b32 s11, s22, exec_lo
	s_and_b32 s22, s27, exec_lo
	s_and_b32 s25, s25, exec_lo
	s_or_b32 s22, s11, s22
	s_or_b32 s21, s21, s25
	s_and_b32 s11, s26, exec_lo
	s_and_b32 s20, s20, exec_lo
.LBB91_248:                             ;   in Loop: Header=BB91_15 Depth=1
	s_or_b32 exec_lo, exec_lo, s24
	s_delay_alu instid0(SALU_CYCLE_1)
	s_and_b32 vcc_lo, exec_lo, s23
	s_cbranch_vccz .LBB91_95
.LBB91_249:                             ;   in Loop: Header=BB91_15 Depth=1
	s_cmp_eq_u32 s19, 1
                                        ; implicit-def: $sgpr23
                                        ; implicit-def: $sgpr24
	s_cselect_b32 s15, -1, 0
	s_delay_alu instid0(SALU_CYCLE_1)
	s_and_b32 s22, s15, s10
	s_mov_b32 s10, -1
                                        ; implicit-def: $sgpr15
	s_and_saveexec_b32 s21, s22
	s_cbranch_execz .LBB91_275
; %bb.250:                              ;   in Loop: Header=BB91_15 Depth=1
	ds_load_b32 v1, v9 offset:4096
	s_waitcnt lgkmcnt(0)
	s_barrier
	buffer_gl0_inv
	v_readfirstlane_b32 s15, v1
	s_and_saveexec_b32 s10, s6
	s_cbranch_execz .LBB91_252
; %bb.251:                              ;   in Loop: Header=BB91_15 Depth=1
	ds_store_b32 v20, v9
.LBB91_252:                             ;   in Loop: Header=BB91_15 Depth=1
	s_or_b32 exec_lo, exec_lo, s10
	v_or_b32_e32 v29, s13, v29
	v_or_b32_e32 v28, s13, v28
	s_cmp_eq_u32 s15, 0
	s_waitcnt lgkmcnt(0)
	s_barrier
	buffer_gl0_inv
	s_cbranch_scc1 .LBB91_261
; %bb.253:                              ;   in Loop: Header=BB91_15 Depth=1
	s_add_i32 s10, s15, s56
                                        ; implicit-def: $vgpr15
	s_delay_alu instid0(SALU_CYCLE_1) | instskip(NEXT) | instid1(SALU_CYCLE_1)
	s_mul_hi_u32 s23, s10, s63
	s_mul_i32 s23, s23, s34
	s_delay_alu instid0(SALU_CYCLE_1) | instskip(NEXT) | instid1(SALU_CYCLE_1)
	s_sub_i32 s23, s10, s23
	s_sub_i32 s24, s23, s34
	s_cmp_ge_u32 s23, s34
	s_cselect_b32 s23, s24, s23
	s_delay_alu instid0(SALU_CYCLE_1) | instskip(SKIP_2) | instid1(SALU_CYCLE_1)
	s_sub_i32 s24, s23, s34
	s_cmp_ge_u32 s23, s34
	s_cselect_b32 s23, s24, s23
	s_sub_i32 s24, s10, s23
	s_mov_b32 s10, 0
	s_mov_b32 s23, exec_lo
	v_cmpx_gt_u32_e64 s24, v0
	s_cbranch_execz .LBB91_263
; %bb.254:                              ;   in Loop: Header=BB91_15 Depth=1
	v_dual_mov_b32 v1, v18 :: v_dual_mov_b32 v2, v0
	s_mov_b32 s25, 0
                                        ; implicit-def: $sgpr26
	s_set_inst_prefetch_distance 0x1
	s_branch .LBB91_256
	.p2align	6
.LBB91_255:                             ;   in Loop: Header=BB91_256 Depth=2
	s_or_b32 exec_lo, exec_lo, s10
	s_waitcnt lgkmcnt(0)
	s_barrier
	buffer_gl0_inv
	ds_load_b64 v[14:15], v9 offset:3072
	v_add_nc_u32_e32 v2, s34, v2
	v_add_nc_u32_e32 v1, s53, v1
	s_waitcnt lgkmcnt(0)
	s_barrier
	buffer_gl0_inv
	v_cmp_le_u32_e32 vcc_lo, s24, v2
	v_cmp_neq_f32_e64 s10, 0, v14
	s_delay_alu instid0(VALU_DEP_1) | instskip(NEXT) | instid1(SALU_CYCLE_1)
	s_or_b32 s27, vcc_lo, s10
	s_and_b32 s27, exec_lo, s27
	s_delay_alu instid0(SALU_CYCLE_1) | instskip(SKIP_2) | instid1(SALU_CYCLE_1)
	s_or_b32 s25, s27, s25
	s_and_not1_b32 s26, s26, exec_lo
	s_and_b32 s10, s10, exec_lo
	s_or_b32 s26, s26, s10
	s_and_not1_b32 exec_lo, exec_lo, s25
	s_cbranch_execz .LBB91_262
.LBB91_256:                             ;   Parent Loop BB91_15 Depth=1
                                        ; =>  This Inner Loop Header: Depth=2
	s_delay_alu instid0(VALU_DEP_1)
	v_cmp_gt_u32_e32 vcc_lo, s15, v2
	v_mov_b32_e32 v14, 0
	s_and_saveexec_b32 s10, vcc_lo
	s_cbranch_execz .LBB91_258
; %bb.257:                              ;   in Loop: Header=BB91_256 Depth=2
	ds_load_b32 v14, v1
.LBB91_258:                             ;   in Loop: Header=BB91_256 Depth=2
	s_or_b32 exec_lo, exec_lo, s10
	s_and_saveexec_b32 s10, vcc_lo
	s_cbranch_execz .LBB91_255
; %bb.259:                              ;   in Loop: Header=BB91_256 Depth=2
	s_waitcnt lgkmcnt(0)
	v_cmp_lt_i32_e32 vcc_lo, -1, v14
	v_cndmask_b32_e64 v3, -1, 0x80000000, vcc_lo
	v_cmp_o_f32_e32 vcc_lo, v14, v14
	s_delay_alu instid0(VALU_DEP_2) | instskip(NEXT) | instid1(VALU_DEP_1)
	v_xor_b32_e32 v3, v3, v14
	v_cndmask_b32_e32 v3, -1, v3, vcc_lo
	s_delay_alu instid0(VALU_DEP_1) | instskip(NEXT) | instid1(VALU_DEP_1)
	v_and_b32_e32 v3, v3, v28
	v_cmp_eq_u32_e32 vcc_lo, v3, v29
	s_and_b32 exec_lo, exec_lo, vcc_lo
	s_cbranch_execz .LBB91_255
; %bb.260:                              ;   in Loop: Header=BB91_256 Depth=2
	ds_store_b64 v9, v[13:14] offset:3072
	s_branch .LBB91_255
.LBB91_261:                             ;   in Loop: Header=BB91_15 Depth=1
	s_mov_b32 s23, -1
	s_mov_b32 s10, 0
                                        ; implicit-def: $sgpr24
                                        ; implicit-def: $vgpr15
	s_mov_b32 s15, s23
	s_cbranch_execnz .LBB91_264
	s_branch .LBB91_274
.LBB91_262:                             ;   in Loop: Header=BB91_15 Depth=1
	s_set_inst_prefetch_distance 0x2
	s_or_b32 exec_lo, exec_lo, s25
	s_delay_alu instid0(SALU_CYCLE_1)
	s_and_b32 s10, s26, exec_lo
.LBB91_263:                             ;   in Loop: Header=BB91_15 Depth=1
	s_or_b32 exec_lo, exec_lo, s23
	s_mov_b32 s23, 0
	s_mov_b32 s24, -1
	s_mov_b32 s15, s23
	s_branch .LBB91_274
.LBB91_264:                             ;   in Loop: Header=BB91_15 Depth=1
	s_mov_b32 s10, 0
                                        ; implicit-def: $vgpr15
	s_and_saveexec_b32 s15, s9
	s_cbranch_execz .LBB91_273
; %bb.265:                              ;   in Loop: Header=BB91_15 Depth=1
	v_dual_mov_b32 v8, v7 :: v_dual_mov_b32 v1, v0
	s_mov_b32 s23, 0
                                        ; implicit-def: $sgpr24
	s_set_inst_prefetch_distance 0x1
	s_branch .LBB91_267
	.p2align	6
.LBB91_266:                             ;   in Loop: Header=BB91_267 Depth=2
	s_or_b32 exec_lo, exec_lo, s10
	s_waitcnt vmcnt(0) lgkmcnt(0)
	s_barrier
	buffer_gl0_inv
	ds_load_b64 v[14:15], v9 offset:3072
	v_add_nc_u32_e32 v1, s34, v1
	v_add_nc_u32_e32 v8, s40, v8
	s_waitcnt lgkmcnt(0)
	s_barrier
	buffer_gl0_inv
	v_cmp_le_u32_e32 vcc_lo, s64, v1
	v_cmp_neq_f32_e64 s10, 0, v14
	s_delay_alu instid0(VALU_DEP_1) | instskip(NEXT) | instid1(SALU_CYCLE_1)
	s_or_b32 s25, vcc_lo, s10
	s_and_b32 s25, exec_lo, s25
	s_delay_alu instid0(SALU_CYCLE_1) | instskip(SKIP_2) | instid1(SALU_CYCLE_1)
	s_or_b32 s23, s25, s23
	s_and_not1_b32 s24, s24, exec_lo
	s_and_b32 s10, s10, exec_lo
	s_or_b32 s24, s24, s10
	s_and_not1_b32 exec_lo, exec_lo, s23
	s_cbranch_execz .LBB91_272
.LBB91_267:                             ;   Parent Loop BB91_15 Depth=1
                                        ; =>  This Inner Loop Header: Depth=2
	s_delay_alu instid0(VALU_DEP_1)
	v_cmp_gt_u32_e32 vcc_lo, s36, v1
	v_mov_b32_e32 v14, 0
	s_and_saveexec_b32 s25, vcc_lo
	s_cbranch_execz .LBB91_269
; %bb.268:                              ;   in Loop: Header=BB91_267 Depth=2
	v_lshlrev_b64 v[2:3], 2, v[8:9]
	s_delay_alu instid0(VALU_DEP_1) | instskip(NEXT) | instid1(VALU_DEP_1)
	v_add_co_u32 v2, s10, s31, v2
	v_add_co_ci_u32_e64 v3, s10, s33, v3, s10
	global_load_b32 v14, v[2:3], off
.LBB91_269:                             ;   in Loop: Header=BB91_267 Depth=2
	s_or_b32 exec_lo, exec_lo, s25
	s_and_saveexec_b32 s10, vcc_lo
	s_cbranch_execz .LBB91_266
; %bb.270:                              ;   in Loop: Header=BB91_267 Depth=2
	s_waitcnt vmcnt(0)
	v_cmp_lt_i32_e32 vcc_lo, -1, v14
	v_cndmask_b32_e64 v2, -1, 0x80000000, vcc_lo
	v_cmp_o_f32_e32 vcc_lo, v14, v14
	s_delay_alu instid0(VALU_DEP_2) | instskip(NEXT) | instid1(VALU_DEP_1)
	v_xor_b32_e32 v2, v2, v14
	v_cndmask_b32_e32 v2, -1, v2, vcc_lo
	s_delay_alu instid0(VALU_DEP_1) | instskip(NEXT) | instid1(VALU_DEP_1)
	v_and_b32_e32 v2, v2, v28
	v_cmp_eq_u32_e32 vcc_lo, v2, v29
	s_and_b32 exec_lo, exec_lo, vcc_lo
	s_cbranch_execz .LBB91_266
; %bb.271:                              ;   in Loop: Header=BB91_267 Depth=2
	ds_store_b64 v9, v[13:14] offset:3072
	s_branch .LBB91_266
.LBB91_272:                             ;   in Loop: Header=BB91_15 Depth=1
	s_set_inst_prefetch_distance 0x2
	s_or_b32 exec_lo, exec_lo, s23
	s_delay_alu instid0(SALU_CYCLE_1)
	s_and_b32 s10, s24, exec_lo
.LBB91_273:                             ;   in Loop: Header=BB91_15 Depth=1
	s_or_b32 exec_lo, exec_lo, s15
	s_mov_b32 s24, 0
	s_mov_b32 s23, -1
	s_mov_b32 s15, 0
.LBB91_274:                             ;   in Loop: Header=BB91_15 Depth=1
	s_or_not1_b32 s10, s10, exec_lo
.LBB91_275:                             ;   in Loop: Header=BB91_15 Depth=1
	s_or_b32 exec_lo, exec_lo, s21
                                        ; implicit-def: $vgpr1
                                        ; implicit-def: $vgpr31
                                        ; implicit-def: $vgpr3
                                        ; implicit-def: $vgpr4
                                        ; implicit-def: $vgpr2
	s_and_saveexec_b32 s21, s10
	s_cbranch_execz .LBB91_410
; %bb.276:                              ;   in Loop: Header=BB91_15 Depth=1
	v_mov_b32_e32 v31, 1
	v_mov_b32_e32 v1, 1
	s_xor_b32 s22, s22, -1
	s_mov_b32 s28, 0
	s_and_saveexec_b32 s10, s22
	s_cbranch_execz .LBB91_286
; %bb.277:                              ;   in Loop: Header=BB91_15 Depth=1
	s_mov_b32 s25, exec_lo
                                        ; implicit-def: $sgpr26
                                        ; implicit-def: $sgpr22
	v_cmpx_ge_u32_e64 s19, v30
	s_xor_b32 s25, exec_lo, s25
	s_cbranch_execz .LBB91_283
; %bb.278:                              ;   in Loop: Header=BB91_15 Depth=1
	ds_load_b32 v1, v9 offset:4096
	s_waitcnt lgkmcnt(0)
	v_cmp_ne_u32_e32 vcc_lo, 0, v1
	s_cbranch_vccnz .LBB91_282
; %bb.279:                              ;   in Loop: Header=BB91_15 Depth=1
	s_and_saveexec_b32 s22, s5
	s_cbranch_execz .LBB91_281
; %bb.280:                              ;   in Loop: Header=BB91_15 Depth=1
	v_mov_b32_e32 v1, s19
	ds_store_b32 v9, v1 offset:4100
.LBB91_281:                             ;   in Loop: Header=BB91_15 Depth=1
	s_or_b32 exec_lo, exec_lo, s22
	s_waitcnt lgkmcnt(0)
	s_barrier
	buffer_gl0_inv
.LBB91_282:                             ;   in Loop: Header=BB91_15 Depth=1
	v_or_b32_e32 v29, s13, v29
	v_or_b32_e32 v28, s13, v28
	s_mov_b32 s22, 0
	s_mov_b32 s26, 5
.LBB91_283:                             ;   in Loop: Header=BB91_15 Depth=1
	s_or_saveexec_b32 s25, s25
	v_mov_b32_e32 v1, s26
	s_xor_b32 exec_lo, exec_lo, s25
; %bb.284:                              ;   in Loop: Header=BB91_15 Depth=1
	v_subrev_nc_u32_e32 v30, s19, v30
	v_mov_b32_e32 v1, 0
	s_or_b32 s22, s22, exec_lo
; %bb.285:                              ;   in Loop: Header=BB91_15 Depth=1
	s_or_b32 exec_lo, exec_lo, s25
	s_delay_alu instid0(VALU_DEP_2)
	v_mov_b32_e32 v31, v30
	s_and_b32 s28, s22, exec_lo
.LBB91_286:                             ;   in Loop: Header=BB91_15 Depth=1
	s_or_b32 exec_lo, exec_lo, s10
	s_mov_b32 s26, -1
                                        ; implicit-def: $sgpr22
                                        ; implicit-def: $sgpr25
                                        ; implicit-def: $sgpr27
	s_and_saveexec_b32 s10, s28
	s_delay_alu instid0(SALU_CYCLE_1)
	s_xor_b32 s19, exec_lo, s10
	s_cbranch_execz .LBB91_407
; %bb.287:                              ;   in Loop: Header=BB91_15 Depth=1
	v_cmp_eq_u32_e32 vcc_lo, 1, v31
	s_cmp_eq_u32 s18, 1
                                        ; implicit-def: $sgpr22
                                        ; implicit-def: $sgpr25
                                        ; implicit-def: $sgpr26
	s_cselect_b32 s10, -1, 0
	s_delay_alu instid0(SALU_CYCLE_1)
	s_and_b32 s28, s10, vcc_lo
	s_mov_b32 s10, -1
	s_and_saveexec_b32 s27, s28
	s_cbranch_execz .LBB91_313
; %bb.288:                              ;   in Loop: Header=BB91_15 Depth=1
	ds_load_b32 v1, v9 offset:4096
	s_waitcnt lgkmcnt(0)
	s_barrier
	buffer_gl0_inv
	v_readfirstlane_b32 s22, v1
	s_and_saveexec_b32 s10, s6
	s_cbranch_execz .LBB91_290
; %bb.289:                              ;   in Loop: Header=BB91_15 Depth=1
	ds_store_b32 v20, v9
.LBB91_290:                             ;   in Loop: Header=BB91_15 Depth=1
	s_or_b32 exec_lo, exec_lo, s10
	s_lshl_b32 s10, 2, s17
	v_or_b32_e32 v28, s13, v28
	v_and_or_b32 v29, v29, s14, s10
	s_cmp_eq_u32 s22, 0
	s_waitcnt lgkmcnt(0)
	s_barrier
	buffer_gl0_inv
	s_cbranch_scc1 .LBB91_299
; %bb.291:                              ;   in Loop: Header=BB91_15 Depth=1
	s_add_i32 s10, s22, s56
                                        ; implicit-def: $vgpr15
	s_delay_alu instid0(SALU_CYCLE_1) | instskip(NEXT) | instid1(SALU_CYCLE_1)
	s_mul_hi_u32 s25, s10, s63
	s_mul_i32 s25, s25, s34
	s_delay_alu instid0(SALU_CYCLE_1) | instskip(NEXT) | instid1(SALU_CYCLE_1)
	s_sub_i32 s25, s10, s25
	s_sub_i32 s26, s25, s34
	s_cmp_ge_u32 s25, s34
	s_cselect_b32 s25, s26, s25
	s_delay_alu instid0(SALU_CYCLE_1) | instskip(SKIP_2) | instid1(SALU_CYCLE_1)
	s_sub_i32 s26, s25, s34
	s_cmp_ge_u32 s25, s34
	s_cselect_b32 s25, s26, s25
	s_sub_i32 s26, s10, s25
	s_mov_b32 s10, 0
	s_mov_b32 s25, exec_lo
	v_cmpx_gt_u32_e64 s26, v0
	s_cbranch_execz .LBB91_301
; %bb.292:                              ;   in Loop: Header=BB91_15 Depth=1
	v_dual_mov_b32 v1, v18 :: v_dual_mov_b32 v2, v0
	s_mov_b32 s29, 0
                                        ; implicit-def: $sgpr79
	s_set_inst_prefetch_distance 0x1
	s_branch .LBB91_294
	.p2align	6
.LBB91_293:                             ;   in Loop: Header=BB91_294 Depth=2
	s_or_b32 exec_lo, exec_lo, s10
	s_waitcnt lgkmcnt(0)
	s_barrier
	buffer_gl0_inv
	ds_load_b64 v[14:15], v9 offset:3072
	v_add_nc_u32_e32 v2, s34, v2
	v_add_nc_u32_e32 v1, s53, v1
	s_waitcnt lgkmcnt(0)
	s_barrier
	buffer_gl0_inv
	v_cmp_le_u32_e32 vcc_lo, s26, v2
	v_cmp_neq_f32_e64 s10, 0, v14
	s_delay_alu instid0(VALU_DEP_1) | instskip(NEXT) | instid1(SALU_CYCLE_1)
	s_or_b32 s80, vcc_lo, s10
	s_and_b32 s80, exec_lo, s80
	s_delay_alu instid0(SALU_CYCLE_1) | instskip(SKIP_2) | instid1(SALU_CYCLE_1)
	s_or_b32 s29, s80, s29
	s_and_not1_b32 s79, s79, exec_lo
	s_and_b32 s10, s10, exec_lo
	s_or_b32 s79, s79, s10
	s_and_not1_b32 exec_lo, exec_lo, s29
	s_cbranch_execz .LBB91_300
.LBB91_294:                             ;   Parent Loop BB91_15 Depth=1
                                        ; =>  This Inner Loop Header: Depth=2
	s_delay_alu instid0(VALU_DEP_1)
	v_cmp_gt_u32_e32 vcc_lo, s22, v2
	v_mov_b32_e32 v14, 0
	s_and_saveexec_b32 s10, vcc_lo
	s_cbranch_execz .LBB91_296
; %bb.295:                              ;   in Loop: Header=BB91_294 Depth=2
	ds_load_b32 v14, v1
.LBB91_296:                             ;   in Loop: Header=BB91_294 Depth=2
	s_or_b32 exec_lo, exec_lo, s10
	s_and_saveexec_b32 s10, vcc_lo
	s_cbranch_execz .LBB91_293
; %bb.297:                              ;   in Loop: Header=BB91_294 Depth=2
	s_waitcnt lgkmcnt(0)
	v_cmp_lt_i32_e32 vcc_lo, -1, v14
	v_cndmask_b32_e64 v3, -1, 0x80000000, vcc_lo
	v_cmp_o_f32_e32 vcc_lo, v14, v14
	s_delay_alu instid0(VALU_DEP_2) | instskip(NEXT) | instid1(VALU_DEP_1)
	v_xor_b32_e32 v3, v3, v14
	v_cndmask_b32_e32 v3, -1, v3, vcc_lo
	s_delay_alu instid0(VALU_DEP_1) | instskip(NEXT) | instid1(VALU_DEP_1)
	v_and_b32_e32 v3, v3, v28
	v_cmp_eq_u32_e32 vcc_lo, v3, v29
	s_and_b32 exec_lo, exec_lo, vcc_lo
	s_cbranch_execz .LBB91_293
; %bb.298:                              ;   in Loop: Header=BB91_294 Depth=2
	ds_store_b64 v9, v[13:14] offset:3072
	s_branch .LBB91_293
.LBB91_299:                             ;   in Loop: Header=BB91_15 Depth=1
	s_mov_b32 s22, -1
	s_mov_b32 s10, 0
                                        ; implicit-def: $sgpr25
                                        ; implicit-def: $vgpr15
	s_mov_b32 s26, s22
	s_cbranch_execnz .LBB91_302
	s_branch .LBB91_312
.LBB91_300:                             ;   in Loop: Header=BB91_15 Depth=1
	s_set_inst_prefetch_distance 0x2
	s_or_b32 exec_lo, exec_lo, s29
	s_delay_alu instid0(SALU_CYCLE_1)
	s_and_b32 s10, s79, exec_lo
.LBB91_301:                             ;   in Loop: Header=BB91_15 Depth=1
	s_or_b32 exec_lo, exec_lo, s25
	s_mov_b32 s22, 0
	s_mov_b32 s25, -1
	s_mov_b32 s26, s22
	s_branch .LBB91_312
.LBB91_302:                             ;   in Loop: Header=BB91_15 Depth=1
	s_mov_b32 s10, 0
                                        ; implicit-def: $vgpr15
	s_and_saveexec_b32 s22, s9
	s_cbranch_execz .LBB91_311
; %bb.303:                              ;   in Loop: Header=BB91_15 Depth=1
	v_dual_mov_b32 v8, v7 :: v_dual_mov_b32 v1, v0
	s_mov_b32 s25, 0
                                        ; implicit-def: $sgpr26
	s_set_inst_prefetch_distance 0x1
	s_branch .LBB91_305
	.p2align	6
.LBB91_304:                             ;   in Loop: Header=BB91_305 Depth=2
	s_or_b32 exec_lo, exec_lo, s10
	s_waitcnt vmcnt(0) lgkmcnt(0)
	s_barrier
	buffer_gl0_inv
	ds_load_b64 v[14:15], v9 offset:3072
	v_add_nc_u32_e32 v1, s34, v1
	v_add_nc_u32_e32 v8, s40, v8
	s_waitcnt lgkmcnt(0)
	s_barrier
	buffer_gl0_inv
	v_cmp_le_u32_e32 vcc_lo, s64, v1
	v_cmp_neq_f32_e64 s10, 0, v14
	s_delay_alu instid0(VALU_DEP_1) | instskip(NEXT) | instid1(SALU_CYCLE_1)
	s_or_b32 s29, vcc_lo, s10
	s_and_b32 s29, exec_lo, s29
	s_delay_alu instid0(SALU_CYCLE_1) | instskip(SKIP_2) | instid1(SALU_CYCLE_1)
	s_or_b32 s25, s29, s25
	s_and_not1_b32 s26, s26, exec_lo
	s_and_b32 s10, s10, exec_lo
	s_or_b32 s26, s26, s10
	s_and_not1_b32 exec_lo, exec_lo, s25
	s_cbranch_execz .LBB91_310
.LBB91_305:                             ;   Parent Loop BB91_15 Depth=1
                                        ; =>  This Inner Loop Header: Depth=2
	s_delay_alu instid0(VALU_DEP_1)
	v_cmp_gt_u32_e32 vcc_lo, s36, v1
	v_mov_b32_e32 v14, 0
	s_and_saveexec_b32 s29, vcc_lo
	s_cbranch_execz .LBB91_307
; %bb.306:                              ;   in Loop: Header=BB91_305 Depth=2
	v_lshlrev_b64 v[2:3], 2, v[8:9]
	s_delay_alu instid0(VALU_DEP_1) | instskip(NEXT) | instid1(VALU_DEP_1)
	v_add_co_u32 v2, s10, s31, v2
	v_add_co_ci_u32_e64 v3, s10, s33, v3, s10
	global_load_b32 v14, v[2:3], off
.LBB91_307:                             ;   in Loop: Header=BB91_305 Depth=2
	s_or_b32 exec_lo, exec_lo, s29
	s_and_saveexec_b32 s10, vcc_lo
	s_cbranch_execz .LBB91_304
; %bb.308:                              ;   in Loop: Header=BB91_305 Depth=2
	s_waitcnt vmcnt(0)
	v_cmp_lt_i32_e32 vcc_lo, -1, v14
	v_cndmask_b32_e64 v2, -1, 0x80000000, vcc_lo
	v_cmp_o_f32_e32 vcc_lo, v14, v14
	s_delay_alu instid0(VALU_DEP_2) | instskip(NEXT) | instid1(VALU_DEP_1)
	v_xor_b32_e32 v2, v2, v14
	v_cndmask_b32_e32 v2, -1, v2, vcc_lo
	s_delay_alu instid0(VALU_DEP_1) | instskip(NEXT) | instid1(VALU_DEP_1)
	v_and_b32_e32 v2, v2, v28
	v_cmp_eq_u32_e32 vcc_lo, v2, v29
	s_and_b32 exec_lo, exec_lo, vcc_lo
	s_cbranch_execz .LBB91_304
; %bb.309:                              ;   in Loop: Header=BB91_305 Depth=2
	ds_store_b64 v9, v[13:14] offset:3072
	s_branch .LBB91_304
.LBB91_310:                             ;   in Loop: Header=BB91_15 Depth=1
	s_set_inst_prefetch_distance 0x2
	s_or_b32 exec_lo, exec_lo, s25
	s_delay_alu instid0(SALU_CYCLE_1)
	s_and_b32 s10, s26, exec_lo
.LBB91_311:                             ;   in Loop: Header=BB91_15 Depth=1
	s_or_b32 exec_lo, exec_lo, s22
	s_mov_b32 s25, 0
	s_mov_b32 s22, -1
	s_mov_b32 s26, 0
.LBB91_312:                             ;   in Loop: Header=BB91_15 Depth=1
	s_or_not1_b32 s10, s10, exec_lo
.LBB91_313:                             ;   in Loop: Header=BB91_15 Depth=1
	s_or_b32 exec_lo, exec_lo, s27
	s_mov_b32 s29, 0
                                        ; implicit-def: $vgpr1
	s_and_saveexec_b32 s27, s10
	s_cbranch_execz .LBB91_406
; %bb.314:                              ;   in Loop: Header=BB91_15 Depth=1
	v_dual_mov_b32 v2, 1 :: v_dual_mov_b32 v1, 1
	s_xor_b32 s28, s28, -1
	s_mov_b32 s79, 0
	s_and_saveexec_b32 s10, s28
	s_cbranch_execz .LBB91_324
; %bb.315:                              ;   in Loop: Header=BB91_15 Depth=1
	s_mov_b32 s29, exec_lo
                                        ; implicit-def: $sgpr79
                                        ; implicit-def: $sgpr28
	v_cmpx_ge_u32_e64 s18, v31
	s_xor_b32 s29, exec_lo, s29
	s_cbranch_execz .LBB91_321
; %bb.316:                              ;   in Loop: Header=BB91_15 Depth=1
	ds_load_b32 v1, v9 offset:4096
	s_waitcnt lgkmcnt(0)
	v_cmp_ne_u32_e32 vcc_lo, 0, v1
	s_cbranch_vccnz .LBB91_320
; %bb.317:                              ;   in Loop: Header=BB91_15 Depth=1
	s_and_saveexec_b32 s28, s5
	s_cbranch_execz .LBB91_319
; %bb.318:                              ;   in Loop: Header=BB91_15 Depth=1
	v_mov_b32_e32 v1, s18
	ds_store_b32 v9, v1 offset:4100
.LBB91_319:                             ;   in Loop: Header=BB91_15 Depth=1
	s_or_b32 exec_lo, exec_lo, s28
	s_waitcnt lgkmcnt(0)
	s_barrier
	buffer_gl0_inv
.LBB91_320:                             ;   in Loop: Header=BB91_15 Depth=1
	s_lshl_b32 s28, 2, s17
	v_or_b32_e32 v28, s13, v28
	v_and_or_b32 v29, v29, s14, s28
	s_mov_b32 s28, 0
	s_mov_b32 s79, 5
.LBB91_321:                             ;   in Loop: Header=BB91_15 Depth=1
	s_or_saveexec_b32 s29, s29
	v_mov_b32_e32 v1, s79
	s_xor_b32 exec_lo, exec_lo, s29
; %bb.322:                              ;   in Loop: Header=BB91_15 Depth=1
	v_subrev_nc_u32_e32 v31, s18, v31
	v_mov_b32_e32 v1, 0
	s_or_b32 s28, s28, exec_lo
; %bb.323:                              ;   in Loop: Header=BB91_15 Depth=1
	s_or_b32 exec_lo, exec_lo, s29
	s_delay_alu instid0(VALU_DEP_2)
	v_mov_b32_e32 v2, v31
	s_and_b32 s79, s28, exec_lo
.LBB91_324:                             ;   in Loop: Header=BB91_15 Depth=1
	s_or_b32 exec_lo, exec_lo, s10
	s_mov_b32 s10, -1
                                        ; implicit-def: $sgpr28
                                        ; implicit-def: $sgpr29
                                        ; implicit-def: $sgpr80
	s_and_saveexec_b32 s18, s79
	s_cbranch_execz .LBB91_405
; %bb.325:                              ;   in Loop: Header=BB91_15 Depth=1
	v_cmp_eq_u32_e32 vcc_lo, 1, v2
	s_cmp_eq_u32 s16, 1
                                        ; implicit-def: $sgpr28
                                        ; implicit-def: $sgpr29
                                        ; implicit-def: $sgpr79
	s_cselect_b32 s10, -1, 0
	s_delay_alu instid0(SALU_CYCLE_1)
	s_and_b32 s81, s10, vcc_lo
	s_mov_b32 s10, -1
	s_and_saveexec_b32 s80, s81
	s_cbranch_execz .LBB91_351
; %bb.326:                              ;   in Loop: Header=BB91_15 Depth=1
	ds_load_b32 v1, v9 offset:4096
	s_waitcnt lgkmcnt(0)
	s_barrier
	buffer_gl0_inv
	v_readfirstlane_b32 s28, v1
	s_and_saveexec_b32 s10, s6
	s_cbranch_execz .LBB91_328
; %bb.327:                              ;   in Loop: Header=BB91_15 Depth=1
	ds_store_b32 v20, v9
.LBB91_328:                             ;   in Loop: Header=BB91_15 Depth=1
	s_or_b32 exec_lo, exec_lo, s10
	s_lshl_b32 s10, 1, s17
	v_or_b32_e32 v28, s13, v28
	v_and_or_b32 v29, v29, s14, s10
	s_cmp_eq_u32 s28, 0
	s_waitcnt lgkmcnt(0)
	s_barrier
	buffer_gl0_inv
	s_cbranch_scc1 .LBB91_337
; %bb.329:                              ;   in Loop: Header=BB91_15 Depth=1
	s_add_i32 s10, s28, s56
                                        ; implicit-def: $vgpr15
	s_delay_alu instid0(SALU_CYCLE_1) | instskip(NEXT) | instid1(SALU_CYCLE_1)
	s_mul_hi_u32 s29, s10, s63
	s_mul_i32 s29, s29, s34
	s_delay_alu instid0(SALU_CYCLE_1) | instskip(NEXT) | instid1(SALU_CYCLE_1)
	s_sub_i32 s29, s10, s29
	s_sub_i32 s79, s29, s34
	s_cmp_ge_u32 s29, s34
	s_cselect_b32 s29, s79, s29
	s_delay_alu instid0(SALU_CYCLE_1) | instskip(SKIP_2) | instid1(SALU_CYCLE_1)
	s_sub_i32 s79, s29, s34
	s_cmp_ge_u32 s29, s34
	s_cselect_b32 s29, s79, s29
	s_sub_i32 s79, s10, s29
	s_mov_b32 s10, 0
	s_mov_b32 s29, exec_lo
	v_cmpx_gt_u32_e64 s79, v0
	s_cbranch_execz .LBB91_339
; %bb.330:                              ;   in Loop: Header=BB91_15 Depth=1
	v_mov_b32_e32 v1, v18
	v_mov_b32_e32 v3, v0
	s_mov_b32 s82, 0
                                        ; implicit-def: $sgpr83
	s_set_inst_prefetch_distance 0x1
	s_branch .LBB91_332
	.p2align	6
.LBB91_331:                             ;   in Loop: Header=BB91_332 Depth=2
	s_or_b32 exec_lo, exec_lo, s10
	s_waitcnt lgkmcnt(0)
	s_barrier
	buffer_gl0_inv
	ds_load_b64 v[14:15], v9 offset:3072
	v_add_nc_u32_e32 v3, s34, v3
	v_add_nc_u32_e32 v1, s53, v1
	s_waitcnt lgkmcnt(0)
	s_barrier
	buffer_gl0_inv
	v_cmp_le_u32_e32 vcc_lo, s79, v3
	v_cmp_neq_f32_e64 s10, 0, v14
	s_delay_alu instid0(VALU_DEP_1) | instskip(NEXT) | instid1(SALU_CYCLE_1)
	s_or_b32 s84, vcc_lo, s10
	s_and_b32 s84, exec_lo, s84
	s_delay_alu instid0(SALU_CYCLE_1) | instskip(SKIP_2) | instid1(SALU_CYCLE_1)
	s_or_b32 s82, s84, s82
	s_and_not1_b32 s83, s83, exec_lo
	s_and_b32 s10, s10, exec_lo
	s_or_b32 s83, s83, s10
	s_and_not1_b32 exec_lo, exec_lo, s82
	s_cbranch_execz .LBB91_338
.LBB91_332:                             ;   Parent Loop BB91_15 Depth=1
                                        ; =>  This Inner Loop Header: Depth=2
	s_delay_alu instid0(VALU_DEP_1)
	v_cmp_gt_u32_e32 vcc_lo, s28, v3
	v_mov_b32_e32 v14, 0
	s_and_saveexec_b32 s10, vcc_lo
	s_cbranch_execz .LBB91_334
; %bb.333:                              ;   in Loop: Header=BB91_332 Depth=2
	ds_load_b32 v14, v1
.LBB91_334:                             ;   in Loop: Header=BB91_332 Depth=2
	s_or_b32 exec_lo, exec_lo, s10
	s_and_saveexec_b32 s10, vcc_lo
	s_cbranch_execz .LBB91_331
; %bb.335:                              ;   in Loop: Header=BB91_332 Depth=2
	s_waitcnt lgkmcnt(0)
	v_cmp_lt_i32_e32 vcc_lo, -1, v14
	v_cndmask_b32_e64 v4, -1, 0x80000000, vcc_lo
	v_cmp_o_f32_e32 vcc_lo, v14, v14
	s_delay_alu instid0(VALU_DEP_2) | instskip(NEXT) | instid1(VALU_DEP_1)
	v_xor_b32_e32 v4, v4, v14
	v_cndmask_b32_e32 v4, -1, v4, vcc_lo
	s_delay_alu instid0(VALU_DEP_1) | instskip(NEXT) | instid1(VALU_DEP_1)
	v_and_b32_e32 v4, v4, v28
	v_cmp_eq_u32_e32 vcc_lo, v4, v29
	s_and_b32 exec_lo, exec_lo, vcc_lo
	s_cbranch_execz .LBB91_331
; %bb.336:                              ;   in Loop: Header=BB91_332 Depth=2
	ds_store_b64 v9, v[13:14] offset:3072
	s_branch .LBB91_331
.LBB91_337:                             ;   in Loop: Header=BB91_15 Depth=1
	s_mov_b32 s28, -1
	s_mov_b32 s10, 0
                                        ; implicit-def: $sgpr29
                                        ; implicit-def: $vgpr15
	s_mov_b32 s79, s28
	s_cbranch_execnz .LBB91_340
	s_branch .LBB91_350
.LBB91_338:                             ;   in Loop: Header=BB91_15 Depth=1
	s_set_inst_prefetch_distance 0x2
	s_or_b32 exec_lo, exec_lo, s82
	s_delay_alu instid0(SALU_CYCLE_1)
	s_and_b32 s10, s83, exec_lo
.LBB91_339:                             ;   in Loop: Header=BB91_15 Depth=1
	s_or_b32 exec_lo, exec_lo, s29
	s_mov_b32 s28, 0
	s_mov_b32 s29, -1
	s_mov_b32 s79, s28
	s_branch .LBB91_350
.LBB91_340:                             ;   in Loop: Header=BB91_15 Depth=1
	s_mov_b32 s10, 0
                                        ; implicit-def: $vgpr15
	s_and_saveexec_b32 s28, s9
	s_cbranch_execz .LBB91_349
; %bb.341:                              ;   in Loop: Header=BB91_15 Depth=1
	v_dual_mov_b32 v8, v7 :: v_dual_mov_b32 v1, v0
	s_mov_b32 s29, 0
                                        ; implicit-def: $sgpr79
	s_set_inst_prefetch_distance 0x1
	s_branch .LBB91_343
	.p2align	6
.LBB91_342:                             ;   in Loop: Header=BB91_343 Depth=2
	s_or_b32 exec_lo, exec_lo, s10
	s_waitcnt vmcnt(0) lgkmcnt(0)
	s_barrier
	buffer_gl0_inv
	ds_load_b64 v[14:15], v9 offset:3072
	v_add_nc_u32_e32 v1, s34, v1
	v_add_nc_u32_e32 v8, s40, v8
	s_waitcnt lgkmcnt(0)
	s_barrier
	buffer_gl0_inv
	v_cmp_le_u32_e32 vcc_lo, s64, v1
	v_cmp_neq_f32_e64 s10, 0, v14
	s_delay_alu instid0(VALU_DEP_1) | instskip(NEXT) | instid1(SALU_CYCLE_1)
	s_or_b32 s82, vcc_lo, s10
	s_and_b32 s82, exec_lo, s82
	s_delay_alu instid0(SALU_CYCLE_1) | instskip(SKIP_2) | instid1(SALU_CYCLE_1)
	s_or_b32 s29, s82, s29
	s_and_not1_b32 s79, s79, exec_lo
	s_and_b32 s10, s10, exec_lo
	s_or_b32 s79, s79, s10
	s_and_not1_b32 exec_lo, exec_lo, s29
	s_cbranch_execz .LBB91_348
.LBB91_343:                             ;   Parent Loop BB91_15 Depth=1
                                        ; =>  This Inner Loop Header: Depth=2
	s_delay_alu instid0(VALU_DEP_1)
	v_cmp_gt_u32_e32 vcc_lo, s36, v1
	v_mov_b32_e32 v14, 0
	s_and_saveexec_b32 s82, vcc_lo
	s_cbranch_execz .LBB91_345
; %bb.344:                              ;   in Loop: Header=BB91_343 Depth=2
	v_lshlrev_b64 v[3:4], 2, v[8:9]
	s_delay_alu instid0(VALU_DEP_1) | instskip(NEXT) | instid1(VALU_DEP_1)
	v_add_co_u32 v3, s10, s31, v3
	v_add_co_ci_u32_e64 v4, s10, s33, v4, s10
	global_load_b32 v14, v[3:4], off
.LBB91_345:                             ;   in Loop: Header=BB91_343 Depth=2
	s_or_b32 exec_lo, exec_lo, s82
	s_and_saveexec_b32 s10, vcc_lo
	s_cbranch_execz .LBB91_342
; %bb.346:                              ;   in Loop: Header=BB91_343 Depth=2
	s_waitcnt vmcnt(0)
	v_cmp_lt_i32_e32 vcc_lo, -1, v14
	v_cndmask_b32_e64 v3, -1, 0x80000000, vcc_lo
	v_cmp_o_f32_e32 vcc_lo, v14, v14
	s_delay_alu instid0(VALU_DEP_2) | instskip(NEXT) | instid1(VALU_DEP_1)
	v_xor_b32_e32 v3, v3, v14
	v_cndmask_b32_e32 v3, -1, v3, vcc_lo
	s_delay_alu instid0(VALU_DEP_1) | instskip(NEXT) | instid1(VALU_DEP_1)
	v_and_b32_e32 v3, v3, v28
	v_cmp_eq_u32_e32 vcc_lo, v3, v29
	s_and_b32 exec_lo, exec_lo, vcc_lo
	s_cbranch_execz .LBB91_342
; %bb.347:                              ;   in Loop: Header=BB91_343 Depth=2
	ds_store_b64 v9, v[13:14] offset:3072
	s_branch .LBB91_342
.LBB91_348:                             ;   in Loop: Header=BB91_15 Depth=1
	s_set_inst_prefetch_distance 0x2
	s_or_b32 exec_lo, exec_lo, s29
	s_delay_alu instid0(SALU_CYCLE_1)
	s_and_b32 s10, s79, exec_lo
.LBB91_349:                             ;   in Loop: Header=BB91_15 Depth=1
	s_or_b32 exec_lo, exec_lo, s28
	s_mov_b32 s29, 0
	s_mov_b32 s28, -1
	s_mov_b32 s79, 0
.LBB91_350:                             ;   in Loop: Header=BB91_15 Depth=1
	s_or_not1_b32 s10, s10, exec_lo
.LBB91_351:                             ;   in Loop: Header=BB91_15 Depth=1
	s_or_b32 exec_lo, exec_lo, s80
	s_mov_b32 s82, 0
                                        ; implicit-def: $vgpr1
	s_and_saveexec_b32 s80, s10
	s_cbranch_execz .LBB91_404
; %bb.352:                              ;   in Loop: Header=BB91_15 Depth=1
	v_mov_b32_e32 v3, 1
	v_mov_b32_e32 v1, 1
	s_xor_b32 s82, s81, -1
	s_mov_b32 s81, 0
	s_and_saveexec_b32 s10, s82
	s_cbranch_execz .LBB91_362
; %bb.353:                              ;   in Loop: Header=BB91_15 Depth=1
	s_mov_b32 s82, exec_lo
                                        ; implicit-def: $sgpr83
                                        ; implicit-def: $sgpr81
	v_cmpx_ge_u32_e64 s16, v2
	s_xor_b32 s82, exec_lo, s82
	s_cbranch_execz .LBB91_359
; %bb.354:                              ;   in Loop: Header=BB91_15 Depth=1
	ds_load_b32 v1, v9 offset:4096
	s_waitcnt lgkmcnt(0)
	v_cmp_ne_u32_e32 vcc_lo, 0, v1
	s_cbranch_vccnz .LBB91_358
; %bb.355:                              ;   in Loop: Header=BB91_15 Depth=1
	s_and_saveexec_b32 s81, s5
	s_cbranch_execz .LBB91_357
; %bb.356:                              ;   in Loop: Header=BB91_15 Depth=1
	v_mov_b32_e32 v1, s16
	ds_store_b32 v9, v1 offset:4100
.LBB91_357:                             ;   in Loop: Header=BB91_15 Depth=1
	s_or_b32 exec_lo, exec_lo, s81
	s_waitcnt lgkmcnt(0)
	s_barrier
	buffer_gl0_inv
.LBB91_358:                             ;   in Loop: Header=BB91_15 Depth=1
	s_lshl_b32 s17, 1, s17
	v_or_b32_e32 v28, s13, v28
	v_and_or_b32 v29, v29, s14, s17
	s_mov_b32 s81, 0
	s_mov_b32 s83, 5
.LBB91_359:                             ;   in Loop: Header=BB91_15 Depth=1
	s_or_saveexec_b32 s17, s82
	v_mov_b32_e32 v1, s83
	s_xor_b32 exec_lo, exec_lo, s17
; %bb.360:                              ;   in Loop: Header=BB91_15 Depth=1
	v_subrev_nc_u32_e32 v2, s16, v2
	v_mov_b32_e32 v1, 0
	s_or_b32 s81, s81, exec_lo
; %bb.361:                              ;   in Loop: Header=BB91_15 Depth=1
	s_or_b32 exec_lo, exec_lo, s17
	s_delay_alu instid0(VALU_DEP_2)
	v_mov_b32_e32 v3, v2
	s_and_b32 s81, s81, exec_lo
.LBB91_362:                             ;   in Loop: Header=BB91_15 Depth=1
	s_or_b32 exec_lo, exec_lo, s10
	s_mov_b32 s17, -1
                                        ; implicit-def: $sgpr10
                                        ; implicit-def: $sgpr82
                                        ; implicit-def: $sgpr83
	s_and_saveexec_b32 s16, s81
	s_cbranch_execz .LBB91_403
; %bb.363:                              ;   in Loop: Header=BB91_15 Depth=1
	v_cmp_eq_u32_e32 vcc_lo, 1, v3
	s_cmp_eq_u32 s12, 1
	s_mov_b32 s84, -1
	s_cselect_b32 s10, -1, 0
                                        ; implicit-def: $sgpr82
                                        ; implicit-def: $sgpr83
	s_delay_alu instid0(SALU_CYCLE_1) | instskip(NEXT) | instid1(SALU_CYCLE_1)
	s_and_b32 s17, s10, vcc_lo
                                        ; implicit-def: $sgpr10
	s_and_saveexec_b32 s81, s17
	s_cbranch_execz .LBB91_390
; %bb.364:                              ;   in Loop: Header=BB91_15 Depth=1
	ds_load_b32 v1, v9 offset:4096
	s_waitcnt lgkmcnt(0)
	s_barrier
	buffer_gl0_inv
	v_readfirstlane_b32 s82, v1
	s_and_saveexec_b32 s10, s6
	s_cbranch_execz .LBB91_366
; %bb.365:                              ;   in Loop: Header=BB91_15 Depth=1
	ds_store_b32 v20, v9
.LBB91_366:                             ;   in Loop: Header=BB91_15 Depth=1
	s_or_b32 exec_lo, exec_lo, s10
	v_and_b32_e32 v29, s14, v29
	v_or_b32_e32 v28, s13, v28
	s_cmp_eq_u32 s82, 0
	s_waitcnt lgkmcnt(0)
	s_barrier
	buffer_gl0_inv
	s_cbranch_scc1 .LBB91_375
; %bb.367:                              ;   in Loop: Header=BB91_15 Depth=1
	s_add_i32 s10, s82, s56
                                        ; implicit-def: $vgpr15
	s_delay_alu instid0(SALU_CYCLE_1) | instskip(NEXT) | instid1(SALU_CYCLE_1)
	s_mul_hi_u32 s83, s10, s63
	s_mul_i32 s83, s83, s34
	s_delay_alu instid0(SALU_CYCLE_1) | instskip(NEXT) | instid1(SALU_CYCLE_1)
	s_sub_i32 s83, s10, s83
	s_sub_i32 s84, s83, s34
	s_cmp_ge_u32 s83, s34
	s_cselect_b32 s83, s84, s83
	s_delay_alu instid0(SALU_CYCLE_1)
	s_sub_i32 s84, s83, s34
	s_cmp_ge_u32 s83, s34
	s_cselect_b32 s83, s84, s83
	s_mov_b32 s84, 0
	s_sub_i32 s85, s10, s83
	s_mov_b32 s83, exec_lo
	v_cmpx_gt_u32_e64 s85, v0
	s_cbranch_execz .LBB91_377
; %bb.368:                              ;   in Loop: Header=BB91_15 Depth=1
	v_dual_mov_b32 v1, v18 :: v_dual_mov_b32 v2, v0
                                        ; implicit-def: $sgpr86
	s_set_inst_prefetch_distance 0x1
	s_branch .LBB91_370
	.p2align	6
.LBB91_369:                             ;   in Loop: Header=BB91_370 Depth=2
	s_or_b32 exec_lo, exec_lo, s10
	s_waitcnt lgkmcnt(0)
	s_barrier
	buffer_gl0_inv
	ds_load_b64 v[14:15], v9 offset:3072
	v_add_nc_u32_e32 v2, s34, v2
	v_add_nc_u32_e32 v1, s53, v1
	s_waitcnt lgkmcnt(0)
	s_barrier
	buffer_gl0_inv
	v_cmp_le_u32_e32 vcc_lo, s85, v2
	v_cmp_neq_f32_e64 s10, 0, v14
	s_delay_alu instid0(VALU_DEP_1) | instskip(NEXT) | instid1(SALU_CYCLE_1)
	s_or_b32 s87, vcc_lo, s10
	s_and_b32 s87, exec_lo, s87
	s_delay_alu instid0(SALU_CYCLE_1) | instskip(SKIP_2) | instid1(SALU_CYCLE_1)
	s_or_b32 s84, s87, s84
	s_and_not1_b32 s86, s86, exec_lo
	s_and_b32 s10, s10, exec_lo
	s_or_b32 s86, s86, s10
	s_and_not1_b32 exec_lo, exec_lo, s84
	s_cbranch_execz .LBB91_376
.LBB91_370:                             ;   Parent Loop BB91_15 Depth=1
                                        ; =>  This Inner Loop Header: Depth=2
	s_delay_alu instid0(VALU_DEP_1)
	v_cmp_gt_u32_e32 vcc_lo, s82, v2
	v_mov_b32_e32 v14, 0
	s_and_saveexec_b32 s10, vcc_lo
	s_cbranch_execz .LBB91_372
; %bb.371:                              ;   in Loop: Header=BB91_370 Depth=2
	ds_load_b32 v14, v1
.LBB91_372:                             ;   in Loop: Header=BB91_370 Depth=2
	s_or_b32 exec_lo, exec_lo, s10
	s_and_saveexec_b32 s10, vcc_lo
	s_cbranch_execz .LBB91_369
; %bb.373:                              ;   in Loop: Header=BB91_370 Depth=2
	s_waitcnt lgkmcnt(0)
	v_cmp_lt_i32_e32 vcc_lo, -1, v14
	v_cndmask_b32_e64 v4, -1, 0x80000000, vcc_lo
	v_cmp_o_f32_e32 vcc_lo, v14, v14
	s_delay_alu instid0(VALU_DEP_2) | instskip(NEXT) | instid1(VALU_DEP_1)
	v_xor_b32_e32 v4, v4, v14
	v_cndmask_b32_e32 v4, -1, v4, vcc_lo
	s_delay_alu instid0(VALU_DEP_1) | instskip(NEXT) | instid1(VALU_DEP_1)
	v_and_b32_e32 v4, v4, v28
	v_cmp_eq_u32_e32 vcc_lo, v4, v29
	s_and_b32 exec_lo, exec_lo, vcc_lo
	s_cbranch_execz .LBB91_369
; %bb.374:                              ;   in Loop: Header=BB91_370 Depth=2
	ds_store_b64 v9, v[13:14] offset:3072
	s_branch .LBB91_369
.LBB91_375:                             ;   in Loop: Header=BB91_15 Depth=1
	s_mov_b32 s10, -1
	s_mov_b32 s84, 0
                                        ; implicit-def: $sgpr82
                                        ; implicit-def: $vgpr15
	s_branch .LBB91_378
.LBB91_376:                             ;   in Loop: Header=BB91_15 Depth=1
	s_set_inst_prefetch_distance 0x2
	s_or_b32 exec_lo, exec_lo, s84
	s_delay_alu instid0(SALU_CYCLE_1)
	s_and_b32 s84, s86, exec_lo
.LBB91_377:                             ;   in Loop: Header=BB91_15 Depth=1
	s_or_b32 exec_lo, exec_lo, s83
	s_mov_b32 s10, 0
	s_mov_b32 s82, -1
.LBB91_378:                             ;   in Loop: Header=BB91_15 Depth=1
	s_and_b32 vcc_lo, exec_lo, s10
	s_mov_b32 s83, s10
	s_cbranch_vccz .LBB91_389
; %bb.379:                              ;   in Loop: Header=BB91_15 Depth=1
	s_mov_b32 s84, 0
                                        ; implicit-def: $vgpr15
	s_and_saveexec_b32 s82, s9
	s_cbranch_execz .LBB91_388
; %bb.380:                              ;   in Loop: Header=BB91_15 Depth=1
	v_dual_mov_b32 v8, v7 :: v_dual_mov_b32 v1, v0
	s_mov_b32 s83, 0
                                        ; implicit-def: $sgpr84
	s_set_inst_prefetch_distance 0x1
	s_branch .LBB91_382
	.p2align	6
.LBB91_381:                             ;   in Loop: Header=BB91_382 Depth=2
	s_or_b32 exec_lo, exec_lo, s10
	s_waitcnt vmcnt(0) lgkmcnt(0)
	s_barrier
	buffer_gl0_inv
	ds_load_b64 v[14:15], v9 offset:3072
	v_add_nc_u32_e32 v1, s34, v1
	v_add_nc_u32_e32 v8, s40, v8
	s_waitcnt lgkmcnt(0)
	s_barrier
	buffer_gl0_inv
	v_cmp_le_u32_e32 vcc_lo, s64, v1
	v_cmp_neq_f32_e64 s10, 0, v14
	s_delay_alu instid0(VALU_DEP_1) | instskip(NEXT) | instid1(SALU_CYCLE_1)
	s_or_b32 s85, vcc_lo, s10
	s_and_b32 s85, exec_lo, s85
	s_delay_alu instid0(SALU_CYCLE_1) | instskip(SKIP_2) | instid1(SALU_CYCLE_1)
	s_or_b32 s83, s85, s83
	s_and_not1_b32 s84, s84, exec_lo
	s_and_b32 s10, s10, exec_lo
	s_or_b32 s84, s84, s10
	s_and_not1_b32 exec_lo, exec_lo, s83
	s_cbranch_execz .LBB91_387
.LBB91_382:                             ;   Parent Loop BB91_15 Depth=1
                                        ; =>  This Inner Loop Header: Depth=2
	s_delay_alu instid0(VALU_DEP_1)
	v_cmp_gt_u32_e32 vcc_lo, s36, v1
	v_mov_b32_e32 v14, 0
	s_and_saveexec_b32 s85, vcc_lo
	s_cbranch_execz .LBB91_384
; %bb.383:                              ;   in Loop: Header=BB91_382 Depth=2
	v_lshlrev_b64 v[14:15], 2, v[8:9]
	s_delay_alu instid0(VALU_DEP_1) | instskip(NEXT) | instid1(VALU_DEP_1)
	v_add_co_u32 v14, s10, s31, v14
	v_add_co_ci_u32_e64 v15, s10, s33, v15, s10
	global_load_b32 v14, v[14:15], off
.LBB91_384:                             ;   in Loop: Header=BB91_382 Depth=2
	s_or_b32 exec_lo, exec_lo, s85
	s_and_saveexec_b32 s10, vcc_lo
	s_cbranch_execz .LBB91_381
; %bb.385:                              ;   in Loop: Header=BB91_382 Depth=2
	s_waitcnt vmcnt(0)
	v_cmp_lt_i32_e32 vcc_lo, -1, v14
	v_cndmask_b32_e64 v2, -1, 0x80000000, vcc_lo
	v_cmp_o_f32_e32 vcc_lo, v14, v14
	s_delay_alu instid0(VALU_DEP_2) | instskip(NEXT) | instid1(VALU_DEP_1)
	v_xor_b32_e32 v2, v2, v14
	v_cndmask_b32_e32 v2, -1, v2, vcc_lo
	s_delay_alu instid0(VALU_DEP_1) | instskip(NEXT) | instid1(VALU_DEP_1)
	v_and_b32_e32 v2, v2, v28
	v_cmp_eq_u32_e32 vcc_lo, v2, v29
	s_and_b32 exec_lo, exec_lo, vcc_lo
	s_cbranch_execz .LBB91_381
; %bb.386:                              ;   in Loop: Header=BB91_382 Depth=2
	ds_store_b64 v9, v[13:14] offset:3072
	s_branch .LBB91_381
.LBB91_387:                             ;   in Loop: Header=BB91_15 Depth=1
	s_set_inst_prefetch_distance 0x2
	s_or_b32 exec_lo, exec_lo, s83
	s_delay_alu instid0(SALU_CYCLE_1)
	s_and_b32 s84, s84, exec_lo
.LBB91_388:                             ;   in Loop: Header=BB91_15 Depth=1
	s_or_b32 exec_lo, exec_lo, s82
	s_mov_b32 s82, 0
	s_mov_b32 s10, -1
	s_mov_b32 s83, 0
.LBB91_389:                             ;   in Loop: Header=BB91_15 Depth=1
	s_or_not1_b32 s84, s84, exec_lo
.LBB91_390:                             ;   in Loop: Header=BB91_15 Depth=1
	s_or_b32 exec_lo, exec_lo, s81
	s_mov_b32 s85, 0
                                        ; implicit-def: $vgpr1
                                        ; implicit-def: $vgpr2
	s_and_saveexec_b32 s81, s84
	s_cbranch_execz .LBB91_402
; %bb.391:                              ;   in Loop: Header=BB91_15 Depth=1
	v_dual_mov_b32 v1, 1 :: v_dual_mov_b32 v2, 1
	s_xor_b32 s84, s17, -1
	s_delay_alu instid0(SALU_CYCLE_1)
	s_and_saveexec_b32 s17, s84
	s_cbranch_execz .LBB91_401
; %bb.392:                              ;   in Loop: Header=BB91_15 Depth=1
	s_mov_b32 s84, exec_lo
                                        ; implicit-def: $sgpr85
	v_cmpx_ge_u32_e64 s12, v3
	s_xor_b32 s84, exec_lo, s84
	s_cbranch_execz .LBB91_398
; %bb.393:                              ;   in Loop: Header=BB91_15 Depth=1
	ds_load_b32 v1, v9 offset:4096
	s_waitcnt lgkmcnt(0)
	v_cmp_ne_u32_e32 vcc_lo, 0, v1
	s_cbranch_vccnz .LBB91_397
; %bb.394:                              ;   in Loop: Header=BB91_15 Depth=1
	s_and_saveexec_b32 s85, s5
	s_cbranch_execz .LBB91_396
; %bb.395:                              ;   in Loop: Header=BB91_15 Depth=1
	v_mov_b32_e32 v1, s12
	ds_store_b32 v9, v1 offset:4100
.LBB91_396:                             ;   in Loop: Header=BB91_15 Depth=1
	s_or_b32 exec_lo, exec_lo, s85
	s_waitcnt lgkmcnt(0)
	s_barrier
	buffer_gl0_inv
.LBB91_397:                             ;   in Loop: Header=BB91_15 Depth=1
	v_and_b32_e32 v29, s14, v29
	v_or_b32_e32 v28, s13, v28
	s_mov_b32 s85, 5
.LBB91_398:                             ;   in Loop: Header=BB91_15 Depth=1
	s_or_saveexec_b32 s13, s84
	v_mov_b32_e32 v1, s85
	s_xor_b32 exec_lo, exec_lo, s13
; %bb.399:                              ;   in Loop: Header=BB91_15 Depth=1
	v_subrev_nc_u32_e32 v3, s12, v3
	v_mov_b32_e32 v1, 5
; %bb.400:                              ;   in Loop: Header=BB91_15 Depth=1
	s_or_b32 exec_lo, exec_lo, s13
	s_delay_alu instid0(VALU_DEP_2)
	v_mov_b32_e32 v2, v3
.LBB91_401:                             ;   in Loop: Header=BB91_15 Depth=1
	s_or_b32 exec_lo, exec_lo, s17
	s_delay_alu instid0(SALU_CYCLE_1)
	s_mov_b32 s85, exec_lo
.LBB91_402:                             ;   in Loop: Header=BB91_15 Depth=1
	s_or_b32 exec_lo, exec_lo, s81
	s_delay_alu instid0(VALU_DEP_1)
	v_mov_b32_e32 v3, v2
	s_or_not1_b32 s17, s85, exec_lo
.LBB91_403:                             ;   in Loop: Header=BB91_15 Depth=1
	s_or_b32 exec_lo, exec_lo, s16
	s_delay_alu instid0(SALU_CYCLE_1)
	s_and_not1_b32 s12, s28, exec_lo
	s_and_b32 s10, s10, exec_lo
	s_and_not1_b32 s13, s79, exec_lo
	s_or_b32 s28, s12, s10
	s_and_not1_b32 s10, s29, exec_lo
	s_and_b32 s12, s82, exec_lo
	s_and_b32 s14, s83, exec_lo
	v_mov_b32_e32 v2, v3
	s_or_b32 s29, s10, s12
	s_or_b32 s79, s13, s14
	s_and_b32 s82, s17, exec_lo
.LBB91_404:                             ;   in Loop: Header=BB91_15 Depth=1
	s_or_b32 exec_lo, exec_lo, s80
	s_delay_alu instid0(SALU_CYCLE_1)
	s_and_b32 s80, s28, exec_lo
	s_and_b32 s29, s29, exec_lo
	s_and_b32 s28, s79, exec_lo
	s_or_not1_b32 s10, s82, exec_lo
.LBB91_405:                             ;   in Loop: Header=BB91_15 Depth=1
	s_or_b32 exec_lo, exec_lo, s18
	s_delay_alu instid0(SALU_CYCLE_1)
	s_and_not1_b32 s12, s22, exec_lo
	s_and_b32 s13, s80, exec_lo
	s_and_not1_b32 s14, s26, exec_lo
	s_or_b32 s22, s12, s13
	s_and_not1_b32 s12, s25, exec_lo
	s_and_b32 s13, s29, exec_lo
	s_and_b32 s16, s28, exec_lo
	v_mov_b32_e32 v31, v2
	s_or_b32 s25, s12, s13
	s_or_b32 s26, s14, s16
	s_and_b32 s29, s10, exec_lo
.LBB91_406:                             ;   in Loop: Header=BB91_15 Depth=1
	s_or_b32 exec_lo, exec_lo, s27
	s_delay_alu instid0(SALU_CYCLE_1)
	s_and_b32 s27, s22, exec_lo
	s_and_b32 s25, s25, exec_lo
	;; [unrolled: 1-line block ×3, first 2 shown]
	s_or_not1_b32 s26, s29, exec_lo
.LBB91_407:                             ;   in Loop: Header=BB91_15 Depth=1
	s_or_b32 exec_lo, exec_lo, s19
	s_mov_b32 s10, s20
	s_mov_b32 s12, s11
	s_and_saveexec_b32 s13, s26
; %bb.408:                              ;   in Loop: Header=BB91_15 Depth=1
	v_cmp_eq_u32_e32 vcc_lo, 5, v1
	v_cmp_ne_u32_e64 s10, 5, v1
	s_and_not1_b32 s12, s11, exec_lo
	s_and_not1_b32 s14, s20, exec_lo
	;; [unrolled: 1-line block ×3, first 2 shown]
	s_and_b32 s16, vcc_lo, exec_lo
	s_and_b32 s10, s10, exec_lo
	s_and_not1_b32 s25, s25, exec_lo
	s_and_not1_b32 s22, s22, exec_lo
	s_or_b32 s12, s12, s10
	s_or_b32 s10, s14, s16
; %bb.409:                              ;   in Loop: Header=BB91_15 Depth=1
	s_or_b32 exec_lo, exec_lo, s13
	s_delay_alu instid0(SALU_CYCLE_1)
	s_and_not1_b32 s13, s23, exec_lo
	s_and_b32 s14, s27, exec_lo
	v_dual_mov_b32 v3, v29 :: v_dual_mov_b32 v4, v28
	s_or_b32 s23, s13, s14
	s_and_not1_b32 s13, s24, exec_lo
	s_and_b32 s14, s25, exec_lo
	v_mov_b32_e32 v2, v15
	s_and_not1_b32 s15, s15, exec_lo
	s_and_b32 s16, s22, exec_lo
	s_or_b32 s24, s13, s14
	s_and_not1_b32 s11, s11, exec_lo
	s_and_b32 s12, s12, exec_lo
	s_and_not1_b32 s13, s20, exec_lo
	s_and_b32 s10, s10, exec_lo
	s_or_b32 s15, s15, s16
	s_or_b32 s11, s11, s12
	;; [unrolled: 1-line block ×3, first 2 shown]
.LBB91_410:                             ;   in Loop: Header=BB91_15 Depth=1
	s_or_b32 exec_lo, exec_lo, s21
	s_mov_b32 s22, s15
	s_mov_b32 s21, s15
	s_and_saveexec_b32 s10, s20
.LBB91_411:                             ;   in Loop: Header=BB91_15 Depth=1
	v_mov_b32_e32 v1, 0
	s_and_not1_b32 s15, s15, exec_lo
	s_and_not1_b32 s23, s23, exec_lo
	;; [unrolled: 1-line block ×5, first 2 shown]
	s_or_b32 s11, s11, exec_lo
.LBB91_412:                             ;   in Loop: Header=BB91_15 Depth=1
	s_or_b32 exec_lo, exec_lo, s10
	s_delay_alu instid0(SALU_CYCLE_1)
	s_and_not1_b32 s10, s78, exec_lo
	s_and_b32 s13, s15, exec_lo
	s_and_not1_b32 s14, s75, exec_lo
	s_or_b32 s78, s10, s13
	s_and_not1_b32 s10, s77, exec_lo
	s_and_b32 s13, s23, exec_lo
	s_and_b32 s15, s24, exec_lo
	s_or_b32 s77, s10, s13
	s_or_b32 s75, s14, s15
	s_and_not1_b32 s10, s76, exec_lo
	s_and_b32 s13, s22, exec_lo
	s_and_not1_b32 s14, s74, exec_lo
	s_and_b32 s15, s21, exec_lo
	s_mov_b32 s12, -1
	s_or_b32 s76, s10, s13
	s_or_b32 s74, s14, s15
                                        ; implicit-def: $vgpr28
                                        ; implicit-def: $vgpr29
                                        ; implicit-def: $vgpr30
                                        ; implicit-def: $vgpr15
	s_and_saveexec_b32 s10, s11
	s_delay_alu instid0(SALU_CYCLE_1)
	s_xor_b32 s10, exec_lo, s10
	s_cbranch_execz .LBB91_14
; %bb.413:                              ;   in Loop: Header=BB91_15 Depth=1
	s_mov_b32 s11, -1
	s_mov_b32 s13, exec_lo
	v_cmpx_eq_u32_e32 0, v1
	s_cbranch_execz .LBB91_13
; %bb.414:                              ;   in Loop: Header=BB91_15 Depth=1
	s_xor_b32 s68, s68, 1
	s_add_i32 s14, s73, -2
	s_cmp_eq_u32 s73, 0
	s_mov_b32 s73, s14
	s_cselect_b32 s11, -1, 0
	s_xor_b32 s12, exec_lo, -1
	s_or_not1_b32 s11, s11, exec_lo
	s_branch .LBB91_13
.LBB91_415:
	s_or_b32 exec_lo, exec_lo, s47
	s_xor_b32 s9, s72, -1
	s_xor_b32 s12, s70, -1
	;; [unrolled: 1-line block ×5, first 2 shown]
	s_mov_b32 s7, 0
	s_and_saveexec_b32 s8, s6
	s_delay_alu instid0(SALU_CYCLE_1)
	s_xor_b32 s6, exec_lo, s8
	s_cbranch_execz .LBB91_474
; %bb.416:
	s_mov_b32 s8, 0
	s_and_saveexec_b32 s7, s11
	s_delay_alu instid0(SALU_CYCLE_1)
	s_xor_b32 s7, exec_lo, s7
	s_cbranch_execz .LBB91_472
; %bb.417:
	;; [unrolled: 6-line block ×3, first 2 shown]
	s_and_saveexec_b32 s12, s9
	s_delay_alu instid0(SALU_CYCLE_1)
	s_xor_b32 s9, exec_lo, s12
	s_cbranch_execz .LBB91_468
; %bb.419:
	s_and_saveexec_b32 s11, s10
	s_delay_alu instid0(SALU_CYCLE_1)
	s_xor_b32 s10, exec_lo, s11
; %bb.420:
	v_cmp_lt_i32_e32 vcc_lo, -1, v3
	v_cndmask_b32_e64 v1, 0x80000000, -1, vcc_lo
	s_delay_alu instid0(VALU_DEP_1)
	v_xor_b32_e32 v2, v1, v3
; %bb.421:
	s_or_b32 exec_lo, exec_lo, s10
	s_and_saveexec_b32 s10, s5
	s_cbranch_execz .LBB91_423
; %bb.422:
	v_mov_b32_e32 v1, 0
	ds_store_b32 v1, v1 offset:4108
.LBB91_423:
	s_or_b32 exec_lo, exec_lo, s10
	v_mov_b32_e32 v1, 0
	s_waitcnt lgkmcnt(0)
	s_barrier
	buffer_gl0_inv
	s_and_saveexec_b32 s5, s4
	s_cbranch_execz .LBB91_425
; %bb.424:
	global_load_b32 v1, v[5:6], off
.LBB91_425:
	s_or_b32 exec_lo, exec_lo, s5
	v_cmp_lt_i32_e32 vcc_lo, -1, v2
	s_clause 0x1
	s_load_b32 s5, s[0:1], 0x1c8
	s_load_b32 s10, s[0:1], 0x2a8
	s_mul_i32 s12, s50, s49
	s_mov_b32 s1, 0
	s_add_i32 s0, s12, s35
	v_cndmask_b32_e64 v3, -1, 0x80000000, vcc_lo
	v_cmp_o_f32_e32 vcc_lo, v2, v2
	s_add_i32 s11, s36, 31
	s_mul_i32 s14, s46, s48
	s_lshl_b64 s[12:13], s[0:1], 2
	v_xor_b32_e32 v3, v3, v2
	s_and_not1_b32 s11, s11, 31
	s_add_i32 s14, s14, s41
	s_mov_b32 s15, s1
	s_add_u32 s12, s44, s12
	v_cndmask_b32_e32 v9, -1, v3, vcc_lo
	v_add_nc_u32_e32 v3, s34, v0
	s_addc_u32 s13, s45, s13
	s_lshl_b64 s[14:15], s[14:15], 3
	s_mov_b32 s18, -1
	s_add_u32 s14, s42, s14
	v_mul_lo_u32 v2, s30, v3
	s_addc_u32 s15, s43, s15
	s_mov_b32 s16, 0
	s_mov_b32 s17, exec_lo
	v_cmpx_gt_u32_e64 s11, v0
	s_cbranch_execz .LBB91_443
; %bb.426:
	v_mul_lo_u32 v3, s30, v3
	v_dual_mov_b32 v4, 0 :: v_dual_mov_b32 v7, v0
                                        ; implicit-def: $sgpr18
                                        ; implicit-def: $vgpr11
	s_branch .LBB91_428
.LBB91_427:                             ;   in Loop: Header=BB91_428 Depth=1
	s_or_b32 exec_lo, exec_lo, s19
	s_xor_b32 s19, s21, -1
	s_and_b32 s0, exec_lo, s0
	s_waitcnt vmcnt(0)
	v_mov_b32_e32 v1, v12
	s_or_b32 s16, s0, s16
	v_mov_b32_e32 v7, v10
	s_and_not1_b32 s0, s18, exec_lo
	s_and_b32 s18, s19, exec_lo
	s_delay_alu instid0(SALU_CYCLE_1)
	s_or_b32 s18, s0, s18
	s_and_not1_b32 exec_lo, exec_lo, s16
	s_cbranch_execz .LBB91_442
.LBB91_428:                             ; =>This Inner Loop Header: Depth=1
	s_delay_alu instid0(VALU_DEP_1) | instskip(SKIP_2) | instid1(VALU_DEP_2)
	v_add_nc_u32_e32 v10, s34, v7
	v_mov_b32_e32 v12, 0
	s_mov_b32 s0, exec_lo
	v_cmpx_gt_u32_e64 s36, v10
	s_cbranch_execz .LBB91_430
; %bb.429:                              ;   in Loop: Header=BB91_428 Depth=1
	v_lshlrev_b64 v[12:13], 2, v[3:4]
	s_delay_alu instid0(VALU_DEP_1) | instskip(NEXT) | instid1(VALU_DEP_2)
	v_add_co_u32 v12, vcc_lo, s31, v12
	v_add_co_ci_u32_e32 v13, vcc_lo, s33, v13, vcc_lo
	global_load_b32 v12, v[12:13], off
.LBB91_430:                             ;   in Loop: Header=BB91_428 Depth=1
	s_or_b32 exec_lo, exec_lo, s0
	s_mov_b32 s19, 0
	s_mov_b32 s0, exec_lo
	v_cmpx_gt_u32_e64 s36, v7
	s_cbranch_execz .LBB91_432
; %bb.431:                              ;   in Loop: Header=BB91_428 Depth=1
	s_waitcnt vmcnt(0)
	v_cmp_lt_i32_e32 vcc_lo, -1, v1
	v_cndmask_b32_e64 v8, -1, 0x80000000, vcc_lo
	v_cmp_o_f32_e32 vcc_lo, v1, v1
	s_delay_alu instid0(VALU_DEP_2) | instskip(NEXT) | instid1(VALU_DEP_1)
	v_xor_b32_e32 v8, v8, v1
	v_cndmask_b32_e32 v8, -1, v8, vcc_lo
	s_delay_alu instid0(VALU_DEP_1) | instskip(SKIP_3) | instid1(VALU_DEP_1)
	v_cmp_gt_u32_e32 vcc_lo, v8, v9
	v_cndmask_b32_e64 v13, 0, 1, vcc_lo
	v_cmp_lt_u32_e32 vcc_lo, v8, v9
	v_cndmask_b32_e64 v8, 0, 1, vcc_lo
	v_cndmask_b32_e64 v8, v8, v13, s3
	s_delay_alu instid0(VALU_DEP_1) | instskip(NEXT) | instid1(VALU_DEP_1)
	v_and_b32_e32 v8, 1, v8
	v_cmp_eq_u32_e32 vcc_lo, 1, v8
	s_and_b32 s19, vcc_lo, exec_lo
.LBB91_432:                             ;   in Loop: Header=BB91_428 Depth=1
	s_or_b32 exec_lo, exec_lo, s0
	v_cndmask_b32_e64 v8, 0, 1, s19
	s_delay_alu instid0(VALU_DEP_1) | instskip(SKIP_2) | instid1(SALU_CYCLE_1)
	v_cmp_ne_u32_e32 vcc_lo, 0, v8
	s_cmp_lg_u32 vcc_lo, 0
	s_cselect_b32 s0, -1, 0
	s_and_b32 s0, s2, s0
	s_delay_alu instid0(SALU_CYCLE_1)
	s_and_saveexec_b32 s20, s0
	s_cbranch_execz .LBB91_436
; %bb.433:                              ;   in Loop: Header=BB91_428 Depth=1
	s_mov_b32 s23, exec_lo
	s_bcnt1_i32_b32 s21, vcc_lo
	v_mbcnt_lo_u32_b32 v8, s23, 0
	s_mov_b32 s22, exec_lo
                                        ; implicit-def: $vgpr11
	s_delay_alu instid0(VALU_DEP_1)
	v_cmpx_eq_u32_e32 0, v8
	s_cbranch_execz .LBB91_435
; %bb.434:                              ;   in Loop: Header=BB91_428 Depth=1
	s_bcnt1_i32_b32 s0, s23
	s_delay_alu instid0(SALU_CYCLE_1)
	s_mul_i32 s0, s21, s0
	s_waitcnt lgkmcnt(0)
	v_mov_b32_e32 v11, s0
	ds_add_rtn_u32 v11, v4, v11 offset:4108
.LBB91_435:                             ;   in Loop: Header=BB91_428 Depth=1
	s_or_b32 exec_lo, exec_lo, s22
	s_waitcnt lgkmcnt(0)
	v_readfirstlane_b32 s0, v11
	s_delay_alu instid0(VALU_DEP_1)
	v_mad_u32_u24 v11, s21, v8, s0
.LBB91_436:                             ;   in Loop: Header=BB91_428 Depth=1
	s_or_b32 exec_lo, exec_lo, s20
	s_waitcnt lgkmcnt(0)
	ds_bpermute_b32 v11, v4, v11
	s_mov_b32 s0, -1
	s_mov_b32 s22, -1
                                        ; implicit-def: $sgpr21
	s_and_saveexec_b32 s20, s19
	s_cbranch_execz .LBB91_440
; %bb.437:                              ;   in Loop: Header=BB91_428 Depth=1
	v_and_b32_e32 v8, vcc_lo, v16
	s_mov_b32 s19, 0
	s_mov_b32 s21, exec_lo
	s_waitcnt lgkmcnt(0)
	s_delay_alu instid0(VALU_DEP_1) | instskip(NEXT) | instid1(VALU_DEP_1)
	v_bcnt_u32_b32 v8, v8, v11
	v_cmpx_gt_u32_e64 s37, v8
	s_cbranch_execz .LBB91_439
; %bb.438:                              ;   in Loop: Header=BB91_428 Depth=1
	v_mul_lo_u32 v13, v8, s5
	v_mov_b32_e32 v14, v4
	v_mul_lo_u32 v17, v8, s10
	v_mov_b32_e32 v18, v4
	v_mov_b32_e32 v8, v4
	s_mov_b32 s19, exec_lo
	v_lshlrev_b64 v[13:14], 2, v[13:14]
	s_delay_alu instid0(VALU_DEP_3) | instskip(NEXT) | instid1(VALU_DEP_2)
	v_lshlrev_b64 v[17:18], 3, v[17:18]
	v_add_co_u32 v13, vcc_lo, s12, v13
	s_delay_alu instid0(VALU_DEP_3) | instskip(NEXT) | instid1(VALU_DEP_3)
	v_add_co_ci_u32_e32 v14, vcc_lo, s13, v14, vcc_lo
	v_add_co_u32 v17, vcc_lo, s14, v17
	s_delay_alu instid0(VALU_DEP_4)
	v_add_co_ci_u32_e32 v18, vcc_lo, s15, v18, vcc_lo
	s_waitcnt vmcnt(0)
	global_store_b32 v[13:14], v1, off
	global_store_b64 v[17:18], v[7:8], off
.LBB91_439:                             ;   in Loop: Header=BB91_428 Depth=1
	s_or_b32 exec_lo, exec_lo, s21
	s_mov_b32 s21, -1
	s_or_not1_b32 s22, s19, exec_lo
.LBB91_440:                             ;   in Loop: Header=BB91_428 Depth=1
	s_or_b32 exec_lo, exec_lo, s20
	s_and_saveexec_b32 s19, s22
	s_cbranch_execz .LBB91_427
; %bb.441:                              ;   in Loop: Header=BB91_428 Depth=1
	v_cmp_le_u32_e32 vcc_lo, s11, v10
	v_add_nc_u32_e32 v3, s40, v3
	s_and_not1_b32 s21, s21, exec_lo
	s_or_not1_b32 s0, vcc_lo, exec_lo
	s_branch .LBB91_427
.LBB91_442:
	s_or_b32 exec_lo, exec_lo, s16
	s_delay_alu instid0(SALU_CYCLE_1)
	s_mov_b32 s16, exec_lo
	s_or_not1_b32 s18, s18, exec_lo
.LBB91_443:
	s_or_b32 exec_lo, exec_lo, s17
	s_and_saveexec_b32 s3, s18
	s_cbranch_execz .LBB91_466
; %bb.444:
	v_mov_b32_e32 v3, 0
	v_mov_b32_e32 v7, 0
	s_waitcnt vmcnt(0) lgkmcnt(0)
	s_waitcnt_vscnt null, 0x0
	s_barrier
	buffer_gl0_inv
	s_and_saveexec_b32 s0, s4
	s_cbranch_execz .LBB91_446
; %bb.445:
	global_load_b32 v7, v[5:6], off
.LBB91_446:
	s_or_b32 exec_lo, exec_lo, s0
	s_mov_b32 s4, 0
                                        ; implicit-def: $sgpr1
                                        ; implicit-def: $sgpr17
                                        ; implicit-def: $sgpr18
                                        ; implicit-def: $vgpr4
	s_branch .LBB91_449
.LBB91_447:                             ;   in Loop: Header=BB91_449 Depth=1
	s_or_b32 exec_lo, exec_lo, s21
	v_mov_b32_e32 v0, v5
	v_mov_b32_e32 v7, v1
	s_and_not1_b32 s0, s18, exec_lo
	s_and_b32 s18, s23, exec_lo
	s_and_not1_b32 s17, s17, exec_lo
	s_and_b32 s20, s20, exec_lo
	s_or_b32 s18, s0, s18
	s_or_b32 s17, s17, s20
.LBB91_448:                             ;   in Loop: Header=BB91_449 Depth=1
	s_or_b32 exec_lo, exec_lo, s19
	s_xor_b32 s0, s18, -1
	s_and_b32 s19, exec_lo, s17
	s_delay_alu instid0(SALU_CYCLE_1) | instskip(SKIP_2) | instid1(SALU_CYCLE_1)
	s_or_b32 s4, s19, s4
	s_and_not1_b32 s1, s1, exec_lo
	s_and_b32 s0, s0, exec_lo
	s_or_b32 s1, s1, s0
	s_and_not1_b32 exec_lo, exec_lo, s4
	s_cbranch_execz .LBB91_464
.LBB91_449:                             ; =>This Inner Loop Header: Depth=1
	s_or_b32 s18, s18, exec_lo
	s_or_b32 s17, s17, exec_lo
	s_mov_b32 s19, exec_lo
	v_cmpx_gt_u32_e64 s11, v0
	s_cbranch_execz .LBB91_448
; %bb.450:                              ;   in Loop: Header=BB91_449 Depth=1
	v_dual_mov_b32 v6, 0 :: v_dual_add_nc_u32 v5, s34, v0
	s_mov_b32 s0, exec_lo
	s_delay_alu instid0(VALU_DEP_1)
	v_cmpx_gt_u32_e64 s36, v5
	s_cbranch_execz .LBB91_452
; %bb.451:                              ;   in Loop: Header=BB91_449 Depth=1
	v_lshlrev_b64 v[10:11], 2, v[2:3]
	s_delay_alu instid0(VALU_DEP_1) | instskip(NEXT) | instid1(VALU_DEP_2)
	v_add_co_u32 v10, vcc_lo, s31, v10
	v_add_co_ci_u32_e32 v11, vcc_lo, s33, v11, vcc_lo
	global_load_b32 v6, v[10:11], off
.LBB91_452:                             ;   in Loop: Header=BB91_449 Depth=1
	s_or_b32 exec_lo, exec_lo, s0
	s_waitcnt vmcnt(0)
	v_cmp_lt_i32_e32 vcc_lo, -1, v7
	v_cndmask_b32_e64 v1, -1, 0x80000000, vcc_lo
	v_cmp_o_f32_e32 vcc_lo, v7, v7
	s_delay_alu instid0(VALU_DEP_2) | instskip(NEXT) | instid1(VALU_DEP_1)
	v_xor_b32_e32 v1, v1, v7
	v_cndmask_b32_e32 v1, -1, v1, vcc_lo
	v_cmp_gt_u32_e32 vcc_lo, s36, v0
	s_delay_alu instid0(VALU_DEP_2) | instskip(NEXT) | instid1(VALU_DEP_1)
	v_cmp_eq_u32_e64 s0, v1, v9
	s_and_b32 s21, vcc_lo, s0
	s_delay_alu instid0(SALU_CYCLE_1) | instskip(NEXT) | instid1(VALU_DEP_1)
	v_cndmask_b32_e64 v1, 0, 1, s21
	v_cmp_ne_u32_e32 vcc_lo, 0, v1
	s_cmp_lg_u32 vcc_lo, 0
	s_cselect_b32 s0, -1, 0
	s_delay_alu instid0(SALU_CYCLE_1) | instskip(NEXT) | instid1(SALU_CYCLE_1)
	s_and_b32 s0, s2, s0
	s_and_saveexec_b32 s20, s0
	s_cbranch_execz .LBB91_456
; %bb.453:                              ;   in Loop: Header=BB91_449 Depth=1
	s_mov_b32 s24, exec_lo
	s_bcnt1_i32_b32 s22, vcc_lo
	v_mbcnt_lo_u32_b32 v1, s24, 0
	s_mov_b32 s23, exec_lo
                                        ; implicit-def: $vgpr4
	s_delay_alu instid0(VALU_DEP_1)
	v_cmpx_eq_u32_e32 0, v1
	s_cbranch_execz .LBB91_455
; %bb.454:                              ;   in Loop: Header=BB91_449 Depth=1
	s_bcnt1_i32_b32 s0, s24
	s_delay_alu instid0(SALU_CYCLE_1) | instskip(NEXT) | instid1(SALU_CYCLE_1)
	s_mul_i32 s0, s22, s0
	v_mov_b32_e32 v4, s0
	ds_add_rtn_u32 v4, v3, v4 offset:4108
.LBB91_455:                             ;   in Loop: Header=BB91_449 Depth=1
	s_or_b32 exec_lo, exec_lo, s23
	s_waitcnt lgkmcnt(0)
	v_readfirstlane_b32 s0, v4
	s_delay_alu instid0(VALU_DEP_1)
	v_mad_u32_u24 v4, s22, v1, s0
.LBB91_456:                             ;   in Loop: Header=BB91_449 Depth=1
	s_or_b32 exec_lo, exec_lo, s20
	ds_bpermute_b32 v4, v3, v4
	s_cmp_eq_u32 vcc_lo, 0
	s_mov_b32 s20, -1
	s_cselect_b32 s22, -1, 0
	s_mov_b32 s23, -1
	s_waitcnt lgkmcnt(0)
	v_cmp_gt_u32_e64 s0, s37, v4
	s_delay_alu instid0(VALU_DEP_1) | instskip(SKIP_3) | instid1(SALU_CYCLE_1)
	s_or_b32 s0, s22, s0
	s_mov_b32 s22, -1
	v_cndmask_b32_e64 v1, v7, v6, s0
	s_and_b32 s24, s21, s0
	s_and_saveexec_b32 s21, s24
	s_cbranch_execz .LBB91_462
; %bb.457:                              ;   in Loop: Header=BB91_449 Depth=1
	v_and_b32_e32 v1, vcc_lo, v16
	v_sub_nc_u32_e32 v8, s37, v4
	s_mov_b32 s24, -1
	s_mov_b32 s23, exec_lo
	s_delay_alu instid0(VALU_DEP_2) | instskip(NEXT) | instid1(VALU_DEP_1)
	v_bcnt_u32_b32 v1, v1, 0
	v_cmp_le_u32_e64 s22, v8, v1
	v_cmpx_gt_u32_e64 v8, v1
	s_cbranch_execz .LBB91_461
; %bb.458:                              ;   in Loop: Header=BB91_449 Depth=1
	v_add_nc_u32_e32 v1, v4, v1
	s_delay_alu instid0(VALU_DEP_3) | instskip(SKIP_1) | instid1(VALU_DEP_1)
	s_mov_b32 s25, s22
	s_mov_b32 s24, exec_lo
	v_cmpx_gt_u32_e64 s37, v1
	s_cbranch_execz .LBB91_460
; %bb.459:                              ;   in Loop: Header=BB91_449 Depth=1
	v_mul_lo_u32 v10, v1, s5
	v_mov_b32_e32 v11, v3
	v_mul_lo_u32 v12, v1, s10
	v_mov_b32_e32 v13, v3
	v_mov_b32_e32 v1, v3
	s_or_b32 s25, s22, exec_lo
	v_lshlrev_b64 v[10:11], 2, v[10:11]
	s_delay_alu instid0(VALU_DEP_3) | instskip(NEXT) | instid1(VALU_DEP_2)
	v_lshlrev_b64 v[12:13], 3, v[12:13]
	v_add_co_u32 v10, vcc_lo, s12, v10
	s_delay_alu instid0(VALU_DEP_3) | instskip(NEXT) | instid1(VALU_DEP_3)
	v_add_co_ci_u32_e32 v11, vcc_lo, s13, v11, vcc_lo
	v_add_co_u32 v12, vcc_lo, s14, v12
	s_delay_alu instid0(VALU_DEP_4)
	v_add_co_ci_u32_e32 v13, vcc_lo, s15, v13, vcc_lo
	global_store_b32 v[10:11], v7, off
	global_store_b64 v[12:13], v[0:1], off
.LBB91_460:                             ;   in Loop: Header=BB91_449 Depth=1
	s_or_b32 exec_lo, exec_lo, s24
	s_delay_alu instid0(SALU_CYCLE_1)
	s_and_not1_b32 s22, s22, exec_lo
	s_and_b32 s25, s25, exec_lo
	s_xor_b32 s24, exec_lo, -1
	s_or_b32 s22, s22, s25
.LBB91_461:                             ;   in Loop: Header=BB91_449 Depth=1
	s_or_b32 exec_lo, exec_lo, s23
	v_mov_b32_e32 v1, v6
	s_or_not1_b32 s23, s24, exec_lo
	s_or_b32 s0, s0, exec_lo
	s_or_not1_b32 s22, s22, exec_lo
.LBB91_462:                             ;   in Loop: Header=BB91_449 Depth=1
	s_or_b32 exec_lo, exec_lo, s21
	s_and_saveexec_b32 s21, s22
	s_cbranch_execz .LBB91_447
; %bb.463:                              ;   in Loop: Header=BB91_449 Depth=1
	v_add_nc_u32_e32 v2, s40, v2
	s_xor_b32 s0, s0, -1
	s_or_b32 s23, s23, exec_lo
	s_or_not1_b32 s20, s0, exec_lo
	s_branch .LBB91_447
.LBB91_464:
	s_or_b32 exec_lo, exec_lo, s4
	s_mov_b32 s0, 0
	s_and_saveexec_b32 s2, s1
	s_delay_alu instid0(SALU_CYCLE_1)
	s_xor_b32 s1, exec_lo, s2
	s_cbranch_execnz .LBB91_496
.LBB91_465:
	s_or_b32 exec_lo, exec_lo, s1
	s_delay_alu instid0(SALU_CYCLE_1)
	s_and_b32 s1, s0, exec_lo
	s_and_not1_b32 s16, s16, exec_lo
.LBB91_466:
	s_or_b32 exec_lo, exec_lo, s3
	s_and_saveexec_b32 s0, s16
	s_delay_alu instid0(SALU_CYCLE_1)
	s_xor_b32 s0, exec_lo, s0
	s_cbranch_execnz .LBB91_492
.LBB91_467:
	s_or_b32 exec_lo, exec_lo, s0
	s_delay_alu instid0(SALU_CYCLE_1)
	s_and_b32 s11, s1, exec_lo
.LBB91_468:
	s_and_not1_saveexec_b32 s0, s9
	s_cbranch_execnz .LBB91_488
.LBB91_469:
	s_or_b32 exec_lo, exec_lo, s0
	s_delay_alu instid0(SALU_CYCLE_1)
	s_and_b32 s11, s11, exec_lo
.LBB91_470:
	s_and_not1_saveexec_b32 s0, s8
	s_cbranch_execnz .LBB91_484
.LBB91_471:
	s_or_b32 exec_lo, exec_lo, s0
	s_delay_alu instid0(SALU_CYCLE_1)
	s_and_b32 s8, s11, exec_lo
.LBB91_472:
	s_and_not1_saveexec_b32 s0, s7
	s_cbranch_execnz .LBB91_480
.LBB91_473:
	s_or_b32 exec_lo, exec_lo, s0
	s_delay_alu instid0(SALU_CYCLE_1)
	s_and_b32 s7, s8, exec_lo
.LBB91_474:
	s_and_not1_saveexec_b32 s0, s6
	s_cbranch_execnz .LBB91_478
; %bb.475:
	s_or_b32 exec_lo, exec_lo, s0
	s_and_saveexec_b32 s0, s7
.LBB91_476:
	; divergent unreachable
.LBB91_477:
	s_nop 0
	s_sendmsg sendmsg(MSG_DEALLOC_VGPRS)
	s_endpgm
.LBB91_478:
	s_cbranch_execnz .LBB91_482
; %bb.479:
	s_or_b32 s7, s7, exec_lo
	s_or_b32 exec_lo, exec_lo, s0
	s_and_saveexec_b32 s0, s7
	s_cbranch_execnz .LBB91_476
	s_branch .LBB91_477
.LBB91_480:
	s_cbranch_execnz .LBB91_486
; %bb.481:
	s_or_b32 s8, s8, exec_lo
	s_branch .LBB91_473
.LBB91_482:
	s_trap 2
	s_sendmsg_rtn_b32 s0, sendmsg(MSG_RTN_GET_DOORBELL)
	s_mov_b32 ttmp2, m0
	s_waitcnt lgkmcnt(0)
	s_and_b32 s0, s0, 0x3ff
	s_delay_alu instid0(SALU_CYCLE_1) | instskip(NEXT) | instid1(SALU_CYCLE_1)
	s_bitset1_b32 s0, 10
	s_mov_b32 m0, s0
	s_sendmsg sendmsg(MSG_INTERRUPT)
	s_mov_b32 m0, ttmp2
.LBB91_483:                             ; =>This Inner Loop Header: Depth=1
	s_sethalt 5
	s_branch .LBB91_483
.LBB91_484:
	s_cbranch_execnz .LBB91_490
; %bb.485:
	s_or_b32 s11, s11, exec_lo
	s_branch .LBB91_471
.LBB91_486:
	s_trap 2
	s_sendmsg_rtn_b32 s0, sendmsg(MSG_RTN_GET_DOORBELL)
	s_mov_b32 ttmp2, m0
	s_waitcnt lgkmcnt(0)
	s_and_b32 s0, s0, 0x3ff
	s_delay_alu instid0(SALU_CYCLE_1) | instskip(NEXT) | instid1(SALU_CYCLE_1)
	s_bitset1_b32 s0, 10
	s_mov_b32 m0, s0
	s_sendmsg sendmsg(MSG_INTERRUPT)
	s_mov_b32 m0, ttmp2
.LBB91_487:                             ; =>This Inner Loop Header: Depth=1
	s_sethalt 5
	s_branch .LBB91_487
.LBB91_488:
	s_cbranch_execnz .LBB91_494
; %bb.489:
	s_or_b32 s11, s11, exec_lo
	s_branch .LBB91_469
.LBB91_490:
	s_trap 2
	s_sendmsg_rtn_b32 s0, sendmsg(MSG_RTN_GET_DOORBELL)
	s_mov_b32 ttmp2, m0
	s_waitcnt lgkmcnt(0)
	s_and_b32 s0, s0, 0x3ff
	s_delay_alu instid0(SALU_CYCLE_1) | instskip(NEXT) | instid1(SALU_CYCLE_1)
	s_bitset1_b32 s0, 10
	s_mov_b32 m0, s0
	s_sendmsg sendmsg(MSG_INTERRUPT)
	s_mov_b32 m0, ttmp2
.LBB91_491:                             ; =>This Inner Loop Header: Depth=1
	s_sethalt 5
	s_branch .LBB91_491
.LBB91_492:
	s_cbranch_execnz .LBB91_498
; %bb.493:
	s_or_b32 s1, s1, exec_lo
	s_branch .LBB91_467
.LBB91_494:
	s_trap 2
	s_sendmsg_rtn_b32 s0, sendmsg(MSG_RTN_GET_DOORBELL)
	s_mov_b32 ttmp2, m0
	s_waitcnt lgkmcnt(0)
	s_and_b32 s0, s0, 0x3ff
	s_delay_alu instid0(SALU_CYCLE_1) | instskip(NEXT) | instid1(SALU_CYCLE_1)
	s_bitset1_b32 s0, 10
	s_mov_b32 m0, s0
	s_sendmsg sendmsg(MSG_INTERRUPT)
	s_mov_b32 m0, ttmp2
.LBB91_495:                             ; =>This Inner Loop Header: Depth=1
	s_sethalt 5
	s_branch .LBB91_495
.LBB91_496:
	s_cbranch_execnz .LBB91_500
; %bb.497:
	s_mov_b32 s0, exec_lo
	s_branch .LBB91_465
.LBB91_498:
	s_trap 2
	s_sendmsg_rtn_b32 s0, sendmsg(MSG_RTN_GET_DOORBELL)
	s_mov_b32 ttmp2, m0
	s_waitcnt lgkmcnt(0)
	s_and_b32 s0, s0, 0x3ff
	s_delay_alu instid0(SALU_CYCLE_1) | instskip(NEXT) | instid1(SALU_CYCLE_1)
	s_bitset1_b32 s0, 10
	s_mov_b32 m0, s0
	s_sendmsg sendmsg(MSG_INTERRUPT)
	s_mov_b32 m0, ttmp2
.LBB91_499:                             ; =>This Inner Loop Header: Depth=1
	s_sethalt 5
	s_branch .LBB91_499
.LBB91_500:
	s_trap 2
	s_sendmsg_rtn_b32 s0, sendmsg(MSG_RTN_GET_DOORBELL)
	s_mov_b32 ttmp2, m0
	s_waitcnt lgkmcnt(0)
	s_and_b32 s0, s0, 0x3ff
	s_delay_alu instid0(SALU_CYCLE_1) | instskip(NEXT) | instid1(SALU_CYCLE_1)
	s_bitset1_b32 s0, 10
	s_mov_b32 m0, s0
	s_sendmsg sendmsg(MSG_INTERRUPT)
	s_mov_b32 m0, ttmp2
.LBB91_501:                             ; =>This Inner Loop Header: Depth=1
	s_sethalt 5
	s_branch .LBB91_501
	.section	.rodata,"a",@progbits
	.p2align	6, 0x0
	.amdhsa_kernel _ZN2at6native6sbtopk10gatherTopKIfjLin1ELb0EEEvNS_4cuda6detail10TensorInfoIKT_T0_EES8_S8_bS8_S8_NS5_IS6_S8_EES8_NS5_IlS8_EES8_PS6_
		.amdhsa_group_segment_fixed_size 4112
		.amdhsa_private_segment_fixed_size 0
		.amdhsa_kernarg_size 952
		.amdhsa_user_sgpr_count 13
		.amdhsa_user_sgpr_dispatch_ptr 0
		.amdhsa_user_sgpr_queue_ptr 0
		.amdhsa_user_sgpr_kernarg_segment_ptr 1
		.amdhsa_user_sgpr_dispatch_id 0
		.amdhsa_user_sgpr_private_segment_size 0
		.amdhsa_wavefront_size32 1
		.amdhsa_uses_dynamic_stack 0
		.amdhsa_enable_private_segment 0
		.amdhsa_system_sgpr_workgroup_id_x 1
		.amdhsa_system_sgpr_workgroup_id_y 1
		.amdhsa_system_sgpr_workgroup_id_z 1
		.amdhsa_system_sgpr_workgroup_info 0
		.amdhsa_system_vgpr_workitem_id 0
		.amdhsa_next_free_vgpr 43
		.amdhsa_next_free_sgpr 92
		.amdhsa_reserve_vcc 1
		.amdhsa_float_round_mode_32 0
		.amdhsa_float_round_mode_16_64 0
		.amdhsa_float_denorm_mode_32 3
		.amdhsa_float_denorm_mode_16_64 3
		.amdhsa_dx10_clamp 1
		.amdhsa_ieee_mode 1
		.amdhsa_fp16_overflow 0
		.amdhsa_workgroup_processor_mode 1
		.amdhsa_memory_ordered 1
		.amdhsa_forward_progress 0
		.amdhsa_shared_vgpr_count 0
		.amdhsa_exception_fp_ieee_invalid_op 0
		.amdhsa_exception_fp_denorm_src 0
		.amdhsa_exception_fp_ieee_div_zero 0
		.amdhsa_exception_fp_ieee_overflow 0
		.amdhsa_exception_fp_ieee_underflow 0
		.amdhsa_exception_fp_ieee_inexact 0
		.amdhsa_exception_int_div_zero 0
	.end_amdhsa_kernel
	.section	.text._ZN2at6native6sbtopk10gatherTopKIfjLin1ELb0EEEvNS_4cuda6detail10TensorInfoIKT_T0_EES8_S8_bS8_S8_NS5_IS6_S8_EES8_NS5_IlS8_EES8_PS6_,"axG",@progbits,_ZN2at6native6sbtopk10gatherTopKIfjLin1ELb0EEEvNS_4cuda6detail10TensorInfoIKT_T0_EES8_S8_bS8_S8_NS5_IS6_S8_EES8_NS5_IlS8_EES8_PS6_,comdat
.Lfunc_end91:
	.size	_ZN2at6native6sbtopk10gatherTopKIfjLin1ELb0EEEvNS_4cuda6detail10TensorInfoIKT_T0_EES8_S8_bS8_S8_NS5_IS6_S8_EES8_NS5_IlS8_EES8_PS6_, .Lfunc_end91-_ZN2at6native6sbtopk10gatherTopKIfjLin1ELb0EEEvNS_4cuda6detail10TensorInfoIKT_T0_EES8_S8_bS8_S8_NS5_IS6_S8_EES8_NS5_IlS8_EES8_PS6_
                                        ; -- End function
	.section	.AMDGPU.csdata,"",@progbits
; Kernel info:
; codeLenInByte = 16816
; NumSgprs: 94
; NumVgprs: 43
; ScratchSize: 0
; MemoryBound: 0
; FloatMode: 240
; IeeeMode: 1
; LDSByteSize: 4112 bytes/workgroup (compile time only)
; SGPRBlocks: 11
; VGPRBlocks: 5
; NumSGPRsForWavesPerEU: 94
; NumVGPRsForWavesPerEU: 43
; Occupancy: 16
; WaveLimiterHint : 1
; COMPUTE_PGM_RSRC2:SCRATCH_EN: 0
; COMPUTE_PGM_RSRC2:USER_SGPR: 13
; COMPUTE_PGM_RSRC2:TRAP_HANDLER: 0
; COMPUTE_PGM_RSRC2:TGID_X_EN: 1
; COMPUTE_PGM_RSRC2:TGID_Y_EN: 1
; COMPUTE_PGM_RSRC2:TGID_Z_EN: 1
; COMPUTE_PGM_RSRC2:TIDIG_COMP_CNT: 0
	.section	.text._ZN2at6native6mbtopk23computeBlockDigitCountsIN3c104HalfEjjLi1EEEvNS_4cuda6detail10TensorInfoIKT_T0_EEjPjjSA_iijT1_PSD_Ps,"axG",@progbits,_ZN2at6native6mbtopk23computeBlockDigitCountsIN3c104HalfEjjLi1EEEvNS_4cuda6detail10TensorInfoIKT_T0_EEjPjjSA_iijT1_PSD_Ps,comdat
	.protected	_ZN2at6native6mbtopk23computeBlockDigitCountsIN3c104HalfEjjLi1EEEvNS_4cuda6detail10TensorInfoIKT_T0_EEjPjjSA_iijT1_PSD_Ps ; -- Begin function _ZN2at6native6mbtopk23computeBlockDigitCountsIN3c104HalfEjjLi1EEEvNS_4cuda6detail10TensorInfoIKT_T0_EEjPjjSA_iijT1_PSD_Ps
	.globl	_ZN2at6native6mbtopk23computeBlockDigitCountsIN3c104HalfEjjLi1EEEvNS_4cuda6detail10TensorInfoIKT_T0_EEjPjjSA_iijT1_PSD_Ps
	.p2align	8
	.type	_ZN2at6native6mbtopk23computeBlockDigitCountsIN3c104HalfEjjLi1EEEvNS_4cuda6detail10TensorInfoIKT_T0_EEjPjjSA_iijT1_PSD_Ps,@function
_ZN2at6native6mbtopk23computeBlockDigitCountsIN3c104HalfEjjLi1EEEvNS_4cuda6detail10TensorInfoIKT_T0_EEjPjjSA_iijT1_PSD_Ps: ; @_ZN2at6native6mbtopk23computeBlockDigitCountsIN3c104HalfEjjLi1EEEvNS_4cuda6detail10TensorInfoIKT_T0_EEjPjjSA_iijT1_PSD_Ps
; %bb.0:
	s_clause 0x2
	s_load_b64 s[2:3], s[0:1], 0xf8
	s_load_b128 s[8:11], s[0:1], 0xe8
	s_load_b64 s[4:5], s[0:1], 0x110
	s_waitcnt lgkmcnt(0)
	v_cvt_f32_u32_e32 v1, s2
	s_sub_i32 s7, 0, s2
	s_mul_i32 s5, s5, s15
	s_delay_alu instid0(SALU_CYCLE_1) | instskip(NEXT) | instid1(VALU_DEP_1)
	s_add_i32 s5, s5, s14
	v_rcp_iflag_f32_e32 v1, v1
	s_mul_i32 s16, s5, s4
	s_delay_alu instid0(SALU_CYCLE_1) | instskip(SKIP_3) | instid1(VALU_DEP_1)
	s_add_i32 s16, s16, s13
	s_mov_b32 s13, 0
	s_waitcnt_depctr 0xfff
	v_mul_f32_e32 v1, 0x4f7ffffe, v1
	v_cvt_u32_f32_e32 v1, v1
	s_delay_alu instid0(VALU_DEP_1) | instskip(NEXT) | instid1(VALU_DEP_1)
	v_readfirstlane_b32 s6, v1
	s_mul_i32 s7, s7, s6
	s_delay_alu instid0(SALU_CYCLE_1) | instskip(NEXT) | instid1(SALU_CYCLE_1)
	s_mul_hi_u32 s4, s6, s7
	s_add_i32 s6, s6, s4
	s_delay_alu instid0(SALU_CYCLE_1) | instskip(NEXT) | instid1(SALU_CYCLE_1)
	s_mul_hi_u32 s4, s16, s6
	s_mul_i32 s5, s4, s2
	s_add_i32 s6, s4, 1
	s_sub_i32 s5, s16, s5
	s_delay_alu instid0(SALU_CYCLE_1)
	s_sub_i32 s7, s5, s2
	s_cmp_ge_u32 s5, s2
	s_cselect_b32 s4, s6, s4
	s_cselect_b32 s5, s7, s5
	s_add_i32 s6, s4, 1
	s_cmp_ge_u32 s5, s2
	s_cselect_b32 s12, s6, s4
	s_delay_alu instid0(SALU_CYCLE_1)
	s_cmp_ge_u32 s12, s8
	s_cbranch_scc1 .LBB92_29
; %bb.1:
	s_load_b128 s[4:7], s[0:1], 0x100
	s_lshl_b64 s[14:15], s[12:13], 2
	v_cmp_gt_u32_e32 vcc_lo, 0x100, v0
	v_lshlrev_b32_e32 v3, 2, v0
	s_waitcnt lgkmcnt(0)
	s_add_u32 s14, s4, s14
	s_addc_u32 s15, s5, s15
	s_and_saveexec_b32 s4, vcc_lo
	s_cbranch_execz .LBB92_3
; %bb.2:
	v_mov_b32_e32 v1, 0
	ds_store_b32 v3, v1
.LBB92_3:
	s_or_b32 exec_lo, exec_lo, s4
	s_load_b32 s8, s[0:1], 0xd8
	s_mul_i32 s4, s12, s2
	s_waitcnt lgkmcnt(0)
	s_sub_i32 s4, s16, s4
	s_barrier
	s_mul_i32 s5, s11, s4
	s_add_i32 s4, s4, 1
	s_lshl_b32 s13, s5, 8
	buffer_gl0_inv
	s_sub_i32 s5, s8, s13
	s_delay_alu instid0(SALU_CYCLE_1) | instskip(SKIP_3) | instid1(VALU_DEP_1)
	s_add_u32 s5, s5, 0xff
	s_addc_u32 s17, 0, 0
	s_cmp_lt_u32 s4, s2
	v_alignbit_b32 v1, s17, s5, 8
	v_readfirstlane_b32 s5, v1
	s_delay_alu instid0(VALU_DEP_1)
	s_cselect_b32 s11, s11, s5
	s_mov_b32 s5, 0
	s_cmp_lt_i32 s11, 1
	s_cbranch_scc1 .LBB92_25
; %bb.4:
	s_clause 0x1
	s_load_b32 s2, s[0:1], 0x6c
	s_load_b64 s[18:19], s[0:1], 0x0
	s_load_b32 s1, s[14:15], 0x0
	s_waitcnt lgkmcnt(0)
	s_mul_i32 s4, s2, s12
	s_delay_alu instid0(SALU_CYCLE_1) | instskip(NEXT) | instid1(SALU_CYCLE_1)
	s_lshl_b64 s[14:15], s[4:5], 1
	s_add_u32 s2, s18, s14
	s_addc_u32 s4, s19, s15
	s_and_b32 s10, s10, 0xff
	s_cmp_lt_u32 s11, 4
	s_cbranch_scc1 .LBB92_19
; %bb.5:
	v_dual_mov_b32 v10, 0x8000 :: v_dual_add_nc_u32 v1, s13, v0
	s_and_b32 s5, s11, 0x7ffffffc
	s_lshl_b32 s12, s9, 10
	s_mov_b32 s14, 0
	s_delay_alu instid0(VALU_DEP_1) | instskip(SKIP_2) | instid1(VALU_DEP_2)
	v_add_nc_u32_e32 v2, 0x200, v1
	s_mov_b32 s15, 0
	v_mov_b32_e32 v9, 1
	v_mul_lo_u32 v6, s9, v2
	v_mov_b32_e32 v2, 0
	v_add_nc_u32_e32 v4, 0x300, v1
	v_add_nc_u32_e32 v7, 0x100, v1
	v_mul_lo_u32 v8, s9, v1
	s_delay_alu instid0(VALU_DEP_3) | instskip(NEXT) | instid1(VALU_DEP_3)
	v_mul_lo_u32 v5, s9, v4
	v_mul_lo_u32 v7, s9, v7
	s_branch .LBB92_7
.LBB92_6:                               ;   in Loop: Header=BB92_7 Depth=1
	s_or_b32 exec_lo, exec_lo, s17
	v_add_nc_u32_e32 v4, 0x400, v4
	s_add_i32 s15, s15, 4
	s_add_i32 s14, s14, s12
	s_cmp_eq_u32 s5, s15
	s_cbranch_scc1 .LBB92_19
.LBB92_7:                               ; =>This Inner Loop Header: Depth=1
	v_add_nc_u32_e32 v1, 0xfffffd00, v4
	s_mov_b32 s17, exec_lo
	s_delay_alu instid0(VALU_DEP_1)
	v_cmpx_gt_u32_e64 s8, v1
	s_cbranch_execz .LBB92_10
; %bb.8:                                ;   in Loop: Header=BB92_7 Depth=1
	v_add_nc_u32_e32 v1, s14, v8
	s_delay_alu instid0(VALU_DEP_1) | instskip(NEXT) | instid1(VALU_DEP_1)
	v_lshlrev_b64 v[11:12], 1, v[1:2]
	v_add_co_u32 v11, s0, s2, v11
	s_delay_alu instid0(VALU_DEP_1) | instskip(SKIP_4) | instid1(VALU_DEP_2)
	v_add_co_ci_u32_e64 v12, s0, s4, v12, s0
	global_load_u16 v1, v[11:12], off
	s_waitcnt vmcnt(0)
	v_cmp_lt_i16_e64 s0, -1, v1
	v_and_b32_e32 v11, 0xffff, v1
	v_cndmask_b32_e64 v12, 0xffff, v10, s0
	v_cmp_o_f16_e64 s0, v1, v1
	s_delay_alu instid0(VALU_DEP_2) | instskip(NEXT) | instid1(VALU_DEP_1)
	v_xor_b32_e32 v11, v12, v11
	v_cndmask_b32_e64 v1, 0xffff, v11, s0
	s_delay_alu instid0(VALU_DEP_1) | instskip(NEXT) | instid1(VALU_DEP_1)
	v_xor_b32_e32 v11, s1, v1
	v_and_b32_e32 v11, s3, v11
	s_delay_alu instid0(VALU_DEP_1) | instskip(NEXT) | instid1(VALU_DEP_1)
	v_cmp_eq_u32_e64 s0, 0, v11
	s_and_b32 exec_lo, exec_lo, s0
	s_cbranch_execz .LBB92_10
; %bb.9:                                ;   in Loop: Header=BB92_7 Depth=1
	v_bfe_u32 v1, v1, s10, 8
	s_delay_alu instid0(VALU_DEP_1)
	v_lshlrev_b32_e32 v1, 2, v1
	ds_add_u32 v1, v9
.LBB92_10:                              ;   in Loop: Header=BB92_7 Depth=1
	s_or_b32 exec_lo, exec_lo, s17
	v_add_nc_u32_e32 v1, 0xfffffe00, v4
	s_mov_b32 s17, exec_lo
	s_delay_alu instid0(VALU_DEP_1)
	v_cmpx_gt_u32_e64 s8, v1
	s_cbranch_execz .LBB92_13
; %bb.11:                               ;   in Loop: Header=BB92_7 Depth=1
	v_add_nc_u32_e32 v1, s14, v7
	s_delay_alu instid0(VALU_DEP_1) | instskip(NEXT) | instid1(VALU_DEP_1)
	v_lshlrev_b64 v[11:12], 1, v[1:2]
	v_add_co_u32 v11, s0, s2, v11
	s_delay_alu instid0(VALU_DEP_1) | instskip(SKIP_4) | instid1(VALU_DEP_2)
	v_add_co_ci_u32_e64 v12, s0, s4, v12, s0
	global_load_u16 v1, v[11:12], off
	s_waitcnt vmcnt(0)
	v_cmp_lt_i16_e64 s0, -1, v1
	v_and_b32_e32 v11, 0xffff, v1
	v_cndmask_b32_e64 v12, 0xffff, v10, s0
	v_cmp_o_f16_e64 s0, v1, v1
	s_delay_alu instid0(VALU_DEP_2) | instskip(NEXT) | instid1(VALU_DEP_1)
	v_xor_b32_e32 v11, v12, v11
	v_cndmask_b32_e64 v1, 0xffff, v11, s0
	s_delay_alu instid0(VALU_DEP_1) | instskip(NEXT) | instid1(VALU_DEP_1)
	v_xor_b32_e32 v11, s1, v1
	v_and_b32_e32 v11, s3, v11
	s_delay_alu instid0(VALU_DEP_1) | instskip(NEXT) | instid1(VALU_DEP_1)
	v_cmp_eq_u32_e64 s0, 0, v11
	s_and_b32 exec_lo, exec_lo, s0
	s_cbranch_execz .LBB92_13
; %bb.12:                               ;   in Loop: Header=BB92_7 Depth=1
	v_bfe_u32 v1, v1, s10, 8
	s_delay_alu instid0(VALU_DEP_1)
	v_lshlrev_b32_e32 v1, 2, v1
	ds_add_u32 v1, v9
.LBB92_13:                              ;   in Loop: Header=BB92_7 Depth=1
	s_or_b32 exec_lo, exec_lo, s17
	v_add_nc_u32_e32 v1, 0xffffff00, v4
	s_mov_b32 s17, exec_lo
	s_delay_alu instid0(VALU_DEP_1)
	v_cmpx_gt_u32_e64 s8, v1
	s_cbranch_execz .LBB92_16
; %bb.14:                               ;   in Loop: Header=BB92_7 Depth=1
	v_add_nc_u32_e32 v1, s14, v6
	s_delay_alu instid0(VALU_DEP_1) | instskip(NEXT) | instid1(VALU_DEP_1)
	v_lshlrev_b64 v[11:12], 1, v[1:2]
	v_add_co_u32 v11, s0, s2, v11
	s_delay_alu instid0(VALU_DEP_1) | instskip(SKIP_4) | instid1(VALU_DEP_2)
	v_add_co_ci_u32_e64 v12, s0, s4, v12, s0
	global_load_u16 v1, v[11:12], off
	s_waitcnt vmcnt(0)
	v_cmp_lt_i16_e64 s0, -1, v1
	v_and_b32_e32 v11, 0xffff, v1
	v_cndmask_b32_e64 v12, 0xffff, v10, s0
	v_cmp_o_f16_e64 s0, v1, v1
	s_delay_alu instid0(VALU_DEP_2) | instskip(NEXT) | instid1(VALU_DEP_1)
	v_xor_b32_e32 v11, v12, v11
	v_cndmask_b32_e64 v1, 0xffff, v11, s0
	s_delay_alu instid0(VALU_DEP_1) | instskip(NEXT) | instid1(VALU_DEP_1)
	v_xor_b32_e32 v11, s1, v1
	v_and_b32_e32 v11, s3, v11
	s_delay_alu instid0(VALU_DEP_1) | instskip(NEXT) | instid1(VALU_DEP_1)
	v_cmp_eq_u32_e64 s0, 0, v11
	s_and_b32 exec_lo, exec_lo, s0
	s_cbranch_execz .LBB92_16
; %bb.15:                               ;   in Loop: Header=BB92_7 Depth=1
	v_bfe_u32 v1, v1, s10, 8
	s_delay_alu instid0(VALU_DEP_1)
	v_lshlrev_b32_e32 v1, 2, v1
	ds_add_u32 v1, v9
.LBB92_16:                              ;   in Loop: Header=BB92_7 Depth=1
	s_or_b32 exec_lo, exec_lo, s17
	s_delay_alu instid0(SALU_CYCLE_1)
	s_mov_b32 s17, exec_lo
	v_cmpx_gt_u32_e64 s8, v4
	s_cbranch_execz .LBB92_6
; %bb.17:                               ;   in Loop: Header=BB92_7 Depth=1
	v_add_nc_u32_e32 v1, s14, v5
	s_delay_alu instid0(VALU_DEP_1) | instskip(NEXT) | instid1(VALU_DEP_1)
	v_lshlrev_b64 v[11:12], 1, v[1:2]
	v_add_co_u32 v11, s0, s2, v11
	s_delay_alu instid0(VALU_DEP_1) | instskip(SKIP_4) | instid1(VALU_DEP_2)
	v_add_co_ci_u32_e64 v12, s0, s4, v12, s0
	global_load_u16 v1, v[11:12], off
	s_waitcnt vmcnt(0)
	v_cmp_lt_i16_e64 s0, -1, v1
	v_and_b32_e32 v11, 0xffff, v1
	v_cndmask_b32_e64 v12, 0xffff, v10, s0
	v_cmp_o_f16_e64 s0, v1, v1
	s_delay_alu instid0(VALU_DEP_2) | instskip(NEXT) | instid1(VALU_DEP_1)
	v_xor_b32_e32 v11, v12, v11
	v_cndmask_b32_e64 v1, 0xffff, v11, s0
	s_delay_alu instid0(VALU_DEP_1) | instskip(NEXT) | instid1(VALU_DEP_1)
	v_xor_b32_e32 v11, s1, v1
	v_and_b32_e32 v11, s3, v11
	s_delay_alu instid0(VALU_DEP_1) | instskip(NEXT) | instid1(VALU_DEP_1)
	v_cmp_eq_u32_e64 s0, 0, v11
	s_and_b32 exec_lo, exec_lo, s0
	s_cbranch_execz .LBB92_6
; %bb.18:                               ;   in Loop: Header=BB92_7 Depth=1
	v_bfe_u32 v1, v1, s10, 8
	s_delay_alu instid0(VALU_DEP_1)
	v_lshlrev_b32_e32 v1, 2, v1
	ds_add_u32 v1, v9
	s_branch .LBB92_6
.LBB92_19:
	s_and_b32 s11, s11, 3
	s_delay_alu instid0(SALU_CYCLE_1)
	s_cmp_eq_u32 s11, 0
	s_cbranch_scc1 .LBB92_25
; %bb.20:
	s_lshl_b32 s0, s5, 8
	v_dual_mov_b32 v2, 0 :: v_dual_mov_b32 v5, 1
	v_add3_u32 v4, s0, s13, v0
	v_mov_b32_e32 v6, 0x8000
	s_lshl_b32 s5, s9, 8
	s_delay_alu instid0(VALU_DEP_2)
	v_mul_lo_u32 v1, s9, v4
	s_set_inst_prefetch_distance 0x1
	s_branch .LBB92_22
	.p2align	6
.LBB92_21:                              ;   in Loop: Header=BB92_22 Depth=1
	s_or_b32 exec_lo, exec_lo, s9
	s_delay_alu instid0(VALU_DEP_2) | instskip(SKIP_2) | instid1(SALU_CYCLE_1)
	v_add_nc_u32_e32 v1, s5, v1
	v_add_nc_u32_e32 v4, 0x100, v4
	s_add_i32 s11, s11, -1
	s_cmp_lg_u32 s11, 0
	s_cbranch_scc0 .LBB92_25
.LBB92_22:                              ; =>This Inner Loop Header: Depth=1
	s_mov_b32 s9, exec_lo
	v_cmpx_gt_u32_e64 s8, v4
	s_cbranch_execz .LBB92_21
; %bb.23:                               ;   in Loop: Header=BB92_22 Depth=1
	s_delay_alu instid0(VALU_DEP_2) | instskip(NEXT) | instid1(VALU_DEP_1)
	v_lshlrev_b64 v[7:8], 1, v[1:2]
	v_add_co_u32 v7, s0, s2, v7
	s_delay_alu instid0(VALU_DEP_1) | instskip(SKIP_4) | instid1(VALU_DEP_2)
	v_add_co_ci_u32_e64 v8, s0, s4, v8, s0
	global_load_u16 v7, v[7:8], off
	s_waitcnt vmcnt(0)
	v_cmp_lt_i16_e64 s0, -1, v7
	v_and_b32_e32 v8, 0xffff, v7
	v_cndmask_b32_e64 v9, 0xffff, v6, s0
	v_cmp_o_f16_e64 s0, v7, v7
	s_delay_alu instid0(VALU_DEP_2) | instskip(NEXT) | instid1(VALU_DEP_1)
	v_xor_b32_e32 v8, v9, v8
	v_cndmask_b32_e64 v7, 0xffff, v8, s0
	s_delay_alu instid0(VALU_DEP_1) | instskip(NEXT) | instid1(VALU_DEP_1)
	v_xor_b32_e32 v8, s1, v7
	v_and_b32_e32 v8, s3, v8
	s_delay_alu instid0(VALU_DEP_1) | instskip(NEXT) | instid1(VALU_DEP_1)
	v_cmp_eq_u32_e64 s0, 0, v8
	s_and_b32 exec_lo, exec_lo, s0
	s_cbranch_execz .LBB92_21
; %bb.24:                               ;   in Loop: Header=BB92_22 Depth=1
	v_bfe_u32 v7, v7, s10, 8
	s_delay_alu instid0(VALU_DEP_1)
	v_lshlrev_b32_e32 v7, 2, v7
	ds_add_u32 v7, v5
	s_branch .LBB92_21
.LBB92_25:
	s_set_inst_prefetch_distance 0x2
	v_mov_b32_e32 v1, 0
	s_waitcnt lgkmcnt(0)
	s_barrier
	buffer_gl0_inv
	s_and_saveexec_b32 s0, vcc_lo
	s_cbranch_execz .LBB92_27
; %bb.26:
	ds_load_b32 v1, v3
.LBB92_27:
	s_or_b32 exec_lo, exec_lo, s0
	s_and_saveexec_b32 s0, vcc_lo
	s_cbranch_execz .LBB92_29
; %bb.28:
	v_lshl_or_b32 v2, s16, 8, v0
	v_mov_b32_e32 v3, 0
	s_delay_alu instid0(VALU_DEP_1) | instskip(NEXT) | instid1(VALU_DEP_1)
	v_lshlrev_b64 v[2:3], 1, v[2:3]
	v_add_co_u32 v2, vcc_lo, s6, v2
	s_delay_alu instid0(VALU_DEP_2)
	v_add_co_ci_u32_e32 v3, vcc_lo, s7, v3, vcc_lo
	s_waitcnt lgkmcnt(0)
	global_store_b16 v[2:3], v1, off
.LBB92_29:
	s_nop 0
	s_sendmsg sendmsg(MSG_DEALLOC_VGPRS)
	s_endpgm
	.section	.rodata,"a",@progbits
	.p2align	6, 0x0
	.amdhsa_kernel _ZN2at6native6mbtopk23computeBlockDigitCountsIN3c104HalfEjjLi1EEEvNS_4cuda6detail10TensorInfoIKT_T0_EEjPjjSA_iijT1_PSD_Ps
		.amdhsa_group_segment_fixed_size 1024
		.amdhsa_private_segment_fixed_size 0
		.amdhsa_kernarg_size 528
		.amdhsa_user_sgpr_count 13
		.amdhsa_user_sgpr_dispatch_ptr 0
		.amdhsa_user_sgpr_queue_ptr 0
		.amdhsa_user_sgpr_kernarg_segment_ptr 1
		.amdhsa_user_sgpr_dispatch_id 0
		.amdhsa_user_sgpr_private_segment_size 0
		.amdhsa_wavefront_size32 1
		.amdhsa_uses_dynamic_stack 0
		.amdhsa_enable_private_segment 0
		.amdhsa_system_sgpr_workgroup_id_x 1
		.amdhsa_system_sgpr_workgroup_id_y 1
		.amdhsa_system_sgpr_workgroup_id_z 1
		.amdhsa_system_sgpr_workgroup_info 0
		.amdhsa_system_vgpr_workitem_id 0
		.amdhsa_next_free_vgpr 13
		.amdhsa_next_free_sgpr 20
		.amdhsa_reserve_vcc 1
		.amdhsa_float_round_mode_32 0
		.amdhsa_float_round_mode_16_64 0
		.amdhsa_float_denorm_mode_32 3
		.amdhsa_float_denorm_mode_16_64 3
		.amdhsa_dx10_clamp 1
		.amdhsa_ieee_mode 1
		.amdhsa_fp16_overflow 0
		.amdhsa_workgroup_processor_mode 1
		.amdhsa_memory_ordered 1
		.amdhsa_forward_progress 0
		.amdhsa_shared_vgpr_count 0
		.amdhsa_exception_fp_ieee_invalid_op 0
		.amdhsa_exception_fp_denorm_src 0
		.amdhsa_exception_fp_ieee_div_zero 0
		.amdhsa_exception_fp_ieee_overflow 0
		.amdhsa_exception_fp_ieee_underflow 0
		.amdhsa_exception_fp_ieee_inexact 0
		.amdhsa_exception_int_div_zero 0
	.end_amdhsa_kernel
	.section	.text._ZN2at6native6mbtopk23computeBlockDigitCountsIN3c104HalfEjjLi1EEEvNS_4cuda6detail10TensorInfoIKT_T0_EEjPjjSA_iijT1_PSD_Ps,"axG",@progbits,_ZN2at6native6mbtopk23computeBlockDigitCountsIN3c104HalfEjjLi1EEEvNS_4cuda6detail10TensorInfoIKT_T0_EEjPjjSA_iijT1_PSD_Ps,comdat
.Lfunc_end92:
	.size	_ZN2at6native6mbtopk23computeBlockDigitCountsIN3c104HalfEjjLi1EEEvNS_4cuda6detail10TensorInfoIKT_T0_EEjPjjSA_iijT1_PSD_Ps, .Lfunc_end92-_ZN2at6native6mbtopk23computeBlockDigitCountsIN3c104HalfEjjLi1EEEvNS_4cuda6detail10TensorInfoIKT_T0_EEjPjjSA_iijT1_PSD_Ps
                                        ; -- End function
	.section	.AMDGPU.csdata,"",@progbits
; Kernel info:
; codeLenInByte = 1692
; NumSgprs: 22
; NumVgprs: 13
; ScratchSize: 0
; MemoryBound: 0
; FloatMode: 240
; IeeeMode: 1
; LDSByteSize: 1024 bytes/workgroup (compile time only)
; SGPRBlocks: 2
; VGPRBlocks: 1
; NumSGPRsForWavesPerEU: 22
; NumVGPRsForWavesPerEU: 13
; Occupancy: 16
; WaveLimiterHint : 1
; COMPUTE_PGM_RSRC2:SCRATCH_EN: 0
; COMPUTE_PGM_RSRC2:USER_SGPR: 13
; COMPUTE_PGM_RSRC2:TRAP_HANDLER: 0
; COMPUTE_PGM_RSRC2:TGID_X_EN: 1
; COMPUTE_PGM_RSRC2:TGID_Y_EN: 1
; COMPUTE_PGM_RSRC2:TGID_Z_EN: 1
; COMPUTE_PGM_RSRC2:TIDIG_COMP_CNT: 0
	.section	.text._ZN2at6native6mbtopk29computeBlockwiseWithinKCountsIjN3c104HalfEEEvPT_PsPjjibS8_PT0_S8_S6_S8_j,"axG",@progbits,_ZN2at6native6mbtopk29computeBlockwiseWithinKCountsIjN3c104HalfEEEvPT_PsPjjibS8_PT0_S8_S6_S8_j,comdat
	.protected	_ZN2at6native6mbtopk29computeBlockwiseWithinKCountsIjN3c104HalfEEEvPT_PsPjjibS8_PT0_S8_S6_S8_j ; -- Begin function _ZN2at6native6mbtopk29computeBlockwiseWithinKCountsIjN3c104HalfEEEvPT_PsPjjibS8_PT0_S8_S6_S8_j
	.globl	_ZN2at6native6mbtopk29computeBlockwiseWithinKCountsIjN3c104HalfEEEvPT_PsPjjibS8_PT0_S8_S6_S8_j
	.p2align	8
	.type	_ZN2at6native6mbtopk29computeBlockwiseWithinKCountsIjN3c104HalfEEEvPT_PsPjjibS8_PT0_S8_S6_S8_j,@function
_ZN2at6native6mbtopk29computeBlockwiseWithinKCountsIjN3c104HalfEEEvPT_PsPjjibS8_PT0_S8_S6_S8_j: ; @_ZN2at6native6mbtopk29computeBlockwiseWithinKCountsIjN3c104HalfEEEvPT_PsPjjibS8_PT0_S8_S6_S8_j
; %bb.0:
	s_clause 0x2
	s_load_b128 s[16:19], s[0:1], 0x18
	s_load_b64 s[2:3], s[0:1], 0x58
	s_load_b32 s4, s[0:1], 0x50
	s_waitcnt lgkmcnt(0)
	v_cvt_f32_u32_e32 v1, s16
	s_mul_i32 s3, s3, s15
	s_delay_alu instid0(SALU_CYCLE_1) | instskip(NEXT) | instid1(VALU_DEP_1)
	s_add_i32 s3, s3, s14
	v_rcp_iflag_f32_e32 v1, v1
	s_mul_i32 s2, s3, s2
	s_delay_alu instid0(SALU_CYCLE_1) | instskip(NEXT) | instid1(SALU_CYCLE_1)
	s_add_i32 s20, s2, s13
	s_cmp_ge_u32 s20, s4
	s_waitcnt_depctr 0xfff
	v_mul_f32_e32 v1, 0x4f7ffffe, v1
	s_delay_alu instid0(VALU_DEP_1) | instskip(NEXT) | instid1(VALU_DEP_1)
	v_cvt_u32_f32_e32 v1, v1
	v_readfirstlane_b32 s2, v1
	s_cbranch_scc1 .LBB93_40
; %bb.1:
	s_sub_i32 s3, 0, s16
	s_mov_b32 s21, 0
	s_delay_alu instid0(VALU_DEP_1)
	s_mul_i32 s3, s3, s2
	s_mov_b32 s27, s21
	s_mul_hi_u32 s3, s2, s3
	v_cmp_gt_u32_e32 vcc_lo, 0x100, v0
	s_add_i32 s4, s2, s3
	s_clause 0x1
	s_load_b64 s[2:3], s[0:1], 0x10
	s_load_b128 s[12:15], s[0:1], 0x0
	s_mul_hi_u32 s4, s20, s4
	s_delay_alu instid0(SALU_CYCLE_1) | instskip(SKIP_2) | instid1(SALU_CYCLE_1)
	s_mul_i32 s5, s4, s16
	s_add_i32 s6, s4, 1
	s_sub_i32 s5, s20, s5
	s_sub_i32 s7, s5, s16
	s_cmp_ge_u32 s5, s16
	s_cselect_b32 s4, s6, s4
	s_cselect_b32 s5, s7, s5
	s_add_i32 s6, s4, 1
	s_cmp_ge_u32 s5, s16
	s_cselect_b32 s26, s6, s4
	s_delay_alu instid0(SALU_CYCLE_1)
	s_lshl_b64 s[22:23], s[26:27], 2
	s_waitcnt lgkmcnt(0)
	s_add_u32 s4, s2, s22
	s_addc_u32 s5, s3, s23
	s_and_saveexec_b32 s3, vcc_lo
	s_cbranch_execz .LBB93_8
; %bb.2:
	s_mul_i32 s2, s26, s16
	s_mov_b32 s7, s21
	s_lshl_b32 s6, s2, 8
	v_lshlrev_b32_e32 v1, 1, v0
	s_lshl_b64 s[6:7], s[6:7], 1
	v_mov_b32_e32 v3, 0
	s_add_u32 s2, s14, s6
	s_addc_u32 s6, s15, s7
	v_add_co_u32 v1, s2, s2, v1
	s_delay_alu instid0(VALU_DEP_1)
	v_add_co_ci_u32_e64 v2, null, s6, 0, s2
	s_cmp_lt_u32 s16, 4
	s_cbranch_scc1 .LBB93_41
; %bb.3:
	v_mov_b32_e32 v3, 0
	s_mov_b32 s6, 0
	.p2align	6
.LBB93_4:                               ; =>This Inner Loop Header: Depth=1
	s_clause 0x3
	global_load_i16 v4, v[1:2], off
	global_load_i16 v5, v[1:2], off offset:512
	global_load_i16 v6, v[1:2], off offset:1024
	;; [unrolled: 1-line block ×3, first 2 shown]
	v_add_co_u32 v1, s2, 0x800, v1
	s_delay_alu instid0(VALU_DEP_1)
	v_add_co_ci_u32_e64 v2, s2, 0, v2, s2
	s_add_i32 s2, s6, 7
	s_add_i32 s6, s6, 4
	s_cmp_ge_u32 s2, s16
	s_waitcnt vmcnt(2)
	v_add3_u32 v3, v3, v4, v5
	s_waitcnt vmcnt(0)
	s_delay_alu instid0(VALU_DEP_1)
	v_add3_u32 v3, v3, v6, v7
	s_cbranch_scc0 .LBB93_4
; %bb.5:
	s_cmp_ge_u32 s6, s16
	s_cbranch_scc1 .LBB93_7
.LBB93_6:                               ; =>This Inner Loop Header: Depth=1
	global_load_i16 v4, v[1:2], off
	v_add_co_u32 v1, s2, 0x200, v1
	s_delay_alu instid0(VALU_DEP_1) | instskip(SKIP_1) | instid1(SALU_CYCLE_1)
	v_add_co_ci_u32_e64 v2, s2, 0, v2, s2
	s_add_i32 s6, s6, 1
	s_cmp_lt_u32 s6, s16
	s_waitcnt vmcnt(0)
	v_add_nc_u32_e32 v3, v3, v4
	s_cbranch_scc1 .LBB93_6
.LBB93_7:
	v_lshlrev_b32_e32 v1, 2, v0
	ds_store_b32 v1, v3 offset:1056
.LBB93_8:
	s_or_b32 exec_lo, exec_lo, s3
	s_load_b32 s19, s[4:5], 0x0
	v_mov_b32_e32 v4, 0
	s_waitcnt lgkmcnt(0)
	s_barrier
	buffer_gl0_inv
	s_and_saveexec_b32 s2, vcc_lo
	s_cbranch_execz .LBB93_10
; %bb.9:
	v_lshlrev_b32_e32 v1, 2, v0
	ds_load_b32 v4, v1 offset:1056
.LBB93_10:
	s_or_b32 exec_lo, exec_lo, s2
	v_lshrrev_b32_e32 v2, 5, v0
	v_cmp_gt_u32_e64 s2, 32, v0
	v_mbcnt_lo_u32_b32 v1, -1, 0
	s_delay_alu instid0(VALU_DEP_3)
	v_add_lshl_u32 v3, v2, v0, 2
	s_waitcnt lgkmcnt(0)
	ds_store_b32 v3, v4
	s_waitcnt lgkmcnt(0)
	s_barrier
	buffer_gl0_inv
	s_and_saveexec_b32 s4, s2
	s_cbranch_execz .LBB93_12
; %bb.11:
	v_and_b32_e32 v5, 0xfc, v0
	s_delay_alu instid0(VALU_DEP_1)
	v_lshl_or_b32 v13, v0, 5, v5
	ds_load_2addr_b32 v[5:6], v13 offset1:1
	ds_load_2addr_b32 v[7:8], v13 offset0:2 offset1:3
	ds_load_2addr_b32 v[9:10], v13 offset0:4 offset1:5
	;; [unrolled: 1-line block ×3, first 2 shown]
	; wave barrier
	s_waitcnt lgkmcnt(3)
	v_add_nc_u32_e32 v6, v6, v5
	s_waitcnt lgkmcnt(2)
	s_delay_alu instid0(VALU_DEP_1) | instskip(SKIP_2) | instid1(VALU_DEP_2)
	v_add3_u32 v6, v6, v7, v8
	v_and_b32_e32 v7, 15, v1
	s_waitcnt lgkmcnt(1)
	v_add3_u32 v6, v6, v9, v10
	s_delay_alu instid0(VALU_DEP_2) | instskip(SKIP_2) | instid1(VALU_DEP_3)
	v_cmp_ne_u32_e64 s3, 0, v7
	v_bfe_i32 v9, v1, 4, 1
	s_waitcnt lgkmcnt(0)
	v_add3_u32 v6, v6, v11, v12
	s_delay_alu instid0(VALU_DEP_1) | instskip(NEXT) | instid1(VALU_DEP_1)
	v_mov_b32_dpp v8, v6 row_shr:1 row_mask:0xf bank_mask:0xf
	v_cndmask_b32_e64 v8, 0, v8, s3
	v_cmp_lt_u32_e64 s3, 1, v7
	s_delay_alu instid0(VALU_DEP_2) | instskip(NEXT) | instid1(VALU_DEP_1)
	v_add_nc_u32_e32 v6, v8, v6
	v_mov_b32_dpp v8, v6 row_shr:2 row_mask:0xf bank_mask:0xf
	s_delay_alu instid0(VALU_DEP_1) | instskip(SKIP_1) | instid1(VALU_DEP_2)
	v_cndmask_b32_e64 v8, 0, v8, s3
	v_cmp_lt_u32_e64 s3, 3, v7
	v_add_nc_u32_e32 v6, v6, v8
	s_delay_alu instid0(VALU_DEP_1) | instskip(NEXT) | instid1(VALU_DEP_1)
	v_mov_b32_dpp v8, v6 row_shr:4 row_mask:0xf bank_mask:0xf
	v_cndmask_b32_e64 v8, 0, v8, s3
	v_cmp_lt_u32_e64 s3, 7, v7
	s_delay_alu instid0(VALU_DEP_2) | instskip(NEXT) | instid1(VALU_DEP_1)
	v_add_nc_u32_e32 v6, v6, v8
	v_mov_b32_dpp v8, v6 row_shr:8 row_mask:0xf bank_mask:0xf
	s_delay_alu instid0(VALU_DEP_1) | instskip(SKIP_1) | instid1(VALU_DEP_2)
	v_cndmask_b32_e64 v7, 0, v8, s3
	v_add_nc_u32_e32 v8, -1, v1
	v_add_nc_u32_e32 v6, v6, v7
	s_delay_alu instid0(VALU_DEP_2) | instskip(SKIP_3) | instid1(VALU_DEP_2)
	v_cmp_gt_i32_e64 s3, 0, v8
	ds_swizzle_b32 v7, v6 offset:swizzle(BROADCAST,32,15)
	v_cndmask_b32_e64 v8, v8, v1, s3
	v_cmp_eq_u32_e64 s3, 0, v0
	v_lshlrev_b32_e32 v8, 2, v8
	s_waitcnt lgkmcnt(0)
	v_and_b32_e32 v7, v9, v7
	s_delay_alu instid0(VALU_DEP_1) | instskip(SKIP_3) | instid1(VALU_DEP_1)
	v_add_nc_u32_e32 v6, v6, v7
	ds_bpermute_b32 v6, v8, v6
	s_waitcnt lgkmcnt(0)
	v_add_nc_u32_e32 v5, v6, v5
	v_cndmask_b32_e64 v10, v5, v4, s3
	ds_store_b32 v13, v10
	; wave barrier
	ds_load_2addr_b32 v[4:5], v13 offset0:1 offset1:2
	ds_load_2addr_b32 v[6:7], v13 offset0:3 offset1:4
	;; [unrolled: 1-line block ×3, first 2 shown]
	ds_load_b32 v11, v13 offset:28
	s_waitcnt lgkmcnt(3)
	v_add_nc_u32_e32 v4, v4, v10
	s_delay_alu instid0(VALU_DEP_1) | instskip(SKIP_1) | instid1(VALU_DEP_1)
	v_add_nc_u32_e32 v5, v5, v4
	s_waitcnt lgkmcnt(2)
	v_add_nc_u32_e32 v6, v6, v5
	s_delay_alu instid0(VALU_DEP_1) | instskip(SKIP_1) | instid1(VALU_DEP_1)
	v_add_nc_u32_e32 v7, v7, v6
	;; [unrolled: 4-line block ×3, first 2 shown]
	s_waitcnt lgkmcnt(0)
	v_add_nc_u32_e32 v10, v11, v9
	ds_store_2addr_b32 v13, v4, v5 offset0:1 offset1:2
	ds_store_2addr_b32 v13, v6, v7 offset0:3 offset1:4
	;; [unrolled: 1-line block ×3, first 2 shown]
	ds_store_b32 v13, v10 offset:28
.LBB93_12:
	s_or_b32 exec_lo, exec_lo, s4
	s_waitcnt lgkmcnt(0)
	s_barrier
	buffer_gl0_inv
	ds_load_b32 v4, v3
	s_waitcnt lgkmcnt(0)
	s_barrier
	buffer_gl0_inv
	s_and_saveexec_b32 s3, vcc_lo
	s_cbranch_execz .LBB93_14
; %bb.13:
	v_lshlrev_b32_e32 v3, 2, v0
	ds_store_b32 v3, v4 offset:1056
.LBB93_14:
	s_or_b32 exec_lo, exec_lo, s3
	s_clause 0x1
	s_load_b256 s[4:11], s[0:1], 0x28
	s_load_b64 s[24:25], s[0:1], 0x48
	s_waitcnt lgkmcnt(0)
	s_barrier
	buffer_gl0_inv
	s_and_saveexec_b32 s1, vcc_lo
	s_cbranch_execz .LBB93_23
; %bb.15:
	v_mov_b32_e32 v3, 0
	s_mov_b32 s0, exec_lo
	v_cmpx_ne_u32_e32 0, v0
	s_cbranch_execz .LBB93_17
; %bb.16:
	v_lshlrev_b32_e32 v3, 2, v0
	ds_load_b32 v3, v3 offset:1052
.LBB93_17:
	s_or_b32 exec_lo, exec_lo, s0
	s_waitcnt lgkmcnt(0)
	v_cmp_gt_u32_e32 vcc_lo, s19, v3
	v_cmp_le_u32_e64 s0, s19, v4
	s_delay_alu instid0(VALU_DEP_1) | instskip(NEXT) | instid1(SALU_CYCLE_1)
	s_and_b32 s0, vcc_lo, s0
	s_and_b32 exec_lo, exec_lo, s0
	s_cbranch_execz .LBB93_23
; %bb.18:
	s_add_u32 s12, s12, s22
	s_addc_u32 s13, s13, s23
	s_lshl_b32 s0, 0xff, s17
	s_delay_alu instid0(SALU_CYCLE_1) | instskip(SKIP_2) | instid1(SALU_CYCLE_1)
	v_not_b32_e32 v6, s0
	v_mov_b32_e32 v5, 0
	s_mul_i32 s0, s26, s16
	s_cmp_lg_u32 s20, s0
	global_load_b32 v4, v5, s[12:13]
	s_waitcnt vmcnt(0)
	v_and_b32_e32 v4, v4, v6
	s_delay_alu instid0(VALU_DEP_1)
	v_lshl_or_b32 v4, v0, s17, v4
	ds_store_b32 v5, v4 offset:2112
	s_cbranch_scc1 .LBB93_23
; %bb.19:
	s_add_u32 s10, s10, s22
	s_addc_u32 s11, s11, s23
	s_cmp_lt_i32 s17, 1
	s_mov_b32 s0, -1
	global_store_b32 v5, v4, s[10:11]
	s_cbranch_scc0 .LBB93_21
; %bb.20:
	v_and_b32_e32 v5, 0x8000, v4
	v_mov_b32_e32 v6, 0xffff
	s_lshl_b64 s[10:11], s[26:27], 1
	s_mov_b32 s0, 0
	s_add_u32 s6, s6, s10
	v_cmp_eq_u32_e32 vcc_lo, 0, v5
	s_addc_u32 s7, s7, s11
	v_cndmask_b32_e32 v5, 0x8000, v6, vcc_lo
	s_delay_alu instid0(VALU_DEP_1)
	v_xor_b32_e32 v4, v5, v4
	v_mov_b32_e32 v5, 0
	global_store_b16 v5, v4, s[6:7]
.LBB93_21:
	s_and_not1_b32 vcc_lo, exec_lo, s0
	s_cbranch_vccnz .LBB93_23
; %bb.22:
	v_sub_nc_u32_e32 v3, s19, v3
	v_mov_b32_e32 v4, 0
	s_add_u32 s6, s8, s22
	s_addc_u32 s7, s9, s23
	global_store_b32 v4, v3, s[6:7]
.LBB93_23:
	s_or_b32 exec_lo, exec_lo, s1
	v_mov_b32_e32 v3, 0
	s_waitcnt lgkmcnt(0)
	s_waitcnt_vscnt null, 0x0
	s_barrier
	buffer_gl0_inv
	s_bitcmp0_b32 s18, 0
	ds_load_b32 v3, v3 offset:2112
	s_mov_b32 s6, 0
	s_waitcnt lgkmcnt(0)
	v_lshrrev_b32_e32 v3, s17, v3
	s_delay_alu instid0(VALU_DEP_1)
	v_and_b32_e32 v3, 0xff, v3
	s_cbranch_scc0 .LBB93_25
; %bb.24:
	v_and_b32_e32 v4, 0xe0, v0
	s_delay_alu instid0(VALU_DEP_2) | instskip(NEXT) | instid1(VALU_DEP_2)
	v_cmp_lt_u32_e64 s0, v0, v3
	v_cmp_lt_u32_e32 vcc_lo, v4, v3
	s_delay_alu instid0(VALU_DEP_2)
	s_and_b32 s1, s0, exec_lo
	s_and_b32 s3, vcc_lo, exec_lo
	s_and_not1_b32 vcc_lo, exec_lo, s6
	s_cbranch_vccz .LBB93_26
	s_branch .LBB93_27
.LBB93_25:
                                        ; implicit-def: $sgpr1
                                        ; implicit-def: $sgpr3
.LBB93_26:
	v_or_b32_e32 v4, 31, v0
	s_delay_alu instid0(VALU_DEP_2) | instskip(SKIP_2) | instid1(VALU_DEP_2)
	v_cmp_gt_u32_e32 vcc_lo, v0, v3
	s_and_not1_b32 s1, s1, exec_lo
	s_and_not1_b32 s3, s3, exec_lo
	v_cmp_gt_u32_e64 s0, v4, v3
	s_and_b32 s6, vcc_lo, exec_lo
	s_delay_alu instid0(SALU_CYCLE_1) | instskip(NEXT) | instid1(VALU_DEP_1)
	s_or_b32 s1, s1, s6
	s_and_b32 s0, s0, exec_lo
	s_delay_alu instid0(SALU_CYCLE_1)
	s_or_b32 s3, s3, s0
.LBB93_27:
	v_mov_b32_e32 v3, 0
	s_and_saveexec_b32 s0, s3
	s_cbranch_execz .LBB93_31
; %bb.28:
	v_mov_b32_e32 v3, 0
	s_and_saveexec_b32 s3, s1
	s_cbranch_execz .LBB93_30
; %bb.29:
	s_lshl_b32 s6, s20, 8
	s_mov_b32 s7, 0
	v_lshlrev_b32_e32 v3, 1, v0
	s_lshl_b64 s[6:7], s[6:7], 1
	s_delay_alu instid0(SALU_CYCLE_1)
	s_add_u32 s6, s14, s6
	s_addc_u32 s7, s15, s7
	global_load_i16 v3, v3, s[6:7]
.LBB93_30:
	s_or_b32 exec_lo, exec_lo, s3
	v_cmp_gt_u32_e32 vcc_lo, 16, v1
	v_cndmask_b32_e64 v4, 0, 1, vcc_lo
	v_cmp_gt_u32_e32 vcc_lo, 24, v1
	s_delay_alu instid0(VALU_DEP_2) | instskip(SKIP_2) | instid1(VALU_DEP_3)
	v_lshlrev_b32_e32 v4, 4, v4
	v_cndmask_b32_e64 v5, 0, 1, vcc_lo
	v_cmp_gt_u32_e32 vcc_lo, 28, v1
	v_add_lshl_u32 v4, v4, v1, 2
	s_delay_alu instid0(VALU_DEP_3)
	v_lshlrev_b32_e32 v5, 3, v5
	s_waitcnt vmcnt(0)
	ds_bpermute_b32 v4, v4, v3
	v_add_lshl_u32 v5, v5, v1, 2
	s_waitcnt lgkmcnt(0)
	v_add_nc_u32_e32 v3, v4, v3
	ds_bpermute_b32 v4, v5, v3
	v_cndmask_b32_e64 v5, 0, 1, vcc_lo
	v_cmp_gt_u32_e32 vcc_lo, 30, v1
	s_delay_alu instid0(VALU_DEP_2) | instskip(NEXT) | instid1(VALU_DEP_1)
	v_lshlrev_b32_e32 v5, 2, v5
	v_add_lshl_u32 v5, v5, v1, 2
	s_waitcnt lgkmcnt(0)
	v_add_nc_u32_e32 v3, v4, v3
	ds_bpermute_b32 v4, v5, v3
	v_cndmask_b32_e64 v5, 0, 1, vcc_lo
	v_cmp_ne_u32_e32 vcc_lo, 31, v1
	s_delay_alu instid0(VALU_DEP_2) | instskip(NEXT) | instid1(VALU_DEP_1)
	v_lshlrev_b32_e32 v5, 1, v5
	v_add_lshl_u32 v5, v5, v1, 2
	s_waitcnt lgkmcnt(0)
	v_add_nc_u32_e32 v3, v4, v3
	ds_bpermute_b32 v4, v5, v3
	v_add_co_ci_u32_e32 v5, vcc_lo, 0, v1, vcc_lo
	s_waitcnt lgkmcnt(0)
	v_add_nc_u32_e32 v3, v4, v3
	s_delay_alu instid0(VALU_DEP_2)
	v_lshlrev_b32_e32 v4, 2, v5
	ds_bpermute_b32 v4, v4, v3
	s_waitcnt lgkmcnt(0)
	v_add_nc_u32_e32 v3, v4, v3
.LBB93_31:
	s_or_b32 exec_lo, exec_lo, s0
	v_and_b32_e32 v4, 31, v0
	s_mov_b32 s0, exec_lo
	s_delay_alu instid0(VALU_DEP_1)
	v_cmpx_eq_u32_e32 0, v4
	s_cbranch_execz .LBB93_33
; %bb.32:
	v_lshlrev_b32_e32 v2, 2, v2
	ds_store_b32 v2, v3 offset:2080
.LBB93_33:
	s_or_b32 exec_lo, exec_lo, s0
	s_waitcnt lgkmcnt(0)
	s_barrier
	buffer_gl0_inv
	s_and_saveexec_b32 s0, s2
	s_cbranch_execz .LBB93_40
; %bb.34:
	v_mov_b32_e32 v2, 0
	s_mov_b32 s0, exec_lo
	v_cmpx_gt_u32_e32 8, v0
	s_cbranch_execz .LBB93_36
; %bb.35:
	v_lshlrev_b32_e32 v2, 2, v0
	ds_load_b32 v2, v2 offset:2080
.LBB93_36:
	s_or_b32 exec_lo, exec_lo, s0
	v_cmp_gt_u32_e32 vcc_lo, 28, v1
	s_mov_b32 s0, exec_lo
	v_cndmask_b32_e64 v3, 0, 1, vcc_lo
	v_cmp_gt_u32_e32 vcc_lo, 30, v1
	s_delay_alu instid0(VALU_DEP_2) | instskip(SKIP_2) | instid1(VALU_DEP_3)
	v_lshlrev_b32_e32 v3, 2, v3
	v_cndmask_b32_e64 v4, 0, 1, vcc_lo
	v_cmp_ne_u32_e32 vcc_lo, 31, v1
	v_add_lshl_u32 v3, v3, v1, 2
	s_delay_alu instid0(VALU_DEP_3)
	v_lshlrev_b32_e32 v4, 1, v4
	s_waitcnt lgkmcnt(0)
	ds_bpermute_b32 v3, v3, v2
	v_add_lshl_u32 v4, v4, v1, 2
	s_waitcnt lgkmcnt(0)
	v_add_nc_u32_e32 v2, v3, v2
	ds_bpermute_b32 v3, v4, v2
	v_add_co_ci_u32_e32 v4, vcc_lo, 0, v1, vcc_lo
	s_waitcnt lgkmcnt(0)
	v_add_nc_u32_e32 v1, v3, v2
	s_delay_alu instid0(VALU_DEP_2)
	v_lshlrev_b32_e32 v2, 2, v4
	ds_bpermute_b32 v2, v2, v1
	v_cmpx_eq_u32_e32 0, v0
	s_cbranch_execz .LBB93_38
; %bb.37:
	s_lshl_b64 s[2:3], s[20:21], 2
	v_mov_b32_e32 v3, 0
	s_add_u32 s2, s4, s2
	s_addc_u32 s3, s5, s3
	global_load_b32 v4, v3, s[2:3]
	s_waitcnt vmcnt(0) lgkmcnt(0)
	v_add3_u32 v1, v2, v1, v4
	global_store_b32 v3, v1, s[2:3]
.LBB93_38:
	s_or_b32 exec_lo, exec_lo, s0
	v_or_b32_e32 v0, s17, v0
	s_delay_alu instid0(VALU_DEP_1)
	v_cmp_eq_u32_e32 vcc_lo, 0, v0
	s_and_b32 exec_lo, exec_lo, vcc_lo
	s_cbranch_execz .LBB93_40
; %bb.39:
	v_mov_b32_e32 v0, 0
	s_lshl_b32 s0, s20, 8
	s_mov_b32 s1, 0
	s_delay_alu instid0(SALU_CYCLE_1)
	s_lshl_b64 s[0:1], s[0:1], 1
	ds_load_b32 v1, v0 offset:2112
	s_add_u32 s0, s14, s0
	s_addc_u32 s1, s15, s1
	s_waitcnt lgkmcnt(0)
	v_and_b32_e32 v1, 0xff, v1
	s_delay_alu instid0(VALU_DEP_1) | instskip(SKIP_2) | instid1(SALU_CYCLE_1)
	v_lshlrev_b32_e32 v1, 1, v1
	global_load_i16 v1, v1, s[0:1]
	s_lshl_b64 s[0:1], s[20:21], 2
	s_add_u32 s0, s24, s0
	s_addc_u32 s1, s25, s1
	s_waitcnt vmcnt(0)
	global_store_b32 v0, v1, s[0:1]
.LBB93_40:
	s_nop 0
	s_sendmsg sendmsg(MSG_DEALLOC_VGPRS)
	s_endpgm
.LBB93_41:
	s_mov_b32 s6, s21
	s_delay_alu instid0(SALU_CYCLE_1)
	s_cmp_ge_u32 s6, s16
	s_cbranch_scc0 .LBB93_6
	s_branch .LBB93_7
	.section	.rodata,"a",@progbits
	.p2align	6, 0x0
	.amdhsa_kernel _ZN2at6native6mbtopk29computeBlockwiseWithinKCountsIjN3c104HalfEEEvPT_PsPjjibS8_PT0_S8_S6_S8_j
		.amdhsa_group_segment_fixed_size 2116
		.amdhsa_private_segment_fixed_size 0
		.amdhsa_kernarg_size 344
		.amdhsa_user_sgpr_count 13
		.amdhsa_user_sgpr_dispatch_ptr 0
		.amdhsa_user_sgpr_queue_ptr 0
		.amdhsa_user_sgpr_kernarg_segment_ptr 1
		.amdhsa_user_sgpr_dispatch_id 0
		.amdhsa_user_sgpr_private_segment_size 0
		.amdhsa_wavefront_size32 1
		.amdhsa_uses_dynamic_stack 0
		.amdhsa_enable_private_segment 0
		.amdhsa_system_sgpr_workgroup_id_x 1
		.amdhsa_system_sgpr_workgroup_id_y 1
		.amdhsa_system_sgpr_workgroup_id_z 1
		.amdhsa_system_sgpr_workgroup_info 0
		.amdhsa_system_vgpr_workitem_id 0
		.amdhsa_next_free_vgpr 14
		.amdhsa_next_free_sgpr 28
		.amdhsa_reserve_vcc 1
		.amdhsa_float_round_mode_32 0
		.amdhsa_float_round_mode_16_64 0
		.amdhsa_float_denorm_mode_32 3
		.amdhsa_float_denorm_mode_16_64 3
		.amdhsa_dx10_clamp 1
		.amdhsa_ieee_mode 1
		.amdhsa_fp16_overflow 0
		.amdhsa_workgroup_processor_mode 1
		.amdhsa_memory_ordered 1
		.amdhsa_forward_progress 0
		.amdhsa_shared_vgpr_count 0
		.amdhsa_exception_fp_ieee_invalid_op 0
		.amdhsa_exception_fp_denorm_src 0
		.amdhsa_exception_fp_ieee_div_zero 0
		.amdhsa_exception_fp_ieee_overflow 0
		.amdhsa_exception_fp_ieee_underflow 0
		.amdhsa_exception_fp_ieee_inexact 0
		.amdhsa_exception_int_div_zero 0
	.end_amdhsa_kernel
	.section	.text._ZN2at6native6mbtopk29computeBlockwiseWithinKCountsIjN3c104HalfEEEvPT_PsPjjibS8_PT0_S8_S6_S8_j,"axG",@progbits,_ZN2at6native6mbtopk29computeBlockwiseWithinKCountsIjN3c104HalfEEEvPT_PsPjjibS8_PT0_S8_S6_S8_j,comdat
.Lfunc_end93:
	.size	_ZN2at6native6mbtopk29computeBlockwiseWithinKCountsIjN3c104HalfEEEvPT_PsPjjibS8_PT0_S8_S6_S8_j, .Lfunc_end93-_ZN2at6native6mbtopk29computeBlockwiseWithinKCountsIjN3c104HalfEEEvPT_PsPjjibS8_PT0_S8_S6_S8_j
                                        ; -- End function
	.section	.AMDGPU.csdata,"",@progbits
; Kernel info:
; codeLenInByte = 2292
; NumSgprs: 30
; NumVgprs: 14
; ScratchSize: 0
; MemoryBound: 0
; FloatMode: 240
; IeeeMode: 1
; LDSByteSize: 2116 bytes/workgroup (compile time only)
; SGPRBlocks: 3
; VGPRBlocks: 1
; NumSGPRsForWavesPerEU: 30
; NumVGPRsForWavesPerEU: 14
; Occupancy: 16
; WaveLimiterHint : 1
; COMPUTE_PGM_RSRC2:SCRATCH_EN: 0
; COMPUTE_PGM_RSRC2:USER_SGPR: 13
; COMPUTE_PGM_RSRC2:TRAP_HANDLER: 0
; COMPUTE_PGM_RSRC2:TGID_X_EN: 1
; COMPUTE_PGM_RSRC2:TGID_Y_EN: 1
; COMPUTE_PGM_RSRC2:TGID_Z_EN: 1
; COMPUTE_PGM_RSRC2:TIDIG_COMP_CNT: 0
	.section	.text._ZN2at6native6mbtopk10gatherTopKIN3c104HalfEjLi1EEEvNS_4cuda6detail10TensorInfoIKT_T0_EESA_SA_bjSA_NS7_IS8_SA_EESA_NS7_IlSA_EESA_jjPS8_PjSF_j,"axG",@progbits,_ZN2at6native6mbtopk10gatherTopKIN3c104HalfEjLi1EEEvNS_4cuda6detail10TensorInfoIKT_T0_EESA_SA_bjSA_NS7_IS8_SA_EESA_NS7_IlSA_EESA_jjPS8_PjSF_j,comdat
	.protected	_ZN2at6native6mbtopk10gatherTopKIN3c104HalfEjLi1EEEvNS_4cuda6detail10TensorInfoIKT_T0_EESA_SA_bjSA_NS7_IS8_SA_EESA_NS7_IlSA_EESA_jjPS8_PjSF_j ; -- Begin function _ZN2at6native6mbtopk10gatherTopKIN3c104HalfEjLi1EEEvNS_4cuda6detail10TensorInfoIKT_T0_EESA_SA_bjSA_NS7_IS8_SA_EESA_NS7_IlSA_EESA_jjPS8_PjSF_j
	.globl	_ZN2at6native6mbtopk10gatherTopKIN3c104HalfEjLi1EEEvNS_4cuda6detail10TensorInfoIKT_T0_EESA_SA_bjSA_NS7_IS8_SA_EESA_NS7_IlSA_EESA_jjPS8_PjSF_j
	.p2align	8
	.type	_ZN2at6native6mbtopk10gatherTopKIN3c104HalfEjLi1EEEvNS_4cuda6detail10TensorInfoIKT_T0_EESA_SA_bjSA_NS7_IS8_SA_EESA_NS7_IlSA_EESA_jjPS8_PjSF_j,@function
_ZN2at6native6mbtopk10gatherTopKIN3c104HalfEjLi1EEEvNS_4cuda6detail10TensorInfoIKT_T0_EESA_SA_bjSA_NS7_IS8_SA_EESA_NS7_IlSA_EESA_jjPS8_PjSF_j: ; @_ZN2at6native6mbtopk10gatherTopKIN3c104HalfEjLi1EEEvNS_4cuda6detail10TensorInfoIKT_T0_EESA_SA_bjSA_NS7_IS8_SA_EESA_NS7_IlSA_EESA_jjPS8_PjSF_j
; %bb.0:
	s_clause 0x1
	s_load_b64 s[2:3], s[0:1], 0x2d8
	s_load_b32 s4, s[0:1], 0x2d0
	s_waitcnt lgkmcnt(0)
	s_mul_i32 s3, s3, s15
	s_delay_alu instid0(SALU_CYCLE_1) | instskip(NEXT) | instid1(SALU_CYCLE_1)
	s_add_i32 s3, s3, s14
	s_mul_i32 s2, s3, s2
	s_delay_alu instid0(SALU_CYCLE_1) | instskip(NEXT) | instid1(SALU_CYCLE_1)
	s_add_i32 s2, s2, s13
	s_cmp_ge_u32 s2, s4
	s_cbranch_scc1 .LBB94_40
; %bb.1:
	s_load_b256 s[4:11], s[0:1], 0x2a8
	s_mov_b32 s17, 0
	s_waitcnt lgkmcnt(0)
	v_cvt_f32_u32_e32 v1, s6
	s_sub_i32 s7, 0, s6
	s_delay_alu instid0(VALU_DEP_1) | instskip(SKIP_2) | instid1(VALU_DEP_1)
	v_rcp_iflag_f32_e32 v1, v1
	s_waitcnt_depctr 0xfff
	v_mul_f32_e32 v1, 0x4f7ffffe, v1
	v_cvt_u32_f32_e32 v1, v1
	s_delay_alu instid0(VALU_DEP_1) | instskip(SKIP_1) | instid1(VALU_DEP_2)
	v_readfirstlane_b32 s3, v1
	v_mov_b32_e32 v1, 0
	s_mul_i32 s7, s7, s3
	s_delay_alu instid0(SALU_CYCLE_1) | instskip(NEXT) | instid1(SALU_CYCLE_1)
	s_mul_hi_u32 s7, s3, s7
	s_add_i32 s3, s3, s7
	s_delay_alu instid0(SALU_CYCLE_1) | instskip(NEXT) | instid1(SALU_CYCLE_1)
	s_mul_hi_u32 s3, s2, s3
	s_mul_i32 s7, s3, s6
	s_add_i32 s12, s3, 1
	s_sub_i32 s7, s2, s7
	s_delay_alu instid0(SALU_CYCLE_1)
	s_sub_i32 s13, s7, s6
	s_cmp_ge_u32 s7, s6
	s_cselect_b32 s3, s12, s3
	s_cselect_b32 s7, s13, s7
	s_add_i32 s12, s3, 1
	s_cmp_ge_u32 s7, s6
	s_cselect_b32 s16, s12, s3
	s_delay_alu instid0(SALU_CYCLE_1)
	s_mul_i32 s12, s16, s6
	s_lshl_b64 s[14:15], s[16:17], 1
	s_sub_i32 s7, s2, s12
	s_add_u32 s2, s8, s14
	s_addc_u32 s3, s9, s15
	global_load_u16 v1, v1, s[2:3]
	s_clause 0x2
	s_load_b64 s[18:19], s[0:1], 0x1d0
	s_load_b64 s[20:21], s[0:1], 0xf0
	;; [unrolled: 1-line block ×3, first 2 shown]
	v_cmp_ne_u32_e64 s2, 0, v0
	v_cmp_eq_u32_e64 s3, 0, v0
	s_waitcnt vmcnt(0)
	v_readfirstlane_b32 s28, v1
	s_delay_alu instid0(VALU_DEP_2)
	s_and_saveexec_b32 s29, s3
	s_cbranch_execz .LBB94_17
; %bb.2:
	s_load_b64 s[8:9], s[0:1], 0x2c8
	s_mov_b32 s13, s17
	s_delay_alu instid0(SALU_CYCLE_1) | instskip(NEXT) | instid1(SALU_CYCLE_1)
	s_lshl_b64 s[24:25], s[12:13], 2
	s_add_u32 s12, s10, s24
	s_addc_u32 s13, s11, s25
	s_waitcnt lgkmcnt(0)
	s_add_u32 s14, s8, s24
	s_addc_u32 s15, s9, s25
	s_cmp_lt_u32 s6, 4
	s_cbranch_scc1 .LBB94_14
; %bb.3:
	s_mov_b32 s30, s17
	s_mov_b32 s31, s17
	;; [unrolled: 1-line block ×3, first 2 shown]
.LBB94_4:                               ; =>This Inner Loop Header: Depth=1
	s_add_u32 s12, s10, s24
	s_addc_u32 s13, s11, s25
	s_add_u32 s26, s8, s24
	s_load_b128 s[12:15], s[12:13], 0x0
	s_addc_u32 s27, s9, s25
	s_cmp_ge_u32 s33, s7
	s_cbranch_scc0 .LBB94_11
; %bb.5:                                ;   in Loop: Header=BB94_4 Depth=1
	s_add_i32 s34, s33, 1
	s_delay_alu instid0(SALU_CYCLE_1)
	s_cmp_ge_u32 s34, s7
	s_cbranch_scc0 .LBB94_12
.LBB94_6:                               ;   in Loop: Header=BB94_4 Depth=1
	s_add_i32 s34, s34, 1
	s_delay_alu instid0(SALU_CYCLE_1)
	s_cmp_ge_u32 s34, s7
	s_cbranch_scc0 .LBB94_13
.LBB94_7:                               ;   in Loop: Header=BB94_4 Depth=1
	s_add_i32 s34, s34, 1
	s_delay_alu instid0(SALU_CYCLE_1)
	s_cmp_ge_u32 s34, s7
	s_cbranch_scc1 .LBB94_9
.LBB94_8:                               ;   in Loop: Header=BB94_4 Depth=1
	s_load_b32 s26, s[26:27], 0xc
	s_waitcnt lgkmcnt(0)
	s_add_i32 s17, s17, s15
	s_add_i32 s30, s26, s30
.LBB94_9:                               ;   in Loop: Header=BB94_4 Depth=1
	s_waitcnt lgkmcnt(0)
	s_add_i32 s12, s12, s31
	s_delay_alu instid0(SALU_CYCLE_1) | instskip(NEXT) | instid1(SALU_CYCLE_1)
	s_add_i32 s12, s12, s13
	s_add_i32 s12, s12, s14
	s_delay_alu instid0(SALU_CYCLE_1)
	s_add_i32 s31, s12, s15
	s_add_u32 s10, s10, 16
	s_addc_u32 s11, s11, 0
	s_add_u32 s8, s8, 16
	s_addc_u32 s9, s9, 0
	s_add_i32 s27, s34, 4
	s_add_u32 s14, s8, s24
	s_addc_u32 s15, s9, s25
	s_add_u32 s12, s10, s24
	s_addc_u32 s13, s11, s25
	s_add_i32 s26, s34, 1
	s_cmp_ge_u32 s27, s6
	s_cbranch_scc1 .LBB94_15
; %bb.10:                               ;   in Loop: Header=BB94_4 Depth=1
	s_mov_b32 s33, s26
	s_branch .LBB94_4
.LBB94_11:                              ;   in Loop: Header=BB94_4 Depth=1
	s_load_b32 s34, s[26:27], 0x0
	s_waitcnt lgkmcnt(0)
	s_add_i32 s17, s12, s17
	s_add_i32 s30, s34, s30
	;; [unrolled: 1-line block ×3, first 2 shown]
	s_delay_alu instid0(SALU_CYCLE_1)
	s_cmp_ge_u32 s34, s7
	s_cbranch_scc1 .LBB94_6
.LBB94_12:                              ;   in Loop: Header=BB94_4 Depth=1
	s_load_b32 s35, s[26:27], 0x4
	s_waitcnt lgkmcnt(0)
	s_add_i32 s17, s17, s13
	s_add_i32 s30, s35, s30
	;; [unrolled: 1-line block ×3, first 2 shown]
	s_delay_alu instid0(SALU_CYCLE_1)
	s_cmp_ge_u32 s34, s7
	s_cbranch_scc1 .LBB94_7
.LBB94_13:                              ;   in Loop: Header=BB94_4 Depth=1
	s_load_b32 s35, s[26:27], 0x8
	s_waitcnt lgkmcnt(0)
	s_add_i32 s17, s17, s14
	s_add_i32 s30, s35, s30
	;; [unrolled: 1-line block ×3, first 2 shown]
	s_delay_alu instid0(SALU_CYCLE_1)
	s_cmp_ge_u32 s34, s7
	s_cbranch_scc0 .LBB94_8
	s_branch .LBB94_9
.LBB94_14:
	s_mov_b32 s30, 0
	s_mov_b32 s31, 0
	;; [unrolled: 1-line block ×3, first 2 shown]
	s_delay_alu instid0(SALU_CYCLE_1)
	s_cmp_ge_u32 s8, s6
	s_cbranch_scc0 .LBB94_38
	s_branch .LBB94_16
.LBB94_15:
	s_add_i32 s8, s33, 4
	s_delay_alu instid0(SALU_CYCLE_1)
	s_cmp_ge_u32 s8, s6
	s_cbranch_scc0 .LBB94_38
.LBB94_16:
	v_dual_mov_b32 v1, s30 :: v_dual_mov_b32 v2, s31
	v_dual_mov_b32 v3, s17 :: v_dual_mov_b32 v4, 0
	ds_store_b96 v4, v[1:3] offset:1056
.LBB94_17:
	s_or_b32 exec_lo, exec_lo, s29
	s_clause 0x3
	s_load_b32 s12, s[0:1], 0x23c
	s_load_b32 s13, s[0:1], 0x15c
	;; [unrolled: 1-line block ×3, first 2 shown]
	s_load_b128 s[8:11], s[0:1], 0xd8
	s_waitcnt lgkmcnt(0)
	s_mul_i32 s11, s5, s7
	s_add_i32 s7, s7, 1
	s_lshl_b32 s17, s11, 8
	s_barrier
	buffer_gl0_inv
	s_sub_i32 s11, s8, s17
	s_delay_alu instid0(SALU_CYCLE_1) | instskip(SKIP_4) | instid1(VALU_DEP_1)
	s_add_u32 s11, s11, 0xff
	s_addc_u32 s15, 0, 0
	s_cmp_lt_u32 s7, s6
	v_alignbit_b32 v1, s15, s11, 8
	s_mov_b32 s7, 0
	v_readfirstlane_b32 s11, v1
	s_delay_alu instid0(VALU_DEP_1) | instskip(NEXT) | instid1(SALU_CYCLE_1)
	s_cselect_b32 s5, s5, s11
	s_cmp_eq_u32 s5, 0
	s_cbranch_scc1 .LBB94_40
; %bb.18:
	s_mul_i32 s6, s16, s14
	v_mov_b32_e32 v5, 0
	s_lshl_b64 s[24:25], s[6:7], 1
	s_mul_i32 s14, s16, s13
	s_mov_b32 s15, s7
	s_add_u32 s6, s22, s24
	s_addc_u32 s11, s23, s25
	s_lshl_b64 s[14:15], s[14:15], 1
	s_mul_i32 s22, s16, s12
	s_mov_b32 s23, s7
	ds_load_b96 v[1:3], v5 offset:1056
	s_add_u32 s12, s20, s14
	s_addc_u32 s13, s21, s15
	s_lshl_b64 s[14:15], s[22:23], 3
	v_lshrrev_b32_e32 v4, 5, v0
	s_add_u32 s7, s18, s14
	s_addc_u32 s14, s19, s15
	s_sext_i32_i16 s15, s28
	s_load_b32 s19, s[0:1], 0xe8
	s_and_b32 s16, 0xffff, s28
	s_cmp_gt_i32 s15, -1
	s_mov_b32 s15, 0x8000
	v_cmp_o_f16_e64 s18, s28, s28
	s_cselect_b32 s15, s15, 0xffff
	v_add_nc_u32_e32 v9, -1, v0
	s_xor_b32 s15, s15, s16
	v_add_lshl_u32 v7, v4, v0, 2
	s_and_b32 s16, s18, exec_lo
	s_cselect_b32 s15, s15, 0xffff
	s_bitcmp1_b32 s10, 0
	s_load_b32 s10, s[0:1], 0x1c8
	s_waitcnt lgkmcnt(0)
	v_add_nc_u32_e32 v6, v1, v2
	v_dual_mov_b32 v13, 0x8000 :: v_dual_lshlrev_b32 v2, 3, v0
	v_lshrrev_b32_e32 v4, 2, v0
	v_add_nc_u32_e32 v1, s17, v0
	v_lshrrev_b32_e32 v10, 5, v9
	v_mbcnt_lo_u32_b32 v8, -1, 0
	v_cmp_gt_u32_e64 s0, 32, v0
	v_add_lshl_u32 v0, v4, v2, 2
	v_mul_lo_u32 v4, s19, v1
	v_add_lshl_u32 v9, v10, v9, 2
	v_and_b32_e32 v10, 15, v8
	v_bfe_i32 v11, v8, 4, 1
	v_add_nc_u32_e32 v12, -1, v8
	s_cselect_b32 s1, -1, 0
	s_lshl_b32 s16, s19, 8
                                        ; implicit-def: $vgpr14
	s_branch .LBB94_21
.LBB94_19:                              ;   in Loop: Header=BB94_21 Depth=1
	s_or_b32 exec_lo, exec_lo, s17
	v_add_nc_u32_e32 v6, v17, v6
.LBB94_20:                              ;   in Loop: Header=BB94_21 Depth=1
	v_add_nc_u32_e32 v3, v16, v3
	v_add_nc_u32_e32 v4, s16, v4
	;; [unrolled: 1-line block ×3, first 2 shown]
	s_add_i32 s5, s5, -1
	s_delay_alu instid0(SALU_CYCLE_1)
	s_cmp_lg_u32 s5, 0
	s_cbranch_scc0 .LBB94_40
.LBB94_21:                              ; =>This Inner Loop Header: Depth=1
	v_dual_mov_b32 v2, 0 :: v_dual_mov_b32 v15, 0
	s_mov_b32 s17, exec_lo
	v_cmpx_gt_u32_e64 s8, v1
	s_cbranch_execz .LBB94_23
; %bb.22:                               ;   in Loop: Header=BB94_21 Depth=1
	v_lshlrev_b64 v[14:15], 1, v[4:5]
	s_delay_alu instid0(VALU_DEP_1) | instskip(NEXT) | instid1(VALU_DEP_2)
	v_add_co_u32 v14, vcc_lo, s6, v14
	v_add_co_ci_u32_e32 v15, vcc_lo, s11, v15, vcc_lo
	global_load_u16 v14, v[14:15], off
	s_waitcnt vmcnt(0)
	v_cmp_lt_i16_e32 vcc_lo, -1, v14
	v_dual_cndmask_b32 v15, 0xffff, v13 :: v_dual_and_b32 v2, 0xffff, v14
	v_cmp_o_f16_e32 vcc_lo, v14, v14
	s_delay_alu instid0(VALU_DEP_2) | instskip(NEXT) | instid1(VALU_DEP_1)
	v_xor_b32_e32 v2, v15, v2
	v_cndmask_b32_e32 v15, 0xffff, v2, vcc_lo
	s_delay_alu instid0(VALU_DEP_1) | instskip(SKIP_4) | instid1(VALU_DEP_2)
	v_cmp_lt_u32_e32 vcc_lo, s15, v15
	v_cndmask_b32_e64 v2, 0, 1, vcc_lo
	v_cmp_gt_u32_e32 vcc_lo, s15, v15
	v_cndmask_b32_e64 v16, 0, 1, vcc_lo
	v_cmp_eq_u32_e32 vcc_lo, s15, v15
	v_cndmask_b32_e64 v2, v16, v2, s1
	v_cndmask_b32_e64 v15, 0, 1, vcc_lo
	s_delay_alu instid0(VALU_DEP_2)
	v_and_b32_e32 v2, 1, v2
.LBB94_23:                              ;   in Loop: Header=BB94_21 Depth=1
	s_or_b32 exec_lo, exec_lo, s17
	ds_store_b32 v7, v2
	s_waitcnt lgkmcnt(0)
	s_waitcnt_vscnt null, 0x0
	s_barrier
	buffer_gl0_inv
	s_and_saveexec_b32 s17, s0
	s_cbranch_execz .LBB94_25
; %bb.24:                               ;   in Loop: Header=BB94_21 Depth=1
	ds_load_2addr_b32 v[16:17], v0 offset1:1
	ds_load_2addr_b32 v[18:19], v0 offset0:2 offset1:3
	ds_load_2addr_b32 v[20:21], v0 offset0:4 offset1:5
	;; [unrolled: 1-line block ×3, first 2 shown]
	v_cmp_ne_u32_e32 vcc_lo, 0, v10
	; wave barrier
	s_waitcnt lgkmcnt(3)
	v_add_nc_u32_e32 v17, v17, v16
	s_waitcnt lgkmcnt(2)
	s_delay_alu instid0(VALU_DEP_1) | instskip(SKIP_1) | instid1(VALU_DEP_1)
	v_add3_u32 v17, v17, v18, v19
	s_waitcnt lgkmcnt(1)
	v_add3_u32 v17, v17, v20, v21
	s_waitcnt lgkmcnt(0)
	s_delay_alu instid0(VALU_DEP_1) | instskip(NEXT) | instid1(VALU_DEP_1)
	v_add3_u32 v17, v17, v22, v23
	v_mov_b32_dpp v18, v17 row_shr:1 row_mask:0xf bank_mask:0xf
	s_delay_alu instid0(VALU_DEP_1) | instskip(SKIP_1) | instid1(VALU_DEP_2)
	v_cndmask_b32_e32 v18, 0, v18, vcc_lo
	v_cmp_lt_u32_e32 vcc_lo, 1, v10
	v_add_nc_u32_e32 v17, v18, v17
	s_delay_alu instid0(VALU_DEP_1) | instskip(NEXT) | instid1(VALU_DEP_1)
	v_mov_b32_dpp v18, v17 row_shr:2 row_mask:0xf bank_mask:0xf
	v_cndmask_b32_e32 v18, 0, v18, vcc_lo
	v_cmp_lt_u32_e32 vcc_lo, 3, v10
	s_delay_alu instid0(VALU_DEP_2) | instskip(NEXT) | instid1(VALU_DEP_1)
	v_add_nc_u32_e32 v17, v17, v18
	v_mov_b32_dpp v18, v17 row_shr:4 row_mask:0xf bank_mask:0xf
	s_delay_alu instid0(VALU_DEP_1) | instskip(SKIP_1) | instid1(VALU_DEP_2)
	v_cndmask_b32_e32 v18, 0, v18, vcc_lo
	v_cmp_lt_u32_e32 vcc_lo, 7, v10
	v_add_nc_u32_e32 v17, v17, v18
	s_delay_alu instid0(VALU_DEP_1) | instskip(NEXT) | instid1(VALU_DEP_1)
	v_mov_b32_dpp v18, v17 row_shr:8 row_mask:0xf bank_mask:0xf
	v_cndmask_b32_e32 v18, 0, v18, vcc_lo
	v_cmp_gt_i32_e32 vcc_lo, 0, v12
	v_cndmask_b32_e32 v19, v12, v8, vcc_lo
	s_delay_alu instid0(VALU_DEP_1) | instskip(NEXT) | instid1(VALU_DEP_4)
	v_lshlrev_b32_e32 v19, 2, v19
	v_add_nc_u32_e32 v17, v17, v18
	ds_swizzle_b32 v18, v17 offset:swizzle(BROADCAST,32,15)
	s_waitcnt lgkmcnt(0)
	v_and_b32_e32 v18, v11, v18
	s_delay_alu instid0(VALU_DEP_1) | instskip(SKIP_3) | instid1(VALU_DEP_1)
	v_add_nc_u32_e32 v17, v17, v18
	ds_bpermute_b32 v17, v19, v17
	s_waitcnt lgkmcnt(0)
	v_add_nc_u32_e32 v16, v17, v16
	v_cndmask_b32_e64 v22, v16, v2, s3
	ds_store_b32 v0, v22
	; wave barrier
	ds_load_2addr_b32 v[16:17], v0 offset0:1 offset1:2
	ds_load_2addr_b32 v[18:19], v0 offset0:3 offset1:4
	;; [unrolled: 1-line block ×3, first 2 shown]
	ds_load_b32 v23, v0 offset:28
	s_waitcnt lgkmcnt(3)
	v_add_nc_u32_e32 v16, v16, v22
	s_delay_alu instid0(VALU_DEP_1) | instskip(SKIP_1) | instid1(VALU_DEP_1)
	v_add_nc_u32_e32 v17, v17, v16
	s_waitcnt lgkmcnt(2)
	v_add_nc_u32_e32 v18, v18, v17
	s_delay_alu instid0(VALU_DEP_1) | instskip(SKIP_1) | instid1(VALU_DEP_1)
	v_add_nc_u32_e32 v19, v19, v18
	;; [unrolled: 4-line block ×3, first 2 shown]
	s_waitcnt lgkmcnt(0)
	v_add_nc_u32_e32 v22, v23, v21
	ds_store_2addr_b32 v0, v16, v17 offset0:1 offset1:2
	ds_store_2addr_b32 v0, v18, v19 offset0:3 offset1:4
	;; [unrolled: 1-line block ×3, first 2 shown]
	ds_store_b32 v0, v22 offset:28
.LBB94_25:                              ;   in Loop: Header=BB94_21 Depth=1
	s_or_b32 exec_lo, exec_lo, s17
	v_mov_b32_e32 v17, 0
	s_waitcnt lgkmcnt(0)
	s_barrier
	buffer_gl0_inv
	s_and_saveexec_b32 s17, s2
	s_cbranch_execz .LBB94_27
; %bb.26:                               ;   in Loop: Header=BB94_21 Depth=1
	ds_load_b32 v17, v9
.LBB94_27:                              ;   in Loop: Header=BB94_21 Depth=1
	s_or_b32 exec_lo, exec_lo, s17
	ds_load_b32 v16, v5 offset:1048
	s_mov_b32 s17, exec_lo
	s_waitcnt lgkmcnt(0)
	s_barrier
	buffer_gl0_inv
	v_cmpx_ne_u32_e32 0, v2
	s_cbranch_execz .LBB94_29
; %bb.28:                               ;   in Loop: Header=BB94_21 Depth=1
	v_add_nc_u32_e32 v2, v17, v3
	v_mov_b32_e32 v18, v5
	v_mov_b32_e32 v20, v5
	s_delay_alu instid0(VALU_DEP_3) | instskip(SKIP_2) | instid1(VALU_DEP_3)
	v_mul_lo_u32 v17, v2, s10
	v_mul_lo_u32 v19, v2, s4
	v_mov_b32_e32 v2, v5
	v_lshlrev_b64 v[17:18], 1, v[17:18]
	s_delay_alu instid0(VALU_DEP_3) | instskip(NEXT) | instid1(VALU_DEP_2)
	v_lshlrev_b64 v[19:20], 3, v[19:20]
	v_add_co_u32 v17, vcc_lo, s12, v17
	s_delay_alu instid0(VALU_DEP_3) | instskip(NEXT) | instid1(VALU_DEP_3)
	v_add_co_ci_u32_e32 v18, vcc_lo, s13, v18, vcc_lo
	v_add_co_u32 v19, vcc_lo, s7, v19
	s_delay_alu instid0(VALU_DEP_4)
	v_add_co_ci_u32_e32 v20, vcc_lo, s14, v20, vcc_lo
	global_store_b16 v[17:18], v14, off
	global_store_b64 v[19:20], v[1:2], off
.LBB94_29:                              ;   in Loop: Header=BB94_21 Depth=1
	s_or_b32 exec_lo, exec_lo, s17
	v_cmp_le_u32_e32 vcc_lo, s9, v6
	s_cbranch_vccnz .LBB94_20
; %bb.30:                               ;   in Loop: Header=BB94_21 Depth=1
	ds_store_b32 v7, v15
	s_waitcnt lgkmcnt(0)
	s_waitcnt_vscnt null, 0x0
	s_barrier
	buffer_gl0_inv
	s_and_saveexec_b32 s17, s0
	s_cbranch_execz .LBB94_32
; %bb.31:                               ;   in Loop: Header=BB94_21 Depth=1
	ds_load_2addr_b32 v[17:18], v0 offset1:1
	ds_load_2addr_b32 v[19:20], v0 offset0:2 offset1:3
	ds_load_2addr_b32 v[21:22], v0 offset0:4 offset1:5
	;; [unrolled: 1-line block ×3, first 2 shown]
	v_cmp_ne_u32_e32 vcc_lo, 0, v10
	; wave barrier
	s_waitcnt lgkmcnt(3)
	v_add_nc_u32_e32 v2, v18, v17
	s_waitcnt lgkmcnt(2)
	s_delay_alu instid0(VALU_DEP_1) | instskip(SKIP_1) | instid1(VALU_DEP_1)
	v_add3_u32 v2, v2, v19, v20
	s_waitcnt lgkmcnt(1)
	v_add3_u32 v2, v2, v21, v22
	s_waitcnt lgkmcnt(0)
	s_delay_alu instid0(VALU_DEP_1) | instskip(NEXT) | instid1(VALU_DEP_1)
	v_add3_u32 v2, v2, v23, v24
	v_mov_b32_dpp v18, v2 row_shr:1 row_mask:0xf bank_mask:0xf
	s_delay_alu instid0(VALU_DEP_1) | instskip(SKIP_1) | instid1(VALU_DEP_2)
	v_cndmask_b32_e32 v18, 0, v18, vcc_lo
	v_cmp_lt_u32_e32 vcc_lo, 1, v10
	v_add_nc_u32_e32 v2, v18, v2
	s_delay_alu instid0(VALU_DEP_1) | instskip(NEXT) | instid1(VALU_DEP_1)
	v_mov_b32_dpp v18, v2 row_shr:2 row_mask:0xf bank_mask:0xf
	v_cndmask_b32_e32 v18, 0, v18, vcc_lo
	v_cmp_lt_u32_e32 vcc_lo, 3, v10
	s_delay_alu instid0(VALU_DEP_2) | instskip(NEXT) | instid1(VALU_DEP_1)
	v_add_nc_u32_e32 v2, v2, v18
	v_mov_b32_dpp v18, v2 row_shr:4 row_mask:0xf bank_mask:0xf
	s_delay_alu instid0(VALU_DEP_1) | instskip(SKIP_1) | instid1(VALU_DEP_2)
	v_cndmask_b32_e32 v18, 0, v18, vcc_lo
	v_cmp_lt_u32_e32 vcc_lo, 7, v10
	v_add_nc_u32_e32 v2, v2, v18
	s_delay_alu instid0(VALU_DEP_1) | instskip(NEXT) | instid1(VALU_DEP_1)
	v_mov_b32_dpp v18, v2 row_shr:8 row_mask:0xf bank_mask:0xf
	v_cndmask_b32_e32 v18, 0, v18, vcc_lo
	v_cmp_gt_i32_e32 vcc_lo, 0, v12
	s_delay_alu instid0(VALU_DEP_2) | instskip(SKIP_4) | instid1(VALU_DEP_1)
	v_dual_cndmask_b32 v19, v12, v8 :: v_dual_add_nc_u32 v2, v2, v18
	ds_swizzle_b32 v18, v2 offset:swizzle(BROADCAST,32,15)
	v_lshlrev_b32_e32 v19, 2, v19
	s_waitcnt lgkmcnt(0)
	v_and_b32_e32 v18, v11, v18
	v_add_nc_u32_e32 v2, v2, v18
	ds_bpermute_b32 v2, v19, v2
	s_waitcnt lgkmcnt(0)
	v_add_nc_u32_e32 v2, v2, v17
	s_delay_alu instid0(VALU_DEP_1)
	v_cndmask_b32_e64 v2, v2, v15, s3
	ds_store_b32 v0, v2
	; wave barrier
	ds_load_2addr_b32 v[17:18], v0 offset0:1 offset1:2
	ds_load_2addr_b32 v[19:20], v0 offset0:3 offset1:4
	;; [unrolled: 1-line block ×3, first 2 shown]
	ds_load_b32 v23, v0 offset:28
	s_waitcnt lgkmcnt(3)
	v_add_nc_u32_e32 v2, v17, v2
	s_delay_alu instid0(VALU_DEP_1) | instskip(SKIP_1) | instid1(VALU_DEP_1)
	v_add_nc_u32_e32 v17, v18, v2
	s_waitcnt lgkmcnt(2)
	v_add_nc_u32_e32 v18, v19, v17
	s_delay_alu instid0(VALU_DEP_1) | instskip(SKIP_1) | instid1(VALU_DEP_1)
	v_add_nc_u32_e32 v19, v20, v18
	;; [unrolled: 4-line block ×3, first 2 shown]
	s_waitcnt lgkmcnt(0)
	v_add_nc_u32_e32 v22, v23, v21
	ds_store_2addr_b32 v0, v2, v17 offset0:1 offset1:2
	ds_store_2addr_b32 v0, v18, v19 offset0:3 offset1:4
	;; [unrolled: 1-line block ×3, first 2 shown]
	ds_store_b32 v0, v22 offset:28
.LBB94_32:                              ;   in Loop: Header=BB94_21 Depth=1
	s_or_b32 exec_lo, exec_lo, s17
	v_mov_b32_e32 v2, 0
	s_waitcnt lgkmcnt(0)
	s_barrier
	buffer_gl0_inv
	s_and_saveexec_b32 s17, s2
	s_cbranch_execz .LBB94_34
; %bb.33:                               ;   in Loop: Header=BB94_21 Depth=1
	ds_load_b32 v2, v9
.LBB94_34:                              ;   in Loop: Header=BB94_21 Depth=1
	s_or_b32 exec_lo, exec_lo, s17
	ds_load_b32 v17, v5 offset:1048
	s_mov_b32 s17, exec_lo
	s_waitcnt lgkmcnt(0)
	s_barrier
	buffer_gl0_inv
	v_cmpx_ne_u32_e32 0, v15
	s_cbranch_execz .LBB94_19
; %bb.35:                               ;   in Loop: Header=BB94_21 Depth=1
	v_add_nc_u32_e32 v2, v2, v6
	s_delay_alu instid0(VALU_DEP_1)
	v_cmp_gt_u32_e32 vcc_lo, s9, v2
	s_and_b32 exec_lo, exec_lo, vcc_lo
	s_cbranch_execz .LBB94_19
; %bb.36:                               ;   in Loop: Header=BB94_21 Depth=1
	v_mul_lo_u32 v18, v2, s10
	v_mov_b32_e32 v19, v5
	v_mul_lo_u32 v20, v2, s4
	v_mov_b32_e32 v21, v5
	v_mov_b32_e32 v2, v5
	s_delay_alu instid0(VALU_DEP_4) | instskip(NEXT) | instid1(VALU_DEP_3)
	v_lshlrev_b64 v[18:19], 1, v[18:19]
	v_lshlrev_b64 v[20:21], 3, v[20:21]
	s_delay_alu instid0(VALU_DEP_2) | instskip(NEXT) | instid1(VALU_DEP_3)
	v_add_co_u32 v18, vcc_lo, s12, v18
	v_add_co_ci_u32_e32 v19, vcc_lo, s13, v19, vcc_lo
	s_delay_alu instid0(VALU_DEP_3) | instskip(NEXT) | instid1(VALU_DEP_4)
	v_add_co_u32 v20, vcc_lo, s7, v20
	v_add_co_ci_u32_e32 v21, vcc_lo, s14, v21, vcc_lo
	global_store_b16 v[18:19], v14, off
	global_store_b64 v[20:21], v[1:2], off
	s_branch .LBB94_19
	.p2align	6
.LBB94_37:                              ;   in Loop: Header=BB94_38 Depth=1
	s_add_u32 s12, s12, 4
	s_addc_u32 s13, s13, 0
	s_waitcnt lgkmcnt(0)
	s_add_i32 s31, s9, s31
	s_add_u32 s14, s14, 4
	s_addc_u32 s15, s15, 0
	s_add_i32 s8, s8, 1
	s_delay_alu instid0(SALU_CYCLE_1)
	s_cmp_lt_u32 s8, s6
	s_cbranch_scc0 .LBB94_16
.LBB94_38:                              ; =>This Inner Loop Header: Depth=1
	s_load_b32 s9, s[12:13], 0x0
	s_cmp_ge_u32 s8, s7
	s_cbranch_scc1 .LBB94_37
; %bb.39:                               ;   in Loop: Header=BB94_38 Depth=1
	s_load_b32 s10, s[14:15], 0x0
	s_waitcnt lgkmcnt(0)
	s_add_i32 s17, s9, s17
	s_add_i32 s30, s10, s30
	s_branch .LBB94_37
.LBB94_40:
	s_nop 0
	s_sendmsg sendmsg(MSG_DEALLOC_VGPRS)
	s_endpgm
	.section	.rodata,"a",@progbits
	.p2align	6, 0x0
	.amdhsa_kernel _ZN2at6native6mbtopk10gatherTopKIN3c104HalfEjLi1EEEvNS_4cuda6detail10TensorInfoIKT_T0_EESA_SA_bjSA_NS7_IS8_SA_EESA_NS7_IlSA_EESA_jjPS8_PjSF_j
		.amdhsa_group_segment_fixed_size 1068
		.amdhsa_private_segment_fixed_size 0
		.amdhsa_kernarg_size 984
		.amdhsa_user_sgpr_count 13
		.amdhsa_user_sgpr_dispatch_ptr 0
		.amdhsa_user_sgpr_queue_ptr 0
		.amdhsa_user_sgpr_kernarg_segment_ptr 1
		.amdhsa_user_sgpr_dispatch_id 0
		.amdhsa_user_sgpr_private_segment_size 0
		.amdhsa_wavefront_size32 1
		.amdhsa_uses_dynamic_stack 0
		.amdhsa_enable_private_segment 0
		.amdhsa_system_sgpr_workgroup_id_x 1
		.amdhsa_system_sgpr_workgroup_id_y 1
		.amdhsa_system_sgpr_workgroup_id_z 1
		.amdhsa_system_sgpr_workgroup_info 0
		.amdhsa_system_vgpr_workitem_id 0
		.amdhsa_next_free_vgpr 25
		.amdhsa_next_free_sgpr 36
		.amdhsa_reserve_vcc 1
		.amdhsa_float_round_mode_32 0
		.amdhsa_float_round_mode_16_64 0
		.amdhsa_float_denorm_mode_32 3
		.amdhsa_float_denorm_mode_16_64 3
		.amdhsa_dx10_clamp 1
		.amdhsa_ieee_mode 1
		.amdhsa_fp16_overflow 0
		.amdhsa_workgroup_processor_mode 1
		.amdhsa_memory_ordered 1
		.amdhsa_forward_progress 0
		.amdhsa_shared_vgpr_count 0
		.amdhsa_exception_fp_ieee_invalid_op 0
		.amdhsa_exception_fp_denorm_src 0
		.amdhsa_exception_fp_ieee_div_zero 0
		.amdhsa_exception_fp_ieee_overflow 0
		.amdhsa_exception_fp_ieee_underflow 0
		.amdhsa_exception_fp_ieee_inexact 0
		.amdhsa_exception_int_div_zero 0
	.end_amdhsa_kernel
	.section	.text._ZN2at6native6mbtopk10gatherTopKIN3c104HalfEjLi1EEEvNS_4cuda6detail10TensorInfoIKT_T0_EESA_SA_bjSA_NS7_IS8_SA_EESA_NS7_IlSA_EESA_jjPS8_PjSF_j,"axG",@progbits,_ZN2at6native6mbtopk10gatherTopKIN3c104HalfEjLi1EEEvNS_4cuda6detail10TensorInfoIKT_T0_EESA_SA_bjSA_NS7_IS8_SA_EESA_NS7_IlSA_EESA_jjPS8_PjSF_j,comdat
.Lfunc_end94:
	.size	_ZN2at6native6mbtopk10gatherTopKIN3c104HalfEjLi1EEEvNS_4cuda6detail10TensorInfoIKT_T0_EESA_SA_bjSA_NS7_IS8_SA_EESA_NS7_IlSA_EESA_jjPS8_PjSF_j, .Lfunc_end94-_ZN2at6native6mbtopk10gatherTopKIN3c104HalfEjLi1EEEvNS_4cuda6detail10TensorInfoIKT_T0_EESA_SA_bjSA_NS7_IS8_SA_EESA_NS7_IlSA_EESA_jjPS8_PjSF_j
                                        ; -- End function
	.section	.AMDGPU.csdata,"",@progbits
; Kernel info:
; codeLenInByte = 2596
; NumSgprs: 38
; NumVgprs: 25
; ScratchSize: 0
; MemoryBound: 0
; FloatMode: 240
; IeeeMode: 1
; LDSByteSize: 1068 bytes/workgroup (compile time only)
; SGPRBlocks: 4
; VGPRBlocks: 3
; NumSGPRsForWavesPerEU: 38
; NumVGPRsForWavesPerEU: 25
; Occupancy: 16
; WaveLimiterHint : 1
; COMPUTE_PGM_RSRC2:SCRATCH_EN: 0
; COMPUTE_PGM_RSRC2:USER_SGPR: 13
; COMPUTE_PGM_RSRC2:TRAP_HANDLER: 0
; COMPUTE_PGM_RSRC2:TGID_X_EN: 1
; COMPUTE_PGM_RSRC2:TGID_Y_EN: 1
; COMPUTE_PGM_RSRC2:TGID_Z_EN: 1
; COMPUTE_PGM_RSRC2:TIDIG_COMP_CNT: 0
	.section	.text._ZN2at6native6sbtopk10gatherTopKIN3c104HalfEjLi1ELb0EEEvNS_4cuda6detail10TensorInfoIKT_T0_EESA_SA_bSA_SA_NS7_IS8_SA_EESA_NS7_IlSA_EESA_PS8_,"axG",@progbits,_ZN2at6native6sbtopk10gatherTopKIN3c104HalfEjLi1ELb0EEEvNS_4cuda6detail10TensorInfoIKT_T0_EESA_SA_bSA_SA_NS7_IS8_SA_EESA_NS7_IlSA_EESA_PS8_,comdat
	.protected	_ZN2at6native6sbtopk10gatherTopKIN3c104HalfEjLi1ELb0EEEvNS_4cuda6detail10TensorInfoIKT_T0_EESA_SA_bSA_SA_NS7_IS8_SA_EESA_NS7_IlSA_EESA_PS8_ ; -- Begin function _ZN2at6native6sbtopk10gatherTopKIN3c104HalfEjLi1ELb0EEEvNS_4cuda6detail10TensorInfoIKT_T0_EESA_SA_bSA_SA_NS7_IS8_SA_EESA_NS7_IlSA_EESA_PS8_
	.globl	_ZN2at6native6sbtopk10gatherTopKIN3c104HalfEjLi1ELb0EEEvNS_4cuda6detail10TensorInfoIKT_T0_EESA_SA_bSA_SA_NS7_IS8_SA_EESA_NS7_IlSA_EESA_PS8_
	.p2align	8
	.type	_ZN2at6native6sbtopk10gatherTopKIN3c104HalfEjLi1ELb0EEEvNS_4cuda6detail10TensorInfoIKT_T0_EESA_SA_bSA_SA_NS7_IS8_SA_EESA_NS7_IlSA_EESA_PS8_,@function
_ZN2at6native6sbtopk10gatherTopKIN3c104HalfEjLi1ELb0EEEvNS_4cuda6detail10TensorInfoIKT_T0_EESA_SA_bSA_SA_NS7_IS8_SA_EESA_NS7_IlSA_EESA_PS8_: ; @_ZN2at6native6sbtopk10gatherTopKIN3c104HalfEjLi1ELb0EEEvNS_4cuda6detail10TensorInfoIKT_T0_EESA_SA_bSA_SA_NS7_IS8_SA_EESA_NS7_IlSA_EESA_PS8_
; %bb.0:
	s_clause 0x1
	s_load_b64 s[4:5], s[0:1], 0x2b8
	s_load_b128 s[24:27], s[0:1], 0xd8
	s_add_u32 s6, s0, 0x2b8
	s_addc_u32 s7, s1, 0
	s_waitcnt lgkmcnt(0)
	s_mul_i32 s2, s5, s15
	s_delay_alu instid0(SALU_CYCLE_1) | instskip(NEXT) | instid1(SALU_CYCLE_1)
	s_add_i32 s2, s2, s14
	s_mul_i32 s39, s2, s4
	s_delay_alu instid0(SALU_CYCLE_1) | instskip(NEXT) | instid1(SALU_CYCLE_1)
	s_add_i32 s39, s39, s13
	s_cmp_ge_u32 s39, s27
	s_cbranch_scc1 .LBB95_465
; %bb.1:
	s_clause 0x4
	s_load_b64 s[30:31], s[0:1], 0x1d0
	s_load_b64 s[34:35], s[0:1], 0xf0
	s_load_b32 s28, s[0:1], 0xe8
	s_load_b32 s8, s[0:1], 0x6c
	s_load_b64 s[2:3], s[0:1], 0x0
	v_cmp_eq_u32_e64 s5, 0, v0
	s_mov_b32 s37, 0
	s_delay_alu instid0(VALU_DEP_1)
	s_and_saveexec_b32 s9, s5
	s_cbranch_execz .LBB95_3
; %bb.2:
	v_dual_mov_b32 v1, 0 :: v_dual_mov_b32 v2, s24
	s_delay_alu instid0(VALU_DEP_1)
	v_mov_b32_e32 v3, v1
	ds_store_b96 v1, v[1:3] offset:4096
.LBB95_3:
	s_or_b32 exec_lo, exec_lo, s9
	s_waitcnt lgkmcnt(0)
	s_barrier
	buffer_gl0_inv
	s_load_b32 s10, s[6:7], 0xc
	s_mul_i32 s36, s8, s39
	v_mbcnt_lo_u32_b32 v15, -1, 0
	s_lshl_b64 s[8:9], s[36:37], 1
	v_cmp_gt_u32_e32 vcc_lo, 32, v0
	s_add_u32 s29, s2, s8
	s_addc_u32 s33, s3, s9
	s_bitcmp1_b32 s26, 0
	v_cmp_gt_i32_e64 s2, 4, v15
	s_cselect_b32 s3, -1, 0
	v_mul_lo_u32 v7, v0, s28
	s_xor_b32 s42, s3, -1
	s_clause 0x1
	s_load_b32 s40, s[0:1], 0x23c
	s_load_b32 s41, s[0:1], 0x15c
	s_and_b32 s43, vcc_lo, s2
	v_lshlrev_b32_e32 v24, 3, v0
	v_lshl_or_b32 v25, v15, 2, 0xc00
	v_mov_b32_e32 v26, 0x8000
	v_mov_b32_e32 v28, 0
	v_lshlrev_b32_e32 v22, 2, v7
	s_mov_b32 s65, 14
	s_waitcnt lgkmcnt(0)
	s_and_b32 s36, s10, 0xffff
	s_bfe_u32 s2, s10, 0xb0005
	s_lshl_b32 s44, s36, 2
	s_cmpk_gt_u32 s24, 0x600
	v_cvt_f32_u32_e32 v1, s44
	s_cselect_b32 s45, -1, 0
	s_cmp_gt_u32 s36, 31
	v_cvt_f32_u32_e32 v2, s36
	s_cselect_b32 s46, -1, 0
	v_rcp_iflag_f32_e32 v1, v1
	s_add_i32 s47, s36, -1
	v_lshlrev_b32_e32 v16, 2, v0
	s_add_i32 s9, s47, s24
	s_cmp_lt_u32 s13, s4
	v_rcp_iflag_f32_e32 v2, v2
	s_cselect_b32 s4, 12, 18
	v_mov_b32_e32 v9, 0
	s_add_u32 s26, s6, s4
	s_addc_u32 s27, s7, 0
	s_waitcnt_depctr 0xfff
	v_mul_f32_e32 v1, 0x4f7ffffe, v1
	s_add_i32 s4, s2, -1
	s_bfe_u32 s48, s36, 0x30005
	s_cmp_gt_u32 s4, 6
	v_mad_u64_u32 v[12:13], null, s28, v16, s[28:29]
	v_mul_f32_e32 v2, 0x4f7ffffe, v2
	v_cvt_u32_f32_e32 v1, v1
	s_cselect_b32 s49, -1, 0
	s_and_b32 s50, s2, 0x7f8
	s_cmp_lg_u32 s48, 0
	v_cvt_u32_f32_e32 v2, v2
	v_readfirstlane_b32 s2, v1
	s_cselect_b32 s51, -1, 0
	s_sub_i32 s6, 0, s44
	v_lshrrev_b32_e32 v1, 3, v0
	v_dual_mov_b32 v8, v9 :: v_dual_lshlrev_b32 v17, 1, v0
	s_mul_i32 s6, s6, s2
	v_cmp_gt_u32_e64 s4, s24, v0
	s_mul_hi_u32 s7, s2, s6
	v_dual_mov_b32 v29, 0 :: v_dual_and_b32 v18, 0x7c, v1
	s_add_i32 s52, s2, s7
	v_cmp_gt_u32_e64 s6, 2, v0
	s_mul_hi_u32 s2, s24, s52
	v_dual_mov_b32 v30, s25 :: v_dual_add_nc_u32 v19, 0xc00, v17
	s_mul_i32 s7, s2, s44
	v_cmp_eq_u32_e64 s2, 0, v15
	s_sub_i32 s7, s24, s7
	s_mul_i32 s38, s28, s36
	s_sub_i32 s8, s7, s44
	s_cmp_ge_u32 s7, s44
	s_movk_i32 s60, 0x3c00
	s_cselect_b32 s7, s8, s7
	v_readfirstlane_b32 s8, v2
	s_sub_i32 s10, s7, s44
	s_cmp_ge_u32 s7, s44
	v_lshlrev_b64 v[1:2], v15, -1
	s_cselect_b32 s10, s10, s7
	v_lshlrev_b64 v[2:3], 1, v[7:8]
	s_sub_i32 s53, s24, s10
	s_delay_alu instid0(SALU_CYCLE_1)
	v_dual_mov_b32 v27, 0 :: v_dual_add_nc_u32 v20, s53, v0
	s_sub_i32 s7, 0, s36
	v_not_b32_e32 v14, v1
	s_mul_i32 s7, s7, s8
	v_add_co_u32 v5, vcc_lo, s29, v2
	v_mul_lo_u32 v8, v20, s28
	s_mul_hi_u32 s7, s8, s7
	v_add_co_ci_u32_e32 v6, vcc_lo, s33, v3, vcc_lo
	s_add_i32 s54, s8, s7
	v_or_b32_e32 v3, 3, v16
	s_mul_hi_u32 s7, s9, s54
	s_mov_b32 s61, 0
	s_delay_alu instid0(VALU_DEP_3) | instskip(SKIP_3) | instid1(SALU_CYCLE_1)
	v_lshlrev_b64 v[1:2], 1, v[8:9]
	s_mul_i32 s7, s7, s36
	v_mul_lo_u32 v21, s28, v3
	s_sub_i32 s7, s9, s7
                                        ; implicit-def: $sgpr59
                                        ; implicit-def: $sgpr64
                                        ; implicit-def: $sgpr63
                                        ; implicit-def: $sgpr66
                                        ; implicit-def: $sgpr62
                                        ; implicit-def: $sgpr67
                                        ; implicit-def: $sgpr69
                                        ; implicit-def: $sgpr68
                                        ; implicit-def: $sgpr70
                                        ; implicit-def: $sgpr71
	s_sub_i32 s8, s7, s36
	s_delay_alu instid0(VALU_DEP_2)
	v_add_co_u32 v10, vcc_lo, s29, v1
	v_add3_u32 v1, s36, s24, v0
	s_cmp_ge_u32 s7, s36
	v_add_co_ci_u32_e32 v11, vcc_lo, s33, v2, vcc_lo
	s_cselect_b32 s8, s8, s7
	v_or_b32_e32 v2, 2, v16
	v_subrev_nc_u32_e32 v1, s10, v1
	s_sub_i32 s11, s8, s36
	s_cmp_ge_u32 s8, s36
	v_cmp_gt_u32_e64 s7, s53, v16
	s_cselect_b32 s11, s11, s8
	v_mul_lo_u32 v13, s28, v2
	v_mul_lo_u32 v23, s28, v1
	s_sub_i32 s55, s9, s11
	v_cmp_gt_u32_e64 s8, s24, v20
	v_cmp_gt_u32_e64 s9, s55, v0
	s_lshl_b32 s56, s38, 2
	s_lshl_b32 s57, s36, 3
	;; [unrolled: 1-line block ×3, first 2 shown]
	s_branch .LBB95_6
.LBB95_4:                               ;   in Loop: Header=BB95_6 Depth=1
	s_or_b32 exec_lo, exec_lo, s13
	v_dual_mov_b32 v27, v2 :: v_dual_mov_b32 v28, v1
	v_dual_mov_b32 v30, v4 :: v_dual_mov_b32 v29, v3
	s_and_not1_b32 s13, s71, exec_lo
	s_and_b32 s12, s12, exec_lo
	s_and_not1_b32 s70, s70, exec_lo
	s_or_b32 s71, s13, s12
	s_and_not1_b32 s68, s68, exec_lo
	s_and_not1_b32 s69, s69, exec_lo
	;; [unrolled: 1-line block ×3, first 2 shown]
	s_or_not1_b32 s12, s11, exec_lo
.LBB95_5:                               ;   in Loop: Header=BB95_6 Depth=1
	s_or_b32 exec_lo, exec_lo, s10
	s_delay_alu instid0(SALU_CYCLE_1) | instskip(NEXT) | instid1(SALU_CYCLE_1)
	s_and_b32 s10, exec_lo, s12
	s_or_b32 s37, s10, s37
	s_and_not1_b32 s10, s62, exec_lo
	s_and_b32 s11, s71, exec_lo
	s_and_not1_b32 s12, s66, exec_lo
	s_or_b32 s62, s10, s11
	s_and_b32 s10, s70, exec_lo
	s_and_not1_b32 s11, s63, exec_lo
	s_and_b32 s13, s68, exec_lo
	s_or_b32 s66, s12, s10
	s_or_b32 s63, s11, s13
	s_and_not1_b32 s10, s64, exec_lo
	s_and_b32 s11, s69, exec_lo
	s_and_not1_b32 s12, s59, exec_lo
	s_and_b32 s13, s67, exec_lo
	s_or_b32 s64, s10, s11
	s_or_b32 s59, s12, s13
	s_and_not1_b32 exec_lo, exec_lo, s37
	s_cbranch_execz .LBB95_403
.LBB95_6:                               ; =>This Loop Header: Depth=1
                                        ;     Child Loop BB95_11 Depth 2
                                        ;     Child Loop BB95_26 Depth 2
	;; [unrolled: 1-line block ×24, first 2 shown]
	ds_load_b64 v[1:2], v9 offset:4096
	s_waitcnt lgkmcnt(0)
	v_readfirstlane_b32 s72, v1
	s_delay_alu instid0(VALU_DEP_1)
	s_cmp_lg_u32 s72, 0
	s_cbranch_scc1 .LBB95_33
; %bb.7:                                ;   in Loop: Header=BB95_6 Depth=1
	s_and_b32 vcc_lo, exec_lo, s45
	s_cbranch_vccz .LBB95_19
; %bb.8:                                ;   in Loop: Header=BB95_6 Depth=1
	v_cmp_gt_u32_e32 vcc_lo, 0x601, v2
	s_mov_b32 s72, 0
	s_mov_b32 s10, 0
	s_cbranch_vccz .LBB95_20
; %bb.9:                                ;   in Loop: Header=BB95_6 Depth=1
	global_load_u16 v1, v9, s[26:27]
	global_load_u16 v4, v[5:6], off
	v_mov_b32_e32 v3, v0
	s_mov_b32 s12, 0
	s_waitcnt vmcnt(1)
	v_add_nc_u32_e32 v2, v0, v1
	s_delay_alu instid0(VALU_DEP_1)
	v_mul_lo_u32 v8, s28, v2
	v_mul_lo_u32 v2, s28, v1
	s_branch .LBB95_11
.LBB95_10:                              ;   in Loop: Header=BB95_11 Depth=2
	s_or_b32 exec_lo, exec_lo, s11
	v_add_nc_u32_e32 v8, v8, v2
	v_mov_b32_e32 v4, v31
	s_and_not1_b32 exec_lo, exec_lo, s12
	s_cbranch_execz .LBB95_84
.LBB95_11:                              ;   Parent Loop BB95_6 Depth=1
                                        ; =>  This Inner Loop Header: Depth=2
	s_waitcnt lgkmcnt(0)
	v_dual_mov_b32 v32, 0 :: v_dual_add_nc_u32 v3, v3, v1
	v_mov_b32_e32 v31, 0
	s_mov_b32 s11, exec_lo
	s_delay_alu instid0(VALU_DEP_2)
	v_cmp_le_u32_e32 vcc_lo, s24, v3
	v_cmpx_gt_u32_e64 s24, v3
	s_cbranch_execz .LBB95_13
; %bb.12:                               ;   in Loop: Header=BB95_11 Depth=2
	v_lshlrev_b64 v[33:34], 1, v[8:9]
	s_delay_alu instid0(VALU_DEP_1) | instskip(NEXT) | instid1(VALU_DEP_1)
	v_add_co_u32 v33, s10, s29, v33
	v_add_co_ci_u32_e64 v34, s10, s33, v34, s10
	global_load_u16 v31, v[33:34], off
.LBB95_13:                              ;   in Loop: Header=BB95_11 Depth=2
	s_or_b32 exec_lo, exec_lo, s11
	s_waitcnt vmcnt(0)
	v_cmp_lt_i16_e64 s10, -1, v4
	v_and_b32_e32 v33, 0xffff, v4
	s_delay_alu instid0(VALU_DEP_2) | instskip(SKIP_1) | instid1(VALU_DEP_2)
	v_cndmask_b32_e64 v34, 0xffff, v26, s10
	v_cmp_o_f16_e64 s10, v4, v4
	v_xor_b32_e32 v33, v34, v33
	s_delay_alu instid0(VALU_DEP_1) | instskip(NEXT) | instid1(VALU_DEP_1)
	v_cndmask_b32_e64 v33, 0xffff, v33, s10
	v_and_b32_e32 v33, v33, v27
	s_delay_alu instid0(VALU_DEP_1) | instskip(NEXT) | instid1(VALU_DEP_1)
	v_cmp_eq_u32_e64 s10, v33, v28
	s_cmp_lg_u32 s10, 0
	s_cselect_b32 s11, -1, 0
	s_delay_alu instid0(SALU_CYCLE_1) | instskip(NEXT) | instid1(SALU_CYCLE_1)
	s_and_b32 s11, s2, s11
	s_and_saveexec_b32 s13, s11
	s_cbranch_execz .LBB95_17
; %bb.14:                               ;   in Loop: Header=BB95_11 Depth=2
	s_mov_b32 s16, exec_lo
	s_bcnt1_i32_b32 s14, s10
	v_mbcnt_lo_u32_b32 v32, s16, 0
	s_mov_b32 s15, exec_lo
                                        ; implicit-def: $vgpr33
	s_delay_alu instid0(VALU_DEP_1)
	v_cmpx_eq_u32_e32 0, v32
	s_cbranch_execz .LBB95_16
; %bb.15:                               ;   in Loop: Header=BB95_11 Depth=2
	s_bcnt1_i32_b32 s11, s16
	s_delay_alu instid0(SALU_CYCLE_1) | instskip(NEXT) | instid1(SALU_CYCLE_1)
	s_mul_i32 s11, s14, s11
	v_mov_b32_e32 v33, s11
	ds_add_rtn_u32 v33, v9, v33 offset:4104
.LBB95_16:                              ;   in Loop: Header=BB95_11 Depth=2
	s_or_b32 exec_lo, exec_lo, s15
	s_waitcnt lgkmcnt(0)
	v_readfirstlane_b32 s11, v33
	s_delay_alu instid0(VALU_DEP_1)
	v_mad_u32_u24 v32, s14, v32, s11
.LBB95_17:                              ;   in Loop: Header=BB95_11 Depth=2
	s_or_b32 exec_lo, exec_lo, s13
	ds_bpermute_b32 v32, v9, v32
	s_and_b32 s11, exec_lo, vcc_lo
	s_delay_alu instid0(SALU_CYCLE_1)
	s_or_b32 s12, s11, s12
	s_and_saveexec_b32 s11, s10
	s_cbranch_execz .LBB95_10
; %bb.18:                               ;   in Loop: Header=BB95_11 Depth=2
	v_and_b32_e32 v33, s10, v14
	s_delay_alu instid0(VALU_DEP_1) | instskip(NEXT) | instid1(VALU_DEP_1)
	v_bcnt_u32_b32 v33, v33, 0
	v_lshlrev_b32_e32 v33, 1, v33
	s_waitcnt lgkmcnt(0)
	s_delay_alu instid0(VALU_DEP_1)
	v_lshl_add_u32 v32, v32, 1, v33
	ds_store_b16 v32, v4
	s_branch .LBB95_10
.LBB95_19:                              ;   in Loop: Header=BB95_6 Depth=1
	s_mov_b32 s72, -1
	s_mov_b32 s10, 0
.LBB95_20:                              ;   in Loop: Header=BB95_6 Depth=1
	s_and_b32 vcc_lo, exec_lo, s72
	s_cbranch_vccz .LBB95_31
.LBB95_21:                              ;   in Loop: Header=BB95_6 Depth=1
	v_mov_b32_e32 v1, 0
	s_and_saveexec_b32 s10, s4
	s_cbranch_execz .LBB95_23
; %bb.22:                               ;   in Loop: Header=BB95_6 Depth=1
	global_load_u16 v1, v[5:6], off
.LBB95_23:                              ;   in Loop: Header=BB95_6 Depth=1
	s_or_b32 exec_lo, exec_lo, s10
	s_and_saveexec_b32 s11, s4
	s_cbranch_execz .LBB95_28
; %bb.24:                               ;   in Loop: Header=BB95_6 Depth=1
	global_load_u16 v2, v9, s[26:27]
	v_mov_b32_e32 v32, v0
	s_mov_b32 s12, 0
	v_mov_b32_e32 v31, v17
	s_waitcnt vmcnt(0)
	v_add_nc_u32_e32 v3, v0, v2
	v_lshlrev_b32_e32 v4, 1, v2
	s_delay_alu instid0(VALU_DEP_2)
	v_mul_lo_u32 v8, s28, v3
	v_mul_lo_u32 v3, s28, v2
	s_set_inst_prefetch_distance 0x1
	s_branch .LBB95_26
	.p2align	6
.LBB95_25:                              ;   in Loop: Header=BB95_26 Depth=2
	s_or_b32 exec_lo, exec_lo, s13
	ds_store_b16 v31, v1
	v_add_nc_u32_e32 v31, v31, v4
	s_waitcnt vmcnt(0)
	v_dual_mov_b32 v1, v33 :: v_dual_add_nc_u32 v8, v8, v3
	s_and_b32 s10, exec_lo, vcc_lo
	s_delay_alu instid0(SALU_CYCLE_1) | instskip(NEXT) | instid1(SALU_CYCLE_1)
	s_or_b32 s12, s10, s12
	s_and_not1_b32 exec_lo, exec_lo, s12
	s_cbranch_execz .LBB95_28
.LBB95_26:                              ;   Parent Loop BB95_6 Depth=1
                                        ; =>  This Inner Loop Header: Depth=2
	v_dual_mov_b32 v33, 0 :: v_dual_add_nc_u32 v32, v32, v2
	s_mov_b32 s13, exec_lo
	s_delay_alu instid0(VALU_DEP_1)
	v_cmp_le_u32_e32 vcc_lo, s24, v32
	v_cmpx_gt_u32_e64 s24, v32
	s_cbranch_execz .LBB95_25
; %bb.27:                               ;   in Loop: Header=BB95_26 Depth=2
	v_lshlrev_b64 v[33:34], 1, v[8:9]
	s_delay_alu instid0(VALU_DEP_1) | instskip(NEXT) | instid1(VALU_DEP_1)
	v_add_co_u32 v33, s10, s29, v33
	v_add_co_ci_u32_e64 v34, s10, s33, v34, s10
	global_load_u16 v33, v[33:34], off
	s_branch .LBB95_25
.LBB95_28:                              ;   in Loop: Header=BB95_6 Depth=1
	s_set_inst_prefetch_distance 0x2
	s_or_b32 exec_lo, exec_lo, s11
	s_waitcnt vmcnt(0) lgkmcnt(0)
	s_barrier
	buffer_gl0_inv
	s_and_saveexec_b32 s10, s5
	s_cbranch_execz .LBB95_30
; %bb.29:                               ;   in Loop: Header=BB95_6 Depth=1
	v_mov_b32_e32 v1, s24
	ds_store_b32 v9, v1 offset:4096
.LBB95_30:                              ;   in Loop: Header=BB95_6 Depth=1
	s_or_b32 exec_lo, exec_lo, s10
	s_mov_b32 s10, -1
	s_waitcnt lgkmcnt(0)
	s_barrier
                                        ; implicit-def: $sgpr72
.LBB95_31:                              ;   in Loop: Header=BB95_6 Depth=1
	s_and_b32 vcc_lo, exec_lo, s10
	s_cbranch_vccz .LBB95_33
; %bb.32:                               ;   in Loop: Header=BB95_6 Depth=1
	buffer_gl0_inv
	ds_load_b32 v1, v9 offset:4096
	s_waitcnt lgkmcnt(0)
	v_readfirstlane_b32 s72, v1
.LBB95_33:                              ;   in Loop: Header=BB95_6 Depth=1
	s_delay_alu instid0(VALU_DEP_1)
	s_cmp_lt_i32 s72, 1
	s_cbranch_scc0 .LBB95_37
; %bb.34:                               ;   in Loop: Header=BB95_6 Depth=1
	v_dual_mov_b32 v1, 0 :: v_dual_mov_b32 v2, 0
	v_dual_mov_b32 v3, 0 :: v_dual_mov_b32 v4, 0
	s_mov_b32 s22, 0
	s_and_saveexec_b32 s21, s7
	s_cbranch_execnz .LBB95_38
; %bb.35:                               ;   in Loop: Header=BB95_6 Depth=1
	s_or_b32 exec_lo, exec_lo, s21
	v_mov_b32_e32 v32, 0
	s_and_saveexec_b32 s10, s8
	s_cbranch_execnz .LBB95_41
.LBB95_36:                              ;   in Loop: Header=BB95_6 Depth=1
	s_or_b32 exec_lo, exec_lo, s10
	s_and_saveexec_b32 s14, s8
	s_cbranch_execnz .LBB95_42
	s_branch .LBB95_47
.LBB95_37:                              ;   in Loop: Header=BB95_6 Depth=1
                                        ; implicit-def: $vgpr4
	s_cbranch_execnz .LBB95_48
	s_branch .LBB95_57
.LBB95_38:                              ;   in Loop: Header=BB95_6 Depth=1
	v_mov_b32_e32 v31, v16
	s_and_b32 s23, s65, 0xfe
	s_mov_b32 s73, 0
	s_mov_b32 s74, 0
	s_mov_b32 s75, 0
	s_mov_b32 s76, 0
	s_mov_b32 s77, 0
.LBB95_39:                              ;   Parent Loop BB95_6 Depth=1
                                        ; =>  This Inner Loop Header: Depth=2
	v_add_nc_u32_e32 v8, s73, v22
	s_delay_alu instid0(VALU_DEP_1) | instskip(SKIP_1) | instid1(VALU_DEP_1)
	v_lshlrev_b64 v[1:2], 1, v[8:9]
	v_add_nc_u32_e32 v8, s73, v12
	v_lshlrev_b64 v[3:4], 1, v[8:9]
	s_delay_alu instid0(VALU_DEP_3) | instskip(SKIP_2) | instid1(VALU_DEP_4)
	v_add_co_u32 v1, vcc_lo, s29, v1
	v_add_nc_u32_e32 v8, s73, v13
	v_add_co_ci_u32_e32 v2, vcc_lo, s33, v2, vcc_lo
	v_add_co_u32 v3, vcc_lo, s29, v3
	s_delay_alu instid0(VALU_DEP_3)
	v_lshlrev_b64 v[32:33], 1, v[8:9]
	v_add_nc_u32_e32 v8, s73, v21
	v_add_co_ci_u32_e32 v4, vcc_lo, s33, v4, vcc_lo
	global_load_u16 v34, v[1:2], off
	s_add_i32 s73, s73, s56
	v_lshlrev_b64 v[1:2], 1, v[8:9]
	global_load_u16 v8, v[3:4], off
	v_add_co_u32 v3, vcc_lo, s29, v32
	v_add_co_ci_u32_e32 v4, vcc_lo, s33, v33, vcc_lo
	v_add_co_u32 v1, vcc_lo, s29, v1
	v_add_co_ci_u32_e32 v2, vcc_lo, s33, v2, vcc_lo
	s_clause 0x1
	global_load_u16 v3, v[3:4], off
	global_load_u16 v1, v[1:2], off
	s_waitcnt vmcnt(3)
	v_cmp_lt_i16_e64 s10, -1, v34
	v_and_b32_e32 v2, 0xffff, v34
	s_waitcnt vmcnt(2)
	v_and_b32_e32 v32, 0xffff, v8
	s_delay_alu instid0(VALU_DEP_3) | instskip(SKIP_1) | instid1(VALU_DEP_2)
	v_cndmask_b32_e64 v4, 0xffff, v26, s10
	v_cmp_lt_i16_e64 s10, -1, v8
	v_xor_b32_e32 v2, v4, v2
	s_delay_alu instid0(VALU_DEP_2)
	v_cndmask_b32_e64 v33, 0xffff, v26, s10
	v_cmp_o_f16_e64 s10, v34, v34
	s_waitcnt vmcnt(1)
	v_cmp_lt_i16_e64 s11, -1, v3
	s_waitcnt vmcnt(0)
	v_cmp_o_f16_e64 s15, v1, v1
	v_xor_b32_e32 v4, v33, v32
	v_cndmask_b32_e64 v2, 0xffff, v2, s10
	v_cmp_o_f16_e64 s10, v8, v8
	v_and_b32_e32 v32, 0xffff, v3
	v_cndmask_b32_e64 v33, 0xffff, v26, s11
	s_delay_alu instid0(VALU_DEP_4) | instskip(NEXT) | instid1(VALU_DEP_4)
	v_and_b32_e32 v34, v2, v27
	v_cndmask_b32_e64 v4, 0xffff, v4, s10
	v_cmp_lt_i16_e64 s10, -1, v1
	s_delay_alu instid0(VALU_DEP_4) | instskip(SKIP_2) | instid1(VALU_DEP_4)
	v_xor_b32_e32 v8, v33, v32
	v_bfe_u32 v2, v2, s23, 2
	v_and_b32_e32 v32, 0xffff, v1
	v_cndmask_b32_e64 v33, 0xffff, v26, s10
	v_cmp_o_f16_e64 s10, v3, v3
	s_delay_alu instid0(VALU_DEP_4)
	v_cmp_eq_u32_e64 s11, 0, v2
	v_cmp_eq_u32_e64 s12, 1, v2
	v_cmp_eq_u32_e64 s13, 2, v2
	v_cmp_eq_u32_e64 s14, 3, v2
	v_cndmask_b32_e64 v3, 0xffff, v8, s10
	v_cmp_eq_u32_e64 s10, v34, v28
	v_xor_b32_e32 v8, v33, v32
	v_and_b32_e32 v32, v4, v27
	v_bfe_u32 v4, v4, s23, 2
	v_and_b32_e32 v2, v3, v27
	v_bfe_u32 v3, v3, s23, 2
	s_and_b32 s11, s10, s11
	v_cndmask_b32_e64 v1, 0xffff, v8, s15
	v_cmp_eq_u32_e64 s15, v32, v28
	v_cmp_eq_u32_e64 s16, 0, v4
	v_cndmask_b32_e64 v8, 0, 1, s11
	v_cmp_eq_u32_e64 s11, 1, v4
	s_and_b32 s12, s10, s12
	s_and_b32 s13, s10, s13
	;; [unrolled: 1-line block ×3, first 2 shown]
	v_cndmask_b32_e64 v32, 0, 1, s12
	v_cmp_eq_u32_e64 s12, 2, v4
	v_cndmask_b32_e64 v33, 0, 1, s13
	v_cmp_eq_u32_e64 s13, 3, v4
	v_cndmask_b32_e64 v4, 0, 1, s10
	v_cmp_eq_u32_e64 s10, v2, v28
	v_cmp_eq_u32_e64 s14, 0, v3
	v_and_b32_e32 v2, v1, v27
	v_bfe_u32 v1, v1, s23, 2
	s_and_b32 s16, s15, s16
	s_and_b32 s11, s15, s11
	v_cmp_ne_u32_e64 s17, 0, v8
	v_cndmask_b32_e64 v8, 0, 1, s16
	v_cmp_eq_u32_e64 s16, 1, v3
	v_cmp_ne_u32_e64 s18, 0, v32
	v_cndmask_b32_e64 v32, 0, 1, s11
	v_cmp_eq_u32_e64 s11, 2, v3
	s_and_b32 s12, s15, s12
	s_and_b32 s13, s15, s13
	;; [unrolled: 1-line block ×3, first 2 shown]
	v_cmp_ne_u32_e64 s19, 0, v33
	v_cndmask_b32_e64 v33, 0, 1, s12
	v_cmp_eq_u32_e64 s12, 3, v3
	v_cndmask_b32_e64 v3, 0, 1, s13
	v_cmp_eq_u32_e64 s13, v2, v28
	;; [unrolled: 2-line block ×3, first 2 shown]
	v_cmp_ne_u32_e64 s20, 0, v4
	v_cmp_eq_u32_e64 s15, 0, v1
	s_and_b32 s16, s10, s16
	s_and_b32 s11, s10, s11
	s_bcnt1_i32_b32 s78, s17
	v_cmp_ne_u32_e64 s17, 0, v8
	v_cndmask_b32_e64 v4, 0, 1, s16
	v_cmp_eq_u32_e64 s16, 2, v1
	v_cndmask_b32_e64 v8, 0, 1, s11
	v_cmp_eq_u32_e64 s11, 3, v1
	s_and_b32 s10, s10, s12
	s_and_b32 s14, s13, s14
	s_bcnt1_i32_b32 s81, s20
	v_cmp_ne_u32_e64 s20, 0, v3
	v_cndmask_b32_e64 v1, 0, 1, s10
	v_cndmask_b32_e64 v3, 0, 1, s14
	s_bcnt1_i32_b32 s79, s18
	v_cmp_ne_u32_e64 s18, 0, v32
	s_and_b32 s12, s13, s15
	v_cmp_ne_u32_e64 s10, 0, v2
	v_cndmask_b32_e64 v2, 0, 1, s12
	v_cmp_ne_u32_e64 s12, 0, v4
	s_and_b32 s15, s13, s16
	s_and_b32 s11, s13, s11
	v_cndmask_b32_e64 v4, 0, 1, s15
	v_cmp_ne_u32_e64 s15, 0, v1
	v_cndmask_b32_e64 v1, 0, 1, s11
	v_cmp_ne_u32_e64 s11, 0, v3
	s_bcnt1_i32_b32 s80, s19
	v_cmp_ne_u32_e64 s19, 0, v33
	s_add_i32 s76, s79, s76
	s_add_i32 s74, s81, s74
	s_bcnt1_i32_b32 s18, s18
	s_bcnt1_i32_b32 s16, s20
	v_cmp_ne_u32_e64 s14, 0, v8
	s_add_i32 s18, s76, s18
	s_add_i32 s16, s74, s16
	s_bcnt1_i32_b32 s74, s12
	s_bcnt1_i32_b32 s20, s10
	v_cmp_ne_u32_e64 s10, 0, v2
	v_cmp_ne_u32_e64 s12, 0, v4
	;; [unrolled: 1-line block ×3, first 2 shown]
	s_add_i32 s18, s18, s74
	s_bcnt1_i32_b32 s11, s11
	s_add_i32 s77, s78, s77
	s_add_i32 s75, s80, s75
	s_bcnt1_i32_b32 s17, s17
	s_bcnt1_i32_b32 s19, s19
	s_add_i32 s76, s18, s11
	s_delay_alu instid0(SALU_CYCLE_1)
	v_dual_mov_b32 v2, s76 :: v_dual_add_nc_u32 v31, s44, v31
	s_add_i32 s17, s77, s17
	s_add_i32 s19, s75, s19
	s_bcnt1_i32_b32 s14, s14
	s_bcnt1_i32_b32 s15, s15
	s_add_i32 s17, s17, s20
	s_add_i32 s14, s19, s14
	;; [unrolled: 1-line block ×3, first 2 shown]
	s_bcnt1_i32_b32 s10, s10
	s_bcnt1_i32_b32 s12, s12
	;; [unrolled: 1-line block ×3, first 2 shown]
	v_cmp_le_u32_e32 vcc_lo, s53, v31
	s_add_i32 s77, s17, s10
	s_add_i32 s75, s14, s12
	;; [unrolled: 1-line block ×3, first 2 shown]
	v_mov_b32_e32 v1, s77
	v_dual_mov_b32 v3, s75 :: v_dual_mov_b32 v4, s74
	s_or_b32 s22, vcc_lo, s22
	s_delay_alu instid0(SALU_CYCLE_1)
	s_and_not1_b32 exec_lo, exec_lo, s22
	s_cbranch_execnz .LBB95_39
; %bb.40:                               ;   in Loop: Header=BB95_6 Depth=1
	s_or_b32 exec_lo, exec_lo, s22
	s_delay_alu instid0(SALU_CYCLE_1)
	s_or_b32 exec_lo, exec_lo, s21
	v_mov_b32_e32 v32, 0
	s_and_saveexec_b32 s10, s8
	s_cbranch_execz .LBB95_36
.LBB95_41:                              ;   in Loop: Header=BB95_6 Depth=1
	global_load_u16 v32, v[10:11], off
	s_or_b32 exec_lo, exec_lo, s10
	s_and_saveexec_b32 s14, s8
	s_cbranch_execz .LBB95_47
.LBB95_42:                              ;   in Loop: Header=BB95_6 Depth=1
	v_dual_mov_b32 v8, v23 :: v_dual_mov_b32 v31, v20
	s_and_b32 s16, s65, 0xfe
	s_mov_b32 s15, 0
	s_branch .LBB95_44
.LBB95_43:                              ;   in Loop: Header=BB95_44 Depth=2
	s_or_b32 exec_lo, exec_lo, s11
	s_waitcnt vmcnt(0)
	v_cmp_lt_i16_e64 s10, -1, v32
	v_and_b32_e32 v34, 0xffff, v32
	s_and_b32 s11, exec_lo, vcc_lo
	v_add_nc_u32_e32 v8, s38, v8
	s_or_b32 s15, s11, s15
	v_cndmask_b32_e64 v35, 0xffff, v26, s10
	v_cmp_o_f16_e64 s10, v32, v32
	s_delay_alu instid0(VALU_DEP_2) | instskip(NEXT) | instid1(VALU_DEP_1)
	v_xor_b32_e32 v34, v35, v34
	v_cndmask_b32_e64 v32, 0xffff, v34, s10
	s_delay_alu instid0(VALU_DEP_1) | instskip(SKIP_1) | instid1(VALU_DEP_2)
	v_and_b32_e32 v34, v32, v27
	v_bfe_u32 v32, v32, s16, 2
	v_cmp_eq_u32_e32 vcc_lo, v34, v28
	s_delay_alu instid0(VALU_DEP_2) | instskip(SKIP_3) | instid1(VALU_DEP_4)
	v_cmp_eq_u32_e64 s10, 0, v32
	v_cmp_eq_u32_e64 s11, 1, v32
	;; [unrolled: 1-line block ×4, first 2 shown]
	s_and_b32 s10, vcc_lo, s10
	s_delay_alu instid0(SALU_CYCLE_1) | instskip(SKIP_1) | instid1(SALU_CYCLE_1)
	v_cndmask_b32_e64 v32, 0, 1, s10
	s_and_b32 s10, vcc_lo, s11
	v_cndmask_b32_e64 v34, 0, 1, s10
	s_and_b32 s10, vcc_lo, s12
	s_delay_alu instid0(SALU_CYCLE_1)
	v_cndmask_b32_e64 v35, 0, 1, s10
	s_and_b32 s10, vcc_lo, s13
	v_cmp_ne_u32_e32 vcc_lo, 0, v32
	v_cndmask_b32_e64 v36, 0, 1, s10
	v_cmp_ne_u32_e64 s10, 0, v34
	v_cmp_ne_u32_e64 s11, 0, v35
	v_mov_b32_e32 v32, v33
	s_bcnt1_i32_b32 s13, vcc_lo
	v_cmp_ne_u32_e64 s12, 0, v36
	s_bcnt1_i32_b32 s10, s10
	s_bcnt1_i32_b32 s11, s11
	v_add_nc_u32_e32 v1, s13, v1
	v_add_nc_u32_e32 v2, s10, v2
	s_bcnt1_i32_b32 s12, s12
	v_add_nc_u32_e32 v3, s11, v3
	v_add_nc_u32_e32 v4, s12, v4
	s_and_not1_b32 exec_lo, exec_lo, s15
	s_cbranch_execz .LBB95_46
.LBB95_44:                              ;   Parent Loop BB95_6 Depth=1
                                        ; =>  This Inner Loop Header: Depth=2
	s_delay_alu instid0(VALU_DEP_1) | instskip(SKIP_2) | instid1(VALU_DEP_2)
	v_add_nc_u32_e32 v31, s36, v31
	v_mov_b32_e32 v33, 0
	s_mov_b32 s11, exec_lo
	v_cmp_le_u32_e32 vcc_lo, s24, v31
	v_cmpx_gt_u32_e64 s24, v31
	s_cbranch_execz .LBB95_43
; %bb.45:                               ;   in Loop: Header=BB95_44 Depth=2
	v_lshlrev_b64 v[33:34], 1, v[8:9]
	s_delay_alu instid0(VALU_DEP_1) | instskip(NEXT) | instid1(VALU_DEP_1)
	v_add_co_u32 v33, s10, s29, v33
	v_add_co_ci_u32_e64 v34, s10, s33, v34, s10
	global_load_u16 v33, v[33:34], off
	s_branch .LBB95_43
.LBB95_46:                              ;   in Loop: Header=BB95_6 Depth=1
	s_or_b32 exec_lo, exec_lo, s15
.LBB95_47:                              ;   in Loop: Header=BB95_6 Depth=1
	s_delay_alu instid0(SALU_CYCLE_1)
	s_or_b32 exec_lo, exec_lo, s14
	s_branch .LBB95_57
.LBB95_48:                              ;   in Loop: Header=BB95_6 Depth=1
	s_mul_hi_u32 s10, s72, s52
	v_dual_mov_b32 v1, 0 :: v_dual_mov_b32 v2, 0
	s_mul_i32 s10, s10, s44
	v_dual_mov_b32 v3, 0 :: v_dual_mov_b32 v4, 0
	s_sub_i32 s10, s72, s10
	s_mov_b32 s75, 0
	s_sub_i32 s11, s10, s44
	s_cmp_ge_u32 s10, s44
	s_mov_b32 s74, exec_lo
	s_cselect_b32 s10, s11, s10
	s_delay_alu instid0(SALU_CYCLE_1) | instskip(SKIP_2) | instid1(SALU_CYCLE_1)
	s_sub_i32 s11, s10, s44
	s_cmp_ge_u32 s10, s44
	s_cselect_b32 s10, s11, s10
	s_sub_i32 s73, s72, s10
	s_delay_alu instid0(SALU_CYCLE_1)
	v_cmpx_gt_u32_e64 s73, v16
	s_cbranch_execz .LBB95_52
; %bb.49:                               ;   in Loop: Header=BB95_6 Depth=1
	v_mov_b32_e32 v8, v24
	v_mov_b32_e32 v31, v16
	s_and_b32 s76, s65, 0xfe
	s_mov_b32 s77, 0
	s_mov_b32 s78, 0
	;; [unrolled: 1-line block ×4, first 2 shown]
.LBB95_50:                              ;   Parent Loop BB95_6 Depth=1
                                        ; =>  This Inner Loop Header: Depth=2
	ds_load_b64 v[1:2], v8
	s_waitcnt lgkmcnt(0)
	v_cmp_lt_i16_e64 s10, -1, v1
	v_lshrrev_b32_e32 v3, 16, v1
	v_lshrrev_b32_e32 v35, 16, v2
	v_and_b32_e32 v4, 0xffff, v1
	v_and_b32_e32 v33, 0xffff, v2
	s_waitcnt vmcnt(0)
	v_cndmask_b32_e64 v32, 0xffff, v26, s10
	v_cmp_lt_i16_e64 s10, -1, v2
	v_cmp_lt_i16_e64 s11, -1, v35
	s_delay_alu instid0(VALU_DEP_3) | instskip(NEXT) | instid1(VALU_DEP_3)
	v_xor_b32_e32 v4, v32, v4
	v_cndmask_b32_e64 v34, 0xffff, v26, s10
	v_cmp_lt_i16_e64 s10, -1, v3
	s_delay_alu instid0(VALU_DEP_2) | instskip(NEXT) | instid1(VALU_DEP_2)
	v_xor_b32_e32 v33, v34, v33
	v_cndmask_b32_e64 v32, 0xffff, v26, s10
	v_cmp_o_f16_e64 s10, v2, v2
	v_cndmask_b32_e64 v2, 0xffff, v26, s11
	v_cmp_o_f16_e64 s11, v1, v1
	s_delay_alu instid0(VALU_DEP_2) | instskip(NEXT) | instid1(VALU_DEP_2)
	v_xor_b32_e32 v2, v2, v35
	v_cndmask_b32_e64 v1, 0xffff, v4, s11
	v_xor_b32_e32 v4, v32, v3
	v_cmp_o_f16_e64 s11, v3, v3
	v_cndmask_b32_e64 v32, 0xffff, v33, s10
	v_cmp_o_f16_e64 s10, v35, v35
	s_delay_alu instid0(VALU_DEP_3)
	v_cndmask_b32_e64 v3, 0xffff, v4, s11
	v_and_b32_e32 v4, v1, v27
	v_bfe_u32 v1, v1, s76, 2
	v_and_b32_e32 v33, v32, v27
	v_bfe_u32 v32, v32, s76, 2
	v_cndmask_b32_e64 v2, 0xffff, v2, s10
	v_cmp_eq_u32_e64 s10, v4, v28
	v_cmp_eq_u32_e64 s12, 0, v1
	;; [unrolled: 1-line block ×4, first 2 shown]
	v_and_b32_e32 v4, v3, v27
	v_and_b32_e32 v33, v2, v27
	v_bfe_u32 v3, v3, s76, 2
	v_bfe_u32 v2, v2, s76, 2
	v_cmp_eq_u32_e64 s14, 1, v1
	v_cmp_eq_u32_e64 s16, 2, v1
	s_and_b32 s12, s10, s12
	v_cmp_eq_u32_e64 s15, 1, v32
	v_cmp_eq_u32_e64 s17, 2, v32
	;; [unrolled: 1-line block ×3, first 2 shown]
	v_cndmask_b32_e64 v1, 0, 1, s12
	s_and_b32 s12, s11, s13
	v_cmp_eq_u32_e64 s19, 3, v32
	v_cmp_eq_u32_e64 s20, v4, v28
	;; [unrolled: 1-line block ×5, first 2 shown]
	v_cndmask_b32_e64 v4, 0, 1, s12
	v_cmp_eq_u32_e64 s12, 1, v3
	s_and_b32 s14, s10, s14
	s_and_b32 s16, s10, s16
	v_cndmask_b32_e64 v32, 0, 1, s14
	s_and_b32 s14, s11, s15
	v_cndmask_b32_e64 v34, 0, 1, s16
	s_and_b32 s16, s11, s17
	s_and_b32 s10, s10, s18
	v_cmp_eq_u32_e64 s13, 1, v2
	v_cndmask_b32_e64 v33, 0, 1, s14
	v_cmp_eq_u32_e64 s14, 2, v3
	v_cmp_eq_u32_e64 s15, 2, v2
	v_cndmask_b32_e64 v35, 0, 1, s16
	v_cmp_eq_u32_e64 s16, 3, v3
	v_cmp_eq_u32_e64 s17, 3, v2
	v_cndmask_b32_e64 v2, 0, 1, s10
	s_and_b32 s10, s11, s19
	s_and_b32 s11, s20, s22
	;; [unrolled: 1-line block ×4, first 2 shown]
	v_cndmask_b32_e64 v3, 0, 1, s10
	v_cmp_ne_u32_e64 s10, 0, v1
	v_cndmask_b32_e64 v1, 0, 1, s11
	v_cmp_ne_u32_e64 s11, 0, v4
	;; [unrolled: 2-line block ×3, first 2 shown]
	v_cndmask_b32_e64 v32, 0, 1, s12
	s_and_b32 s13, s21, s13
	s_and_b32 s14, s20, s14
	;; [unrolled: 1-line block ×5, first 2 shown]
	v_cmp_ne_u32_e64 s12, 0, v33
	v_cndmask_b32_e64 v33, 0, 1, s13
	v_cmp_ne_u32_e64 s13, 0, v34
	v_cndmask_b32_e64 v34, 0, 1, s14
	;; [unrolled: 2-line block ×5, first 2 shown]
	v_cmp_ne_u32_e64 s17, 0, v32
	s_bcnt1_i32_b32 s18, s18
	s_bcnt1_i32_b32 s21, s12
	v_cmp_ne_u32_e64 s12, 0, v33
	s_bcnt1_i32_b32 s19, s10
	v_cmp_ne_u32_e64 s10, 0, v1
	;; [unrolled: 2-line block ×4, first 2 shown]
	s_add_i32 s18, s18, s79
	s_bcnt1_i32_b32 s17, s17
	s_bcnt1_i32_b32 s20, s11
	s_add_i32 s17, s18, s17
	v_cmp_ne_u32_e64 s11, 0, v4
	s_bcnt1_i32_b32 s23, s14
	v_cmp_ne_u32_e64 s14, 0, v35
	s_bcnt1_i32_b32 s82, s16
	;; [unrolled: 2-line block ×3, first 2 shown]
	s_add_i32 s17, s17, s21
	s_add_i32 s19, s19, s80
	;; [unrolled: 1-line block ×4, first 2 shown]
	s_bcnt1_i32_b32 s10, s10
	s_bcnt1_i32_b32 s13, s13
	;; [unrolled: 1-line block ×3, first 2 shown]
	s_add_i32 s79, s17, s12
	s_delay_alu instid0(SALU_CYCLE_1)
	v_dual_mov_b32 v2, s79 :: v_dual_add_nc_u32 v31, s44, v31
	s_add_i32 s10, s19, s10
	s_add_i32 s13, s22, s13
	;; [unrolled: 1-line block ×3, first 2 shown]
	s_bcnt1_i32_b32 s11, s11
	s_bcnt1_i32_b32 s14, s14
	;; [unrolled: 1-line block ×3, first 2 shown]
	s_add_i32 s10, s10, s20
	s_add_i32 s13, s13, s23
	;; [unrolled: 1-line block ×3, first 2 shown]
	v_cmp_le_u32_e32 vcc_lo, s73, v31
	s_add_i32 s80, s10, s11
	s_add_i32 s78, s13, s14
	;; [unrolled: 1-line block ×3, first 2 shown]
	v_dual_mov_b32 v1, s80 :: v_dual_add_nc_u32 v8, s57, v8
	v_dual_mov_b32 v3, s78 :: v_dual_mov_b32 v4, s77
	s_or_b32 s75, vcc_lo, s75
	s_delay_alu instid0(SALU_CYCLE_1)
	s_and_not1_b32 exec_lo, exec_lo, s75
	s_cbranch_execnz .LBB95_50
; %bb.51:                               ;   in Loop: Header=BB95_6 Depth=1
	s_or_b32 exec_lo, exec_lo, s75
.LBB95_52:                              ;   in Loop: Header=BB95_6 Depth=1
	s_delay_alu instid0(SALU_CYCLE_1) | instskip(SKIP_2) | instid1(VALU_DEP_1)
	s_or_b32 exec_lo, exec_lo, s74
	v_add_nc_u32_e32 v8, s73, v0
	s_mov_b32 s15, exec_lo
	v_cmpx_gt_u32_e64 s72, v8
	s_cbranch_execz .LBB95_56
; %bb.53:                               ;   in Loop: Header=BB95_6 Depth=1
	v_lshlrev_b32_e32 v31, 1, v8
	s_and_b32 s17, s65, 0xfe
	s_mov_b32 s16, 0
.LBB95_54:                              ;   Parent Loop BB95_6 Depth=1
                                        ; =>  This Inner Loop Header: Depth=2
	s_waitcnt vmcnt(0)
	ds_load_u16 v32, v31
	v_add_nc_u32_e32 v8, s36, v8
	v_add_nc_u32_e32 v31, s58, v31
	s_delay_alu instid0(VALU_DEP_2) | instskip(SKIP_3) | instid1(VALU_DEP_2)
	v_cmp_le_u32_e32 vcc_lo, s72, v8
	s_waitcnt lgkmcnt(0)
	v_cmp_lt_i16_e64 s10, -1, v32
	v_and_b32_e32 v33, 0xffff, v32
	v_cndmask_b32_e64 v34, 0xffff, v26, s10
	v_cmp_o_f16_e64 s10, v32, v32
	s_delay_alu instid0(VALU_DEP_2) | instskip(NEXT) | instid1(VALU_DEP_1)
	v_xor_b32_e32 v33, v34, v33
	v_cndmask_b32_e64 v32, 0xffff, v33, s10
	s_delay_alu instid0(VALU_DEP_1) | instskip(SKIP_1) | instid1(VALU_DEP_2)
	v_and_b32_e32 v33, v32, v27
	v_bfe_u32 v32, v32, s17, 2
	v_cmp_eq_u32_e64 s10, v33, v28
	s_delay_alu instid0(VALU_DEP_2) | instskip(SKIP_3) | instid1(VALU_DEP_4)
	v_cmp_eq_u32_e64 s11, 0, v32
	v_cmp_eq_u32_e64 s12, 1, v32
	;; [unrolled: 1-line block ×4, first 2 shown]
	s_and_b32 s11, s10, s11
	s_delay_alu instid0(SALU_CYCLE_1) | instskip(SKIP_1) | instid1(SALU_CYCLE_1)
	v_cndmask_b32_e64 v32, 0, 1, s11
	s_and_b32 s11, s10, s12
	v_cndmask_b32_e64 v33, 0, 1, s11
	s_and_b32 s11, s10, s13
	s_and_b32 s10, s10, s14
	v_cndmask_b32_e64 v34, 0, 1, s11
	v_cndmask_b32_e64 v35, 0, 1, s10
	v_cmp_ne_u32_e64 s10, 0, v32
	v_cmp_ne_u32_e64 s11, 0, v33
	s_delay_alu instid0(VALU_DEP_4) | instskip(NEXT) | instid1(VALU_DEP_4)
	v_cmp_ne_u32_e64 s12, 0, v34
	v_cmp_ne_u32_e64 s13, 0, v35
	s_delay_alu instid0(VALU_DEP_4) | instskip(NEXT) | instid1(VALU_DEP_3)
	s_bcnt1_i32_b32 s10, s10
	s_bcnt1_i32_b32 s11, s11
	v_add_nc_u32_e32 v1, s10, v1
	s_bcnt1_i32_b32 s12, s12
	s_bcnt1_i32_b32 s13, s13
	v_add_nc_u32_e32 v2, s11, v2
	v_add_nc_u32_e32 v3, s12, v3
	;; [unrolled: 1-line block ×3, first 2 shown]
	s_or_b32 s16, vcc_lo, s16
	s_delay_alu instid0(SALU_CYCLE_1)
	s_and_not1_b32 exec_lo, exec_lo, s16
	s_cbranch_execnz .LBB95_54
; %bb.55:                               ;   in Loop: Header=BB95_6 Depth=1
	s_or_b32 exec_lo, exec_lo, s16
.LBB95_56:                              ;   in Loop: Header=BB95_6 Depth=1
	s_delay_alu instid0(SALU_CYCLE_1)
	s_or_b32 exec_lo, exec_lo, s15
.LBB95_57:                              ;   in Loop: Header=BB95_6 Depth=1
	s_lshl_b32 s10, s61, 7
	s_and_saveexec_b32 s11, s2
	s_cbranch_execz .LBB95_59
; %bb.58:                               ;   in Loop: Header=BB95_6 Depth=1
	v_or_b32_e32 v8, s10, v18
	s_delay_alu instid0(VALU_DEP_1)
	v_lshlrev_b32_e32 v8, 2, v8
	ds_store_b128 v8, v[1:4] offset:3072
.LBB95_59:                              ;   in Loop: Header=BB95_6 Depth=1
	s_or_b32 exec_lo, exec_lo, s11
	s_waitcnt vmcnt(0) lgkmcnt(0)
	s_barrier
	buffer_gl0_inv
	s_and_saveexec_b32 s11, s43
	s_cbranch_execz .LBB95_69
; %bb.60:                               ;   in Loop: Header=BB95_6 Depth=1
	v_mov_b32_e32 v1, 0
	s_and_not1_b32 vcc_lo, exec_lo, s46
	s_cbranch_vccnz .LBB95_68
; %bb.61:                               ;   in Loop: Header=BB95_6 Depth=1
	v_mov_b32_e32 v1, 0
	s_and_not1_b32 vcc_lo, exec_lo, s49
	s_mov_b32 s12, 0
	s_cbranch_vccnz .LBB95_65
; %bb.62:                               ;   in Loop: Header=BB95_6 Depth=1
	v_lshl_add_u32 v2, s61, 9, v25
	v_mov_b32_e32 v1, 0
	.p2align	6
.LBB95_63:                              ;   Parent Loop BB95_6 Depth=1
                                        ; =>  This Inner Loop Header: Depth=2
	ds_load_2addr_b32 v[3:4], v2 offset1:4
	ds_load_2addr_b32 v[31:32], v2 offset0:8 offset1:12
	ds_load_2addr_b32 v[33:34], v2 offset0:16 offset1:20
	;; [unrolled: 1-line block ×3, first 2 shown]
	v_add_nc_u32_e32 v2, 0x80, v2
	s_add_i32 s12, s12, 8
	s_delay_alu instid0(SALU_CYCLE_1) | instskip(SKIP_3) | instid1(VALU_DEP_1)
	s_cmp_eq_u32 s50, s12
	s_waitcnt lgkmcnt(3)
	v_add3_u32 v1, v3, v1, v4
	s_waitcnt lgkmcnt(2)
	v_add3_u32 v1, v31, v1, v32
	s_waitcnt lgkmcnt(1)
	s_delay_alu instid0(VALU_DEP_1) | instskip(SKIP_1) | instid1(VALU_DEP_1)
	v_add3_u32 v1, v33, v1, v34
	s_waitcnt lgkmcnt(0)
	v_add3_u32 v1, v35, v1, v36
	s_cbranch_scc0 .LBB95_63
; %bb.64:                               ;   in Loop: Header=BB95_6 Depth=1
	s_mov_b32 s12, s50
.LBB95_65:                              ;   in Loop: Header=BB95_6 Depth=1
	s_and_not1_b32 vcc_lo, exec_lo, s51
	s_cbranch_vccnz .LBB95_68
; %bb.66:                               ;   in Loop: Header=BB95_6 Depth=1
	s_lshl_b32 s13, s61, 9
	s_lshl_b32 s12, s12, 4
	s_delay_alu instid0(SALU_CYCLE_1)
	v_add3_u32 v2, s13, s12, v25
	s_mov_b32 s12, s48
.LBB95_67:                              ;   Parent Loop BB95_6 Depth=1
                                        ; =>  This Inner Loop Header: Depth=2
	ds_load_b32 v3, v2
	v_add_nc_u32_e32 v2, 16, v2
	s_add_i32 s12, s12, -1
	s_delay_alu instid0(SALU_CYCLE_1)
	s_cmp_lg_u32 s12, 0
	s_waitcnt lgkmcnt(0)
	v_add_nc_u32_e32 v1, v3, v1
	s_cbranch_scc1 .LBB95_67
.LBB95_68:                              ;   in Loop: Header=BB95_6 Depth=1
	v_add_lshl_u32 v2, s10, v15, 2
	ds_store_b32 v2, v1 offset:3072
.LBB95_69:                              ;   in Loop: Header=BB95_6 Depth=1
	s_or_b32 exec_lo, exec_lo, s11
	s_lshl_b32 s10, s10, 2
	s_waitcnt lgkmcnt(0)
	v_mov_b32_e32 v1, s10
	s_barrier
	buffer_gl0_inv
	s_and_b32 s17, s65, 0xfe
	v_cmp_eq_u32_e64 s10, 1, v30
	ds_load_b128 v[1:4], v1 offset:3072
	s_lshl_b32 s13, 3, s17
	s_and_not1_b32 vcc_lo, exec_lo, s42
	s_not_b32 s14, s13
	s_waitcnt lgkmcnt(0)
	v_readfirstlane_b32 s12, v1
	v_readfirstlane_b32 s16, v2
	;; [unrolled: 1-line block ×4, first 2 shown]
	s_cbranch_vccnz .LBB95_82
; %bb.70:                               ;   in Loop: Header=BB95_6 Depth=1
	s_cmp_eq_u32 s12, 1
	v_dual_mov_b32 v1, v28 :: v_dual_mov_b32 v2, v27
	v_mov_b32_e32 v3, v29
	s_cselect_b32 s11, -1, 0
	s_mov_b32 s74, -1
	s_and_b32 s73, s11, s10
                                        ; implicit-def: $sgpr15
                                        ; implicit-def: $sgpr22
                                        ; implicit-def: $sgpr21
	s_delay_alu instid0(SALU_CYCLE_1)
	s_and_saveexec_b32 s20, s73
	s_cbranch_execz .LBB95_101
; %bb.71:                               ;   in Loop: Header=BB95_6 Depth=1
	ds_load_b32 v1, v9 offset:4096
	s_waitcnt lgkmcnt(0)
	s_barrier
	buffer_gl0_inv
	v_readfirstlane_b32 s15, v1
	s_and_saveexec_b32 s11, s6
	s_cbranch_execz .LBB95_73
; %bb.72:                               ;   in Loop: Header=BB95_6 Depth=1
	ds_store_b16 v19, v9
.LBB95_73:                              ;   in Loop: Header=BB95_6 Depth=1
	s_or_b32 exec_lo, exec_lo, s11
	v_and_b32_e32 v1, s14, v28
	v_or_b32_e32 v2, s13, v27
	s_cmp_eq_u32 s15, 0
	s_waitcnt lgkmcnt(0)
	s_barrier
	buffer_gl0_inv
	s_cbranch_scc1 .LBB95_87
; %bb.74:                               ;   in Loop: Header=BB95_6 Depth=1
	s_add_i32 s11, s15, s47
                                        ; implicit-def: $vgpr3
	s_delay_alu instid0(SALU_CYCLE_1) | instskip(NEXT) | instid1(SALU_CYCLE_1)
	s_mul_hi_u32 s21, s11, s54
	s_mul_i32 s21, s21, s36
	s_delay_alu instid0(SALU_CYCLE_1) | instskip(NEXT) | instid1(SALU_CYCLE_1)
	s_sub_i32 s21, s11, s21
	s_sub_i32 s22, s21, s36
	s_cmp_ge_u32 s21, s36
	s_cselect_b32 s21, s22, s21
	s_delay_alu instid0(SALU_CYCLE_1) | instskip(SKIP_2) | instid1(SALU_CYCLE_1)
	s_sub_i32 s22, s21, s36
	s_cmp_ge_u32 s21, s36
	s_cselect_b32 s21, s22, s21
	s_sub_i32 s22, s11, s21
	s_mov_b32 s11, 0
	s_mov_b32 s21, exec_lo
	v_cmpx_gt_u32_e64 s22, v0
	s_cbranch_execz .LBB95_89
; %bb.75:                               ;   in Loop: Header=BB95_6 Depth=1
	v_dual_mov_b32 v3, v17 :: v_dual_mov_b32 v4, v0
	s_mov_b32 s23, 0
                                        ; implicit-def: $sgpr72
	s_set_inst_prefetch_distance 0x1
	s_branch .LBB95_77
	.p2align	6
.LBB95_76:                              ;   in Loop: Header=BB95_77 Depth=2
	s_or_b32 exec_lo, exec_lo, s11
	s_waitcnt lgkmcnt(0)
	s_barrier
	buffer_gl0_inv
	ds_load_b32 v8, v9 offset:3072
	v_add_nc_u32_e32 v4, s36, v4
	v_add_nc_u32_e32 v3, s58, v3
	s_waitcnt lgkmcnt(0)
	s_barrier
	buffer_gl0_inv
	v_cmp_le_u32_e32 vcc_lo, s22, v4
	v_cmp_neq_f16_e64 s11, 0, v8
	s_delay_alu instid0(VALU_DEP_1) | instskip(NEXT) | instid1(SALU_CYCLE_1)
	s_or_b32 s74, vcc_lo, s11
	s_and_b32 s74, exec_lo, s74
	s_delay_alu instid0(SALU_CYCLE_1) | instskip(SKIP_2) | instid1(SALU_CYCLE_1)
	s_or_b32 s23, s74, s23
	s_and_not1_b32 s72, s72, exec_lo
	s_and_b32 s11, s11, exec_lo
	s_or_b32 s72, s72, s11
	s_and_not1_b32 exec_lo, exec_lo, s23
	s_cbranch_execz .LBB95_88
.LBB95_77:                              ;   Parent Loop BB95_6 Depth=1
                                        ; =>  This Inner Loop Header: Depth=2
	s_delay_alu instid0(VALU_DEP_1)
	v_cmp_gt_u32_e32 vcc_lo, s15, v4
	v_mov_b32_e32 v8, 0
	s_and_saveexec_b32 s11, vcc_lo
	s_cbranch_execz .LBB95_79
; %bb.78:                               ;   in Loop: Header=BB95_77 Depth=2
	ds_load_u16 v8, v3
.LBB95_79:                              ;   in Loop: Header=BB95_77 Depth=2
	s_or_b32 exec_lo, exec_lo, s11
	s_and_saveexec_b32 s11, vcc_lo
	s_cbranch_execz .LBB95_76
; %bb.80:                               ;   in Loop: Header=BB95_77 Depth=2
	s_waitcnt lgkmcnt(0)
	v_cmp_lt_i16_e32 vcc_lo, -1, v8
	v_dual_cndmask_b32 v32, 0xffff, v26 :: v_dual_and_b32 v31, 0xffff, v8
	v_cmp_o_f16_e32 vcc_lo, v8, v8
	s_delay_alu instid0(VALU_DEP_2) | instskip(NEXT) | instid1(VALU_DEP_1)
	v_xor_b32_e32 v31, v32, v31
	v_cndmask_b32_e32 v31, 0xffff, v31, vcc_lo
	s_delay_alu instid0(VALU_DEP_1) | instskip(NEXT) | instid1(VALU_DEP_1)
	v_and_b32_e32 v31, v31, v2
	v_cmp_eq_u32_e32 vcc_lo, v31, v1
	s_and_b32 exec_lo, exec_lo, vcc_lo
	s_cbranch_execz .LBB95_76
; %bb.81:                               ;   in Loop: Header=BB95_77 Depth=2
	v_perm_b32 v8, v8, s60, 0x5040100
	ds_store_b32 v9, v8 offset:3072
	s_branch .LBB95_76
.LBB95_82:                              ;   in Loop: Header=BB95_6 Depth=1
	s_mov_b32 s20, 0
	s_mov_b32 s11, 0
                                        ; implicit-def: $sgpr21
                                        ; implicit-def: $sgpr22
                                        ; implicit-def: $sgpr15
                                        ; implicit-def: $vgpr8
                                        ; implicit-def: $vgpr4
                                        ; implicit-def: $vgpr1
                                        ; implicit-def: $vgpr2
                                        ; implicit-def: $vgpr3
	s_cbranch_execnz .LBB95_237
.LBB95_83:                              ;   in Loop: Header=BB95_6 Depth=1
	s_mov_b32 s23, s15
	s_mov_b32 s72, s15
	s_and_saveexec_b32 s10, s20
	s_cbranch_execnz .LBB95_399
	s_branch .LBB95_400
.LBB95_84:                              ;   in Loop: Header=BB95_6 Depth=1
	s_or_b32 exec_lo, exec_lo, s12
	s_waitcnt lgkmcnt(0)
	s_barrier
	buffer_gl0_inv
	s_and_saveexec_b32 s10, s5
	s_cbranch_execz .LBB95_86
; %bb.85:                               ;   in Loop: Header=BB95_6 Depth=1
	ds_load_b32 v1, v9 offset:4104
	s_waitcnt lgkmcnt(0)
	ds_store_b32 v9, v1 offset:4096
.LBB95_86:                              ;   in Loop: Header=BB95_6 Depth=1
	s_or_b32 exec_lo, exec_lo, s10
	s_waitcnt lgkmcnt(0)
	s_mov_b32 s10, -1
	s_barrier
	s_and_b32 vcc_lo, exec_lo, s72
	s_cbranch_vccnz .LBB95_21
	s_branch .LBB95_31
.LBB95_87:                              ;   in Loop: Header=BB95_6 Depth=1
	s_mov_b32 s15, -1
	s_mov_b32 s11, 0
                                        ; implicit-def: $sgpr21
                                        ; implicit-def: $vgpr3
	s_mov_b32 s22, s15
	s_cbranch_execnz .LBB95_90
	s_branch .LBB95_100
.LBB95_88:                              ;   in Loop: Header=BB95_6 Depth=1
	s_set_inst_prefetch_distance 0x2
	s_or_b32 exec_lo, exec_lo, s23
	v_lshrrev_b32_e32 v3, 16, v8
	s_and_b32 s11, s72, exec_lo
.LBB95_89:                              ;   in Loop: Header=BB95_6 Depth=1
	s_or_b32 exec_lo, exec_lo, s21
	s_mov_b32 s21, -1
	s_mov_b32 s15, 0
	s_delay_alu instid0(SALU_CYCLE_1)
	s_mov_b32 s22, s15
	s_branch .LBB95_100
.LBB95_90:                              ;   in Loop: Header=BB95_6 Depth=1
	s_mov_b32 s11, 0
                                        ; implicit-def: $vgpr3
	s_and_saveexec_b32 s15, s9
	s_cbranch_execz .LBB95_99
; %bb.91:                               ;   in Loop: Header=BB95_6 Depth=1
	v_dual_mov_b32 v8, v7 :: v_dual_mov_b32 v3, v0
	s_mov_b32 s21, 0
                                        ; implicit-def: $sgpr22
	s_branch .LBB95_93
.LBB95_92:                              ;   in Loop: Header=BB95_93 Depth=2
	s_or_b32 exec_lo, exec_lo, s11
	s_waitcnt vmcnt(0) lgkmcnt(0)
	s_barrier
	buffer_gl0_inv
	ds_load_b32 v4, v9 offset:3072
	v_add_nc_u32_e32 v3, s36, v3
	v_add_nc_u32_e32 v8, s38, v8
	s_waitcnt lgkmcnt(0)
	s_barrier
	buffer_gl0_inv
	v_cmp_le_u32_e32 vcc_lo, s55, v3
	v_cmp_neq_f16_e64 s11, 0, v4
	s_delay_alu instid0(VALU_DEP_1) | instskip(NEXT) | instid1(SALU_CYCLE_1)
	s_or_b32 s23, vcc_lo, s11
	s_and_b32 s23, exec_lo, s23
	s_delay_alu instid0(SALU_CYCLE_1) | instskip(SKIP_2) | instid1(SALU_CYCLE_1)
	s_or_b32 s21, s23, s21
	s_and_not1_b32 s22, s22, exec_lo
	s_and_b32 s11, s11, exec_lo
	s_or_b32 s22, s22, s11
	s_and_not1_b32 exec_lo, exec_lo, s21
	s_cbranch_execz .LBB95_98
.LBB95_93:                              ;   Parent Loop BB95_6 Depth=1
                                        ; =>  This Inner Loop Header: Depth=2
	s_delay_alu instid0(VALU_DEP_1)
	v_cmp_gt_u32_e32 vcc_lo, s24, v3
	v_mov_b32_e32 v4, 0
	s_and_saveexec_b32 s23, vcc_lo
	s_cbranch_execz .LBB95_95
; %bb.94:                               ;   in Loop: Header=BB95_93 Depth=2
	v_lshlrev_b64 v[31:32], 1, v[8:9]
	s_delay_alu instid0(VALU_DEP_1) | instskip(NEXT) | instid1(VALU_DEP_1)
	v_add_co_u32 v31, s11, s29, v31
	v_add_co_ci_u32_e64 v32, s11, s33, v32, s11
	global_load_u16 v4, v[31:32], off
.LBB95_95:                              ;   in Loop: Header=BB95_93 Depth=2
	s_or_b32 exec_lo, exec_lo, s23
	s_and_saveexec_b32 s11, vcc_lo
	s_cbranch_execz .LBB95_92
; %bb.96:                               ;   in Loop: Header=BB95_93 Depth=2
	s_waitcnt vmcnt(0)
	v_cmp_lt_i16_e32 vcc_lo, -1, v4
	v_dual_cndmask_b32 v32, 0xffff, v26 :: v_dual_and_b32 v31, 0xffff, v4
	v_cmp_o_f16_e32 vcc_lo, v4, v4
	s_delay_alu instid0(VALU_DEP_2) | instskip(NEXT) | instid1(VALU_DEP_1)
	v_xor_b32_e32 v31, v32, v31
	v_cndmask_b32_e32 v31, 0xffff, v31, vcc_lo
	s_delay_alu instid0(VALU_DEP_1) | instskip(NEXT) | instid1(VALU_DEP_1)
	v_and_b32_e32 v31, v31, v2
	v_cmp_eq_u32_e32 vcc_lo, v31, v1
	s_and_b32 exec_lo, exec_lo, vcc_lo
	s_cbranch_execz .LBB95_92
; %bb.97:                               ;   in Loop: Header=BB95_93 Depth=2
	v_perm_b32 v4, v4, s60, 0x5040100
	ds_store_b32 v9, v4 offset:3072
	s_branch .LBB95_92
.LBB95_98:                              ;   in Loop: Header=BB95_6 Depth=1
	s_or_b32 exec_lo, exec_lo, s21
	v_lshrrev_b32_e32 v3, 16, v4
	s_and_b32 s11, s22, exec_lo
.LBB95_99:                              ;   in Loop: Header=BB95_6 Depth=1
	s_or_b32 exec_lo, exec_lo, s15
	s_mov_b32 s22, -1
	s_mov_b32 s15, 0
	s_mov_b32 s21, 0
.LBB95_100:                             ;   in Loop: Header=BB95_6 Depth=1
	s_or_not1_b32 s74, s11, exec_lo
.LBB95_101:                             ;   in Loop: Header=BB95_6 Depth=1
	s_or_b32 exec_lo, exec_lo, s20
	s_mov_b32 s23, 0
	s_mov_b32 s20, 0
	;; [unrolled: 1-line block ×3, first 2 shown]
                                        ; implicit-def: $vgpr8
                                        ; implicit-def: $vgpr4
	s_and_saveexec_b32 s72, s74
	s_cbranch_execz .LBB95_236
; %bb.102:                              ;   in Loop: Header=BB95_6 Depth=1
	v_mov_b32_e32 v4, 1
	v_mov_b32_e32 v8, 1
	s_xor_b32 s73, s73, -1
	s_delay_alu instid0(SALU_CYCLE_1)
	s_and_saveexec_b32 s11, s73
	s_cbranch_execz .LBB95_112
; %bb.103:                              ;   in Loop: Header=BB95_6 Depth=1
	s_mov_b32 s73, exec_lo
                                        ; implicit-def: $sgpr74
                                        ; implicit-def: $sgpr20
	v_cmpx_ge_u32_e64 s12, v30
	s_xor_b32 s73, exec_lo, s73
	s_cbranch_execz .LBB95_109
; %bb.104:                              ;   in Loop: Header=BB95_6 Depth=1
	ds_load_b32 v4, v9 offset:4096
	s_waitcnt lgkmcnt(0)
	v_cmp_ne_u32_e32 vcc_lo, 0, v4
	s_cbranch_vccnz .LBB95_108
; %bb.105:                              ;   in Loop: Header=BB95_6 Depth=1
	s_and_saveexec_b32 s20, s5
	s_cbranch_execz .LBB95_107
; %bb.106:                              ;   in Loop: Header=BB95_6 Depth=1
	v_mov_b32_e32 v4, s12
	ds_store_b32 v9, v4 offset:4100
.LBB95_107:                             ;   in Loop: Header=BB95_6 Depth=1
	s_or_b32 exec_lo, exec_lo, s20
	s_waitcnt lgkmcnt(0)
	s_barrier
	buffer_gl0_inv
.LBB95_108:                             ;   in Loop: Header=BB95_6 Depth=1
	v_and_b32_e32 v1, s14, v1
	v_or_b32_e32 v2, s13, v2
	s_mov_b32 s20, 0
	s_mov_b32 s74, 8
.LBB95_109:                             ;   in Loop: Header=BB95_6 Depth=1
	s_or_saveexec_b32 s73, s73
	v_mov_b32_e32 v8, s74
	v_mov_b32_e32 v4, v30
	s_xor_b32 exec_lo, exec_lo, s73
; %bb.110:                              ;   in Loop: Header=BB95_6 Depth=1
	v_subrev_nc_u32_e32 v4, s12, v30
	v_mov_b32_e32 v8, 0
	s_or_b32 s20, s20, exec_lo
; %bb.111:                              ;   in Loop: Header=BB95_6 Depth=1
	s_or_b32 exec_lo, exec_lo, s73
	s_delay_alu instid0(SALU_CYCLE_1)
	s_and_b32 s20, s20, exec_lo
.LBB95_112:                             ;   in Loop: Header=BB95_6 Depth=1
	s_or_b32 exec_lo, exec_lo, s11
	s_mov_b32 s11, -1
                                        ; implicit-def: $sgpr73
                                        ; implicit-def: $sgpr75
                                        ; implicit-def: $sgpr76
	s_and_saveexec_b32 s74, s20
	s_delay_alu instid0(SALU_CYCLE_1)
	s_xor_b32 s20, exec_lo, s74
	s_cbranch_execz .LBB95_233
; %bb.113:                              ;   in Loop: Header=BB95_6 Depth=1
	v_cmp_eq_u32_e32 vcc_lo, 1, v4
	s_cmp_eq_u32 s16, 1
                                        ; implicit-def: $sgpr73
                                        ; implicit-def: $sgpr75
                                        ; implicit-def: $sgpr74
	s_cselect_b32 s11, -1, 0
	s_delay_alu instid0(SALU_CYCLE_1)
	s_and_b32 s77, s11, vcc_lo
	s_mov_b32 s11, -1
	s_and_saveexec_b32 s76, s77
	s_cbranch_execz .LBB95_139
; %bb.114:                              ;   in Loop: Header=BB95_6 Depth=1
	ds_load_b32 v3, v9 offset:4096
	s_waitcnt lgkmcnt(0)
	s_barrier
	buffer_gl0_inv
	v_readfirstlane_b32 s73, v3
	s_and_saveexec_b32 s11, s6
	s_cbranch_execz .LBB95_116
; %bb.115:                              ;   in Loop: Header=BB95_6 Depth=1
	ds_store_b16 v19, v9
.LBB95_116:                             ;   in Loop: Header=BB95_6 Depth=1
	s_or_b32 exec_lo, exec_lo, s11
	s_lshl_b32 s11, 1, s17
	v_or_b32_e32 v2, s13, v2
	v_and_or_b32 v1, v1, s14, s11
	s_cmp_eq_u32 s73, 0
	s_waitcnt lgkmcnt(0)
	s_barrier
	buffer_gl0_inv
	s_cbranch_scc1 .LBB95_125
; %bb.117:                              ;   in Loop: Header=BB95_6 Depth=1
	s_add_i32 s11, s73, s47
                                        ; implicit-def: $vgpr3
	s_delay_alu instid0(SALU_CYCLE_1) | instskip(NEXT) | instid1(SALU_CYCLE_1)
	s_mul_hi_u32 s74, s11, s54
	s_mul_i32 s74, s74, s36
	s_delay_alu instid0(SALU_CYCLE_1) | instskip(NEXT) | instid1(SALU_CYCLE_1)
	s_sub_i32 s74, s11, s74
	s_sub_i32 s75, s74, s36
	s_cmp_ge_u32 s74, s36
	s_cselect_b32 s74, s75, s74
	s_delay_alu instid0(SALU_CYCLE_1) | instskip(SKIP_2) | instid1(SALU_CYCLE_1)
	s_sub_i32 s75, s74, s36
	s_cmp_ge_u32 s74, s36
	s_cselect_b32 s74, s75, s74
	s_sub_i32 s75, s11, s74
	s_mov_b32 s11, 0
	s_mov_b32 s74, exec_lo
	v_cmpx_gt_u32_e64 s75, v0
	s_cbranch_execz .LBB95_127
; %bb.118:                              ;   in Loop: Header=BB95_6 Depth=1
	v_dual_mov_b32 v3, v17 :: v_dual_mov_b32 v8, v0
	s_mov_b32 s78, 0
                                        ; implicit-def: $sgpr79
	s_set_inst_prefetch_distance 0x1
	s_branch .LBB95_120
	.p2align	6
.LBB95_119:                             ;   in Loop: Header=BB95_120 Depth=2
	s_or_b32 exec_lo, exec_lo, s11
	s_waitcnt lgkmcnt(0)
	s_barrier
	buffer_gl0_inv
	ds_load_b32 v31, v9 offset:3072
	v_add_nc_u32_e32 v8, s36, v8
	v_add_nc_u32_e32 v3, s58, v3
	s_waitcnt lgkmcnt(0)
	s_barrier
	buffer_gl0_inv
	v_cmp_le_u32_e32 vcc_lo, s75, v8
	v_cmp_neq_f16_e64 s11, 0, v31
	s_delay_alu instid0(VALU_DEP_1) | instskip(NEXT) | instid1(SALU_CYCLE_1)
	s_or_b32 s80, vcc_lo, s11
	s_and_b32 s80, exec_lo, s80
	s_delay_alu instid0(SALU_CYCLE_1) | instskip(SKIP_2) | instid1(SALU_CYCLE_1)
	s_or_b32 s78, s80, s78
	s_and_not1_b32 s79, s79, exec_lo
	s_and_b32 s11, s11, exec_lo
	s_or_b32 s79, s79, s11
	s_and_not1_b32 exec_lo, exec_lo, s78
	s_cbranch_execz .LBB95_126
.LBB95_120:                             ;   Parent Loop BB95_6 Depth=1
                                        ; =>  This Inner Loop Header: Depth=2
	s_delay_alu instid0(VALU_DEP_1)
	v_cmp_gt_u32_e32 vcc_lo, s73, v8
	v_mov_b32_e32 v31, 0
	s_and_saveexec_b32 s11, vcc_lo
	s_cbranch_execz .LBB95_122
; %bb.121:                              ;   in Loop: Header=BB95_120 Depth=2
	ds_load_u16 v31, v3
.LBB95_122:                             ;   in Loop: Header=BB95_120 Depth=2
	s_or_b32 exec_lo, exec_lo, s11
	s_and_saveexec_b32 s11, vcc_lo
	s_cbranch_execz .LBB95_119
; %bb.123:                              ;   in Loop: Header=BB95_120 Depth=2
	s_waitcnt lgkmcnt(0)
	v_cmp_lt_i16_e32 vcc_lo, -1, v31
	v_dual_cndmask_b32 v33, 0xffff, v26 :: v_dual_and_b32 v32, 0xffff, v31
	v_cmp_o_f16_e32 vcc_lo, v31, v31
	s_delay_alu instid0(VALU_DEP_2) | instskip(NEXT) | instid1(VALU_DEP_1)
	v_xor_b32_e32 v32, v33, v32
	v_cndmask_b32_e32 v32, 0xffff, v32, vcc_lo
	s_delay_alu instid0(VALU_DEP_1) | instskip(NEXT) | instid1(VALU_DEP_1)
	v_and_b32_e32 v32, v32, v2
	v_cmp_eq_u32_e32 vcc_lo, v32, v1
	s_and_b32 exec_lo, exec_lo, vcc_lo
	s_cbranch_execz .LBB95_119
; %bb.124:                              ;   in Loop: Header=BB95_120 Depth=2
	v_perm_b32 v31, v31, s60, 0x5040100
	ds_store_b32 v9, v31 offset:3072
	s_branch .LBB95_119
.LBB95_125:                             ;   in Loop: Header=BB95_6 Depth=1
	s_mov_b32 s73, -1
	s_mov_b32 s11, 0
                                        ; implicit-def: $sgpr74
                                        ; implicit-def: $vgpr3
	s_mov_b32 s75, s73
	s_cbranch_execnz .LBB95_128
	s_branch .LBB95_138
.LBB95_126:                             ;   in Loop: Header=BB95_6 Depth=1
	s_set_inst_prefetch_distance 0x2
	s_or_b32 exec_lo, exec_lo, s78
	v_lshrrev_b32_e32 v3, 16, v31
	s_and_b32 s11, s79, exec_lo
.LBB95_127:                             ;   in Loop: Header=BB95_6 Depth=1
	s_or_b32 exec_lo, exec_lo, s74
	s_mov_b32 s74, -1
	s_mov_b32 s73, 0
	s_delay_alu instid0(SALU_CYCLE_1)
	s_mov_b32 s75, s73
	s_branch .LBB95_138
.LBB95_128:                             ;   in Loop: Header=BB95_6 Depth=1
	s_mov_b32 s11, 0
                                        ; implicit-def: $vgpr3
	s_and_saveexec_b32 s73, s9
	s_cbranch_execz .LBB95_137
; %bb.129:                              ;   in Loop: Header=BB95_6 Depth=1
	v_dual_mov_b32 v8, v7 :: v_dual_mov_b32 v3, v0
	s_mov_b32 s74, 0
                                        ; implicit-def: $sgpr75
	s_branch .LBB95_131
.LBB95_130:                             ;   in Loop: Header=BB95_131 Depth=2
	s_or_b32 exec_lo, exec_lo, s11
	s_waitcnt vmcnt(0) lgkmcnt(0)
	s_barrier
	buffer_gl0_inv
	ds_load_b32 v31, v9 offset:3072
	v_add_nc_u32_e32 v3, s36, v3
	v_add_nc_u32_e32 v8, s38, v8
	s_waitcnt lgkmcnt(0)
	s_barrier
	buffer_gl0_inv
	v_cmp_le_u32_e32 vcc_lo, s55, v3
	v_cmp_neq_f16_e64 s11, 0, v31
	s_delay_alu instid0(VALU_DEP_1) | instskip(NEXT) | instid1(SALU_CYCLE_1)
	s_or_b32 s78, vcc_lo, s11
	s_and_b32 s78, exec_lo, s78
	s_delay_alu instid0(SALU_CYCLE_1) | instskip(SKIP_2) | instid1(SALU_CYCLE_1)
	s_or_b32 s74, s78, s74
	s_and_not1_b32 s75, s75, exec_lo
	s_and_b32 s11, s11, exec_lo
	s_or_b32 s75, s75, s11
	s_and_not1_b32 exec_lo, exec_lo, s74
	s_cbranch_execz .LBB95_136
.LBB95_131:                             ;   Parent Loop BB95_6 Depth=1
                                        ; =>  This Inner Loop Header: Depth=2
	s_delay_alu instid0(VALU_DEP_1)
	v_cmp_gt_u32_e32 vcc_lo, s24, v3
	v_mov_b32_e32 v31, 0
	s_and_saveexec_b32 s78, vcc_lo
	s_cbranch_execz .LBB95_133
; %bb.132:                              ;   in Loop: Header=BB95_131 Depth=2
	v_lshlrev_b64 v[31:32], 1, v[8:9]
	s_delay_alu instid0(VALU_DEP_1) | instskip(NEXT) | instid1(VALU_DEP_1)
	v_add_co_u32 v31, s11, s29, v31
	v_add_co_ci_u32_e64 v32, s11, s33, v32, s11
	global_load_u16 v31, v[31:32], off
.LBB95_133:                             ;   in Loop: Header=BB95_131 Depth=2
	s_or_b32 exec_lo, exec_lo, s78
	s_and_saveexec_b32 s11, vcc_lo
	s_cbranch_execz .LBB95_130
; %bb.134:                              ;   in Loop: Header=BB95_131 Depth=2
	s_waitcnt vmcnt(0)
	v_cmp_lt_i16_e32 vcc_lo, -1, v31
	v_dual_cndmask_b32 v33, 0xffff, v26 :: v_dual_and_b32 v32, 0xffff, v31
	v_cmp_o_f16_e32 vcc_lo, v31, v31
	s_delay_alu instid0(VALU_DEP_2) | instskip(NEXT) | instid1(VALU_DEP_1)
	v_xor_b32_e32 v32, v33, v32
	v_cndmask_b32_e32 v32, 0xffff, v32, vcc_lo
	s_delay_alu instid0(VALU_DEP_1) | instskip(NEXT) | instid1(VALU_DEP_1)
	v_and_b32_e32 v32, v32, v2
	v_cmp_eq_u32_e32 vcc_lo, v32, v1
	s_and_b32 exec_lo, exec_lo, vcc_lo
	s_cbranch_execz .LBB95_130
; %bb.135:                              ;   in Loop: Header=BB95_131 Depth=2
	v_perm_b32 v31, v31, s60, 0x5040100
	ds_store_b32 v9, v31 offset:3072
	s_branch .LBB95_130
.LBB95_136:                             ;   in Loop: Header=BB95_6 Depth=1
	s_or_b32 exec_lo, exec_lo, s74
	v_lshrrev_b32_e32 v3, 16, v31
	s_and_b32 s11, s75, exec_lo
.LBB95_137:                             ;   in Loop: Header=BB95_6 Depth=1
	s_or_b32 exec_lo, exec_lo, s73
	s_mov_b32 s75, -1
	s_mov_b32 s73, 0
	s_mov_b32 s74, 0
.LBB95_138:                             ;   in Loop: Header=BB95_6 Depth=1
	s_or_not1_b32 s11, s11, exec_lo
.LBB95_139:                             ;   in Loop: Header=BB95_6 Depth=1
	s_or_b32 exec_lo, exec_lo, s76
	s_mov_b32 s78, 0
                                        ; implicit-def: $vgpr8
	s_and_saveexec_b32 s76, s11
	s_cbranch_execz .LBB95_232
; %bb.140:                              ;   in Loop: Header=BB95_6 Depth=1
	v_dual_mov_b32 v31, 1 :: v_dual_mov_b32 v8, 1
	s_xor_b32 s77, s77, -1
	s_mov_b32 s79, 0
	s_and_saveexec_b32 s11, s77
	s_cbranch_execz .LBB95_150
; %bb.141:                              ;   in Loop: Header=BB95_6 Depth=1
	s_mov_b32 s78, exec_lo
                                        ; implicit-def: $sgpr79
                                        ; implicit-def: $sgpr77
	v_cmpx_ge_u32_e64 s16, v4
	s_xor_b32 s78, exec_lo, s78
	s_cbranch_execz .LBB95_147
; %bb.142:                              ;   in Loop: Header=BB95_6 Depth=1
	ds_load_b32 v8, v9 offset:4096
	s_waitcnt lgkmcnt(0)
	v_cmp_ne_u32_e32 vcc_lo, 0, v8
	s_cbranch_vccnz .LBB95_146
; %bb.143:                              ;   in Loop: Header=BB95_6 Depth=1
	s_and_saveexec_b32 s77, s5
	s_cbranch_execz .LBB95_145
; %bb.144:                              ;   in Loop: Header=BB95_6 Depth=1
	v_mov_b32_e32 v8, s16
	ds_store_b32 v9, v8 offset:4100
.LBB95_145:                             ;   in Loop: Header=BB95_6 Depth=1
	s_or_b32 exec_lo, exec_lo, s77
	s_waitcnt lgkmcnt(0)
	s_barrier
	buffer_gl0_inv
.LBB95_146:                             ;   in Loop: Header=BB95_6 Depth=1
	s_lshl_b32 s77, 1, s17
	v_or_b32_e32 v2, s13, v2
	v_and_or_b32 v1, v1, s14, s77
	s_mov_b32 s77, 0
	s_mov_b32 s79, 8
.LBB95_147:                             ;   in Loop: Header=BB95_6 Depth=1
	s_or_saveexec_b32 s78, s78
	v_mov_b32_e32 v8, s79
	s_xor_b32 exec_lo, exec_lo, s78
; %bb.148:                              ;   in Loop: Header=BB95_6 Depth=1
	v_subrev_nc_u32_e32 v4, s16, v4
	v_mov_b32_e32 v8, 0
	s_or_b32 s77, s77, exec_lo
; %bb.149:                              ;   in Loop: Header=BB95_6 Depth=1
	s_or_b32 exec_lo, exec_lo, s78
	s_delay_alu instid0(VALU_DEP_2)
	v_mov_b32_e32 v31, v4
	s_and_b32 s79, s77, exec_lo
.LBB95_150:                             ;   in Loop: Header=BB95_6 Depth=1
	s_or_b32 exec_lo, exec_lo, s11
	s_mov_b32 s11, -1
                                        ; implicit-def: $sgpr78
                                        ; implicit-def: $sgpr80
                                        ; implicit-def: $sgpr81
	s_and_saveexec_b32 s77, s79
	s_cbranch_execz .LBB95_231
; %bb.151:                              ;   in Loop: Header=BB95_6 Depth=1
	v_cmp_eq_u32_e32 vcc_lo, 1, v31
	s_cmp_eq_u32 s18, 1
                                        ; implicit-def: $sgpr78
                                        ; implicit-def: $sgpr80
                                        ; implicit-def: $sgpr79
	s_cselect_b32 s11, -1, 0
	s_delay_alu instid0(SALU_CYCLE_1)
	s_and_b32 s82, s11, vcc_lo
	s_mov_b32 s11, -1
	s_and_saveexec_b32 s81, s82
	s_cbranch_execz .LBB95_177
; %bb.152:                              ;   in Loop: Header=BB95_6 Depth=1
	ds_load_b32 v3, v9 offset:4096
	s_waitcnt lgkmcnt(0)
	s_barrier
	buffer_gl0_inv
	v_readfirstlane_b32 s78, v3
	s_and_saveexec_b32 s11, s6
	s_cbranch_execz .LBB95_154
; %bb.153:                              ;   in Loop: Header=BB95_6 Depth=1
	ds_store_b16 v19, v9
.LBB95_154:                             ;   in Loop: Header=BB95_6 Depth=1
	s_or_b32 exec_lo, exec_lo, s11
	s_lshl_b32 s11, 2, s17
	v_or_b32_e32 v2, s13, v2
	v_and_or_b32 v1, v1, s14, s11
	s_cmp_eq_u32 s78, 0
	s_waitcnt lgkmcnt(0)
	s_barrier
	buffer_gl0_inv
	s_cbranch_scc1 .LBB95_163
; %bb.155:                              ;   in Loop: Header=BB95_6 Depth=1
	s_add_i32 s11, s78, s47
                                        ; implicit-def: $vgpr3
	s_delay_alu instid0(SALU_CYCLE_1) | instskip(NEXT) | instid1(SALU_CYCLE_1)
	s_mul_hi_u32 s79, s11, s54
	s_mul_i32 s79, s79, s36
	s_delay_alu instid0(SALU_CYCLE_1) | instskip(NEXT) | instid1(SALU_CYCLE_1)
	s_sub_i32 s79, s11, s79
	s_sub_i32 s80, s79, s36
	s_cmp_ge_u32 s79, s36
	s_cselect_b32 s79, s80, s79
	s_delay_alu instid0(SALU_CYCLE_1) | instskip(SKIP_2) | instid1(SALU_CYCLE_1)
	s_sub_i32 s80, s79, s36
	s_cmp_ge_u32 s79, s36
	s_cselect_b32 s79, s80, s79
	s_sub_i32 s80, s11, s79
	s_mov_b32 s11, 0
	s_mov_b32 s79, exec_lo
	v_cmpx_gt_u32_e64 s80, v0
	s_cbranch_execz .LBB95_165
; %bb.156:                              ;   in Loop: Header=BB95_6 Depth=1
	v_dual_mov_b32 v3, v17 :: v_dual_mov_b32 v4, v0
	s_mov_b32 s83, 0
                                        ; implicit-def: $sgpr84
	s_set_inst_prefetch_distance 0x1
	s_branch .LBB95_158
	.p2align	6
.LBB95_157:                             ;   in Loop: Header=BB95_158 Depth=2
	s_or_b32 exec_lo, exec_lo, s11
	s_waitcnt lgkmcnt(0)
	s_barrier
	buffer_gl0_inv
	ds_load_b32 v8, v9 offset:3072
	v_add_nc_u32_e32 v4, s36, v4
	v_add_nc_u32_e32 v3, s58, v3
	s_waitcnt lgkmcnt(0)
	s_barrier
	buffer_gl0_inv
	v_cmp_le_u32_e32 vcc_lo, s80, v4
	v_cmp_neq_f16_e64 s11, 0, v8
	s_delay_alu instid0(VALU_DEP_1) | instskip(NEXT) | instid1(SALU_CYCLE_1)
	s_or_b32 s85, vcc_lo, s11
	s_and_b32 s85, exec_lo, s85
	s_delay_alu instid0(SALU_CYCLE_1) | instskip(SKIP_2) | instid1(SALU_CYCLE_1)
	s_or_b32 s83, s85, s83
	s_and_not1_b32 s84, s84, exec_lo
	s_and_b32 s11, s11, exec_lo
	s_or_b32 s84, s84, s11
	s_and_not1_b32 exec_lo, exec_lo, s83
	s_cbranch_execz .LBB95_164
.LBB95_158:                             ;   Parent Loop BB95_6 Depth=1
                                        ; =>  This Inner Loop Header: Depth=2
	s_delay_alu instid0(VALU_DEP_1)
	v_cmp_gt_u32_e32 vcc_lo, s78, v4
	v_mov_b32_e32 v8, 0
	s_and_saveexec_b32 s11, vcc_lo
	s_cbranch_execz .LBB95_160
; %bb.159:                              ;   in Loop: Header=BB95_158 Depth=2
	ds_load_u16 v8, v3
.LBB95_160:                             ;   in Loop: Header=BB95_158 Depth=2
	s_or_b32 exec_lo, exec_lo, s11
	s_and_saveexec_b32 s11, vcc_lo
	s_cbranch_execz .LBB95_157
; %bb.161:                              ;   in Loop: Header=BB95_158 Depth=2
	s_waitcnt lgkmcnt(0)
	v_cmp_lt_i16_e32 vcc_lo, -1, v8
	v_dual_cndmask_b32 v33, 0xffff, v26 :: v_dual_and_b32 v32, 0xffff, v8
	v_cmp_o_f16_e32 vcc_lo, v8, v8
	s_delay_alu instid0(VALU_DEP_2) | instskip(NEXT) | instid1(VALU_DEP_1)
	v_xor_b32_e32 v32, v33, v32
	v_cndmask_b32_e32 v32, 0xffff, v32, vcc_lo
	s_delay_alu instid0(VALU_DEP_1) | instskip(NEXT) | instid1(VALU_DEP_1)
	v_and_b32_e32 v32, v32, v2
	v_cmp_eq_u32_e32 vcc_lo, v32, v1
	s_and_b32 exec_lo, exec_lo, vcc_lo
	s_cbranch_execz .LBB95_157
; %bb.162:                              ;   in Loop: Header=BB95_158 Depth=2
	v_perm_b32 v8, v8, s60, 0x5040100
	ds_store_b32 v9, v8 offset:3072
	s_branch .LBB95_157
.LBB95_163:                             ;   in Loop: Header=BB95_6 Depth=1
	s_mov_b32 s78, -1
	s_mov_b32 s11, 0
                                        ; implicit-def: $sgpr79
                                        ; implicit-def: $vgpr3
	s_mov_b32 s80, s78
	s_cbranch_execnz .LBB95_166
	s_branch .LBB95_176
.LBB95_164:                             ;   in Loop: Header=BB95_6 Depth=1
	s_set_inst_prefetch_distance 0x2
	s_or_b32 exec_lo, exec_lo, s83
	v_lshrrev_b32_e32 v3, 16, v8
	s_and_b32 s11, s84, exec_lo
.LBB95_165:                             ;   in Loop: Header=BB95_6 Depth=1
	s_or_b32 exec_lo, exec_lo, s79
	s_mov_b32 s79, -1
	s_mov_b32 s78, 0
	s_delay_alu instid0(SALU_CYCLE_1)
	s_mov_b32 s80, s78
	s_branch .LBB95_176
.LBB95_166:                             ;   in Loop: Header=BB95_6 Depth=1
	s_mov_b32 s11, 0
                                        ; implicit-def: $vgpr3
	s_and_saveexec_b32 s78, s9
	s_cbranch_execz .LBB95_175
; %bb.167:                              ;   in Loop: Header=BB95_6 Depth=1
	v_dual_mov_b32 v8, v7 :: v_dual_mov_b32 v3, v0
	s_mov_b32 s79, 0
                                        ; implicit-def: $sgpr80
	s_branch .LBB95_169
.LBB95_168:                             ;   in Loop: Header=BB95_169 Depth=2
	s_or_b32 exec_lo, exec_lo, s11
	s_waitcnt vmcnt(0) lgkmcnt(0)
	s_barrier
	buffer_gl0_inv
	ds_load_b32 v4, v9 offset:3072
	v_add_nc_u32_e32 v3, s36, v3
	v_add_nc_u32_e32 v8, s38, v8
	s_waitcnt lgkmcnt(0)
	s_barrier
	buffer_gl0_inv
	v_cmp_le_u32_e32 vcc_lo, s55, v3
	v_cmp_neq_f16_e64 s11, 0, v4
	s_delay_alu instid0(VALU_DEP_1) | instskip(NEXT) | instid1(SALU_CYCLE_1)
	s_or_b32 s83, vcc_lo, s11
	s_and_b32 s83, exec_lo, s83
	s_delay_alu instid0(SALU_CYCLE_1) | instskip(SKIP_2) | instid1(SALU_CYCLE_1)
	s_or_b32 s79, s83, s79
	s_and_not1_b32 s80, s80, exec_lo
	s_and_b32 s11, s11, exec_lo
	s_or_b32 s80, s80, s11
	s_and_not1_b32 exec_lo, exec_lo, s79
	s_cbranch_execz .LBB95_174
.LBB95_169:                             ;   Parent Loop BB95_6 Depth=1
                                        ; =>  This Inner Loop Header: Depth=2
	s_delay_alu instid0(VALU_DEP_1)
	v_cmp_gt_u32_e32 vcc_lo, s24, v3
	v_mov_b32_e32 v4, 0
	s_and_saveexec_b32 s83, vcc_lo
	s_cbranch_execz .LBB95_171
; %bb.170:                              ;   in Loop: Header=BB95_169 Depth=2
	v_lshlrev_b64 v[32:33], 1, v[8:9]
	s_delay_alu instid0(VALU_DEP_1) | instskip(NEXT) | instid1(VALU_DEP_1)
	v_add_co_u32 v32, s11, s29, v32
	v_add_co_ci_u32_e64 v33, s11, s33, v33, s11
	global_load_u16 v4, v[32:33], off
.LBB95_171:                             ;   in Loop: Header=BB95_169 Depth=2
	s_or_b32 exec_lo, exec_lo, s83
	s_and_saveexec_b32 s11, vcc_lo
	s_cbranch_execz .LBB95_168
; %bb.172:                              ;   in Loop: Header=BB95_169 Depth=2
	s_waitcnt vmcnt(0)
	v_cmp_lt_i16_e32 vcc_lo, -1, v4
	v_dual_cndmask_b32 v33, 0xffff, v26 :: v_dual_and_b32 v32, 0xffff, v4
	v_cmp_o_f16_e32 vcc_lo, v4, v4
	s_delay_alu instid0(VALU_DEP_2) | instskip(NEXT) | instid1(VALU_DEP_1)
	v_xor_b32_e32 v32, v33, v32
	v_cndmask_b32_e32 v32, 0xffff, v32, vcc_lo
	s_delay_alu instid0(VALU_DEP_1) | instskip(NEXT) | instid1(VALU_DEP_1)
	v_and_b32_e32 v32, v32, v2
	v_cmp_eq_u32_e32 vcc_lo, v32, v1
	s_and_b32 exec_lo, exec_lo, vcc_lo
	s_cbranch_execz .LBB95_168
; %bb.173:                              ;   in Loop: Header=BB95_169 Depth=2
	v_perm_b32 v4, v4, s60, 0x5040100
	ds_store_b32 v9, v4 offset:3072
	s_branch .LBB95_168
.LBB95_174:                             ;   in Loop: Header=BB95_6 Depth=1
	s_or_b32 exec_lo, exec_lo, s79
	v_lshrrev_b32_e32 v3, 16, v4
	s_and_b32 s11, s80, exec_lo
.LBB95_175:                             ;   in Loop: Header=BB95_6 Depth=1
	s_or_b32 exec_lo, exec_lo, s78
	s_mov_b32 s80, -1
	s_mov_b32 s78, 0
	s_mov_b32 s79, 0
.LBB95_176:                             ;   in Loop: Header=BB95_6 Depth=1
	s_or_not1_b32 s11, s11, exec_lo
.LBB95_177:                             ;   in Loop: Header=BB95_6 Depth=1
	s_or_b32 exec_lo, exec_lo, s81
	s_mov_b32 s83, 0
                                        ; implicit-def: $vgpr8
	s_and_saveexec_b32 s81, s11
	s_cbranch_execz .LBB95_230
; %bb.178:                              ;   in Loop: Header=BB95_6 Depth=1
	v_mov_b32_e32 v4, 1
	v_mov_b32_e32 v8, 1
	s_xor_b32 s82, s82, -1
	s_mov_b32 s84, 0
	s_and_saveexec_b32 s11, s82
	s_cbranch_execz .LBB95_188
; %bb.179:                              ;   in Loop: Header=BB95_6 Depth=1
	s_mov_b32 s83, exec_lo
                                        ; implicit-def: $sgpr84
                                        ; implicit-def: $sgpr82
	v_cmpx_ge_u32_e64 s18, v31
	s_xor_b32 s83, exec_lo, s83
	s_cbranch_execz .LBB95_185
; %bb.180:                              ;   in Loop: Header=BB95_6 Depth=1
	ds_load_b32 v4, v9 offset:4096
	s_waitcnt lgkmcnt(0)
	v_cmp_ne_u32_e32 vcc_lo, 0, v4
	s_cbranch_vccnz .LBB95_184
; %bb.181:                              ;   in Loop: Header=BB95_6 Depth=1
	s_and_saveexec_b32 s82, s5
	s_cbranch_execz .LBB95_183
; %bb.182:                              ;   in Loop: Header=BB95_6 Depth=1
	v_mov_b32_e32 v4, s18
	ds_store_b32 v9, v4 offset:4100
.LBB95_183:                             ;   in Loop: Header=BB95_6 Depth=1
	s_or_b32 exec_lo, exec_lo, s82
	s_waitcnt lgkmcnt(0)
	s_barrier
	buffer_gl0_inv
.LBB95_184:                             ;   in Loop: Header=BB95_6 Depth=1
	s_lshl_b32 s82, 2, s17
	v_or_b32_e32 v2, s13, v2
	v_and_or_b32 v1, v1, s14, s82
	s_mov_b32 s82, 0
	s_mov_b32 s84, 8
.LBB95_185:                             ;   in Loop: Header=BB95_6 Depth=1
	s_or_saveexec_b32 s83, s83
	v_mov_b32_e32 v8, s84
	s_xor_b32 exec_lo, exec_lo, s83
; %bb.186:                              ;   in Loop: Header=BB95_6 Depth=1
	v_subrev_nc_u32_e32 v31, s18, v31
	v_mov_b32_e32 v8, 0
	s_or_b32 s82, s82, exec_lo
; %bb.187:                              ;   in Loop: Header=BB95_6 Depth=1
	s_or_b32 exec_lo, exec_lo, s83
	s_delay_alu instid0(VALU_DEP_2)
	v_mov_b32_e32 v4, v31
	s_and_b32 s84, s82, exec_lo
.LBB95_188:                             ;   in Loop: Header=BB95_6 Depth=1
	s_or_b32 exec_lo, exec_lo, s11
	s_mov_b32 s83, -1
                                        ; implicit-def: $sgpr11
                                        ; implicit-def: $sgpr86
                                        ; implicit-def: $sgpr85
	s_and_saveexec_b32 s82, s84
	s_cbranch_execz .LBB95_229
; %bb.189:                              ;   in Loop: Header=BB95_6 Depth=1
	v_cmp_eq_u32_e32 vcc_lo, 1, v4
	s_cmp_eq_u32 s19, 1
	s_mov_b32 s87, -1
	s_cselect_b32 s11, -1, 0
                                        ; implicit-def: $sgpr86
                                        ; implicit-def: $sgpr85
	s_delay_alu instid0(SALU_CYCLE_1) | instskip(NEXT) | instid1(SALU_CYCLE_1)
	s_and_b32 s83, s11, vcc_lo
                                        ; implicit-def: $sgpr11
	s_and_saveexec_b32 s84, s83
	s_cbranch_execz .LBB95_216
; %bb.190:                              ;   in Loop: Header=BB95_6 Depth=1
	ds_load_b32 v3, v9 offset:4096
	s_waitcnt lgkmcnt(0)
	s_barrier
	buffer_gl0_inv
	v_readfirstlane_b32 s85, v3
	s_and_saveexec_b32 s11, s6
	s_cbranch_execz .LBB95_192
; %bb.191:                              ;   in Loop: Header=BB95_6 Depth=1
	ds_store_b16 v19, v9
.LBB95_192:                             ;   in Loop: Header=BB95_6 Depth=1
	s_or_b32 exec_lo, exec_lo, s11
	v_or_b32_e32 v1, s13, v1
	v_or_b32_e32 v2, s13, v2
	s_cmp_eq_u32 s85, 0
	s_waitcnt lgkmcnt(0)
	s_barrier
	buffer_gl0_inv
	s_cbranch_scc1 .LBB95_201
; %bb.193:                              ;   in Loop: Header=BB95_6 Depth=1
	s_add_i32 s11, s85, s47
                                        ; implicit-def: $vgpr3
	s_delay_alu instid0(SALU_CYCLE_1) | instskip(NEXT) | instid1(SALU_CYCLE_1)
	s_mul_hi_u32 s86, s11, s54
	s_mul_i32 s86, s86, s36
	s_delay_alu instid0(SALU_CYCLE_1) | instskip(NEXT) | instid1(SALU_CYCLE_1)
	s_sub_i32 s86, s11, s86
	s_sub_i32 s87, s86, s36
	s_cmp_ge_u32 s86, s36
	s_cselect_b32 s86, s87, s86
	s_delay_alu instid0(SALU_CYCLE_1)
	s_sub_i32 s87, s86, s36
	s_cmp_ge_u32 s86, s36
	s_cselect_b32 s86, s87, s86
	s_mov_b32 s87, 0
	s_sub_i32 s88, s11, s86
	s_mov_b32 s86, exec_lo
	v_cmpx_gt_u32_e64 s88, v0
	s_cbranch_execz .LBB95_203
; %bb.194:                              ;   in Loop: Header=BB95_6 Depth=1
	v_dual_mov_b32 v3, v17 :: v_dual_mov_b32 v8, v0
                                        ; implicit-def: $sgpr89
	s_set_inst_prefetch_distance 0x1
	s_branch .LBB95_196
	.p2align	6
.LBB95_195:                             ;   in Loop: Header=BB95_196 Depth=2
	s_or_b32 exec_lo, exec_lo, s11
	s_waitcnt lgkmcnt(0)
	s_barrier
	buffer_gl0_inv
	ds_load_b32 v31, v9 offset:3072
	v_add_nc_u32_e32 v8, s36, v8
	v_add_nc_u32_e32 v3, s58, v3
	s_waitcnt lgkmcnt(0)
	s_barrier
	buffer_gl0_inv
	v_cmp_le_u32_e32 vcc_lo, s88, v8
	v_cmp_neq_f16_e64 s11, 0, v31
	s_delay_alu instid0(VALU_DEP_1) | instskip(NEXT) | instid1(SALU_CYCLE_1)
	s_or_b32 s90, vcc_lo, s11
	s_and_b32 s90, exec_lo, s90
	s_delay_alu instid0(SALU_CYCLE_1) | instskip(SKIP_2) | instid1(SALU_CYCLE_1)
	s_or_b32 s87, s90, s87
	s_and_not1_b32 s89, s89, exec_lo
	s_and_b32 s11, s11, exec_lo
	s_or_b32 s89, s89, s11
	s_and_not1_b32 exec_lo, exec_lo, s87
	s_cbranch_execz .LBB95_202
.LBB95_196:                             ;   Parent Loop BB95_6 Depth=1
                                        ; =>  This Inner Loop Header: Depth=2
	s_delay_alu instid0(VALU_DEP_1)
	v_cmp_gt_u32_e32 vcc_lo, s85, v8
	v_mov_b32_e32 v31, 0
	s_and_saveexec_b32 s11, vcc_lo
	s_cbranch_execz .LBB95_198
; %bb.197:                              ;   in Loop: Header=BB95_196 Depth=2
	ds_load_u16 v31, v3
.LBB95_198:                             ;   in Loop: Header=BB95_196 Depth=2
	s_or_b32 exec_lo, exec_lo, s11
	s_and_saveexec_b32 s11, vcc_lo
	s_cbranch_execz .LBB95_195
; %bb.199:                              ;   in Loop: Header=BB95_196 Depth=2
	s_waitcnt lgkmcnt(0)
	v_cmp_lt_i16_e32 vcc_lo, -1, v31
	v_dual_cndmask_b32 v33, 0xffff, v26 :: v_dual_and_b32 v32, 0xffff, v31
	v_cmp_o_f16_e32 vcc_lo, v31, v31
	s_delay_alu instid0(VALU_DEP_2) | instskip(NEXT) | instid1(VALU_DEP_1)
	v_xor_b32_e32 v32, v33, v32
	v_cndmask_b32_e32 v32, 0xffff, v32, vcc_lo
	s_delay_alu instid0(VALU_DEP_1) | instskip(NEXT) | instid1(VALU_DEP_1)
	v_and_b32_e32 v32, v32, v2
	v_cmp_eq_u32_e32 vcc_lo, v32, v1
	s_and_b32 exec_lo, exec_lo, vcc_lo
	s_cbranch_execz .LBB95_195
; %bb.200:                              ;   in Loop: Header=BB95_196 Depth=2
	v_perm_b32 v31, v31, s60, 0x5040100
	ds_store_b32 v9, v31 offset:3072
	s_branch .LBB95_195
.LBB95_201:                             ;   in Loop: Header=BB95_6 Depth=1
	s_mov_b32 s11, -1
	s_mov_b32 s87, 0
                                        ; implicit-def: $sgpr85
                                        ; implicit-def: $vgpr3
	s_branch .LBB95_204
.LBB95_202:                             ;   in Loop: Header=BB95_6 Depth=1
	s_set_inst_prefetch_distance 0x2
	s_or_b32 exec_lo, exec_lo, s87
	v_lshrrev_b32_e32 v3, 16, v31
	s_and_b32 s87, s89, exec_lo
.LBB95_203:                             ;   in Loop: Header=BB95_6 Depth=1
	s_or_b32 exec_lo, exec_lo, s86
	s_mov_b32 s85, -1
	s_mov_b32 s11, 0
.LBB95_204:                             ;   in Loop: Header=BB95_6 Depth=1
	s_delay_alu instid0(SALU_CYCLE_1)
	s_and_b32 vcc_lo, exec_lo, s11
	s_mov_b32 s86, s11
	s_cbranch_vccz .LBB95_215
; %bb.205:                              ;   in Loop: Header=BB95_6 Depth=1
	s_mov_b32 s87, 0
                                        ; implicit-def: $vgpr3
	s_and_saveexec_b32 s85, s9
	s_cbranch_execz .LBB95_214
; %bb.206:                              ;   in Loop: Header=BB95_6 Depth=1
	v_dual_mov_b32 v8, v7 :: v_dual_mov_b32 v3, v0
	s_mov_b32 s86, 0
                                        ; implicit-def: $sgpr87
	s_branch .LBB95_208
.LBB95_207:                             ;   in Loop: Header=BB95_208 Depth=2
	s_or_b32 exec_lo, exec_lo, s11
	s_waitcnt vmcnt(0) lgkmcnt(0)
	s_barrier
	buffer_gl0_inv
	ds_load_b32 v31, v9 offset:3072
	v_add_nc_u32_e32 v3, s36, v3
	v_add_nc_u32_e32 v8, s38, v8
	s_waitcnt lgkmcnt(0)
	s_barrier
	buffer_gl0_inv
	v_cmp_le_u32_e32 vcc_lo, s55, v3
	v_cmp_neq_f16_e64 s11, 0, v31
	s_delay_alu instid0(VALU_DEP_1) | instskip(NEXT) | instid1(SALU_CYCLE_1)
	s_or_b32 s88, vcc_lo, s11
	s_and_b32 s88, exec_lo, s88
	s_delay_alu instid0(SALU_CYCLE_1) | instskip(SKIP_2) | instid1(SALU_CYCLE_1)
	s_or_b32 s86, s88, s86
	s_and_not1_b32 s87, s87, exec_lo
	s_and_b32 s11, s11, exec_lo
	s_or_b32 s87, s87, s11
	s_and_not1_b32 exec_lo, exec_lo, s86
	s_cbranch_execz .LBB95_213
.LBB95_208:                             ;   Parent Loop BB95_6 Depth=1
                                        ; =>  This Inner Loop Header: Depth=2
	s_delay_alu instid0(VALU_DEP_1)
	v_cmp_gt_u32_e32 vcc_lo, s24, v3
	v_mov_b32_e32 v31, 0
	s_and_saveexec_b32 s88, vcc_lo
	s_cbranch_execz .LBB95_210
; %bb.209:                              ;   in Loop: Header=BB95_208 Depth=2
	v_lshlrev_b64 v[31:32], 1, v[8:9]
	s_delay_alu instid0(VALU_DEP_1) | instskip(NEXT) | instid1(VALU_DEP_1)
	v_add_co_u32 v31, s11, s29, v31
	v_add_co_ci_u32_e64 v32, s11, s33, v32, s11
	global_load_u16 v31, v[31:32], off
.LBB95_210:                             ;   in Loop: Header=BB95_208 Depth=2
	s_or_b32 exec_lo, exec_lo, s88
	s_and_saveexec_b32 s11, vcc_lo
	s_cbranch_execz .LBB95_207
; %bb.211:                              ;   in Loop: Header=BB95_208 Depth=2
	s_waitcnt vmcnt(0)
	v_cmp_lt_i16_e32 vcc_lo, -1, v31
	v_dual_cndmask_b32 v33, 0xffff, v26 :: v_dual_and_b32 v32, 0xffff, v31
	v_cmp_o_f16_e32 vcc_lo, v31, v31
	s_delay_alu instid0(VALU_DEP_2) | instskip(NEXT) | instid1(VALU_DEP_1)
	v_xor_b32_e32 v32, v33, v32
	v_cndmask_b32_e32 v32, 0xffff, v32, vcc_lo
	s_delay_alu instid0(VALU_DEP_1) | instskip(NEXT) | instid1(VALU_DEP_1)
	v_and_b32_e32 v32, v32, v2
	v_cmp_eq_u32_e32 vcc_lo, v32, v1
	s_and_b32 exec_lo, exec_lo, vcc_lo
	s_cbranch_execz .LBB95_207
; %bb.212:                              ;   in Loop: Header=BB95_208 Depth=2
	v_perm_b32 v31, v31, s60, 0x5040100
	ds_store_b32 v9, v31 offset:3072
	s_branch .LBB95_207
.LBB95_213:                             ;   in Loop: Header=BB95_6 Depth=1
	s_or_b32 exec_lo, exec_lo, s86
	v_lshrrev_b32_e32 v3, 16, v31
	s_and_b32 s87, s87, exec_lo
.LBB95_214:                             ;   in Loop: Header=BB95_6 Depth=1
	s_or_b32 exec_lo, exec_lo, s85
	s_mov_b32 s86, -1
	s_mov_b32 s11, 0
	s_mov_b32 s85, 0
.LBB95_215:                             ;   in Loop: Header=BB95_6 Depth=1
	s_or_not1_b32 s87, s87, exec_lo
.LBB95_216:                             ;   in Loop: Header=BB95_6 Depth=1
	s_or_b32 exec_lo, exec_lo, s84
	s_mov_b32 s88, 0
                                        ; implicit-def: $vgpr8
                                        ; implicit-def: $vgpr31
	s_and_saveexec_b32 s84, s87
	s_cbranch_execz .LBB95_228
; %bb.217:                              ;   in Loop: Header=BB95_6 Depth=1
	v_dual_mov_b32 v8, 1 :: v_dual_mov_b32 v31, 1
	s_xor_b32 s87, s83, -1
	s_delay_alu instid0(SALU_CYCLE_1)
	s_and_saveexec_b32 s83, s87
	s_cbranch_execz .LBB95_227
; %bb.218:                              ;   in Loop: Header=BB95_6 Depth=1
	s_mov_b32 s87, exec_lo
                                        ; implicit-def: $sgpr88
	v_cmpx_ge_u32_e64 s19, v4
	s_xor_b32 s87, exec_lo, s87
	s_cbranch_execz .LBB95_224
; %bb.219:                              ;   in Loop: Header=BB95_6 Depth=1
	ds_load_b32 v8, v9 offset:4096
	s_waitcnt lgkmcnt(0)
	v_cmp_ne_u32_e32 vcc_lo, 0, v8
	s_cbranch_vccnz .LBB95_223
; %bb.220:                              ;   in Loop: Header=BB95_6 Depth=1
	s_and_saveexec_b32 s88, s5
	s_cbranch_execz .LBB95_222
; %bb.221:                              ;   in Loop: Header=BB95_6 Depth=1
	v_mov_b32_e32 v8, s19
	ds_store_b32 v9, v8 offset:4100
.LBB95_222:                             ;   in Loop: Header=BB95_6 Depth=1
	s_or_b32 exec_lo, exec_lo, s88
	s_waitcnt lgkmcnt(0)
	s_barrier
	buffer_gl0_inv
.LBB95_223:                             ;   in Loop: Header=BB95_6 Depth=1
	v_or_b32_e32 v1, s13, v1
	v_or_b32_e32 v2, s13, v2
	s_mov_b32 s88, 8
.LBB95_224:                             ;   in Loop: Header=BB95_6 Depth=1
	s_or_saveexec_b32 s87, s87
	v_mov_b32_e32 v8, s88
	s_xor_b32 exec_lo, exec_lo, s87
; %bb.225:                              ;   in Loop: Header=BB95_6 Depth=1
	v_subrev_nc_u32_e32 v4, s19, v4
	v_mov_b32_e32 v8, 8
; %bb.226:                              ;   in Loop: Header=BB95_6 Depth=1
	s_or_b32 exec_lo, exec_lo, s87
	s_delay_alu instid0(VALU_DEP_2)
	v_mov_b32_e32 v31, v4
.LBB95_227:                             ;   in Loop: Header=BB95_6 Depth=1
	s_or_b32 exec_lo, exec_lo, s83
	s_delay_alu instid0(SALU_CYCLE_1)
	s_mov_b32 s88, exec_lo
.LBB95_228:                             ;   in Loop: Header=BB95_6 Depth=1
	s_or_b32 exec_lo, exec_lo, s84
	s_delay_alu instid0(VALU_DEP_1)
	v_mov_b32_e32 v4, v31
	s_or_not1_b32 s83, s88, exec_lo
.LBB95_229:                             ;   in Loop: Header=BB95_6 Depth=1
	s_or_b32 exec_lo, exec_lo, s82
	s_delay_alu instid0(SALU_CYCLE_1)
	s_and_not1_b32 s78, s78, exec_lo
	s_and_b32 s11, s11, exec_lo
	v_mov_b32_e32 v31, v4
	s_or_b32 s78, s78, s11
	s_and_not1_b32 s11, s80, exec_lo
	s_and_b32 s80, s86, exec_lo
	s_and_not1_b32 s79, s79, exec_lo
	s_and_b32 s82, s85, exec_lo
	s_or_b32 s80, s11, s80
	s_or_b32 s79, s79, s82
	s_and_b32 s83, s83, exec_lo
.LBB95_230:                             ;   in Loop: Header=BB95_6 Depth=1
	s_or_b32 exec_lo, exec_lo, s81
	s_delay_alu instid0(SALU_CYCLE_1)
	s_and_b32 s81, s78, exec_lo
	s_and_b32 s80, s80, exec_lo
	;; [unrolled: 1-line block ×3, first 2 shown]
	s_or_not1_b32 s11, s83, exec_lo
.LBB95_231:                             ;   in Loop: Header=BB95_6 Depth=1
	s_or_b32 exec_lo, exec_lo, s77
	s_delay_alu instid0(SALU_CYCLE_1)
	s_and_not1_b32 s73, s73, exec_lo
	s_and_b32 s77, s81, exec_lo
	v_mov_b32_e32 v4, v31
	s_or_b32 s73, s73, s77
	s_and_not1_b32 s75, s75, exec_lo
	s_and_b32 s77, s80, exec_lo
	s_and_not1_b32 s74, s74, exec_lo
	s_and_b32 s78, s78, exec_lo
	s_or_b32 s75, s75, s77
	s_or_b32 s74, s74, s78
	s_and_b32 s78, s11, exec_lo
.LBB95_232:                             ;   in Loop: Header=BB95_6 Depth=1
	s_or_b32 exec_lo, exec_lo, s76
	s_delay_alu instid0(SALU_CYCLE_1)
	s_and_b32 s76, s73, exec_lo
	s_and_b32 s75, s75, exec_lo
	;; [unrolled: 1-line block ×3, first 2 shown]
	s_or_not1_b32 s11, s78, exec_lo
.LBB95_233:                             ;   in Loop: Header=BB95_6 Depth=1
	s_or_b32 exec_lo, exec_lo, s20
	s_mov_b32 s20, 0
	s_mov_b32 s74, 0
	s_and_saveexec_b32 s77, s11
	s_delay_alu instid0(SALU_CYCLE_1)
	s_xor_b32 s77, exec_lo, s77
; %bb.234:                              ;   in Loop: Header=BB95_6 Depth=1
	v_cmp_ne_u32_e32 vcc_lo, 8, v8
	v_cmp_eq_u32_e64 s11, 8, v8
	s_and_not1_b32 s76, s76, exec_lo
	s_and_not1_b32 s75, s75, exec_lo
	;; [unrolled: 1-line block ×3, first 2 shown]
	s_and_b32 s74, vcc_lo, exec_lo
	s_and_b32 s20, s11, exec_lo
; %bb.235:                              ;   in Loop: Header=BB95_6 Depth=1
	s_or_b32 exec_lo, exec_lo, s77
	s_delay_alu instid0(SALU_CYCLE_1)
	s_and_not1_b32 s11, s15, exec_lo
	s_and_b32 s15, s76, exec_lo
	s_and_not1_b32 s21, s21, exec_lo
	s_or_b32 s15, s11, s15
	s_and_not1_b32 s11, s22, exec_lo
	s_and_b32 s22, s75, exec_lo
	s_and_b32 s73, s73, exec_lo
	s_or_b32 s22, s11, s22
	s_or_b32 s21, s21, s73
	s_and_b32 s11, s74, exec_lo
	s_and_b32 s20, s20, exec_lo
.LBB95_236:                             ;   in Loop: Header=BB95_6 Depth=1
	s_or_b32 exec_lo, exec_lo, s72
	s_delay_alu instid0(SALU_CYCLE_1)
	s_and_b32 vcc_lo, exec_lo, s23
	s_cbranch_vccz .LBB95_83
.LBB95_237:                             ;   in Loop: Header=BB95_6 Depth=1
	s_cmp_eq_u32 s19, 1
                                        ; implicit-def: $sgpr23
                                        ; implicit-def: $sgpr72
	s_cselect_b32 s15, -1, 0
	s_delay_alu instid0(SALU_CYCLE_1)
	s_and_b32 s22, s15, s10
	s_mov_b32 s10, -1
                                        ; implicit-def: $sgpr15
	s_and_saveexec_b32 s21, s22
	s_cbranch_execz .LBB95_263
; %bb.238:                              ;   in Loop: Header=BB95_6 Depth=1
	ds_load_b32 v1, v9 offset:4096
	s_waitcnt lgkmcnt(0)
	s_barrier
	buffer_gl0_inv
	v_readfirstlane_b32 s15, v1
	s_and_saveexec_b32 s10, s6
	s_cbranch_execz .LBB95_240
; %bb.239:                              ;   in Loop: Header=BB95_6 Depth=1
	ds_store_b16 v19, v9
.LBB95_240:                             ;   in Loop: Header=BB95_6 Depth=1
	s_or_b32 exec_lo, exec_lo, s10
	v_or_b32_e32 v28, s13, v28
	v_or_b32_e32 v27, s13, v27
	s_cmp_eq_u32 s15, 0
	s_waitcnt lgkmcnt(0)
	s_barrier
	buffer_gl0_inv
	s_cbranch_scc1 .LBB95_249
; %bb.241:                              ;   in Loop: Header=BB95_6 Depth=1
	s_add_i32 s10, s15, s47
                                        ; implicit-def: $vgpr29
	s_delay_alu instid0(SALU_CYCLE_1) | instskip(NEXT) | instid1(SALU_CYCLE_1)
	s_mul_hi_u32 s23, s10, s54
	s_mul_i32 s23, s23, s36
	s_delay_alu instid0(SALU_CYCLE_1) | instskip(NEXT) | instid1(SALU_CYCLE_1)
	s_sub_i32 s23, s10, s23
	s_sub_i32 s72, s23, s36
	s_cmp_ge_u32 s23, s36
	s_cselect_b32 s23, s72, s23
	s_delay_alu instid0(SALU_CYCLE_1) | instskip(SKIP_2) | instid1(SALU_CYCLE_1)
	s_sub_i32 s72, s23, s36
	s_cmp_ge_u32 s23, s36
	s_cselect_b32 s23, s72, s23
	s_sub_i32 s72, s10, s23
	s_mov_b32 s10, 0
	s_mov_b32 s23, exec_lo
	v_cmpx_gt_u32_e64 s72, v0
	s_cbranch_execz .LBB95_251
; %bb.242:                              ;   in Loop: Header=BB95_6 Depth=1
	v_dual_mov_b32 v1, v17 :: v_dual_mov_b32 v2, v0
	s_mov_b32 s73, 0
                                        ; implicit-def: $sgpr74
	s_set_inst_prefetch_distance 0x1
	s_branch .LBB95_244
	.p2align	6
.LBB95_243:                             ;   in Loop: Header=BB95_244 Depth=2
	s_or_b32 exec_lo, exec_lo, s10
	s_waitcnt lgkmcnt(0)
	s_barrier
	buffer_gl0_inv
	ds_load_b32 v3, v9 offset:3072
	v_add_nc_u32_e32 v2, s36, v2
	v_add_nc_u32_e32 v1, s58, v1
	s_waitcnt lgkmcnt(0)
	s_barrier
	buffer_gl0_inv
	v_cmp_le_u32_e32 vcc_lo, s72, v2
	v_cmp_neq_f16_e64 s10, 0, v3
	s_delay_alu instid0(VALU_DEP_1) | instskip(NEXT) | instid1(SALU_CYCLE_1)
	s_or_b32 s75, vcc_lo, s10
	s_and_b32 s75, exec_lo, s75
	s_delay_alu instid0(SALU_CYCLE_1) | instskip(SKIP_2) | instid1(SALU_CYCLE_1)
	s_or_b32 s73, s75, s73
	s_and_not1_b32 s74, s74, exec_lo
	s_and_b32 s10, s10, exec_lo
	s_or_b32 s74, s74, s10
	s_and_not1_b32 exec_lo, exec_lo, s73
	s_cbranch_execz .LBB95_250
.LBB95_244:                             ;   Parent Loop BB95_6 Depth=1
                                        ; =>  This Inner Loop Header: Depth=2
	s_delay_alu instid0(VALU_DEP_1)
	v_cmp_gt_u32_e32 vcc_lo, s15, v2
	v_mov_b32_e32 v3, 0
	s_and_saveexec_b32 s10, vcc_lo
	s_cbranch_execz .LBB95_246
; %bb.245:                              ;   in Loop: Header=BB95_244 Depth=2
	ds_load_u16 v3, v1
.LBB95_246:                             ;   in Loop: Header=BB95_244 Depth=2
	s_or_b32 exec_lo, exec_lo, s10
	s_and_saveexec_b32 s10, vcc_lo
	s_cbranch_execz .LBB95_243
; %bb.247:                              ;   in Loop: Header=BB95_244 Depth=2
	s_waitcnt lgkmcnt(0)
	v_cmp_lt_i16_e32 vcc_lo, -1, v3
	v_and_b32_e32 v4, 0xffff, v3
	v_cndmask_b32_e32 v8, 0xffff, v26, vcc_lo
	v_cmp_o_f16_e32 vcc_lo, v3, v3
	s_delay_alu instid0(VALU_DEP_2) | instskip(NEXT) | instid1(VALU_DEP_1)
	v_xor_b32_e32 v4, v8, v4
	v_cndmask_b32_e32 v4, 0xffff, v4, vcc_lo
	s_delay_alu instid0(VALU_DEP_1) | instskip(NEXT) | instid1(VALU_DEP_1)
	v_and_b32_e32 v4, v4, v27
	v_cmp_eq_u32_e32 vcc_lo, v4, v28
	s_and_b32 exec_lo, exec_lo, vcc_lo
	s_cbranch_execz .LBB95_243
; %bb.248:                              ;   in Loop: Header=BB95_244 Depth=2
	v_perm_b32 v3, v3, s60, 0x5040100
	ds_store_b32 v9, v3 offset:3072
	s_branch .LBB95_243
.LBB95_249:                             ;   in Loop: Header=BB95_6 Depth=1
	s_mov_b32 s23, -1
	s_mov_b32 s10, 0
                                        ; implicit-def: $sgpr72
                                        ; implicit-def: $vgpr29
	s_mov_b32 s15, s23
	s_cbranch_execnz .LBB95_252
	s_branch .LBB95_262
.LBB95_250:                             ;   in Loop: Header=BB95_6 Depth=1
	s_set_inst_prefetch_distance 0x2
	s_or_b32 exec_lo, exec_lo, s73
	v_lshrrev_b32_e32 v29, 16, v3
	s_and_b32 s10, s74, exec_lo
.LBB95_251:                             ;   in Loop: Header=BB95_6 Depth=1
	s_or_b32 exec_lo, exec_lo, s23
	s_mov_b32 s23, 0
	s_mov_b32 s72, -1
	s_mov_b32 s15, s23
	s_branch .LBB95_262
.LBB95_252:                             ;   in Loop: Header=BB95_6 Depth=1
	s_mov_b32 s10, 0
                                        ; implicit-def: $vgpr29
	s_and_saveexec_b32 s15, s9
	s_cbranch_execz .LBB95_261
; %bb.253:                              ;   in Loop: Header=BB95_6 Depth=1
	v_dual_mov_b32 v8, v7 :: v_dual_mov_b32 v1, v0
	s_mov_b32 s23, 0
                                        ; implicit-def: $sgpr72
	s_branch .LBB95_255
.LBB95_254:                             ;   in Loop: Header=BB95_255 Depth=2
	s_or_b32 exec_lo, exec_lo, s10
	s_waitcnt vmcnt(0) lgkmcnt(0)
	s_barrier
	buffer_gl0_inv
	ds_load_b32 v2, v9 offset:3072
	v_add_nc_u32_e32 v1, s36, v1
	v_add_nc_u32_e32 v8, s38, v8
	s_waitcnt lgkmcnt(0)
	s_barrier
	buffer_gl0_inv
	v_cmp_le_u32_e32 vcc_lo, s55, v1
	v_cmp_neq_f16_e64 s10, 0, v2
	s_delay_alu instid0(VALU_DEP_1) | instskip(NEXT) | instid1(SALU_CYCLE_1)
	s_or_b32 s73, vcc_lo, s10
	s_and_b32 s73, exec_lo, s73
	s_delay_alu instid0(SALU_CYCLE_1) | instskip(SKIP_2) | instid1(SALU_CYCLE_1)
	s_or_b32 s23, s73, s23
	s_and_not1_b32 s72, s72, exec_lo
	s_and_b32 s10, s10, exec_lo
	s_or_b32 s72, s72, s10
	s_and_not1_b32 exec_lo, exec_lo, s23
	s_cbranch_execz .LBB95_260
.LBB95_255:                             ;   Parent Loop BB95_6 Depth=1
                                        ; =>  This Inner Loop Header: Depth=2
	s_delay_alu instid0(VALU_DEP_1)
	v_cmp_gt_u32_e32 vcc_lo, s24, v1
	v_mov_b32_e32 v2, 0
	s_and_saveexec_b32 s73, vcc_lo
	s_cbranch_execz .LBB95_257
; %bb.256:                              ;   in Loop: Header=BB95_255 Depth=2
	v_lshlrev_b64 v[2:3], 1, v[8:9]
	s_delay_alu instid0(VALU_DEP_1) | instskip(NEXT) | instid1(VALU_DEP_1)
	v_add_co_u32 v2, s10, s29, v2
	v_add_co_ci_u32_e64 v3, s10, s33, v3, s10
	global_load_u16 v2, v[2:3], off
.LBB95_257:                             ;   in Loop: Header=BB95_255 Depth=2
	s_or_b32 exec_lo, exec_lo, s73
	s_and_saveexec_b32 s10, vcc_lo
	s_cbranch_execz .LBB95_254
; %bb.258:                              ;   in Loop: Header=BB95_255 Depth=2
	s_waitcnt vmcnt(0)
	v_cmp_lt_i16_e32 vcc_lo, -1, v2
	v_and_b32_e32 v3, 0xffff, v2
	v_cndmask_b32_e32 v4, 0xffff, v26, vcc_lo
	v_cmp_o_f16_e32 vcc_lo, v2, v2
	s_delay_alu instid0(VALU_DEP_2) | instskip(NEXT) | instid1(VALU_DEP_1)
	v_xor_b32_e32 v3, v4, v3
	v_cndmask_b32_e32 v3, 0xffff, v3, vcc_lo
	s_delay_alu instid0(VALU_DEP_1) | instskip(NEXT) | instid1(VALU_DEP_1)
	v_and_b32_e32 v3, v3, v27
	v_cmp_eq_u32_e32 vcc_lo, v3, v28
	s_and_b32 exec_lo, exec_lo, vcc_lo
	s_cbranch_execz .LBB95_254
; %bb.259:                              ;   in Loop: Header=BB95_255 Depth=2
	v_perm_b32 v2, v2, s60, 0x5040100
	ds_store_b32 v9, v2 offset:3072
	s_branch .LBB95_254
.LBB95_260:                             ;   in Loop: Header=BB95_6 Depth=1
	s_or_b32 exec_lo, exec_lo, s23
	v_lshrrev_b32_e32 v29, 16, v2
	s_and_b32 s10, s72, exec_lo
.LBB95_261:                             ;   in Loop: Header=BB95_6 Depth=1
	s_or_b32 exec_lo, exec_lo, s15
	s_mov_b32 s72, 0
	s_mov_b32 s23, -1
	s_mov_b32 s15, 0
.LBB95_262:                             ;   in Loop: Header=BB95_6 Depth=1
	s_or_not1_b32 s10, s10, exec_lo
.LBB95_263:                             ;   in Loop: Header=BB95_6 Depth=1
	s_or_b32 exec_lo, exec_lo, s21
                                        ; implicit-def: $vgpr8
                                        ; implicit-def: $vgpr4
                                        ; implicit-def: $vgpr1
                                        ; implicit-def: $vgpr2
                                        ; implicit-def: $vgpr3
	s_and_saveexec_b32 s21, s10
	s_cbranch_execz .LBB95_398
; %bb.264:                              ;   in Loop: Header=BB95_6 Depth=1
	v_mov_b32_e32 v4, 1
	v_mov_b32_e32 v8, 1
	s_xor_b32 s22, s22, -1
	s_mov_b32 s76, 0
	s_and_saveexec_b32 s10, s22
	s_cbranch_execz .LBB95_274
; %bb.265:                              ;   in Loop: Header=BB95_6 Depth=1
	s_mov_b32 s73, exec_lo
                                        ; implicit-def: $sgpr74
                                        ; implicit-def: $sgpr22
	v_cmpx_ge_u32_e64 s19, v30
	s_xor_b32 s73, exec_lo, s73
	s_cbranch_execz .LBB95_271
; %bb.266:                              ;   in Loop: Header=BB95_6 Depth=1
	ds_load_b32 v1, v9 offset:4096
	s_waitcnt lgkmcnt(0)
	v_cmp_ne_u32_e32 vcc_lo, 0, v1
	s_cbranch_vccnz .LBB95_270
; %bb.267:                              ;   in Loop: Header=BB95_6 Depth=1
	s_and_saveexec_b32 s22, s5
	s_cbranch_execz .LBB95_269
; %bb.268:                              ;   in Loop: Header=BB95_6 Depth=1
	v_mov_b32_e32 v1, s19
	ds_store_b32 v9, v1 offset:4100
.LBB95_269:                             ;   in Loop: Header=BB95_6 Depth=1
	s_or_b32 exec_lo, exec_lo, s22
	s_waitcnt lgkmcnt(0)
	s_barrier
	buffer_gl0_inv
.LBB95_270:                             ;   in Loop: Header=BB95_6 Depth=1
	v_or_b32_e32 v28, s13, v28
	v_or_b32_e32 v27, s13, v27
	s_mov_b32 s22, 0
	s_mov_b32 s74, 5
.LBB95_271:                             ;   in Loop: Header=BB95_6 Depth=1
	s_or_saveexec_b32 s73, s73
	v_mov_b32_e32 v8, s74
	s_xor_b32 exec_lo, exec_lo, s73
; %bb.272:                              ;   in Loop: Header=BB95_6 Depth=1
	v_subrev_nc_u32_e32 v30, s19, v30
	v_mov_b32_e32 v8, 0
	s_or_b32 s22, s22, exec_lo
; %bb.273:                              ;   in Loop: Header=BB95_6 Depth=1
	s_or_b32 exec_lo, exec_lo, s73
	s_delay_alu instid0(VALU_DEP_2)
	v_mov_b32_e32 v4, v30
	s_and_b32 s76, s22, exec_lo
.LBB95_274:                             ;   in Loop: Header=BB95_6 Depth=1
	s_or_b32 exec_lo, exec_lo, s10
	s_mov_b32 s74, -1
                                        ; implicit-def: $sgpr22
                                        ; implicit-def: $sgpr73
                                        ; implicit-def: $sgpr75
	s_and_saveexec_b32 s10, s76
	s_delay_alu instid0(SALU_CYCLE_1)
	s_xor_b32 s19, exec_lo, s10
	s_cbranch_execz .LBB95_395
; %bb.275:                              ;   in Loop: Header=BB95_6 Depth=1
	v_cmp_eq_u32_e32 vcc_lo, 1, v4
	s_cmp_eq_u32 s18, 1
                                        ; implicit-def: $sgpr22
                                        ; implicit-def: $sgpr73
                                        ; implicit-def: $sgpr74
	s_cselect_b32 s10, -1, 0
	s_delay_alu instid0(SALU_CYCLE_1)
	s_and_b32 s76, s10, vcc_lo
	s_mov_b32 s10, -1
	s_and_saveexec_b32 s75, s76
	s_cbranch_execz .LBB95_301
; %bb.276:                              ;   in Loop: Header=BB95_6 Depth=1
	ds_load_b32 v1, v9 offset:4096
	s_waitcnt lgkmcnt(0)
	s_barrier
	buffer_gl0_inv
	v_readfirstlane_b32 s22, v1
	s_and_saveexec_b32 s10, s6
	s_cbranch_execz .LBB95_278
; %bb.277:                              ;   in Loop: Header=BB95_6 Depth=1
	ds_store_b16 v19, v9
.LBB95_278:                             ;   in Loop: Header=BB95_6 Depth=1
	s_or_b32 exec_lo, exec_lo, s10
	s_lshl_b32 s10, 2, s17
	v_or_b32_e32 v27, s13, v27
	v_and_or_b32 v28, v28, s14, s10
	s_cmp_eq_u32 s22, 0
	s_waitcnt lgkmcnt(0)
	s_barrier
	buffer_gl0_inv
	s_cbranch_scc1 .LBB95_287
; %bb.279:                              ;   in Loop: Header=BB95_6 Depth=1
	s_add_i32 s10, s22, s47
                                        ; implicit-def: $vgpr29
	s_delay_alu instid0(SALU_CYCLE_1) | instskip(NEXT) | instid1(SALU_CYCLE_1)
	s_mul_hi_u32 s73, s10, s54
	s_mul_i32 s73, s73, s36
	s_delay_alu instid0(SALU_CYCLE_1) | instskip(NEXT) | instid1(SALU_CYCLE_1)
	s_sub_i32 s73, s10, s73
	s_sub_i32 s74, s73, s36
	s_cmp_ge_u32 s73, s36
	s_cselect_b32 s73, s74, s73
	s_delay_alu instid0(SALU_CYCLE_1) | instskip(SKIP_2) | instid1(SALU_CYCLE_1)
	s_sub_i32 s74, s73, s36
	s_cmp_ge_u32 s73, s36
	s_cselect_b32 s73, s74, s73
	s_sub_i32 s74, s10, s73
	s_mov_b32 s10, 0
	s_mov_b32 s73, exec_lo
	v_cmpx_gt_u32_e64 s74, v0
	s_cbranch_execz .LBB95_289
; %bb.280:                              ;   in Loop: Header=BB95_6 Depth=1
	v_dual_mov_b32 v1, v17 :: v_dual_mov_b32 v2, v0
	s_mov_b32 s77, 0
                                        ; implicit-def: $sgpr78
	s_set_inst_prefetch_distance 0x1
	s_branch .LBB95_282
	.p2align	6
.LBB95_281:                             ;   in Loop: Header=BB95_282 Depth=2
	s_or_b32 exec_lo, exec_lo, s10
	s_waitcnt lgkmcnt(0)
	s_barrier
	buffer_gl0_inv
	ds_load_b32 v3, v9 offset:3072
	v_add_nc_u32_e32 v2, s36, v2
	v_add_nc_u32_e32 v1, s58, v1
	s_waitcnt lgkmcnt(0)
	s_barrier
	buffer_gl0_inv
	v_cmp_le_u32_e32 vcc_lo, s74, v2
	v_cmp_neq_f16_e64 s10, 0, v3
	s_delay_alu instid0(VALU_DEP_1) | instskip(NEXT) | instid1(SALU_CYCLE_1)
	s_or_b32 s79, vcc_lo, s10
	s_and_b32 s79, exec_lo, s79
	s_delay_alu instid0(SALU_CYCLE_1) | instskip(SKIP_2) | instid1(SALU_CYCLE_1)
	s_or_b32 s77, s79, s77
	s_and_not1_b32 s78, s78, exec_lo
	s_and_b32 s10, s10, exec_lo
	s_or_b32 s78, s78, s10
	s_and_not1_b32 exec_lo, exec_lo, s77
	s_cbranch_execz .LBB95_288
.LBB95_282:                             ;   Parent Loop BB95_6 Depth=1
                                        ; =>  This Inner Loop Header: Depth=2
	s_delay_alu instid0(VALU_DEP_1)
	v_cmp_gt_u32_e32 vcc_lo, s22, v2
	v_mov_b32_e32 v3, 0
	s_and_saveexec_b32 s10, vcc_lo
	s_cbranch_execz .LBB95_284
; %bb.283:                              ;   in Loop: Header=BB95_282 Depth=2
	ds_load_u16 v3, v1
.LBB95_284:                             ;   in Loop: Header=BB95_282 Depth=2
	s_or_b32 exec_lo, exec_lo, s10
	s_and_saveexec_b32 s10, vcc_lo
	s_cbranch_execz .LBB95_281
; %bb.285:                              ;   in Loop: Header=BB95_282 Depth=2
	s_waitcnt lgkmcnt(0)
	v_cmp_lt_i16_e32 vcc_lo, -1, v3
	v_dual_cndmask_b32 v29, 0xffff, v26 :: v_dual_and_b32 v8, 0xffff, v3
	v_cmp_o_f16_e32 vcc_lo, v3, v3
	s_delay_alu instid0(VALU_DEP_2) | instskip(NEXT) | instid1(VALU_DEP_1)
	v_xor_b32_e32 v8, v29, v8
	v_cndmask_b32_e32 v8, 0xffff, v8, vcc_lo
	s_delay_alu instid0(VALU_DEP_1) | instskip(NEXT) | instid1(VALU_DEP_1)
	v_and_b32_e32 v8, v8, v27
	v_cmp_eq_u32_e32 vcc_lo, v8, v28
	s_and_b32 exec_lo, exec_lo, vcc_lo
	s_cbranch_execz .LBB95_281
; %bb.286:                              ;   in Loop: Header=BB95_282 Depth=2
	v_perm_b32 v3, v3, s60, 0x5040100
	ds_store_b32 v9, v3 offset:3072
	s_branch .LBB95_281
.LBB95_287:                             ;   in Loop: Header=BB95_6 Depth=1
	s_mov_b32 s22, -1
	s_mov_b32 s10, 0
                                        ; implicit-def: $sgpr73
                                        ; implicit-def: $vgpr29
	s_mov_b32 s74, s22
	s_cbranch_execnz .LBB95_290
	s_branch .LBB95_300
.LBB95_288:                             ;   in Loop: Header=BB95_6 Depth=1
	s_set_inst_prefetch_distance 0x2
	s_or_b32 exec_lo, exec_lo, s77
	v_lshrrev_b32_e32 v29, 16, v3
	s_and_b32 s10, s78, exec_lo
.LBB95_289:                             ;   in Loop: Header=BB95_6 Depth=1
	s_or_b32 exec_lo, exec_lo, s73
	s_mov_b32 s22, 0
	s_mov_b32 s73, -1
	s_mov_b32 s74, s22
	s_branch .LBB95_300
.LBB95_290:                             ;   in Loop: Header=BB95_6 Depth=1
	s_mov_b32 s10, 0
                                        ; implicit-def: $vgpr29
	s_and_saveexec_b32 s22, s9
	s_cbranch_execz .LBB95_299
; %bb.291:                              ;   in Loop: Header=BB95_6 Depth=1
	v_dual_mov_b32 v8, v7 :: v_dual_mov_b32 v1, v0
	s_mov_b32 s73, 0
                                        ; implicit-def: $sgpr74
	s_branch .LBB95_293
.LBB95_292:                             ;   in Loop: Header=BB95_293 Depth=2
	s_or_b32 exec_lo, exec_lo, s10
	s_waitcnt vmcnt(0) lgkmcnt(0)
	s_barrier
	buffer_gl0_inv
	ds_load_b32 v2, v9 offset:3072
	v_add_nc_u32_e32 v1, s36, v1
	v_add_nc_u32_e32 v8, s38, v8
	s_waitcnt lgkmcnt(0)
	s_barrier
	buffer_gl0_inv
	v_cmp_le_u32_e32 vcc_lo, s55, v1
	v_cmp_neq_f16_e64 s10, 0, v2
	s_delay_alu instid0(VALU_DEP_1) | instskip(NEXT) | instid1(SALU_CYCLE_1)
	s_or_b32 s77, vcc_lo, s10
	s_and_b32 s77, exec_lo, s77
	s_delay_alu instid0(SALU_CYCLE_1) | instskip(SKIP_2) | instid1(SALU_CYCLE_1)
	s_or_b32 s73, s77, s73
	s_and_not1_b32 s74, s74, exec_lo
	s_and_b32 s10, s10, exec_lo
	s_or_b32 s74, s74, s10
	s_and_not1_b32 exec_lo, exec_lo, s73
	s_cbranch_execz .LBB95_298
.LBB95_293:                             ;   Parent Loop BB95_6 Depth=1
                                        ; =>  This Inner Loop Header: Depth=2
	s_delay_alu instid0(VALU_DEP_1)
	v_cmp_gt_u32_e32 vcc_lo, s24, v1
	v_mov_b32_e32 v2, 0
	s_and_saveexec_b32 s77, vcc_lo
	s_cbranch_execz .LBB95_295
; %bb.294:                              ;   in Loop: Header=BB95_293 Depth=2
	v_lshlrev_b64 v[2:3], 1, v[8:9]
	s_delay_alu instid0(VALU_DEP_1) | instskip(NEXT) | instid1(VALU_DEP_1)
	v_add_co_u32 v2, s10, s29, v2
	v_add_co_ci_u32_e64 v3, s10, s33, v3, s10
	global_load_u16 v2, v[2:3], off
.LBB95_295:                             ;   in Loop: Header=BB95_293 Depth=2
	s_or_b32 exec_lo, exec_lo, s77
	s_and_saveexec_b32 s10, vcc_lo
	s_cbranch_execz .LBB95_292
; %bb.296:                              ;   in Loop: Header=BB95_293 Depth=2
	s_waitcnt vmcnt(0)
	v_cmp_lt_i16_e32 vcc_lo, -1, v2
	v_and_b32_e32 v3, 0xffff, v2
	v_cndmask_b32_e32 v29, 0xffff, v26, vcc_lo
	v_cmp_o_f16_e32 vcc_lo, v2, v2
	s_delay_alu instid0(VALU_DEP_2) | instskip(NEXT) | instid1(VALU_DEP_1)
	v_xor_b32_e32 v3, v29, v3
	v_cndmask_b32_e32 v3, 0xffff, v3, vcc_lo
	s_delay_alu instid0(VALU_DEP_1) | instskip(NEXT) | instid1(VALU_DEP_1)
	v_and_b32_e32 v3, v3, v27
	v_cmp_eq_u32_e32 vcc_lo, v3, v28
	s_and_b32 exec_lo, exec_lo, vcc_lo
	s_cbranch_execz .LBB95_292
; %bb.297:                              ;   in Loop: Header=BB95_293 Depth=2
	v_perm_b32 v2, v2, s60, 0x5040100
	ds_store_b32 v9, v2 offset:3072
	s_branch .LBB95_292
.LBB95_298:                             ;   in Loop: Header=BB95_6 Depth=1
	s_or_b32 exec_lo, exec_lo, s73
	v_lshrrev_b32_e32 v29, 16, v2
	s_and_b32 s10, s74, exec_lo
.LBB95_299:                             ;   in Loop: Header=BB95_6 Depth=1
	s_or_b32 exec_lo, exec_lo, s22
	s_mov_b32 s73, 0
	s_mov_b32 s22, -1
	s_mov_b32 s74, 0
.LBB95_300:                             ;   in Loop: Header=BB95_6 Depth=1
	s_or_not1_b32 s10, s10, exec_lo
.LBB95_301:                             ;   in Loop: Header=BB95_6 Depth=1
	s_or_b32 exec_lo, exec_lo, s75
	s_mov_b32 s77, 0
                                        ; implicit-def: $vgpr8
	s_and_saveexec_b32 s75, s10
	s_cbranch_execz .LBB95_394
; %bb.302:                              ;   in Loop: Header=BB95_6 Depth=1
	v_dual_mov_b32 v1, 1 :: v_dual_mov_b32 v8, 1
	s_xor_b32 s76, s76, -1
	s_mov_b32 s78, 0
	s_and_saveexec_b32 s10, s76
	s_cbranch_execz .LBB95_312
; %bb.303:                              ;   in Loop: Header=BB95_6 Depth=1
	s_mov_b32 s77, exec_lo
                                        ; implicit-def: $sgpr78
                                        ; implicit-def: $sgpr76
	v_cmpx_ge_u32_e64 s18, v4
	s_xor_b32 s77, exec_lo, s77
	s_cbranch_execz .LBB95_309
; %bb.304:                              ;   in Loop: Header=BB95_6 Depth=1
	ds_load_b32 v1, v9 offset:4096
	s_waitcnt lgkmcnt(0)
	v_cmp_ne_u32_e32 vcc_lo, 0, v1
	s_cbranch_vccnz .LBB95_308
; %bb.305:                              ;   in Loop: Header=BB95_6 Depth=1
	s_and_saveexec_b32 s76, s5
	s_cbranch_execz .LBB95_307
; %bb.306:                              ;   in Loop: Header=BB95_6 Depth=1
	v_mov_b32_e32 v1, s18
	ds_store_b32 v9, v1 offset:4100
.LBB95_307:                             ;   in Loop: Header=BB95_6 Depth=1
	s_or_b32 exec_lo, exec_lo, s76
	s_waitcnt lgkmcnt(0)
	s_barrier
	buffer_gl0_inv
.LBB95_308:                             ;   in Loop: Header=BB95_6 Depth=1
	s_lshl_b32 s76, 2, s17
	v_or_b32_e32 v27, s13, v27
	v_and_or_b32 v28, v28, s14, s76
	s_mov_b32 s76, 0
	s_mov_b32 s78, 5
.LBB95_309:                             ;   in Loop: Header=BB95_6 Depth=1
	s_or_saveexec_b32 s77, s77
	v_mov_b32_e32 v8, s78
	s_xor_b32 exec_lo, exec_lo, s77
; %bb.310:                              ;   in Loop: Header=BB95_6 Depth=1
	v_subrev_nc_u32_e32 v4, s18, v4
	v_mov_b32_e32 v8, 0
	s_or_b32 s76, s76, exec_lo
; %bb.311:                              ;   in Loop: Header=BB95_6 Depth=1
	s_or_b32 exec_lo, exec_lo, s77
	s_delay_alu instid0(VALU_DEP_2)
	v_mov_b32_e32 v1, v4
	s_and_b32 s78, s76, exec_lo
.LBB95_312:                             ;   in Loop: Header=BB95_6 Depth=1
	s_or_b32 exec_lo, exec_lo, s10
	s_mov_b32 s10, -1
                                        ; implicit-def: $sgpr76
                                        ; implicit-def: $sgpr77
                                        ; implicit-def: $sgpr79
	s_and_saveexec_b32 s18, s78
	s_cbranch_execz .LBB95_393
; %bb.313:                              ;   in Loop: Header=BB95_6 Depth=1
	v_cmp_eq_u32_e32 vcc_lo, 1, v1
	s_cmp_eq_u32 s16, 1
                                        ; implicit-def: $sgpr76
                                        ; implicit-def: $sgpr77
                                        ; implicit-def: $sgpr78
	s_cselect_b32 s10, -1, 0
	s_delay_alu instid0(SALU_CYCLE_1)
	s_and_b32 s80, s10, vcc_lo
	s_mov_b32 s10, -1
	s_and_saveexec_b32 s79, s80
	s_cbranch_execz .LBB95_339
; %bb.314:                              ;   in Loop: Header=BB95_6 Depth=1
	ds_load_b32 v2, v9 offset:4096
	s_waitcnt lgkmcnt(0)
	s_barrier
	buffer_gl0_inv
	v_readfirstlane_b32 s76, v2
	s_and_saveexec_b32 s10, s6
	s_cbranch_execz .LBB95_316
; %bb.315:                              ;   in Loop: Header=BB95_6 Depth=1
	ds_store_b16 v19, v9
.LBB95_316:                             ;   in Loop: Header=BB95_6 Depth=1
	s_or_b32 exec_lo, exec_lo, s10
	s_lshl_b32 s10, 1, s17
	v_or_b32_e32 v27, s13, v27
	v_and_or_b32 v28, v28, s14, s10
	s_cmp_eq_u32 s76, 0
	s_waitcnt lgkmcnt(0)
	s_barrier
	buffer_gl0_inv
	s_cbranch_scc1 .LBB95_325
; %bb.317:                              ;   in Loop: Header=BB95_6 Depth=1
	s_add_i32 s10, s76, s47
                                        ; implicit-def: $vgpr29
	s_delay_alu instid0(SALU_CYCLE_1) | instskip(NEXT) | instid1(SALU_CYCLE_1)
	s_mul_hi_u32 s77, s10, s54
	s_mul_i32 s77, s77, s36
	s_delay_alu instid0(SALU_CYCLE_1) | instskip(NEXT) | instid1(SALU_CYCLE_1)
	s_sub_i32 s77, s10, s77
	s_sub_i32 s78, s77, s36
	s_cmp_ge_u32 s77, s36
	s_cselect_b32 s77, s78, s77
	s_delay_alu instid0(SALU_CYCLE_1) | instskip(SKIP_2) | instid1(SALU_CYCLE_1)
	s_sub_i32 s78, s77, s36
	s_cmp_ge_u32 s77, s36
	s_cselect_b32 s77, s78, s77
	s_sub_i32 s78, s10, s77
	s_mov_b32 s10, 0
	s_mov_b32 s77, exec_lo
	v_cmpx_gt_u32_e64 s78, v0
	s_cbranch_execz .LBB95_327
; %bb.318:                              ;   in Loop: Header=BB95_6 Depth=1
	v_dual_mov_b32 v2, v17 :: v_dual_mov_b32 v3, v0
	s_mov_b32 s81, 0
                                        ; implicit-def: $sgpr82
	s_set_inst_prefetch_distance 0x1
	s_branch .LBB95_320
	.p2align	6
.LBB95_319:                             ;   in Loop: Header=BB95_320 Depth=2
	s_or_b32 exec_lo, exec_lo, s10
	s_waitcnt lgkmcnt(0)
	s_barrier
	buffer_gl0_inv
	ds_load_b32 v4, v9 offset:3072
	v_add_nc_u32_e32 v3, s36, v3
	v_add_nc_u32_e32 v2, s58, v2
	s_waitcnt lgkmcnt(0)
	s_barrier
	buffer_gl0_inv
	v_cmp_le_u32_e32 vcc_lo, s78, v3
	v_cmp_neq_f16_e64 s10, 0, v4
	s_delay_alu instid0(VALU_DEP_1) | instskip(NEXT) | instid1(SALU_CYCLE_1)
	s_or_b32 s83, vcc_lo, s10
	s_and_b32 s83, exec_lo, s83
	s_delay_alu instid0(SALU_CYCLE_1) | instskip(SKIP_2) | instid1(SALU_CYCLE_1)
	s_or_b32 s81, s83, s81
	s_and_not1_b32 s82, s82, exec_lo
	s_and_b32 s10, s10, exec_lo
	s_or_b32 s82, s82, s10
	s_and_not1_b32 exec_lo, exec_lo, s81
	s_cbranch_execz .LBB95_326
.LBB95_320:                             ;   Parent Loop BB95_6 Depth=1
                                        ; =>  This Inner Loop Header: Depth=2
	s_delay_alu instid0(VALU_DEP_1)
	v_cmp_gt_u32_e32 vcc_lo, s76, v3
	v_mov_b32_e32 v4, 0
	s_and_saveexec_b32 s10, vcc_lo
	s_cbranch_execz .LBB95_322
; %bb.321:                              ;   in Loop: Header=BB95_320 Depth=2
	ds_load_u16 v4, v2
.LBB95_322:                             ;   in Loop: Header=BB95_320 Depth=2
	s_or_b32 exec_lo, exec_lo, s10
	s_and_saveexec_b32 s10, vcc_lo
	s_cbranch_execz .LBB95_319
; %bb.323:                              ;   in Loop: Header=BB95_320 Depth=2
	s_waitcnt lgkmcnt(0)
	v_cmp_lt_i16_e32 vcc_lo, -1, v4
	v_dual_cndmask_b32 v29, 0xffff, v26 :: v_dual_and_b32 v8, 0xffff, v4
	v_cmp_o_f16_e32 vcc_lo, v4, v4
	s_delay_alu instid0(VALU_DEP_2) | instskip(NEXT) | instid1(VALU_DEP_1)
	v_xor_b32_e32 v8, v29, v8
	v_cndmask_b32_e32 v8, 0xffff, v8, vcc_lo
	s_delay_alu instid0(VALU_DEP_1) | instskip(NEXT) | instid1(VALU_DEP_1)
	v_and_b32_e32 v8, v8, v27
	v_cmp_eq_u32_e32 vcc_lo, v8, v28
	s_and_b32 exec_lo, exec_lo, vcc_lo
	s_cbranch_execz .LBB95_319
; %bb.324:                              ;   in Loop: Header=BB95_320 Depth=2
	v_perm_b32 v4, v4, s60, 0x5040100
	ds_store_b32 v9, v4 offset:3072
	s_branch .LBB95_319
.LBB95_325:                             ;   in Loop: Header=BB95_6 Depth=1
	s_mov_b32 s76, -1
	s_mov_b32 s10, 0
                                        ; implicit-def: $sgpr77
                                        ; implicit-def: $vgpr29
	s_mov_b32 s78, s76
	s_cbranch_execnz .LBB95_328
	s_branch .LBB95_338
.LBB95_326:                             ;   in Loop: Header=BB95_6 Depth=1
	s_set_inst_prefetch_distance 0x2
	s_or_b32 exec_lo, exec_lo, s81
	v_lshrrev_b32_e32 v29, 16, v4
	s_and_b32 s10, s82, exec_lo
.LBB95_327:                             ;   in Loop: Header=BB95_6 Depth=1
	s_or_b32 exec_lo, exec_lo, s77
	s_mov_b32 s76, 0
	s_mov_b32 s77, -1
	s_mov_b32 s78, s76
	s_branch .LBB95_338
.LBB95_328:                             ;   in Loop: Header=BB95_6 Depth=1
	s_mov_b32 s10, 0
                                        ; implicit-def: $vgpr29
	s_and_saveexec_b32 s76, s9
	s_cbranch_execz .LBB95_337
; %bb.329:                              ;   in Loop: Header=BB95_6 Depth=1
	v_mov_b32_e32 v8, v7
	v_mov_b32_e32 v2, v0
	s_mov_b32 s77, 0
                                        ; implicit-def: $sgpr78
	s_branch .LBB95_331
.LBB95_330:                             ;   in Loop: Header=BB95_331 Depth=2
	s_or_b32 exec_lo, exec_lo, s10
	s_waitcnt vmcnt(0) lgkmcnt(0)
	s_barrier
	buffer_gl0_inv
	ds_load_b32 v3, v9 offset:3072
	v_add_nc_u32_e32 v2, s36, v2
	v_add_nc_u32_e32 v8, s38, v8
	s_waitcnt lgkmcnt(0)
	s_barrier
	buffer_gl0_inv
	v_cmp_le_u32_e32 vcc_lo, s55, v2
	v_cmp_neq_f16_e64 s10, 0, v3
	s_delay_alu instid0(VALU_DEP_1) | instskip(NEXT) | instid1(SALU_CYCLE_1)
	s_or_b32 s81, vcc_lo, s10
	s_and_b32 s81, exec_lo, s81
	s_delay_alu instid0(SALU_CYCLE_1) | instskip(SKIP_2) | instid1(SALU_CYCLE_1)
	s_or_b32 s77, s81, s77
	s_and_not1_b32 s78, s78, exec_lo
	s_and_b32 s10, s10, exec_lo
	s_or_b32 s78, s78, s10
	s_and_not1_b32 exec_lo, exec_lo, s77
	s_cbranch_execz .LBB95_336
.LBB95_331:                             ;   Parent Loop BB95_6 Depth=1
                                        ; =>  This Inner Loop Header: Depth=2
	s_delay_alu instid0(VALU_DEP_1)
	v_cmp_gt_u32_e32 vcc_lo, s24, v2
	v_mov_b32_e32 v3, 0
	s_and_saveexec_b32 s81, vcc_lo
	s_cbranch_execz .LBB95_333
; %bb.332:                              ;   in Loop: Header=BB95_331 Depth=2
	v_lshlrev_b64 v[3:4], 1, v[8:9]
	s_delay_alu instid0(VALU_DEP_1) | instskip(NEXT) | instid1(VALU_DEP_1)
	v_add_co_u32 v3, s10, s29, v3
	v_add_co_ci_u32_e64 v4, s10, s33, v4, s10
	global_load_u16 v3, v[3:4], off
.LBB95_333:                             ;   in Loop: Header=BB95_331 Depth=2
	s_or_b32 exec_lo, exec_lo, s81
	s_and_saveexec_b32 s10, vcc_lo
	s_cbranch_execz .LBB95_330
; %bb.334:                              ;   in Loop: Header=BB95_331 Depth=2
	s_waitcnt vmcnt(0)
	v_cmp_lt_i16_e32 vcc_lo, -1, v3
	v_dual_cndmask_b32 v29, 0xffff, v26 :: v_dual_and_b32 v4, 0xffff, v3
	v_cmp_o_f16_e32 vcc_lo, v3, v3
	s_delay_alu instid0(VALU_DEP_2) | instskip(NEXT) | instid1(VALU_DEP_1)
	v_xor_b32_e32 v4, v29, v4
	v_cndmask_b32_e32 v4, 0xffff, v4, vcc_lo
	s_delay_alu instid0(VALU_DEP_1) | instskip(NEXT) | instid1(VALU_DEP_1)
	v_and_b32_e32 v4, v4, v27
	v_cmp_eq_u32_e32 vcc_lo, v4, v28
	s_and_b32 exec_lo, exec_lo, vcc_lo
	s_cbranch_execz .LBB95_330
; %bb.335:                              ;   in Loop: Header=BB95_331 Depth=2
	v_perm_b32 v3, v3, s60, 0x5040100
	ds_store_b32 v9, v3 offset:3072
	s_branch .LBB95_330
.LBB95_336:                             ;   in Loop: Header=BB95_6 Depth=1
	s_or_b32 exec_lo, exec_lo, s77
	v_lshrrev_b32_e32 v29, 16, v3
	s_and_b32 s10, s78, exec_lo
.LBB95_337:                             ;   in Loop: Header=BB95_6 Depth=1
	s_or_b32 exec_lo, exec_lo, s76
	s_mov_b32 s77, 0
	s_mov_b32 s76, -1
	s_mov_b32 s78, 0
.LBB95_338:                             ;   in Loop: Header=BB95_6 Depth=1
	s_or_not1_b32 s10, s10, exec_lo
.LBB95_339:                             ;   in Loop: Header=BB95_6 Depth=1
	s_or_b32 exec_lo, exec_lo, s79
	s_mov_b32 s81, 0
                                        ; implicit-def: $vgpr8
	s_and_saveexec_b32 s79, s10
	s_cbranch_execz .LBB95_392
; %bb.340:                              ;   in Loop: Header=BB95_6 Depth=1
	v_mov_b32_e32 v2, 1
	v_mov_b32_e32 v8, 1
	s_xor_b32 s81, s80, -1
	s_mov_b32 s80, 0
	s_and_saveexec_b32 s10, s81
	s_cbranch_execz .LBB95_350
; %bb.341:                              ;   in Loop: Header=BB95_6 Depth=1
	s_mov_b32 s81, exec_lo
                                        ; implicit-def: $sgpr82
                                        ; implicit-def: $sgpr80
	v_cmpx_ge_u32_e64 s16, v1
	s_xor_b32 s81, exec_lo, s81
	s_cbranch_execz .LBB95_347
; %bb.342:                              ;   in Loop: Header=BB95_6 Depth=1
	ds_load_b32 v2, v9 offset:4096
	s_waitcnt lgkmcnt(0)
	v_cmp_ne_u32_e32 vcc_lo, 0, v2
	s_cbranch_vccnz .LBB95_346
; %bb.343:                              ;   in Loop: Header=BB95_6 Depth=1
	s_and_saveexec_b32 s80, s5
	s_cbranch_execz .LBB95_345
; %bb.344:                              ;   in Loop: Header=BB95_6 Depth=1
	v_mov_b32_e32 v2, s16
	ds_store_b32 v9, v2 offset:4100
.LBB95_345:                             ;   in Loop: Header=BB95_6 Depth=1
	s_or_b32 exec_lo, exec_lo, s80
	s_waitcnt lgkmcnt(0)
	s_barrier
	buffer_gl0_inv
.LBB95_346:                             ;   in Loop: Header=BB95_6 Depth=1
	s_lshl_b32 s17, 1, s17
	v_or_b32_e32 v27, s13, v27
	v_and_or_b32 v28, v28, s14, s17
	s_mov_b32 s80, 0
	s_mov_b32 s82, 5
.LBB95_347:                             ;   in Loop: Header=BB95_6 Depth=1
	s_or_saveexec_b32 s17, s81
	v_mov_b32_e32 v8, s82
	s_xor_b32 exec_lo, exec_lo, s17
; %bb.348:                              ;   in Loop: Header=BB95_6 Depth=1
	v_subrev_nc_u32_e32 v1, s16, v1
	v_mov_b32_e32 v8, 0
	s_or_b32 s80, s80, exec_lo
; %bb.349:                              ;   in Loop: Header=BB95_6 Depth=1
	s_or_b32 exec_lo, exec_lo, s17
	s_delay_alu instid0(VALU_DEP_2)
	v_mov_b32_e32 v2, v1
	s_and_b32 s80, s80, exec_lo
.LBB95_350:                             ;   in Loop: Header=BB95_6 Depth=1
	s_or_b32 exec_lo, exec_lo, s10
	s_mov_b32 s17, -1
                                        ; implicit-def: $sgpr10
                                        ; implicit-def: $sgpr81
                                        ; implicit-def: $sgpr82
	s_and_saveexec_b32 s16, s80
	s_cbranch_execz .LBB95_391
; %bb.351:                              ;   in Loop: Header=BB95_6 Depth=1
	v_cmp_eq_u32_e32 vcc_lo, 1, v2
	s_cmp_eq_u32 s12, 1
	s_mov_b32 s83, -1
	s_cselect_b32 s10, -1, 0
                                        ; implicit-def: $sgpr81
                                        ; implicit-def: $sgpr82
	s_delay_alu instid0(SALU_CYCLE_1) | instskip(NEXT) | instid1(SALU_CYCLE_1)
	s_and_b32 s17, s10, vcc_lo
                                        ; implicit-def: $sgpr10
	s_and_saveexec_b32 s80, s17
	s_cbranch_execz .LBB95_378
; %bb.352:                              ;   in Loop: Header=BB95_6 Depth=1
	ds_load_b32 v1, v9 offset:4096
	s_waitcnt lgkmcnt(0)
	s_barrier
	buffer_gl0_inv
	v_readfirstlane_b32 s81, v1
	s_and_saveexec_b32 s10, s6
	s_cbranch_execz .LBB95_354
; %bb.353:                              ;   in Loop: Header=BB95_6 Depth=1
	ds_store_b16 v19, v9
.LBB95_354:                             ;   in Loop: Header=BB95_6 Depth=1
	s_or_b32 exec_lo, exec_lo, s10
	v_and_b32_e32 v28, s14, v28
	v_or_b32_e32 v27, s13, v27
	s_cmp_eq_u32 s81, 0
	s_waitcnt lgkmcnt(0)
	s_barrier
	buffer_gl0_inv
	s_cbranch_scc1 .LBB95_363
; %bb.355:                              ;   in Loop: Header=BB95_6 Depth=1
	s_add_i32 s10, s81, s47
                                        ; implicit-def: $vgpr29
	s_delay_alu instid0(SALU_CYCLE_1) | instskip(NEXT) | instid1(SALU_CYCLE_1)
	s_mul_hi_u32 s82, s10, s54
	s_mul_i32 s82, s82, s36
	s_delay_alu instid0(SALU_CYCLE_1) | instskip(NEXT) | instid1(SALU_CYCLE_1)
	s_sub_i32 s82, s10, s82
	s_sub_i32 s83, s82, s36
	s_cmp_ge_u32 s82, s36
	s_cselect_b32 s82, s83, s82
	s_delay_alu instid0(SALU_CYCLE_1)
	s_sub_i32 s83, s82, s36
	s_cmp_ge_u32 s82, s36
	s_cselect_b32 s82, s83, s82
	s_mov_b32 s83, 0
	s_sub_i32 s84, s10, s82
	s_mov_b32 s82, exec_lo
	v_cmpx_gt_u32_e64 s84, v0
	s_cbranch_execz .LBB95_365
; %bb.356:                              ;   in Loop: Header=BB95_6 Depth=1
	v_mov_b32_e32 v1, v17
	v_mov_b32_e32 v3, v0
                                        ; implicit-def: $sgpr85
	s_set_inst_prefetch_distance 0x1
	s_branch .LBB95_358
	.p2align	6
.LBB95_357:                             ;   in Loop: Header=BB95_358 Depth=2
	s_or_b32 exec_lo, exec_lo, s10
	s_waitcnt lgkmcnt(0)
	s_barrier
	buffer_gl0_inv
	ds_load_b32 v4, v9 offset:3072
	v_add_nc_u32_e32 v3, s36, v3
	v_add_nc_u32_e32 v1, s58, v1
	s_waitcnt lgkmcnt(0)
	s_barrier
	buffer_gl0_inv
	v_cmp_le_u32_e32 vcc_lo, s84, v3
	v_cmp_neq_f16_e64 s10, 0, v4
	s_delay_alu instid0(VALU_DEP_1) | instskip(NEXT) | instid1(SALU_CYCLE_1)
	s_or_b32 s86, vcc_lo, s10
	s_and_b32 s86, exec_lo, s86
	s_delay_alu instid0(SALU_CYCLE_1) | instskip(SKIP_2) | instid1(SALU_CYCLE_1)
	s_or_b32 s83, s86, s83
	s_and_not1_b32 s85, s85, exec_lo
	s_and_b32 s10, s10, exec_lo
	s_or_b32 s85, s85, s10
	s_and_not1_b32 exec_lo, exec_lo, s83
	s_cbranch_execz .LBB95_364
.LBB95_358:                             ;   Parent Loop BB95_6 Depth=1
                                        ; =>  This Inner Loop Header: Depth=2
	s_delay_alu instid0(VALU_DEP_1)
	v_cmp_gt_u32_e32 vcc_lo, s81, v3
	v_mov_b32_e32 v4, 0
	s_and_saveexec_b32 s10, vcc_lo
	s_cbranch_execz .LBB95_360
; %bb.359:                              ;   in Loop: Header=BB95_358 Depth=2
	ds_load_u16 v4, v1
.LBB95_360:                             ;   in Loop: Header=BB95_358 Depth=2
	s_or_b32 exec_lo, exec_lo, s10
	s_and_saveexec_b32 s10, vcc_lo
	s_cbranch_execz .LBB95_357
; %bb.361:                              ;   in Loop: Header=BB95_358 Depth=2
	s_waitcnt lgkmcnt(0)
	v_cmp_lt_i16_e32 vcc_lo, -1, v4
	v_dual_cndmask_b32 v29, 0xffff, v26 :: v_dual_and_b32 v8, 0xffff, v4
	v_cmp_o_f16_e32 vcc_lo, v4, v4
	s_delay_alu instid0(VALU_DEP_2) | instskip(NEXT) | instid1(VALU_DEP_1)
	v_xor_b32_e32 v8, v29, v8
	v_cndmask_b32_e32 v8, 0xffff, v8, vcc_lo
	s_delay_alu instid0(VALU_DEP_1) | instskip(NEXT) | instid1(VALU_DEP_1)
	v_and_b32_e32 v8, v8, v27
	v_cmp_eq_u32_e32 vcc_lo, v8, v28
	s_and_b32 exec_lo, exec_lo, vcc_lo
	s_cbranch_execz .LBB95_357
; %bb.362:                              ;   in Loop: Header=BB95_358 Depth=2
	v_perm_b32 v4, v4, s60, 0x5040100
	ds_store_b32 v9, v4 offset:3072
	s_branch .LBB95_357
.LBB95_363:                             ;   in Loop: Header=BB95_6 Depth=1
	s_mov_b32 s10, -1
	s_mov_b32 s83, 0
                                        ; implicit-def: $sgpr81
                                        ; implicit-def: $vgpr29
	s_branch .LBB95_366
.LBB95_364:                             ;   in Loop: Header=BB95_6 Depth=1
	s_set_inst_prefetch_distance 0x2
	s_or_b32 exec_lo, exec_lo, s83
	v_lshrrev_b32_e32 v29, 16, v4
	s_and_b32 s83, s85, exec_lo
.LBB95_365:                             ;   in Loop: Header=BB95_6 Depth=1
	s_or_b32 exec_lo, exec_lo, s82
	s_mov_b32 s10, 0
	s_mov_b32 s81, -1
.LBB95_366:                             ;   in Loop: Header=BB95_6 Depth=1
	s_and_b32 vcc_lo, exec_lo, s10
	s_mov_b32 s82, s10
	s_cbranch_vccz .LBB95_377
; %bb.367:                              ;   in Loop: Header=BB95_6 Depth=1
	s_mov_b32 s83, 0
                                        ; implicit-def: $vgpr29
	s_and_saveexec_b32 s81, s9
	s_cbranch_execz .LBB95_376
; %bb.368:                              ;   in Loop: Header=BB95_6 Depth=1
	v_dual_mov_b32 v8, v7 :: v_dual_mov_b32 v1, v0
	s_mov_b32 s82, 0
                                        ; implicit-def: $sgpr83
	s_branch .LBB95_370
.LBB95_369:                             ;   in Loop: Header=BB95_370 Depth=2
	s_or_b32 exec_lo, exec_lo, s10
	s_waitcnt vmcnt(0) lgkmcnt(0)
	s_barrier
	buffer_gl0_inv
	ds_load_b32 v3, v9 offset:3072
	v_add_nc_u32_e32 v1, s36, v1
	v_add_nc_u32_e32 v8, s38, v8
	s_waitcnt lgkmcnt(0)
	s_barrier
	buffer_gl0_inv
	v_cmp_le_u32_e32 vcc_lo, s55, v1
	v_cmp_neq_f16_e64 s10, 0, v3
	s_delay_alu instid0(VALU_DEP_1) | instskip(NEXT) | instid1(SALU_CYCLE_1)
	s_or_b32 s84, vcc_lo, s10
	s_and_b32 s84, exec_lo, s84
	s_delay_alu instid0(SALU_CYCLE_1) | instskip(SKIP_2) | instid1(SALU_CYCLE_1)
	s_or_b32 s82, s84, s82
	s_and_not1_b32 s83, s83, exec_lo
	s_and_b32 s10, s10, exec_lo
	s_or_b32 s83, s83, s10
	s_and_not1_b32 exec_lo, exec_lo, s82
	s_cbranch_execz .LBB95_375
.LBB95_370:                             ;   Parent Loop BB95_6 Depth=1
                                        ; =>  This Inner Loop Header: Depth=2
	s_delay_alu instid0(VALU_DEP_1)
	v_cmp_gt_u32_e32 vcc_lo, s24, v1
	v_mov_b32_e32 v3, 0
	s_and_saveexec_b32 s84, vcc_lo
	s_cbranch_execz .LBB95_372
; %bb.371:                              ;   in Loop: Header=BB95_370 Depth=2
	v_lshlrev_b64 v[3:4], 1, v[8:9]
	s_delay_alu instid0(VALU_DEP_1) | instskip(NEXT) | instid1(VALU_DEP_1)
	v_add_co_u32 v3, s10, s29, v3
	v_add_co_ci_u32_e64 v4, s10, s33, v4, s10
	global_load_u16 v3, v[3:4], off
.LBB95_372:                             ;   in Loop: Header=BB95_370 Depth=2
	s_or_b32 exec_lo, exec_lo, s84
	s_and_saveexec_b32 s10, vcc_lo
	s_cbranch_execz .LBB95_369
; %bb.373:                              ;   in Loop: Header=BB95_370 Depth=2
	s_waitcnt vmcnt(0)
	v_cmp_lt_i16_e32 vcc_lo, -1, v3
	v_dual_cndmask_b32 v29, 0xffff, v26 :: v_dual_and_b32 v4, 0xffff, v3
	v_cmp_o_f16_e32 vcc_lo, v3, v3
	s_delay_alu instid0(VALU_DEP_2) | instskip(NEXT) | instid1(VALU_DEP_1)
	v_xor_b32_e32 v4, v29, v4
	v_cndmask_b32_e32 v4, 0xffff, v4, vcc_lo
	s_delay_alu instid0(VALU_DEP_1) | instskip(NEXT) | instid1(VALU_DEP_1)
	v_and_b32_e32 v4, v4, v27
	v_cmp_eq_u32_e32 vcc_lo, v4, v28
	s_and_b32 exec_lo, exec_lo, vcc_lo
	s_cbranch_execz .LBB95_369
; %bb.374:                              ;   in Loop: Header=BB95_370 Depth=2
	v_perm_b32 v3, v3, s60, 0x5040100
	ds_store_b32 v9, v3 offset:3072
	s_branch .LBB95_369
.LBB95_375:                             ;   in Loop: Header=BB95_6 Depth=1
	s_or_b32 exec_lo, exec_lo, s82
	v_lshrrev_b32_e32 v29, 16, v3
	s_and_b32 s83, s83, exec_lo
.LBB95_376:                             ;   in Loop: Header=BB95_6 Depth=1
	s_or_b32 exec_lo, exec_lo, s81
	s_mov_b32 s81, 0
	s_mov_b32 s10, -1
	s_mov_b32 s82, 0
.LBB95_377:                             ;   in Loop: Header=BB95_6 Depth=1
	s_or_not1_b32 s83, s83, exec_lo
.LBB95_378:                             ;   in Loop: Header=BB95_6 Depth=1
	s_or_b32 exec_lo, exec_lo, s80
	s_mov_b32 s84, 0
                                        ; implicit-def: $vgpr8
                                        ; implicit-def: $vgpr1
	s_and_saveexec_b32 s80, s83
	s_cbranch_execz .LBB95_390
; %bb.379:                              ;   in Loop: Header=BB95_6 Depth=1
	v_dual_mov_b32 v8, 1 :: v_dual_mov_b32 v1, 1
	s_xor_b32 s83, s17, -1
	s_delay_alu instid0(SALU_CYCLE_1)
	s_and_saveexec_b32 s17, s83
	s_cbranch_execz .LBB95_389
; %bb.380:                              ;   in Loop: Header=BB95_6 Depth=1
	s_mov_b32 s83, exec_lo
                                        ; implicit-def: $sgpr84
	v_cmpx_ge_u32_e64 s12, v2
	s_xor_b32 s83, exec_lo, s83
	s_cbranch_execz .LBB95_386
; %bb.381:                              ;   in Loop: Header=BB95_6 Depth=1
	ds_load_b32 v1, v9 offset:4096
	s_waitcnt lgkmcnt(0)
	v_cmp_ne_u32_e32 vcc_lo, 0, v1
	s_cbranch_vccnz .LBB95_385
; %bb.382:                              ;   in Loop: Header=BB95_6 Depth=1
	s_and_saveexec_b32 s84, s5
	s_cbranch_execz .LBB95_384
; %bb.383:                              ;   in Loop: Header=BB95_6 Depth=1
	v_mov_b32_e32 v1, s12
	ds_store_b32 v9, v1 offset:4100
.LBB95_384:                             ;   in Loop: Header=BB95_6 Depth=1
	s_or_b32 exec_lo, exec_lo, s84
	s_waitcnt lgkmcnt(0)
	s_barrier
	buffer_gl0_inv
.LBB95_385:                             ;   in Loop: Header=BB95_6 Depth=1
	v_and_b32_e32 v28, s14, v28
	v_or_b32_e32 v27, s13, v27
	s_mov_b32 s84, 5
.LBB95_386:                             ;   in Loop: Header=BB95_6 Depth=1
	s_or_saveexec_b32 s13, s83
	v_mov_b32_e32 v8, s84
	s_xor_b32 exec_lo, exec_lo, s13
; %bb.387:                              ;   in Loop: Header=BB95_6 Depth=1
	v_subrev_nc_u32_e32 v2, s12, v2
	v_mov_b32_e32 v8, 5
; %bb.388:                              ;   in Loop: Header=BB95_6 Depth=1
	s_or_b32 exec_lo, exec_lo, s13
	s_delay_alu instid0(VALU_DEP_2)
	v_mov_b32_e32 v1, v2
.LBB95_389:                             ;   in Loop: Header=BB95_6 Depth=1
	s_or_b32 exec_lo, exec_lo, s17
	s_delay_alu instid0(SALU_CYCLE_1)
	s_mov_b32 s84, exec_lo
.LBB95_390:                             ;   in Loop: Header=BB95_6 Depth=1
	s_or_b32 exec_lo, exec_lo, s80
	s_delay_alu instid0(VALU_DEP_1)
	v_mov_b32_e32 v2, v1
	s_or_not1_b32 s17, s84, exec_lo
.LBB95_391:                             ;   in Loop: Header=BB95_6 Depth=1
	s_or_b32 exec_lo, exec_lo, s16
	s_delay_alu instid0(SALU_CYCLE_1)
	s_and_not1_b32 s12, s76, exec_lo
	s_and_b32 s10, s10, exec_lo
	s_and_not1_b32 s13, s78, exec_lo
	s_or_b32 s76, s12, s10
	s_and_not1_b32 s10, s77, exec_lo
	s_and_b32 s12, s81, exec_lo
	s_and_b32 s14, s82, exec_lo
	v_mov_b32_e32 v1, v2
	s_or_b32 s77, s10, s12
	s_or_b32 s78, s13, s14
	s_and_b32 s81, s17, exec_lo
.LBB95_392:                             ;   in Loop: Header=BB95_6 Depth=1
	s_or_b32 exec_lo, exec_lo, s79
	s_delay_alu instid0(SALU_CYCLE_1)
	s_and_b32 s79, s76, exec_lo
	s_and_b32 s77, s77, exec_lo
	;; [unrolled: 1-line block ×3, first 2 shown]
	s_or_not1_b32 s10, s81, exec_lo
.LBB95_393:                             ;   in Loop: Header=BB95_6 Depth=1
	s_or_b32 exec_lo, exec_lo, s18
	s_delay_alu instid0(SALU_CYCLE_1)
	s_and_not1_b32 s12, s22, exec_lo
	s_and_b32 s13, s79, exec_lo
	s_and_not1_b32 s14, s74, exec_lo
	s_or_b32 s22, s12, s13
	s_and_not1_b32 s12, s73, exec_lo
	s_and_b32 s13, s77, exec_lo
	s_and_b32 s16, s76, exec_lo
	v_mov_b32_e32 v4, v1
	s_or_b32 s73, s12, s13
	s_or_b32 s74, s14, s16
	s_and_b32 s77, s10, exec_lo
.LBB95_394:                             ;   in Loop: Header=BB95_6 Depth=1
	s_or_b32 exec_lo, exec_lo, s75
	s_delay_alu instid0(SALU_CYCLE_1)
	s_and_b32 s75, s22, exec_lo
	s_and_b32 s73, s73, exec_lo
	;; [unrolled: 1-line block ×3, first 2 shown]
	s_or_not1_b32 s74, s77, exec_lo
.LBB95_395:                             ;   in Loop: Header=BB95_6 Depth=1
	s_or_b32 exec_lo, exec_lo, s19
	s_mov_b32 s10, s20
	s_mov_b32 s12, s11
	s_and_saveexec_b32 s13, s74
; %bb.396:                              ;   in Loop: Header=BB95_6 Depth=1
	v_cmp_eq_u32_e32 vcc_lo, 5, v8
	v_cmp_ne_u32_e64 s10, 5, v8
	s_and_not1_b32 s12, s11, exec_lo
	s_and_not1_b32 s14, s20, exec_lo
	;; [unrolled: 1-line block ×3, first 2 shown]
	s_and_b32 s16, vcc_lo, exec_lo
	s_and_b32 s10, s10, exec_lo
	s_and_not1_b32 s73, s73, exec_lo
	s_and_not1_b32 s22, s22, exec_lo
	s_or_b32 s12, s12, s10
	s_or_b32 s10, s14, s16
; %bb.397:                              ;   in Loop: Header=BB95_6 Depth=1
	s_or_b32 exec_lo, exec_lo, s13
	s_delay_alu instid0(SALU_CYCLE_1)
	s_and_not1_b32 s13, s23, exec_lo
	s_and_b32 s14, s75, exec_lo
	v_dual_mov_b32 v1, v28 :: v_dual_mov_b32 v2, v27
	s_or_b32 s23, s13, s14
	s_and_not1_b32 s13, s72, exec_lo
	s_and_b32 s14, s73, exec_lo
	v_mov_b32_e32 v3, v29
	s_and_not1_b32 s15, s15, exec_lo
	s_and_b32 s16, s22, exec_lo
	s_or_b32 s72, s13, s14
	s_and_not1_b32 s11, s11, exec_lo
	s_and_b32 s12, s12, exec_lo
	s_and_not1_b32 s13, s20, exec_lo
	s_and_b32 s10, s10, exec_lo
	s_or_b32 s15, s15, s16
	s_or_b32 s11, s11, s12
	;; [unrolled: 1-line block ×3, first 2 shown]
.LBB95_398:                             ;   in Loop: Header=BB95_6 Depth=1
	s_or_b32 exec_lo, exec_lo, s21
	s_mov_b32 s22, s15
	s_mov_b32 s21, s15
	s_and_saveexec_b32 s10, s20
.LBB95_399:                             ;   in Loop: Header=BB95_6 Depth=1
	v_mov_b32_e32 v8, 0
	s_and_not1_b32 s15, s15, exec_lo
	s_and_not1_b32 s23, s23, exec_lo
	;; [unrolled: 1-line block ×5, first 2 shown]
	s_or_b32 s11, s11, exec_lo
.LBB95_400:                             ;   in Loop: Header=BB95_6 Depth=1
	s_or_b32 exec_lo, exec_lo, s10
	s_delay_alu instid0(SALU_CYCLE_1)
	s_and_not1_b32 s10, s71, exec_lo
	s_and_b32 s13, s15, exec_lo
	s_and_not1_b32 s14, s68, exec_lo
	s_or_b32 s71, s10, s13
	s_and_not1_b32 s10, s70, exec_lo
	s_and_b32 s13, s23, exec_lo
	s_and_b32 s15, s72, exec_lo
	s_or_b32 s70, s10, s13
	s_or_b32 s68, s14, s15
	s_and_not1_b32 s10, s69, exec_lo
	s_and_b32 s13, s22, exec_lo
	s_and_not1_b32 s14, s67, exec_lo
	s_and_b32 s15, s21, exec_lo
	s_mov_b32 s12, -1
	s_or_b32 s69, s10, s13
	s_or_b32 s67, s14, s15
                                        ; implicit-def: $vgpr27
                                        ; implicit-def: $vgpr28
                                        ; implicit-def: $vgpr30
                                        ; implicit-def: $vgpr29
	s_and_saveexec_b32 s10, s11
	s_delay_alu instid0(SALU_CYCLE_1)
	s_xor_b32 s10, exec_lo, s10
	s_cbranch_execz .LBB95_5
; %bb.401:                              ;   in Loop: Header=BB95_6 Depth=1
	s_mov_b32 s11, -1
	s_mov_b32 s13, exec_lo
	v_cmpx_eq_u32_e32 0, v8
	s_cbranch_execz .LBB95_4
; %bb.402:                              ;   in Loop: Header=BB95_6 Depth=1
	s_xor_b32 s61, s61, 1
	s_add_i32 s14, s65, -2
	s_cmp_eq_u32 s65, 0
	s_mov_b32 s65, s14
	s_cselect_b32 s11, -1, 0
	s_xor_b32 s12, exec_lo, -1
	s_or_not1_b32 s11, s11, exec_lo
	s_branch .LBB95_4
.LBB95_403:
	s_or_b32 exec_lo, exec_lo, s37
	s_xor_b32 s7, s66, -1
	s_xor_b32 s12, s63, -1
	;; [unrolled: 1-line block ×5, first 2 shown]
	s_mov_b32 s9, 0
	s_and_saveexec_b32 s10, s8
	s_delay_alu instid0(SALU_CYCLE_1)
	s_xor_b32 s8, exec_lo, s10
	s_cbranch_execz .LBB95_462
; %bb.404:
	s_mov_b32 s10, 0
	s_and_saveexec_b32 s9, s11
	s_delay_alu instid0(SALU_CYCLE_1)
	s_xor_b32 s9, exec_lo, s9
	s_cbranch_execz .LBB95_460
; %bb.405:
	;; [unrolled: 6-line block ×4, first 2 shown]
	s_and_saveexec_b32 s7, s6
	s_delay_alu instid0(SALU_CYCLE_1)
	s_xor_b32 s6, exec_lo, s7
; %bb.408:
	v_and_b32_e32 v2, 0x8000, v1
	v_mov_b32_e32 v3, 0xffff
	s_delay_alu instid0(VALU_DEP_2) | instskip(NEXT) | instid1(VALU_DEP_2)
	v_cmp_eq_u32_e32 vcc_lo, 0, v2
	v_cndmask_b32_e32 v2, 0x8000, v3, vcc_lo
	s_delay_alu instid0(VALU_DEP_1)
	v_xor_b32_e32 v3, v2, v1
; %bb.409:
	s_or_b32 exec_lo, exec_lo, s6
	s_and_saveexec_b32 s6, s5
	s_cbranch_execz .LBB95_411
; %bb.410:
	v_mov_b32_e32 v1, 0
	ds_store_b32 v1, v1 offset:4108
.LBB95_411:
	s_or_b32 exec_lo, exec_lo, s6
	v_mov_b32_e32 v9, 0
	s_waitcnt lgkmcnt(0)
	s_barrier
	buffer_gl0_inv
	s_and_saveexec_b32 s5, s4
	s_cbranch_execz .LBB95_413
; %bb.412:
	global_load_u16 v9, v[5:6], off
.LBB95_413:
	s_or_b32 exec_lo, exec_lo, s5
	v_mov_b32_e32 v8, 0x8000
	s_clause 0x1
	s_load_b32 s5, s[0:1], 0x1c8
	s_load_b32 s12, s[0:1], 0x2a8
	v_cmp_lt_i16_e32 vcc_lo, -1, v3
	v_and_b32_e32 v1, 0xffff, v3
	s_mul_i32 s6, s41, s39
	s_mov_b32 s7, 0
	s_add_i32 s13, s24, 31
	v_cndmask_b32_e32 v2, 0xffff, v8, vcc_lo
	v_cmp_o_f16_e32 vcc_lo, v3, v3
	s_lshl_b64 s[14:15], s[6:7], 1
	s_mul_i32 s16, s40, s39
	s_and_not1_b32 s13, s13, 31
	v_xor_b32_e32 v1, v2, v1
	s_mov_b32 s17, s7
	s_add_u32 s6, s34, s14
	s_addc_u32 s14, s35, s15
	s_lshl_b64 s[16:17], s[16:17], 3
	v_cndmask_b32_e32 v7, 0xffff, v1, vcc_lo
	v_cmp_gt_u32_e32 vcc_lo, s13, v0
	s_add_u32 s15, s30, s16
	s_mov_b32 s0, -1
	s_addc_u32 s16, s31, s17
	s_mov_b32 s1, 0
	s_and_saveexec_b32 s17, vcc_lo
	s_cbranch_execz .LBB95_431
; %bb.414:
	v_dual_mov_b32 v2, 0 :: v_dual_add_nc_u32 v1, s36, v0
	v_mov_b32_e32 v3, v0
	s_mov_b32 s18, 0
                                        ; implicit-def: $sgpr19
                                        ; implicit-def: $vgpr11
	s_delay_alu instid0(VALU_DEP_2)
	v_mul_lo_u32 v1, s28, v1
	s_branch .LBB95_416
.LBB95_415:                             ;   in Loop: Header=BB95_416 Depth=1
	s_or_b32 exec_lo, exec_lo, s20
	s_xor_b32 s0, s22, -1
	s_and_b32 s1, exec_lo, s1
	v_mov_b32_e32 v3, v10
	s_or_b32 s18, s1, s18
	s_waitcnt vmcnt(0)
	v_mov_b32_e32 v9, v12
	s_and_not1_b32 s1, s19, exec_lo
	s_and_b32 s0, s0, exec_lo
	s_delay_alu instid0(SALU_CYCLE_1)
	s_or_b32 s19, s1, s0
	s_and_not1_b32 exec_lo, exec_lo, s18
	s_cbranch_execz .LBB95_430
.LBB95_416:                             ; =>This Inner Loop Header: Depth=1
	s_delay_alu instid0(VALU_DEP_2) | instskip(SKIP_2) | instid1(VALU_DEP_2)
	v_add_nc_u32_e32 v10, s36, v3
	v_mov_b32_e32 v12, 0
	s_mov_b32 s1, exec_lo
	v_cmpx_gt_u32_e64 s24, v10
	s_cbranch_execz .LBB95_418
; %bb.417:                              ;   in Loop: Header=BB95_416 Depth=1
	s_delay_alu instid0(VALU_DEP_4) | instskip(NEXT) | instid1(VALU_DEP_1)
	v_lshlrev_b64 v[12:13], 1, v[1:2]
	v_add_co_u32 v12, s0, s29, v12
	s_delay_alu instid0(VALU_DEP_1)
	v_add_co_ci_u32_e64 v13, s0, s33, v13, s0
	global_load_u16 v12, v[12:13], off
.LBB95_418:                             ;   in Loop: Header=BB95_416 Depth=1
	s_or_b32 exec_lo, exec_lo, s1
	s_mov_b32 s20, 0
	s_mov_b32 s1, exec_lo
	v_cmpx_gt_u32_e64 s24, v3
	s_cbranch_execz .LBB95_420
; %bb.419:                              ;   in Loop: Header=BB95_416 Depth=1
	s_waitcnt vmcnt(0)
	v_cmp_lt_i16_e64 s0, -1, v9
	v_and_b32_e32 v4, 0xffff, v9
	s_delay_alu instid0(VALU_DEP_2) | instskip(SKIP_1) | instid1(VALU_DEP_2)
	v_cndmask_b32_e64 v13, 0xffff, v8, s0
	v_cmp_o_f16_e64 s0, v9, v9
	v_xor_b32_e32 v4, v13, v4
	s_delay_alu instid0(VALU_DEP_1) | instskip(NEXT) | instid1(VALU_DEP_1)
	v_cndmask_b32_e64 v4, 0xffff, v4, s0
	v_cmp_gt_u32_e64 s0, v4, v7
	s_delay_alu instid0(VALU_DEP_1) | instskip(SKIP_1) | instid1(VALU_DEP_1)
	v_cndmask_b32_e64 v13, 0, 1, s0
	v_cmp_lt_u32_e64 s0, v4, v7
	v_cndmask_b32_e64 v4, 0, 1, s0
	s_delay_alu instid0(VALU_DEP_1) | instskip(NEXT) | instid1(VALU_DEP_1)
	v_cndmask_b32_e64 v4, v4, v13, s3
	v_and_b32_e32 v4, 1, v4
	s_delay_alu instid0(VALU_DEP_1) | instskip(NEXT) | instid1(VALU_DEP_1)
	v_cmp_eq_u32_e64 s0, 1, v4
	s_and_b32 s20, s0, exec_lo
.LBB95_420:                             ;   in Loop: Header=BB95_416 Depth=1
	s_or_b32 exec_lo, exec_lo, s1
	v_cndmask_b32_e64 v4, 0, 1, s20
	s_delay_alu instid0(VALU_DEP_1) | instskip(NEXT) | instid1(VALU_DEP_1)
	v_cmp_ne_u32_e64 s0, 0, v4
	s_cmp_lg_u32 s0, 0
	s_cselect_b32 s1, -1, 0
	s_delay_alu instid0(SALU_CYCLE_1) | instskip(NEXT) | instid1(SALU_CYCLE_1)
	s_and_b32 s1, s2, s1
	s_and_saveexec_b32 s21, s1
	s_cbranch_execz .LBB95_424
; %bb.421:                              ;   in Loop: Header=BB95_416 Depth=1
	s_mov_b32 s26, exec_lo
	s_bcnt1_i32_b32 s22, s0
	v_mbcnt_lo_u32_b32 v4, s26, 0
	s_mov_b32 s23, exec_lo
                                        ; implicit-def: $vgpr11
	s_delay_alu instid0(VALU_DEP_1)
	v_cmpx_eq_u32_e32 0, v4
	s_cbranch_execz .LBB95_423
; %bb.422:                              ;   in Loop: Header=BB95_416 Depth=1
	s_bcnt1_i32_b32 s1, s26
	s_delay_alu instid0(SALU_CYCLE_1)
	s_mul_i32 s1, s22, s1
	s_waitcnt lgkmcnt(0)
	v_mov_b32_e32 v11, s1
	ds_add_rtn_u32 v11, v2, v11 offset:4108
.LBB95_423:                             ;   in Loop: Header=BB95_416 Depth=1
	s_or_b32 exec_lo, exec_lo, s23
	s_waitcnt lgkmcnt(0)
	v_readfirstlane_b32 s1, v11
	s_delay_alu instid0(VALU_DEP_1)
	v_mad_u32_u24 v11, s22, v4, s1
.LBB95_424:                             ;   in Loop: Header=BB95_416 Depth=1
	s_or_b32 exec_lo, exec_lo, s21
	s_waitcnt lgkmcnt(0)
	ds_bpermute_b32 v11, v2, v11
	s_mov_b32 s1, -1
	s_mov_b32 s23, -1
                                        ; implicit-def: $sgpr22
	s_and_saveexec_b32 s21, s20
	s_cbranch_execz .LBB95_428
; %bb.425:                              ;   in Loop: Header=BB95_416 Depth=1
	v_and_b32_e32 v4, s0, v14
	s_mov_b32 s20, 0
	s_mov_b32 s22, exec_lo
	s_waitcnt lgkmcnt(0)
	s_delay_alu instid0(VALU_DEP_1) | instskip(NEXT) | instid1(VALU_DEP_1)
	v_bcnt_u32_b32 v4, v4, v11
	v_cmpx_gt_u32_e64 s25, v4
	s_cbranch_execz .LBB95_427
; %bb.426:                              ;   in Loop: Header=BB95_416 Depth=1
	v_mul_lo_u32 v15, v4, s5
	v_mov_b32_e32 v16, v2
	v_mul_lo_u32 v17, v4, s12
	v_mov_b32_e32 v18, v2
	v_mov_b32_e32 v4, v2
	s_mov_b32 s20, exec_lo
	v_lshlrev_b64 v[15:16], 1, v[15:16]
	s_delay_alu instid0(VALU_DEP_3) | instskip(NEXT) | instid1(VALU_DEP_2)
	v_lshlrev_b64 v[17:18], 3, v[17:18]
	v_add_co_u32 v15, s0, s6, v15
	s_delay_alu instid0(VALU_DEP_1) | instskip(NEXT) | instid1(VALU_DEP_3)
	v_add_co_ci_u32_e64 v16, s0, s14, v16, s0
	v_add_co_u32 v17, s0, s15, v17
	s_delay_alu instid0(VALU_DEP_1)
	v_add_co_ci_u32_e64 v18, s0, s16, v18, s0
	s_waitcnt vmcnt(0)
	global_store_b16 v[15:16], v9, off
	global_store_b64 v[17:18], v[3:4], off
.LBB95_427:                             ;   in Loop: Header=BB95_416 Depth=1
	s_or_b32 exec_lo, exec_lo, s22
	s_mov_b32 s22, -1
	s_or_not1_b32 s23, s20, exec_lo
.LBB95_428:                             ;   in Loop: Header=BB95_416 Depth=1
	s_or_b32 exec_lo, exec_lo, s21
	s_and_saveexec_b32 s20, s23
	s_cbranch_execz .LBB95_415
; %bb.429:                              ;   in Loop: Header=BB95_416 Depth=1
	v_cmp_le_u32_e64 s0, s13, v10
	v_add_nc_u32_e32 v1, s38, v1
	s_and_not1_b32 s22, s22, exec_lo
	s_delay_alu instid0(VALU_DEP_2)
	s_or_not1_b32 s1, s0, exec_lo
	s_branch .LBB95_415
.LBB95_430:
	s_or_b32 exec_lo, exec_lo, s18
	s_delay_alu instid0(SALU_CYCLE_1)
	s_mov_b32 s1, exec_lo
	s_or_not1_b32 s0, s19, exec_lo
.LBB95_431:
	s_or_b32 exec_lo, exec_lo, s17
	s_and_saveexec_b32 s3, s0
	s_cbranch_execz .LBB95_454
; %bb.432:
	v_mov_b32_e32 v8, 0
	s_waitcnt vmcnt(0) lgkmcnt(0)
	s_waitcnt_vscnt null, 0x0
	s_barrier
	buffer_gl0_inv
	s_and_saveexec_b32 s0, s4
	s_cbranch_execz .LBB95_434
; %bb.433:
	global_load_u16 v8, v[5:6], off
.LBB95_434:
	s_or_b32 exec_lo, exec_lo, s0
	s_mov_b32 s0, 0
	s_and_saveexec_b32 s4, vcc_lo
	s_cbranch_execz .LBB95_453
; %bb.435:
	v_dual_mov_b32 v4, 0x8000 :: v_dual_add_nc_u32 v1, s36, v0
	v_mov_b32_e32 v3, 0
	s_mov_b32 s17, 0
                                        ; implicit-def: $sgpr7
                                        ; implicit-def: $vgpr5
	s_delay_alu instid0(VALU_DEP_2)
	v_mul_lo_u32 v2, s28, v1
	s_branch .LBB95_438
.LBB95_436:                             ;   in Loop: Header=BB95_438 Depth=1
	s_or_b32 exec_lo, exec_lo, s19
	v_mov_b32_e32 v8, v9
	v_mov_b32_e32 v0, v6
	s_or_not1_b32 s20, s20, exec_lo
	s_or_not1_b32 s18, s18, exec_lo
.LBB95_437:                             ;   in Loop: Header=BB95_438 Depth=1
	s_or_b32 exec_lo, exec_lo, s0
	s_xor_b32 s0, s20, -1
	s_and_b32 s18, exec_lo, s18
	s_delay_alu instid0(SALU_CYCLE_1) | instskip(SKIP_2) | instid1(SALU_CYCLE_1)
	s_or_b32 s17, s18, s17
	s_and_not1_b32 s7, s7, exec_lo
	s_and_b32 s0, s0, exec_lo
	s_or_b32 s7, s7, s0
	s_and_not1_b32 exec_lo, exec_lo, s17
	s_cbranch_execz .LBB95_451
.LBB95_438:                             ; =>This Inner Loop Header: Depth=1
	v_dual_mov_b32 v9, 0 :: v_dual_add_nc_u32 v6, s36, v0
	s_mov_b32 s0, exec_lo
	s_delay_alu instid0(VALU_DEP_1)
	v_cmpx_gt_u32_e64 s24, v6
	s_cbranch_execz .LBB95_440
; %bb.439:                              ;   in Loop: Header=BB95_438 Depth=1
	s_delay_alu instid0(VALU_DEP_3) | instskip(NEXT) | instid1(VALU_DEP_1)
	v_lshlrev_b64 v[9:10], 1, v[2:3]
	v_add_co_u32 v9, vcc_lo, s29, v9
	s_delay_alu instid0(VALU_DEP_2)
	v_add_co_ci_u32_e32 v10, vcc_lo, s33, v10, vcc_lo
	global_load_u16 v9, v[9:10], off
.LBB95_440:                             ;   in Loop: Header=BB95_438 Depth=1
	s_or_b32 exec_lo, exec_lo, s0
	s_waitcnt vmcnt(0)
	v_cmp_lt_i16_e32 vcc_lo, -1, v8
	v_and_b32_e32 v1, 0xffff, v8
	v_cndmask_b32_e32 v10, 0xffff, v4, vcc_lo
	v_cmp_o_f16_e32 vcc_lo, v8, v8
	s_delay_alu instid0(VALU_DEP_2) | instskip(NEXT) | instid1(VALU_DEP_1)
	v_xor_b32_e32 v1, v10, v1
	v_cndmask_b32_e32 v1, 0xffff, v1, vcc_lo
	v_cmp_gt_u32_e32 vcc_lo, s24, v0
	s_delay_alu instid0(VALU_DEP_2) | instskip(NEXT) | instid1(VALU_DEP_1)
	v_cmp_eq_u32_e64 s0, v1, v7
	s_and_b32 s19, vcc_lo, s0
	s_delay_alu instid0(SALU_CYCLE_1) | instskip(NEXT) | instid1(VALU_DEP_1)
	v_cndmask_b32_e64 v1, 0, 1, s19
	v_cmp_ne_u32_e32 vcc_lo, 0, v1
	s_cmp_lg_u32 vcc_lo, 0
	s_cselect_b32 s0, -1, 0
	s_delay_alu instid0(SALU_CYCLE_1) | instskip(NEXT) | instid1(SALU_CYCLE_1)
	s_and_b32 s0, s2, s0
	s_and_saveexec_b32 s18, s0
	s_cbranch_execz .LBB95_444
; %bb.441:                              ;   in Loop: Header=BB95_438 Depth=1
	s_mov_b32 s22, exec_lo
	s_bcnt1_i32_b32 s20, vcc_lo
	v_mbcnt_lo_u32_b32 v1, s22, 0
	s_mov_b32 s21, exec_lo
                                        ; implicit-def: $vgpr5
	s_delay_alu instid0(VALU_DEP_1)
	v_cmpx_eq_u32_e32 0, v1
	s_cbranch_execz .LBB95_443
; %bb.442:                              ;   in Loop: Header=BB95_438 Depth=1
	s_bcnt1_i32_b32 s0, s22
	s_delay_alu instid0(SALU_CYCLE_1) | instskip(NEXT) | instid1(SALU_CYCLE_1)
	s_mul_i32 s0, s20, s0
	v_mov_b32_e32 v5, s0
	ds_add_rtn_u32 v5, v3, v5 offset:4108
.LBB95_443:                             ;   in Loop: Header=BB95_438 Depth=1
	s_or_b32 exec_lo, exec_lo, s21
	s_waitcnt lgkmcnt(0)
	v_readfirstlane_b32 s0, v5
	s_delay_alu instid0(VALU_DEP_1)
	v_mad_u32_u24 v5, s20, v1, s0
.LBB95_444:                             ;   in Loop: Header=BB95_438 Depth=1
	s_or_b32 exec_lo, exec_lo, s18
	ds_bpermute_b32 v5, v3, v5
	s_cmp_eq_u32 vcc_lo, 0
	s_mov_b32 s18, -1
	s_cselect_b32 s20, -1, 0
	s_waitcnt lgkmcnt(0)
	v_cmp_gt_u32_e64 s0, s25, v5
	s_delay_alu instid0(VALU_DEP_1)
	s_or_b32 s21, s20, s0
	s_mov_b32 s20, -1
	s_and_saveexec_b32 s0, s21
	s_cbranch_execz .LBB95_437
; %bb.445:                              ;   in Loop: Header=BB95_438 Depth=1
	v_and_b32_e32 v1, vcc_lo, v14
	v_sub_nc_u32_e32 v10, s25, v5
	s_mov_b32 s21, -1
	s_delay_alu instid0(VALU_DEP_2) | instskip(NEXT) | instid1(VALU_DEP_1)
	v_bcnt_u32_b32 v1, v1, 0
	v_bcnt_u32_b32 v1, 0, v1
	s_delay_alu instid0(VALU_DEP_1) | instskip(SKIP_1) | instid1(SALU_CYCLE_1)
	v_cmp_gt_u32_e32 vcc_lo, v10, v1
	s_and_b32 s22, s19, vcc_lo
	s_and_saveexec_b32 s19, s22
	s_cbranch_execz .LBB95_449
; %bb.446:                              ;   in Loop: Header=BB95_438 Depth=1
	v_add_nc_u32_e32 v1, v5, v1
	s_mov_b32 s21, 0
	s_mov_b32 s20, exec_lo
	s_delay_alu instid0(VALU_DEP_1)
	v_cmpx_gt_u32_e64 s25, v1
	s_cbranch_execz .LBB95_448
; %bb.447:                              ;   in Loop: Header=BB95_438 Depth=1
	v_mul_lo_u32 v10, v1, s5
	v_mov_b32_e32 v11, v3
	v_mul_lo_u32 v12, v1, s12
	v_mov_b32_e32 v13, v3
	v_mov_b32_e32 v1, v3
	s_mov_b32 s21, exec_lo
	v_lshlrev_b64 v[10:11], 1, v[10:11]
	s_delay_alu instid0(VALU_DEP_3) | instskip(NEXT) | instid1(VALU_DEP_2)
	v_lshlrev_b64 v[12:13], 3, v[12:13]
	v_add_co_u32 v10, vcc_lo, s6, v10
	s_delay_alu instid0(VALU_DEP_3) | instskip(NEXT) | instid1(VALU_DEP_3)
	v_add_co_ci_u32_e32 v11, vcc_lo, s14, v11, vcc_lo
	v_add_co_u32 v12, vcc_lo, s15, v12
	s_delay_alu instid0(VALU_DEP_4)
	v_add_co_ci_u32_e32 v13, vcc_lo, s16, v13, vcc_lo
	global_store_b16 v[10:11], v8, off
	global_store_b64 v[12:13], v[0:1], off
.LBB95_448:                             ;   in Loop: Header=BB95_438 Depth=1
	s_or_b32 exec_lo, exec_lo, s20
	s_delay_alu instid0(SALU_CYCLE_1)
	s_xor_b32 s20, exec_lo, -1
	s_or_not1_b32 s21, s21, exec_lo
.LBB95_449:                             ;   in Loop: Header=BB95_438 Depth=1
	s_or_b32 exec_lo, exec_lo, s19
	s_and_saveexec_b32 s19, s21
	s_cbranch_execz .LBB95_436
; %bb.450:                              ;   in Loop: Header=BB95_438 Depth=1
	v_cmp_le_u32_e32 vcc_lo, s13, v6
	v_add_nc_u32_e32 v2, s38, v2
	s_or_b32 s20, s20, exec_lo
	s_or_not1_b32 s18, vcc_lo, exec_lo
	s_branch .LBB95_436
.LBB95_451:
	s_or_b32 exec_lo, exec_lo, s17
	s_mov_b32 s0, 0
	s_and_saveexec_b32 s2, s7
	s_delay_alu instid0(SALU_CYCLE_1)
	s_xor_b32 s2, exec_lo, s2
	s_cbranch_execnz .LBB95_486
.LBB95_452:
	s_or_b32 exec_lo, exec_lo, s2
	s_delay_alu instid0(SALU_CYCLE_1)
	s_and_b32 s0, s0, exec_lo
.LBB95_453:
	s_or_b32 exec_lo, exec_lo, s4
	s_delay_alu instid0(SALU_CYCLE_1)
	s_and_b32 s7, s0, exec_lo
	s_and_not1_b32 s1, s1, exec_lo
.LBB95_454:
	s_or_b32 exec_lo, exec_lo, s3
	s_and_saveexec_b32 s0, s1
	s_delay_alu instid0(SALU_CYCLE_1)
	s_xor_b32 s0, exec_lo, s0
	s_cbranch_execnz .LBB95_480
.LBB95_455:
	s_or_b32 exec_lo, exec_lo, s0
	s_waitcnt lgkmcnt(0)
	s_and_b32 s12, s7, exec_lo
.LBB95_456:
	s_and_not1_saveexec_b32 s0, s11
	s_cbranch_execnz .LBB95_476
.LBB95_457:
	s_or_b32 exec_lo, exec_lo, s0
	s_delay_alu instid0(SALU_CYCLE_1)
	s_and_b32 s11, s12, exec_lo
.LBB95_458:
	s_and_not1_saveexec_b32 s0, s10
	s_cbranch_execnz .LBB95_472
.LBB95_459:
	s_or_b32 exec_lo, exec_lo, s0
	s_delay_alu instid0(SALU_CYCLE_1)
	s_and_b32 s10, s11, exec_lo
.LBB95_460:
	s_and_not1_saveexec_b32 s0, s9
	s_cbranch_execnz .LBB95_468
.LBB95_461:
	s_or_b32 exec_lo, exec_lo, s0
	s_delay_alu instid0(SALU_CYCLE_1)
	s_and_b32 s9, s10, exec_lo
.LBB95_462:
	s_and_not1_saveexec_b32 s0, s8
	s_cbranch_execnz .LBB95_466
; %bb.463:
	s_or_b32 exec_lo, exec_lo, s0
	s_and_saveexec_b32 s0, s9
.LBB95_464:
	; divergent unreachable
.LBB95_465:
	s_nop 0
	s_sendmsg sendmsg(MSG_DEALLOC_VGPRS)
	s_endpgm
.LBB95_466:
	s_cbranch_execnz .LBB95_470
; %bb.467:
	s_or_b32 s9, s9, exec_lo
	s_or_b32 exec_lo, exec_lo, s0
	s_and_saveexec_b32 s0, s9
	s_cbranch_execnz .LBB95_464
	s_branch .LBB95_465
.LBB95_468:
	s_cbranch_execnz .LBB95_474
; %bb.469:
	s_or_b32 s10, s10, exec_lo
	s_branch .LBB95_461
.LBB95_470:
	s_trap 2
	s_sendmsg_rtn_b32 s0, sendmsg(MSG_RTN_GET_DOORBELL)
	s_mov_b32 ttmp2, m0
	s_waitcnt lgkmcnt(0)
	s_and_b32 s0, s0, 0x3ff
	s_delay_alu instid0(SALU_CYCLE_1) | instskip(NEXT) | instid1(SALU_CYCLE_1)
	s_bitset1_b32 s0, 10
	s_mov_b32 m0, s0
	s_sendmsg sendmsg(MSG_INTERRUPT)
	s_mov_b32 m0, ttmp2
.LBB95_471:                             ; =>This Inner Loop Header: Depth=1
	s_sethalt 5
	s_branch .LBB95_471
.LBB95_472:
	s_cbranch_execnz .LBB95_478
; %bb.473:
	s_or_b32 s11, s11, exec_lo
	s_branch .LBB95_459
.LBB95_474:
	s_trap 2
	s_sendmsg_rtn_b32 s0, sendmsg(MSG_RTN_GET_DOORBELL)
	s_mov_b32 ttmp2, m0
	s_waitcnt lgkmcnt(0)
	s_and_b32 s0, s0, 0x3ff
	s_delay_alu instid0(SALU_CYCLE_1) | instskip(NEXT) | instid1(SALU_CYCLE_1)
	s_bitset1_b32 s0, 10
	s_mov_b32 m0, s0
	s_sendmsg sendmsg(MSG_INTERRUPT)
	s_mov_b32 m0, ttmp2
.LBB95_475:                             ; =>This Inner Loop Header: Depth=1
	s_sethalt 5
	s_branch .LBB95_475
.LBB95_476:
	s_cbranch_execnz .LBB95_482
; %bb.477:
	s_or_b32 s12, s12, exec_lo
	s_branch .LBB95_457
.LBB95_478:
	s_trap 2
	s_sendmsg_rtn_b32 s0, sendmsg(MSG_RTN_GET_DOORBELL)
	s_mov_b32 ttmp2, m0
	s_waitcnt lgkmcnt(0)
	s_and_b32 s0, s0, 0x3ff
	s_delay_alu instid0(SALU_CYCLE_1) | instskip(NEXT) | instid1(SALU_CYCLE_1)
	s_bitset1_b32 s0, 10
	s_mov_b32 m0, s0
	s_sendmsg sendmsg(MSG_INTERRUPT)
	s_mov_b32 m0, ttmp2
.LBB95_479:                             ; =>This Inner Loop Header: Depth=1
	s_sethalt 5
	s_branch .LBB95_479
.LBB95_480:
	s_cbranch_execnz .LBB95_484
; %bb.481:
	s_or_b32 s7, s7, exec_lo
	s_branch .LBB95_455
.LBB95_482:
	s_trap 2
	s_sendmsg_rtn_b32 s0, sendmsg(MSG_RTN_GET_DOORBELL)
	s_mov_b32 ttmp2, m0
	s_waitcnt lgkmcnt(0)
	s_and_b32 s0, s0, 0x3ff
	s_delay_alu instid0(SALU_CYCLE_1) | instskip(NEXT) | instid1(SALU_CYCLE_1)
	s_bitset1_b32 s0, 10
	s_mov_b32 m0, s0
	s_sendmsg sendmsg(MSG_INTERRUPT)
	s_mov_b32 m0, ttmp2
.LBB95_483:                             ; =>This Inner Loop Header: Depth=1
	s_sethalt 5
	s_branch .LBB95_483
.LBB95_484:
	s_trap 2
	s_sendmsg_rtn_b32 s0, sendmsg(MSG_RTN_GET_DOORBELL)
	s_mov_b32 ttmp2, m0
	s_waitcnt lgkmcnt(0)
	s_and_b32 s0, s0, 0x3ff
	s_delay_alu instid0(SALU_CYCLE_1) | instskip(NEXT) | instid1(SALU_CYCLE_1)
	s_bitset1_b32 s0, 10
	s_mov_b32 m0, s0
	s_sendmsg sendmsg(MSG_INTERRUPT)
	s_mov_b32 m0, ttmp2
.LBB95_485:                             ; =>This Inner Loop Header: Depth=1
	s_sethalt 5
	s_branch .LBB95_485
.LBB95_486:
	s_cbranch_execnz .LBB95_488
; %bb.487:
	s_mov_b32 s0, exec_lo
	s_branch .LBB95_452
.LBB95_488:
	s_trap 2
	s_sendmsg_rtn_b32 s0, sendmsg(MSG_RTN_GET_DOORBELL)
	s_mov_b32 ttmp2, m0
	s_waitcnt lgkmcnt(0)
	s_and_b32 s0, s0, 0x3ff
	s_delay_alu instid0(SALU_CYCLE_1) | instskip(NEXT) | instid1(SALU_CYCLE_1)
	s_bitset1_b32 s0, 10
	s_mov_b32 m0, s0
	s_sendmsg sendmsg(MSG_INTERRUPT)
	s_mov_b32 m0, ttmp2
.LBB95_489:                             ; =>This Inner Loop Header: Depth=1
	s_sethalt 5
	s_branch .LBB95_489
	.section	.rodata,"a",@progbits
	.p2align	6, 0x0
	.amdhsa_kernel _ZN2at6native6sbtopk10gatherTopKIN3c104HalfEjLi1ELb0EEEvNS_4cuda6detail10TensorInfoIKT_T0_EESA_SA_bSA_SA_NS7_IS8_SA_EESA_NS7_IlSA_EESA_PS8_
		.amdhsa_group_segment_fixed_size 4112
		.amdhsa_private_segment_fixed_size 0
		.amdhsa_kernarg_size 952
		.amdhsa_user_sgpr_count 13
		.amdhsa_user_sgpr_dispatch_ptr 0
		.amdhsa_user_sgpr_queue_ptr 0
		.amdhsa_user_sgpr_kernarg_segment_ptr 1
		.amdhsa_user_sgpr_dispatch_id 0
		.amdhsa_user_sgpr_private_segment_size 0
		.amdhsa_wavefront_size32 1
		.amdhsa_uses_dynamic_stack 0
		.amdhsa_enable_private_segment 0
		.amdhsa_system_sgpr_workgroup_id_x 1
		.amdhsa_system_sgpr_workgroup_id_y 1
		.amdhsa_system_sgpr_workgroup_id_z 1
		.amdhsa_system_sgpr_workgroup_info 0
		.amdhsa_system_vgpr_workitem_id 0
		.amdhsa_next_free_vgpr 37
		.amdhsa_next_free_sgpr 91
		.amdhsa_reserve_vcc 1
		.amdhsa_float_round_mode_32 0
		.amdhsa_float_round_mode_16_64 0
		.amdhsa_float_denorm_mode_32 3
		.amdhsa_float_denorm_mode_16_64 3
		.amdhsa_dx10_clamp 1
		.amdhsa_ieee_mode 1
		.amdhsa_fp16_overflow 0
		.amdhsa_workgroup_processor_mode 1
		.amdhsa_memory_ordered 1
		.amdhsa_forward_progress 0
		.amdhsa_shared_vgpr_count 0
		.amdhsa_exception_fp_ieee_invalid_op 0
		.amdhsa_exception_fp_denorm_src 0
		.amdhsa_exception_fp_ieee_div_zero 0
		.amdhsa_exception_fp_ieee_overflow 0
		.amdhsa_exception_fp_ieee_underflow 0
		.amdhsa_exception_fp_ieee_inexact 0
		.amdhsa_exception_int_div_zero 0
	.end_amdhsa_kernel
	.section	.text._ZN2at6native6sbtopk10gatherTopKIN3c104HalfEjLi1ELb0EEEvNS_4cuda6detail10TensorInfoIKT_T0_EESA_SA_bSA_SA_NS7_IS8_SA_EESA_NS7_IlSA_EESA_PS8_,"axG",@progbits,_ZN2at6native6sbtopk10gatherTopKIN3c104HalfEjLi1ELb0EEEvNS_4cuda6detail10TensorInfoIKT_T0_EESA_SA_bSA_SA_NS7_IS8_SA_EESA_NS7_IlSA_EESA_PS8_,comdat
.Lfunc_end95:
	.size	_ZN2at6native6sbtopk10gatherTopKIN3c104HalfEjLi1ELb0EEEvNS_4cuda6detail10TensorInfoIKT_T0_EESA_SA_bSA_SA_NS7_IS8_SA_EESA_NS7_IlSA_EESA_PS8_, .Lfunc_end95-_ZN2at6native6sbtopk10gatherTopKIN3c104HalfEjLi1ELb0EEEvNS_4cuda6detail10TensorInfoIKT_T0_EESA_SA_bSA_SA_NS7_IS8_SA_EESA_NS7_IlSA_EESA_PS8_
                                        ; -- End function
	.section	.AMDGPU.csdata,"",@progbits
; Kernel info:
; codeLenInByte = 16432
; NumSgprs: 93
; NumVgprs: 37
; ScratchSize: 0
; MemoryBound: 0
; FloatMode: 240
; IeeeMode: 1
; LDSByteSize: 4112 bytes/workgroup (compile time only)
; SGPRBlocks: 11
; VGPRBlocks: 4
; NumSGPRsForWavesPerEU: 93
; NumVGPRsForWavesPerEU: 37
; Occupancy: 16
; WaveLimiterHint : 1
; COMPUTE_PGM_RSRC2:SCRATCH_EN: 0
; COMPUTE_PGM_RSRC2:USER_SGPR: 13
; COMPUTE_PGM_RSRC2:TRAP_HANDLER: 0
; COMPUTE_PGM_RSRC2:TGID_X_EN: 1
; COMPUTE_PGM_RSRC2:TGID_Y_EN: 1
; COMPUTE_PGM_RSRC2:TGID_Z_EN: 1
; COMPUTE_PGM_RSRC2:TIDIG_COMP_CNT: 0
	.section	.text._ZN2at6native6mbtopk23computeBlockDigitCountsIN3c104HalfEjjLi2EEEvNS_4cuda6detail10TensorInfoIKT_T0_EEjPjjSA_iijT1_PSD_Ps,"axG",@progbits,_ZN2at6native6mbtopk23computeBlockDigitCountsIN3c104HalfEjjLi2EEEvNS_4cuda6detail10TensorInfoIKT_T0_EEjPjjSA_iijT1_PSD_Ps,comdat
	.protected	_ZN2at6native6mbtopk23computeBlockDigitCountsIN3c104HalfEjjLi2EEEvNS_4cuda6detail10TensorInfoIKT_T0_EEjPjjSA_iijT1_PSD_Ps ; -- Begin function _ZN2at6native6mbtopk23computeBlockDigitCountsIN3c104HalfEjjLi2EEEvNS_4cuda6detail10TensorInfoIKT_T0_EEjPjjSA_iijT1_PSD_Ps
	.globl	_ZN2at6native6mbtopk23computeBlockDigitCountsIN3c104HalfEjjLi2EEEvNS_4cuda6detail10TensorInfoIKT_T0_EEjPjjSA_iijT1_PSD_Ps
	.p2align	8
	.type	_ZN2at6native6mbtopk23computeBlockDigitCountsIN3c104HalfEjjLi2EEEvNS_4cuda6detail10TensorInfoIKT_T0_EEjPjjSA_iijT1_PSD_Ps,@function
_ZN2at6native6mbtopk23computeBlockDigitCountsIN3c104HalfEjjLi2EEEvNS_4cuda6detail10TensorInfoIKT_T0_EEjPjjSA_iijT1_PSD_Ps: ; @_ZN2at6native6mbtopk23computeBlockDigitCountsIN3c104HalfEjjLi2EEEvNS_4cuda6detail10TensorInfoIKT_T0_EEjPjjSA_iijT1_PSD_Ps
; %bb.0:
	s_clause 0x2
	s_load_b64 s[2:3], s[0:1], 0xf8
	s_load_b128 s[8:11], s[0:1], 0xe8
	s_load_b64 s[4:5], s[0:1], 0x110
	s_waitcnt lgkmcnt(0)
	v_cvt_f32_u32_e32 v1, s2
	s_sub_i32 s7, 0, s2
	s_mul_i32 s5, s5, s15
	s_delay_alu instid0(SALU_CYCLE_1) | instskip(NEXT) | instid1(VALU_DEP_1)
	s_add_i32 s5, s5, s14
	v_rcp_iflag_f32_e32 v1, v1
	s_mul_i32 s16, s5, s4
	s_delay_alu instid0(SALU_CYCLE_1) | instskip(SKIP_3) | instid1(VALU_DEP_1)
	s_add_i32 s16, s16, s13
	s_mov_b32 s13, 0
	s_waitcnt_depctr 0xfff
	v_mul_f32_e32 v1, 0x4f7ffffe, v1
	v_cvt_u32_f32_e32 v1, v1
	s_delay_alu instid0(VALU_DEP_1) | instskip(NEXT) | instid1(VALU_DEP_1)
	v_readfirstlane_b32 s6, v1
	s_mul_i32 s7, s7, s6
	s_delay_alu instid0(SALU_CYCLE_1) | instskip(NEXT) | instid1(SALU_CYCLE_1)
	s_mul_hi_u32 s4, s6, s7
	s_add_i32 s6, s6, s4
	s_delay_alu instid0(SALU_CYCLE_1) | instskip(NEXT) | instid1(SALU_CYCLE_1)
	s_mul_hi_u32 s4, s16, s6
	s_mul_i32 s5, s4, s2
	s_add_i32 s6, s4, 1
	s_sub_i32 s5, s16, s5
	s_delay_alu instid0(SALU_CYCLE_1)
	s_sub_i32 s7, s5, s2
	s_cmp_ge_u32 s5, s2
	s_cselect_b32 s4, s6, s4
	s_cselect_b32 s5, s7, s5
	s_add_i32 s6, s4, 1
	s_cmp_ge_u32 s5, s2
	s_cselect_b32 s12, s6, s4
	s_delay_alu instid0(SALU_CYCLE_1)
	s_cmp_ge_u32 s12, s8
	s_cbranch_scc1 .LBB96_29
; %bb.1:
	s_clause 0x1
	s_load_b32 s17, s[0:1], 0xc
	s_load_b128 s[4:7], s[0:1], 0x100
	s_lshl_b64 s[14:15], s[12:13], 2
	v_cmp_gt_u32_e32 vcc_lo, 0x100, v0
	v_lshlrev_b32_e32 v3, 2, v0
	s_waitcnt lgkmcnt(0)
	v_cvt_f32_u32_e32 v1, s17
	s_add_u32 s14, s4, s14
	s_addc_u32 s15, s5, s15
	s_delay_alu instid0(VALU_DEP_1) | instskip(SKIP_2) | instid1(VALU_DEP_1)
	v_rcp_iflag_f32_e32 v1, v1
	s_waitcnt_depctr 0xfff
	v_mul_f32_e32 v1, 0x4f7ffffe, v1
	v_cvt_u32_f32_e32 v1, v1
	s_delay_alu instid0(VALU_DEP_1)
	v_readfirstlane_b32 s18, v1
	s_and_saveexec_b32 s4, vcc_lo
	s_cbranch_execz .LBB96_3
; %bb.2:
	v_mov_b32_e32 v1, 0
	ds_store_b32 v3, v1
.LBB96_3:
	s_or_b32 exec_lo, exec_lo, s4
	s_load_b32 s8, s[0:1], 0xd8
	s_mul_i32 s4, s12, s2
	s_waitcnt lgkmcnt(0)
	s_sub_i32 s4, s16, s4
	s_barrier
	s_mul_i32 s5, s11, s4
	s_add_i32 s4, s4, 1
	s_lshl_b32 s13, s5, 8
	buffer_gl0_inv
	s_sub_i32 s5, s8, s13
	s_delay_alu instid0(SALU_CYCLE_1) | instskip(SKIP_3) | instid1(VALU_DEP_1)
	s_add_u32 s5, s5, 0xff
	s_addc_u32 s19, 0, 0
	s_cmp_lt_u32 s4, s2
	v_alignbit_b32 v1, s19, s5, 8
	v_readfirstlane_b32 s5, v1
	s_delay_alu instid0(VALU_DEP_1)
	s_cselect_b32 s11, s11, s5
	s_mov_b32 s5, 0
	s_cmp_lt_i32 s11, 1
	s_cbranch_scc1 .LBB96_25
; %bb.4:
	s_sub_i32 s2, 0, s17
	s_load_b64 s[20:21], s[0:1], 0x0
	s_mul_i32 s2, s2, s18
	s_delay_alu instid0(SALU_CYCLE_1) | instskip(NEXT) | instid1(SALU_CYCLE_1)
	s_mul_hi_u32 s2, s18, s2
	s_add_i32 s2, s18, s2
	s_load_b64 s[18:19], s[0:1], 0x6c
	s_mul_hi_u32 s2, s12, s2
	s_load_b32 s1, s[14:15], 0x0
	s_mul_i32 s4, s2, s17
	s_delay_alu instid0(SALU_CYCLE_1)
	s_sub_i32 s0, s12, s4
	s_add_i32 s4, s2, 1
	s_sub_i32 s22, s0, s17
	s_cmp_ge_u32 s0, s17
	s_cselect_b32 s2, s4, s2
	s_cselect_b32 s0, s22, s0
	s_add_i32 s4, s2, 1
	s_cmp_ge_u32 s0, s17
	s_cselect_b32 s0, s4, s2
	s_delay_alu instid0(SALU_CYCLE_1) | instskip(NEXT) | instid1(SALU_CYCLE_1)
	s_mul_i32 s2, s0, s17
	s_sub_i32 s2, s12, s2
	s_waitcnt lgkmcnt(0)
	s_mul_i32 s0, s0, s18
	s_mul_i32 s2, s2, s19
	s_delay_alu instid0(SALU_CYCLE_1) | instskip(NEXT) | instid1(SALU_CYCLE_1)
	s_add_i32 s4, s0, s2
	s_lshl_b64 s[14:15], s[4:5], 1
	s_delay_alu instid0(SALU_CYCLE_1)
	s_add_u32 s2, s20, s14
	s_addc_u32 s4, s21, s15
	s_and_b32 s10, s10, 0xff
	s_cmp_lt_u32 s11, 4
	s_cbranch_scc1 .LBB96_19
; %bb.5:
	v_dual_mov_b32 v10, 0x8000 :: v_dual_add_nc_u32 v1, s13, v0
	s_and_b32 s5, s11, 0x7ffffffc
	s_lshl_b32 s12, s9, 10
	s_mov_b32 s14, 0
	s_delay_alu instid0(VALU_DEP_1) | instskip(SKIP_2) | instid1(VALU_DEP_2)
	v_add_nc_u32_e32 v2, 0x200, v1
	s_mov_b32 s15, 0
	v_mov_b32_e32 v9, 1
	v_mul_lo_u32 v6, s9, v2
	v_mov_b32_e32 v2, 0
	v_add_nc_u32_e32 v4, 0x300, v1
	v_add_nc_u32_e32 v7, 0x100, v1
	v_mul_lo_u32 v8, s9, v1
	s_delay_alu instid0(VALU_DEP_3) | instskip(NEXT) | instid1(VALU_DEP_3)
	v_mul_lo_u32 v5, s9, v4
	v_mul_lo_u32 v7, s9, v7
	s_branch .LBB96_7
.LBB96_6:                               ;   in Loop: Header=BB96_7 Depth=1
	s_or_b32 exec_lo, exec_lo, s17
	v_add_nc_u32_e32 v4, 0x400, v4
	s_add_i32 s15, s15, 4
	s_add_i32 s14, s14, s12
	s_cmp_eq_u32 s5, s15
	s_cbranch_scc1 .LBB96_19
.LBB96_7:                               ; =>This Inner Loop Header: Depth=1
	v_add_nc_u32_e32 v1, 0xfffffd00, v4
	s_mov_b32 s17, exec_lo
	s_delay_alu instid0(VALU_DEP_1)
	v_cmpx_gt_u32_e64 s8, v1
	s_cbranch_execz .LBB96_10
; %bb.8:                                ;   in Loop: Header=BB96_7 Depth=1
	v_add_nc_u32_e32 v1, s14, v8
	s_delay_alu instid0(VALU_DEP_1) | instskip(NEXT) | instid1(VALU_DEP_1)
	v_lshlrev_b64 v[11:12], 1, v[1:2]
	v_add_co_u32 v11, s0, s2, v11
	s_delay_alu instid0(VALU_DEP_1) | instskip(SKIP_4) | instid1(VALU_DEP_2)
	v_add_co_ci_u32_e64 v12, s0, s4, v12, s0
	global_load_u16 v1, v[11:12], off
	s_waitcnt vmcnt(0)
	v_cmp_lt_i16_e64 s0, -1, v1
	v_and_b32_e32 v11, 0xffff, v1
	v_cndmask_b32_e64 v12, 0xffff, v10, s0
	v_cmp_o_f16_e64 s0, v1, v1
	s_delay_alu instid0(VALU_DEP_2) | instskip(NEXT) | instid1(VALU_DEP_1)
	v_xor_b32_e32 v11, v12, v11
	v_cndmask_b32_e64 v1, 0xffff, v11, s0
	s_delay_alu instid0(VALU_DEP_1) | instskip(NEXT) | instid1(VALU_DEP_1)
	v_xor_b32_e32 v11, s1, v1
	v_and_b32_e32 v11, s3, v11
	s_delay_alu instid0(VALU_DEP_1) | instskip(NEXT) | instid1(VALU_DEP_1)
	v_cmp_eq_u32_e64 s0, 0, v11
	s_and_b32 exec_lo, exec_lo, s0
	s_cbranch_execz .LBB96_10
; %bb.9:                                ;   in Loop: Header=BB96_7 Depth=1
	v_bfe_u32 v1, v1, s10, 8
	s_delay_alu instid0(VALU_DEP_1)
	v_lshlrev_b32_e32 v1, 2, v1
	ds_add_u32 v1, v9
.LBB96_10:                              ;   in Loop: Header=BB96_7 Depth=1
	s_or_b32 exec_lo, exec_lo, s17
	v_add_nc_u32_e32 v1, 0xfffffe00, v4
	s_mov_b32 s17, exec_lo
	s_delay_alu instid0(VALU_DEP_1)
	v_cmpx_gt_u32_e64 s8, v1
	s_cbranch_execz .LBB96_13
; %bb.11:                               ;   in Loop: Header=BB96_7 Depth=1
	v_add_nc_u32_e32 v1, s14, v7
	s_delay_alu instid0(VALU_DEP_1) | instskip(NEXT) | instid1(VALU_DEP_1)
	v_lshlrev_b64 v[11:12], 1, v[1:2]
	v_add_co_u32 v11, s0, s2, v11
	s_delay_alu instid0(VALU_DEP_1) | instskip(SKIP_4) | instid1(VALU_DEP_2)
	v_add_co_ci_u32_e64 v12, s0, s4, v12, s0
	global_load_u16 v1, v[11:12], off
	s_waitcnt vmcnt(0)
	v_cmp_lt_i16_e64 s0, -1, v1
	v_and_b32_e32 v11, 0xffff, v1
	v_cndmask_b32_e64 v12, 0xffff, v10, s0
	v_cmp_o_f16_e64 s0, v1, v1
	s_delay_alu instid0(VALU_DEP_2) | instskip(NEXT) | instid1(VALU_DEP_1)
	v_xor_b32_e32 v11, v12, v11
	v_cndmask_b32_e64 v1, 0xffff, v11, s0
	s_delay_alu instid0(VALU_DEP_1) | instskip(NEXT) | instid1(VALU_DEP_1)
	v_xor_b32_e32 v11, s1, v1
	v_and_b32_e32 v11, s3, v11
	s_delay_alu instid0(VALU_DEP_1) | instskip(NEXT) | instid1(VALU_DEP_1)
	v_cmp_eq_u32_e64 s0, 0, v11
	s_and_b32 exec_lo, exec_lo, s0
	s_cbranch_execz .LBB96_13
; %bb.12:                               ;   in Loop: Header=BB96_7 Depth=1
	v_bfe_u32 v1, v1, s10, 8
	s_delay_alu instid0(VALU_DEP_1)
	v_lshlrev_b32_e32 v1, 2, v1
	ds_add_u32 v1, v9
.LBB96_13:                              ;   in Loop: Header=BB96_7 Depth=1
	s_or_b32 exec_lo, exec_lo, s17
	v_add_nc_u32_e32 v1, 0xffffff00, v4
	s_mov_b32 s17, exec_lo
	s_delay_alu instid0(VALU_DEP_1)
	v_cmpx_gt_u32_e64 s8, v1
	s_cbranch_execz .LBB96_16
; %bb.14:                               ;   in Loop: Header=BB96_7 Depth=1
	v_add_nc_u32_e32 v1, s14, v6
	s_delay_alu instid0(VALU_DEP_1) | instskip(NEXT) | instid1(VALU_DEP_1)
	v_lshlrev_b64 v[11:12], 1, v[1:2]
	v_add_co_u32 v11, s0, s2, v11
	s_delay_alu instid0(VALU_DEP_1) | instskip(SKIP_4) | instid1(VALU_DEP_2)
	v_add_co_ci_u32_e64 v12, s0, s4, v12, s0
	global_load_u16 v1, v[11:12], off
	s_waitcnt vmcnt(0)
	v_cmp_lt_i16_e64 s0, -1, v1
	v_and_b32_e32 v11, 0xffff, v1
	v_cndmask_b32_e64 v12, 0xffff, v10, s0
	v_cmp_o_f16_e64 s0, v1, v1
	s_delay_alu instid0(VALU_DEP_2) | instskip(NEXT) | instid1(VALU_DEP_1)
	v_xor_b32_e32 v11, v12, v11
	v_cndmask_b32_e64 v1, 0xffff, v11, s0
	s_delay_alu instid0(VALU_DEP_1) | instskip(NEXT) | instid1(VALU_DEP_1)
	v_xor_b32_e32 v11, s1, v1
	v_and_b32_e32 v11, s3, v11
	s_delay_alu instid0(VALU_DEP_1) | instskip(NEXT) | instid1(VALU_DEP_1)
	v_cmp_eq_u32_e64 s0, 0, v11
	s_and_b32 exec_lo, exec_lo, s0
	s_cbranch_execz .LBB96_16
; %bb.15:                               ;   in Loop: Header=BB96_7 Depth=1
	v_bfe_u32 v1, v1, s10, 8
	s_delay_alu instid0(VALU_DEP_1)
	v_lshlrev_b32_e32 v1, 2, v1
	ds_add_u32 v1, v9
.LBB96_16:                              ;   in Loop: Header=BB96_7 Depth=1
	s_or_b32 exec_lo, exec_lo, s17
	s_delay_alu instid0(SALU_CYCLE_1)
	s_mov_b32 s17, exec_lo
	v_cmpx_gt_u32_e64 s8, v4
	s_cbranch_execz .LBB96_6
; %bb.17:                               ;   in Loop: Header=BB96_7 Depth=1
	v_add_nc_u32_e32 v1, s14, v5
	s_delay_alu instid0(VALU_DEP_1) | instskip(NEXT) | instid1(VALU_DEP_1)
	v_lshlrev_b64 v[11:12], 1, v[1:2]
	v_add_co_u32 v11, s0, s2, v11
	s_delay_alu instid0(VALU_DEP_1) | instskip(SKIP_4) | instid1(VALU_DEP_2)
	v_add_co_ci_u32_e64 v12, s0, s4, v12, s0
	global_load_u16 v1, v[11:12], off
	s_waitcnt vmcnt(0)
	v_cmp_lt_i16_e64 s0, -1, v1
	v_and_b32_e32 v11, 0xffff, v1
	v_cndmask_b32_e64 v12, 0xffff, v10, s0
	v_cmp_o_f16_e64 s0, v1, v1
	s_delay_alu instid0(VALU_DEP_2) | instskip(NEXT) | instid1(VALU_DEP_1)
	v_xor_b32_e32 v11, v12, v11
	v_cndmask_b32_e64 v1, 0xffff, v11, s0
	s_delay_alu instid0(VALU_DEP_1) | instskip(NEXT) | instid1(VALU_DEP_1)
	v_xor_b32_e32 v11, s1, v1
	v_and_b32_e32 v11, s3, v11
	s_delay_alu instid0(VALU_DEP_1) | instskip(NEXT) | instid1(VALU_DEP_1)
	v_cmp_eq_u32_e64 s0, 0, v11
	s_and_b32 exec_lo, exec_lo, s0
	s_cbranch_execz .LBB96_6
; %bb.18:                               ;   in Loop: Header=BB96_7 Depth=1
	v_bfe_u32 v1, v1, s10, 8
	s_delay_alu instid0(VALU_DEP_1)
	v_lshlrev_b32_e32 v1, 2, v1
	ds_add_u32 v1, v9
	s_branch .LBB96_6
.LBB96_19:
	s_and_b32 s11, s11, 3
	s_delay_alu instid0(SALU_CYCLE_1)
	s_cmp_eq_u32 s11, 0
	s_cbranch_scc1 .LBB96_25
; %bb.20:
	s_lshl_b32 s0, s5, 8
	v_dual_mov_b32 v2, 0 :: v_dual_mov_b32 v5, 1
	v_add3_u32 v4, s0, s13, v0
	v_mov_b32_e32 v6, 0x8000
	s_lshl_b32 s5, s9, 8
	s_delay_alu instid0(VALU_DEP_2)
	v_mul_lo_u32 v1, s9, v4
	s_set_inst_prefetch_distance 0x1
	s_branch .LBB96_22
	.p2align	6
.LBB96_21:                              ;   in Loop: Header=BB96_22 Depth=1
	s_or_b32 exec_lo, exec_lo, s9
	s_delay_alu instid0(VALU_DEP_2) | instskip(SKIP_2) | instid1(SALU_CYCLE_1)
	v_add_nc_u32_e32 v1, s5, v1
	v_add_nc_u32_e32 v4, 0x100, v4
	s_add_i32 s11, s11, -1
	s_cmp_lg_u32 s11, 0
	s_cbranch_scc0 .LBB96_25
.LBB96_22:                              ; =>This Inner Loop Header: Depth=1
	s_mov_b32 s9, exec_lo
	v_cmpx_gt_u32_e64 s8, v4
	s_cbranch_execz .LBB96_21
; %bb.23:                               ;   in Loop: Header=BB96_22 Depth=1
	s_delay_alu instid0(VALU_DEP_2) | instskip(NEXT) | instid1(VALU_DEP_1)
	v_lshlrev_b64 v[7:8], 1, v[1:2]
	v_add_co_u32 v7, s0, s2, v7
	s_delay_alu instid0(VALU_DEP_1) | instskip(SKIP_4) | instid1(VALU_DEP_2)
	v_add_co_ci_u32_e64 v8, s0, s4, v8, s0
	global_load_u16 v7, v[7:8], off
	s_waitcnt vmcnt(0)
	v_cmp_lt_i16_e64 s0, -1, v7
	v_and_b32_e32 v8, 0xffff, v7
	v_cndmask_b32_e64 v9, 0xffff, v6, s0
	v_cmp_o_f16_e64 s0, v7, v7
	s_delay_alu instid0(VALU_DEP_2) | instskip(NEXT) | instid1(VALU_DEP_1)
	v_xor_b32_e32 v8, v9, v8
	v_cndmask_b32_e64 v7, 0xffff, v8, s0
	s_delay_alu instid0(VALU_DEP_1) | instskip(NEXT) | instid1(VALU_DEP_1)
	v_xor_b32_e32 v8, s1, v7
	v_and_b32_e32 v8, s3, v8
	s_delay_alu instid0(VALU_DEP_1) | instskip(NEXT) | instid1(VALU_DEP_1)
	v_cmp_eq_u32_e64 s0, 0, v8
	s_and_b32 exec_lo, exec_lo, s0
	s_cbranch_execz .LBB96_21
; %bb.24:                               ;   in Loop: Header=BB96_22 Depth=1
	v_bfe_u32 v7, v7, s10, 8
	s_delay_alu instid0(VALU_DEP_1)
	v_lshlrev_b32_e32 v7, 2, v7
	ds_add_u32 v7, v5
	s_branch .LBB96_21
.LBB96_25:
	s_set_inst_prefetch_distance 0x2
	v_mov_b32_e32 v1, 0
	s_waitcnt lgkmcnt(0)
	s_barrier
	buffer_gl0_inv
	s_and_saveexec_b32 s0, vcc_lo
	s_cbranch_execz .LBB96_27
; %bb.26:
	ds_load_b32 v1, v3
.LBB96_27:
	s_or_b32 exec_lo, exec_lo, s0
	s_and_saveexec_b32 s0, vcc_lo
	s_cbranch_execz .LBB96_29
; %bb.28:
	v_lshl_or_b32 v2, s16, 8, v0
	v_mov_b32_e32 v3, 0
	s_delay_alu instid0(VALU_DEP_1) | instskip(NEXT) | instid1(VALU_DEP_1)
	v_lshlrev_b64 v[2:3], 1, v[2:3]
	v_add_co_u32 v2, vcc_lo, s6, v2
	s_delay_alu instid0(VALU_DEP_2)
	v_add_co_ci_u32_e32 v3, vcc_lo, s7, v3, vcc_lo
	s_waitcnt lgkmcnt(0)
	global_store_b16 v[2:3], v1, off
.LBB96_29:
	s_nop 0
	s_sendmsg sendmsg(MSG_DEALLOC_VGPRS)
	s_endpgm
	.section	.rodata,"a",@progbits
	.p2align	6, 0x0
	.amdhsa_kernel _ZN2at6native6mbtopk23computeBlockDigitCountsIN3c104HalfEjjLi2EEEvNS_4cuda6detail10TensorInfoIKT_T0_EEjPjjSA_iijT1_PSD_Ps
		.amdhsa_group_segment_fixed_size 1024
		.amdhsa_private_segment_fixed_size 0
		.amdhsa_kernarg_size 528
		.amdhsa_user_sgpr_count 13
		.amdhsa_user_sgpr_dispatch_ptr 0
		.amdhsa_user_sgpr_queue_ptr 0
		.amdhsa_user_sgpr_kernarg_segment_ptr 1
		.amdhsa_user_sgpr_dispatch_id 0
		.amdhsa_user_sgpr_private_segment_size 0
		.amdhsa_wavefront_size32 1
		.amdhsa_uses_dynamic_stack 0
		.amdhsa_enable_private_segment 0
		.amdhsa_system_sgpr_workgroup_id_x 1
		.amdhsa_system_sgpr_workgroup_id_y 1
		.amdhsa_system_sgpr_workgroup_id_z 1
		.amdhsa_system_sgpr_workgroup_info 0
		.amdhsa_system_vgpr_workitem_id 0
		.amdhsa_next_free_vgpr 13
		.amdhsa_next_free_sgpr 23
		.amdhsa_reserve_vcc 1
		.amdhsa_float_round_mode_32 0
		.amdhsa_float_round_mode_16_64 0
		.amdhsa_float_denorm_mode_32 3
		.amdhsa_float_denorm_mode_16_64 3
		.amdhsa_dx10_clamp 1
		.amdhsa_ieee_mode 1
		.amdhsa_fp16_overflow 0
		.amdhsa_workgroup_processor_mode 1
		.amdhsa_memory_ordered 1
		.amdhsa_forward_progress 0
		.amdhsa_shared_vgpr_count 0
		.amdhsa_exception_fp_ieee_invalid_op 0
		.amdhsa_exception_fp_denorm_src 0
		.amdhsa_exception_fp_ieee_div_zero 0
		.amdhsa_exception_fp_ieee_overflow 0
		.amdhsa_exception_fp_ieee_underflow 0
		.amdhsa_exception_fp_ieee_inexact 0
		.amdhsa_exception_int_div_zero 0
	.end_amdhsa_kernel
	.section	.text._ZN2at6native6mbtopk23computeBlockDigitCountsIN3c104HalfEjjLi2EEEvNS_4cuda6detail10TensorInfoIKT_T0_EEjPjjSA_iijT1_PSD_Ps,"axG",@progbits,_ZN2at6native6mbtopk23computeBlockDigitCountsIN3c104HalfEjjLi2EEEvNS_4cuda6detail10TensorInfoIKT_T0_EEjPjjSA_iijT1_PSD_Ps,comdat
.Lfunc_end96:
	.size	_ZN2at6native6mbtopk23computeBlockDigitCountsIN3c104HalfEjjLi2EEEvNS_4cuda6detail10TensorInfoIKT_T0_EEjPjjSA_iijT1_PSD_Ps, .Lfunc_end96-_ZN2at6native6mbtopk23computeBlockDigitCountsIN3c104HalfEjjLi2EEEvNS_4cuda6detail10TensorInfoIKT_T0_EEjPjjSA_iijT1_PSD_Ps
                                        ; -- End function
	.section	.AMDGPU.csdata,"",@progbits
; Kernel info:
; codeLenInByte = 1828
; NumSgprs: 25
; NumVgprs: 13
; ScratchSize: 0
; MemoryBound: 0
; FloatMode: 240
; IeeeMode: 1
; LDSByteSize: 1024 bytes/workgroup (compile time only)
; SGPRBlocks: 3
; VGPRBlocks: 1
; NumSGPRsForWavesPerEU: 25
; NumVGPRsForWavesPerEU: 13
; Occupancy: 16
; WaveLimiterHint : 1
; COMPUTE_PGM_RSRC2:SCRATCH_EN: 0
; COMPUTE_PGM_RSRC2:USER_SGPR: 13
; COMPUTE_PGM_RSRC2:TRAP_HANDLER: 0
; COMPUTE_PGM_RSRC2:TGID_X_EN: 1
; COMPUTE_PGM_RSRC2:TGID_Y_EN: 1
; COMPUTE_PGM_RSRC2:TGID_Z_EN: 1
; COMPUTE_PGM_RSRC2:TIDIG_COMP_CNT: 0
	.section	.text._ZN2at6native6mbtopk10gatherTopKIN3c104HalfEjLi2EEEvNS_4cuda6detail10TensorInfoIKT_T0_EESA_SA_bjSA_NS7_IS8_SA_EESA_NS7_IlSA_EESA_jjPS8_PjSF_j,"axG",@progbits,_ZN2at6native6mbtopk10gatherTopKIN3c104HalfEjLi2EEEvNS_4cuda6detail10TensorInfoIKT_T0_EESA_SA_bjSA_NS7_IS8_SA_EESA_NS7_IlSA_EESA_jjPS8_PjSF_j,comdat
	.protected	_ZN2at6native6mbtopk10gatherTopKIN3c104HalfEjLi2EEEvNS_4cuda6detail10TensorInfoIKT_T0_EESA_SA_bjSA_NS7_IS8_SA_EESA_NS7_IlSA_EESA_jjPS8_PjSF_j ; -- Begin function _ZN2at6native6mbtopk10gatherTopKIN3c104HalfEjLi2EEEvNS_4cuda6detail10TensorInfoIKT_T0_EESA_SA_bjSA_NS7_IS8_SA_EESA_NS7_IlSA_EESA_jjPS8_PjSF_j
	.globl	_ZN2at6native6mbtopk10gatherTopKIN3c104HalfEjLi2EEEvNS_4cuda6detail10TensorInfoIKT_T0_EESA_SA_bjSA_NS7_IS8_SA_EESA_NS7_IlSA_EESA_jjPS8_PjSF_j
	.p2align	8
	.type	_ZN2at6native6mbtopk10gatherTopKIN3c104HalfEjLi2EEEvNS_4cuda6detail10TensorInfoIKT_T0_EESA_SA_bjSA_NS7_IS8_SA_EESA_NS7_IlSA_EESA_jjPS8_PjSF_j,@function
_ZN2at6native6mbtopk10gatherTopKIN3c104HalfEjLi2EEEvNS_4cuda6detail10TensorInfoIKT_T0_EESA_SA_bjSA_NS7_IS8_SA_EESA_NS7_IlSA_EESA_jjPS8_PjSF_j: ; @_ZN2at6native6mbtopk10gatherTopKIN3c104HalfEjLi2EEEvNS_4cuda6detail10TensorInfoIKT_T0_EESA_SA_bjSA_NS7_IS8_SA_EESA_NS7_IlSA_EESA_jjPS8_PjSF_j
; %bb.0:
	s_clause 0x1
	s_load_b64 s[2:3], s[0:1], 0x2d8
	s_load_b32 s4, s[0:1], 0x2d0
	s_waitcnt lgkmcnt(0)
	s_mul_i32 s3, s3, s15
	s_delay_alu instid0(SALU_CYCLE_1) | instskip(NEXT) | instid1(SALU_CYCLE_1)
	s_add_i32 s3, s3, s14
	s_mul_i32 s2, s3, s2
	s_delay_alu instid0(SALU_CYCLE_1) | instskip(NEXT) | instid1(SALU_CYCLE_1)
	s_add_i32 s2, s2, s13
	s_cmp_ge_u32 s2, s4
	s_cbranch_scc1 .LBB97_40
; %bb.1:
	s_clause 0x3
	s_load_b256 s[4:11], s[0:1], 0x2a8
	s_load_b32 s37, s[0:1], 0xc
	s_load_b32 s36, s[0:1], 0xfc
	;; [unrolled: 1-line block ×3, first 2 shown]
	s_mov_b32 s19, 0
	s_load_b64 s[16:17], s[0:1], 0x1d0
	s_waitcnt lgkmcnt(0)
	v_cvt_f32_u32_e32 v1, s6
	v_cvt_f32_u32_e32 v2, s37
	;; [unrolled: 1-line block ×4, first 2 shown]
	s_sub_i32 s7, 0, s6
	v_rcp_iflag_f32_e32 v1, v1
	v_rcp_iflag_f32_e32 v2, v2
	;; [unrolled: 1-line block ×4, first 2 shown]
	s_delay_alu instid0(TRANS32_DEP_3) | instskip(SKIP_4) | instid1(VALU_DEP_3)
	v_dual_mul_f32 v1, 0x4f7ffffe, v1 :: v_dual_mul_f32 v2, 0x4f7ffffe, v2
	s_waitcnt_depctr 0xfff
	v_dual_mul_f32 v3, 0x4f7ffffe, v3 :: v_dual_mul_f32 v4, 0x4f7ffffe, v4
	v_cvt_u32_f32_e32 v1, v1
	v_cvt_u32_f32_e32 v2, v2
	;; [unrolled: 1-line block ×3, first 2 shown]
	s_delay_alu instid0(VALU_DEP_4) | instskip(NEXT) | instid1(VALU_DEP_4)
	v_cvt_u32_f32_e32 v4, v4
	v_readfirstlane_b32 s3, v1
	v_mov_b32_e32 v1, 0
	v_readfirstlane_b32 s13, v2
	v_readfirstlane_b32 s20, v3
	;; [unrolled: 1-line block ×3, first 2 shown]
	s_mul_i32 s7, s7, s3
	s_delay_alu instid0(SALU_CYCLE_1) | instskip(NEXT) | instid1(SALU_CYCLE_1)
	s_mul_hi_u32 s7, s3, s7
	s_add_i32 s3, s3, s7
	s_delay_alu instid0(SALU_CYCLE_1) | instskip(NEXT) | instid1(SALU_CYCLE_1)
	s_mul_hi_u32 s3, s2, s3
	s_mul_i32 s7, s3, s6
	s_add_i32 s12, s3, 1
	s_sub_i32 s7, s2, s7
	s_delay_alu instid0(SALU_CYCLE_1)
	s_sub_i32 s14, s7, s6
	s_cmp_ge_u32 s7, s6
	s_cselect_b32 s3, s12, s3
	s_cselect_b32 s7, s14, s7
	s_add_i32 s12, s3, 1
	s_cmp_ge_u32 s7, s6
	s_cselect_b32 s18, s12, s3
	s_sub_i32 s3, 0, s37
	s_sub_i32 s7, 0, s36
	;; [unrolled: 1-line block ×3, first 2 shown]
	s_mul_i32 s12, s18, s6
	s_mul_i32 s3, s3, s13
	;; [unrolled: 1-line block ×4, first 2 shown]
	s_sub_i32 s7, s2, s12
	s_mul_hi_u32 s2, s13, s3
	s_mul_hi_u32 s3, s20, s22
	;; [unrolled: 1-line block ×3, first 2 shown]
	s_lshl_b64 s[14:15], s[18:19], 1
	s_add_i32 s13, s13, s2
	s_add_i32 s30, s20, s3
	;; [unrolled: 1-line block ×3, first 2 shown]
	s_add_u32 s2, s8, s14
	s_addc_u32 s3, s9, s15
	s_mul_hi_u32 s41, s18, s13
	global_load_u16 v1, v1, s[2:3]
	s_clause 0x4
	s_load_b64 s[26:27], s[0:1], 0x15c
	s_load_b64 s[20:21], s[0:1], 0xf0
	;; [unrolled: 1-line block ×5, first 2 shown]
	v_cmp_ne_u32_e64 s2, 0, v0
	v_cmp_eq_u32_e64 s3, 0, v0
	s_mul_hi_u32 s40, s18, s30
	s_mul_hi_u32 s39, s18, s31
	s_waitcnt vmcnt(0)
	v_readfirstlane_b32 s38, v1
	s_and_saveexec_b32 s42, s3
	s_cbranch_execz .LBB97_17
; %bb.2:
	s_load_b64 s[8:9], s[0:1], 0x2c8
	s_mov_b32 s13, s19
	s_delay_alu instid0(SALU_CYCLE_1) | instskip(NEXT) | instid1(SALU_CYCLE_1)
	s_lshl_b64 s[30:31], s[12:13], 2
	s_add_u32 s12, s10, s30
	s_addc_u32 s13, s11, s31
	s_waitcnt lgkmcnt(0)
	s_add_u32 s14, s8, s30
	s_addc_u32 s15, s9, s31
	s_cmp_lt_u32 s6, 4
	s_cbranch_scc1 .LBB97_14
; %bb.3:
	s_mov_b32 s43, s19
	s_mov_b32 s44, s19
	;; [unrolled: 1-line block ×3, first 2 shown]
.LBB97_4:                               ; =>This Inner Loop Header: Depth=1
	s_add_u32 s12, s10, s30
	s_addc_u32 s13, s11, s31
	s_add_u32 s34, s8, s30
	s_load_b128 s[12:15], s[12:13], 0x0
	s_addc_u32 s35, s9, s31
	s_cmp_ge_u32 s45, s7
	s_cbranch_scc0 .LBB97_11
; %bb.5:                                ;   in Loop: Header=BB97_4 Depth=1
	s_add_i32 s46, s45, 1
	s_delay_alu instid0(SALU_CYCLE_1)
	s_cmp_ge_u32 s46, s7
	s_cbranch_scc0 .LBB97_12
.LBB97_6:                               ;   in Loop: Header=BB97_4 Depth=1
	s_add_i32 s46, s46, 1
	s_delay_alu instid0(SALU_CYCLE_1)
	s_cmp_ge_u32 s46, s7
	s_cbranch_scc0 .LBB97_13
.LBB97_7:                               ;   in Loop: Header=BB97_4 Depth=1
	s_add_i32 s46, s46, 1
	s_delay_alu instid0(SALU_CYCLE_1)
	s_cmp_ge_u32 s46, s7
	s_cbranch_scc1 .LBB97_9
.LBB97_8:                               ;   in Loop: Header=BB97_4 Depth=1
	s_load_b32 s34, s[34:35], 0xc
	s_waitcnt lgkmcnt(0)
	s_add_i32 s19, s19, s15
	s_add_i32 s43, s34, s43
.LBB97_9:                               ;   in Loop: Header=BB97_4 Depth=1
	s_waitcnt lgkmcnt(0)
	s_add_i32 s12, s12, s44
	s_delay_alu instid0(SALU_CYCLE_1) | instskip(NEXT) | instid1(SALU_CYCLE_1)
	s_add_i32 s12, s12, s13
	s_add_i32 s12, s12, s14
	s_delay_alu instid0(SALU_CYCLE_1)
	s_add_i32 s44, s12, s15
	s_add_u32 s10, s10, 16
	s_addc_u32 s11, s11, 0
	s_add_u32 s8, s8, 16
	s_addc_u32 s9, s9, 0
	s_add_i32 s35, s46, 4
	s_add_u32 s14, s8, s30
	s_addc_u32 s15, s9, s31
	s_add_u32 s12, s10, s30
	s_addc_u32 s13, s11, s31
	s_add_i32 s34, s46, 1
	s_cmp_ge_u32 s35, s6
	s_cbranch_scc1 .LBB97_15
; %bb.10:                               ;   in Loop: Header=BB97_4 Depth=1
	s_mov_b32 s45, s34
	s_branch .LBB97_4
.LBB97_11:                              ;   in Loop: Header=BB97_4 Depth=1
	s_load_b32 s46, s[34:35], 0x0
	s_waitcnt lgkmcnt(0)
	s_add_i32 s19, s12, s19
	s_add_i32 s43, s46, s43
	;; [unrolled: 1-line block ×3, first 2 shown]
	s_delay_alu instid0(SALU_CYCLE_1)
	s_cmp_ge_u32 s46, s7
	s_cbranch_scc1 .LBB97_6
.LBB97_12:                              ;   in Loop: Header=BB97_4 Depth=1
	s_load_b32 s47, s[34:35], 0x4
	s_waitcnt lgkmcnt(0)
	s_add_i32 s19, s19, s13
	s_add_i32 s43, s47, s43
	s_add_i32 s46, s46, 1
	s_delay_alu instid0(SALU_CYCLE_1)
	s_cmp_ge_u32 s46, s7
	s_cbranch_scc1 .LBB97_7
.LBB97_13:                              ;   in Loop: Header=BB97_4 Depth=1
	s_load_b32 s47, s[34:35], 0x8
	s_waitcnt lgkmcnt(0)
	s_add_i32 s19, s19, s14
	s_add_i32 s43, s47, s43
	;; [unrolled: 1-line block ×3, first 2 shown]
	s_delay_alu instid0(SALU_CYCLE_1)
	s_cmp_ge_u32 s46, s7
	s_cbranch_scc0 .LBB97_8
	s_branch .LBB97_9
.LBB97_14:
	s_mov_b32 s43, 0
	s_mov_b32 s44, 0
	;; [unrolled: 1-line block ×3, first 2 shown]
	s_delay_alu instid0(SALU_CYCLE_1)
	s_cmp_ge_u32 s8, s6
	s_cbranch_scc0 .LBB97_38
	s_branch .LBB97_16
.LBB97_15:
	s_add_i32 s8, s45, 4
	s_delay_alu instid0(SALU_CYCLE_1)
	s_cmp_ge_u32 s8, s6
	s_cbranch_scc0 .LBB97_38
.LBB97_16:
	v_dual_mov_b32 v1, s43 :: v_dual_mov_b32 v2, s44
	v_dual_mov_b32 v3, s19 :: v_dual_mov_b32 v4, 0
	ds_store_b96 v4, v[1:3] offset:1056
.LBB97_17:
	s_or_b32 exec_lo, exec_lo, s42
	s_load_b128 s[8:11], s[0:1], 0xd8
	s_waitcnt lgkmcnt(0)
	s_mul_i32 s11, s5, s7
	s_add_i32 s7, s7, 1
	s_lshl_b32 s19, s11, 8
	s_barrier
	buffer_gl0_inv
	s_sub_i32 s11, s8, s19
	s_delay_alu instid0(SALU_CYCLE_1) | instskip(SKIP_4) | instid1(VALU_DEP_1)
	s_add_u32 s11, s11, 0xff
	s_addc_u32 s12, 0, 0
	s_cmp_lt_u32 s7, s6
	v_alignbit_b32 v1, s12, s11, 8
	s_mov_b32 s7, 0
	v_readfirstlane_b32 s11, v1
	s_delay_alu instid0(VALU_DEP_1) | instskip(NEXT) | instid1(SALU_CYCLE_1)
	s_cselect_b32 s5, s5, s11
	s_cmp_eq_u32 s5, 0
	s_cbranch_scc1 .LBB97_40
; %bb.18:
	s_mul_i32 s6, s41, s37
	s_add_i32 s11, s41, 1
	s_sub_i32 s6, s18, s6
	v_mov_b32_e32 v5, 0
	s_sub_i32 s12, s6, s37
	s_cmp_ge_u32 s6, s37
	v_lshrrev_b32_e32 v4, 5, v0
	s_cselect_b32 s11, s11, s41
	s_cselect_b32 s6, s12, s6
	s_add_i32 s12, s11, 1
	s_cmp_ge_u32 s6, s37
	s_mul_i32 s6, s40, s36
	s_cselect_b32 s11, s12, s11
	s_sub_i32 s12, s18, s6
	s_mul_i32 s6, s11, s37
	s_mul_i32 s11, s11, s28
	s_sub_i32 s6, s18, s6
	s_add_i32 s13, s40, 1
	s_mul_i32 s6, s6, s29
	s_sub_i32 s14, s12, s36
	s_add_i32 s6, s11, s6
	s_cmp_ge_u32 s12, s36
	ds_load_b96 v[1:3], v5 offset:1056
	s_cselect_b32 s11, s13, s40
	s_cselect_b32 s12, s14, s12
	s_add_i32 s13, s11, 1
	s_cmp_ge_u32 s12, s36
	s_mul_i32 s12, s39, s33
	s_cselect_b32 s11, s13, s11
	s_sub_i32 s14, s18, s12
	s_mul_i32 s12, s11, s36
	s_mul_i32 s11, s11, s26
	s_sub_i32 s12, s18, s12
	s_add_i32 s15, s39, 1
	s_mul_i32 s12, s12, s27
	s_sub_i32 s26, s14, s33
	s_add_i32 s12, s11, s12
	s_cmp_ge_u32 s14, s33
	s_mov_b32 s13, s7
	s_cselect_b32 s11, s15, s39
	s_cselect_b32 s14, s26, s14
	s_add_i32 s26, s11, 1
	s_waitcnt lgkmcnt(0)
	v_add_nc_u32_e32 v6, v1, v2
	s_cmp_ge_u32 s14, s33
	s_mov_b32 s15, s7
	s_cselect_b32 s11, s26, s11
	s_lshl_b64 s[6:7], s[6:7], 1
	s_mul_i32 s14, s11, s33
	s_mul_i32 s11, s11, s24
	s_sub_i32 s14, s18, s14
	s_sext_i32_i16 s26, s38
	s_mul_i32 s14, s14, s25
	s_mov_b32 s18, 0x8000
	s_add_i32 s14, s11, s14
	s_add_u32 s6, s22, s6
	s_addc_u32 s7, s23, s7
	s_lshl_b64 s[12:13], s[12:13], 1
	v_add_nc_u32_e32 v9, -1, v0
	s_add_u32 s11, s20, s12
	s_addc_u32 s12, s21, s13
	s_lshl_b64 s[14:15], s[14:15], 3
	v_add_lshl_u32 v7, v4, v0, 2
	s_add_u32 s13, s16, s14
	s_addc_u32 s14, s17, s15
	s_load_b32 s17, s[0:1], 0xe8
	s_and_b32 s15, 0xffff, s38
	s_cmp_gt_i32 s26, -1
	v_cmp_o_f16_e64 s16, s38, s38
	s_cselect_b32 s18, s18, 0xffff
	v_dual_mov_b32 v13, 0x8000 :: v_dual_lshlrev_b32 v2, 3, v0
	s_xor_b32 s15, s18, s15
	s_delay_alu instid0(VALU_DEP_2)
	s_and_b32 s16, s16, exec_lo
	s_cselect_b32 s15, s15, 0xffff
	s_bitcmp1_b32 s10, 0
	s_load_b32 s10, s[0:1], 0x1c8
	v_lshrrev_b32_e32 v4, 2, v0
	v_add_nc_u32_e32 v1, s19, v0
	v_lshrrev_b32_e32 v10, 5, v9
	v_mbcnt_lo_u32_b32 v8, -1, 0
	v_cmp_gt_u32_e64 s0, 32, v0
	v_add_lshl_u32 v0, v4, v2, 2
	s_cselect_b32 s1, -1, 0
	v_add_lshl_u32 v9, v10, v9, 2
	s_waitcnt lgkmcnt(0)
	v_mul_lo_u32 v4, s17, v1
	v_and_b32_e32 v10, 15, v8
	v_bfe_i32 v11, v8, 4, 1
	v_add_nc_u32_e32 v12, -1, v8
	s_lshl_b32 s16, s17, 8
                                        ; implicit-def: $vgpr14
	s_branch .LBB97_21
.LBB97_19:                              ;   in Loop: Header=BB97_21 Depth=1
	s_or_b32 exec_lo, exec_lo, s17
	v_add_nc_u32_e32 v6, v17, v6
.LBB97_20:                              ;   in Loop: Header=BB97_21 Depth=1
	v_add_nc_u32_e32 v3, v16, v3
	v_add_nc_u32_e32 v4, s16, v4
	;; [unrolled: 1-line block ×3, first 2 shown]
	s_add_i32 s5, s5, -1
	s_delay_alu instid0(SALU_CYCLE_1)
	s_cmp_lg_u32 s5, 0
	s_cbranch_scc0 .LBB97_40
.LBB97_21:                              ; =>This Inner Loop Header: Depth=1
	v_dual_mov_b32 v2, 0 :: v_dual_mov_b32 v15, 0
	s_mov_b32 s17, exec_lo
	v_cmpx_gt_u32_e64 s8, v1
	s_cbranch_execz .LBB97_23
; %bb.22:                               ;   in Loop: Header=BB97_21 Depth=1
	v_lshlrev_b64 v[14:15], 1, v[4:5]
	s_delay_alu instid0(VALU_DEP_1) | instskip(NEXT) | instid1(VALU_DEP_2)
	v_add_co_u32 v14, vcc_lo, s6, v14
	v_add_co_ci_u32_e32 v15, vcc_lo, s7, v15, vcc_lo
	global_load_u16 v14, v[14:15], off
	s_waitcnt vmcnt(0)
	v_cmp_lt_i16_e32 vcc_lo, -1, v14
	v_dual_cndmask_b32 v15, 0xffff, v13 :: v_dual_and_b32 v2, 0xffff, v14
	v_cmp_o_f16_e32 vcc_lo, v14, v14
	s_delay_alu instid0(VALU_DEP_2) | instskip(NEXT) | instid1(VALU_DEP_1)
	v_xor_b32_e32 v2, v15, v2
	v_cndmask_b32_e32 v15, 0xffff, v2, vcc_lo
	s_delay_alu instid0(VALU_DEP_1) | instskip(SKIP_4) | instid1(VALU_DEP_2)
	v_cmp_lt_u32_e32 vcc_lo, s15, v15
	v_cndmask_b32_e64 v2, 0, 1, vcc_lo
	v_cmp_gt_u32_e32 vcc_lo, s15, v15
	v_cndmask_b32_e64 v16, 0, 1, vcc_lo
	v_cmp_eq_u32_e32 vcc_lo, s15, v15
	v_cndmask_b32_e64 v2, v16, v2, s1
	v_cndmask_b32_e64 v15, 0, 1, vcc_lo
	s_delay_alu instid0(VALU_DEP_2)
	v_and_b32_e32 v2, 1, v2
.LBB97_23:                              ;   in Loop: Header=BB97_21 Depth=1
	s_or_b32 exec_lo, exec_lo, s17
	ds_store_b32 v7, v2
	s_waitcnt lgkmcnt(0)
	s_waitcnt_vscnt null, 0x0
	s_barrier
	buffer_gl0_inv
	s_and_saveexec_b32 s17, s0
	s_cbranch_execz .LBB97_25
; %bb.24:                               ;   in Loop: Header=BB97_21 Depth=1
	ds_load_2addr_b32 v[16:17], v0 offset1:1
	ds_load_2addr_b32 v[18:19], v0 offset0:2 offset1:3
	ds_load_2addr_b32 v[20:21], v0 offset0:4 offset1:5
	;; [unrolled: 1-line block ×3, first 2 shown]
	v_cmp_ne_u32_e32 vcc_lo, 0, v10
	; wave barrier
	s_waitcnt lgkmcnt(3)
	v_add_nc_u32_e32 v17, v17, v16
	s_waitcnt lgkmcnt(2)
	s_delay_alu instid0(VALU_DEP_1) | instskip(SKIP_1) | instid1(VALU_DEP_1)
	v_add3_u32 v17, v17, v18, v19
	s_waitcnt lgkmcnt(1)
	v_add3_u32 v17, v17, v20, v21
	s_waitcnt lgkmcnt(0)
	s_delay_alu instid0(VALU_DEP_1) | instskip(NEXT) | instid1(VALU_DEP_1)
	v_add3_u32 v17, v17, v22, v23
	v_mov_b32_dpp v18, v17 row_shr:1 row_mask:0xf bank_mask:0xf
	s_delay_alu instid0(VALU_DEP_1) | instskip(SKIP_1) | instid1(VALU_DEP_2)
	v_cndmask_b32_e32 v18, 0, v18, vcc_lo
	v_cmp_lt_u32_e32 vcc_lo, 1, v10
	v_add_nc_u32_e32 v17, v18, v17
	s_delay_alu instid0(VALU_DEP_1) | instskip(NEXT) | instid1(VALU_DEP_1)
	v_mov_b32_dpp v18, v17 row_shr:2 row_mask:0xf bank_mask:0xf
	v_cndmask_b32_e32 v18, 0, v18, vcc_lo
	v_cmp_lt_u32_e32 vcc_lo, 3, v10
	s_delay_alu instid0(VALU_DEP_2) | instskip(NEXT) | instid1(VALU_DEP_1)
	v_add_nc_u32_e32 v17, v17, v18
	v_mov_b32_dpp v18, v17 row_shr:4 row_mask:0xf bank_mask:0xf
	s_delay_alu instid0(VALU_DEP_1) | instskip(SKIP_1) | instid1(VALU_DEP_2)
	v_cndmask_b32_e32 v18, 0, v18, vcc_lo
	v_cmp_lt_u32_e32 vcc_lo, 7, v10
	v_add_nc_u32_e32 v17, v17, v18
	s_delay_alu instid0(VALU_DEP_1) | instskip(NEXT) | instid1(VALU_DEP_1)
	v_mov_b32_dpp v18, v17 row_shr:8 row_mask:0xf bank_mask:0xf
	v_cndmask_b32_e32 v18, 0, v18, vcc_lo
	v_cmp_gt_i32_e32 vcc_lo, 0, v12
	v_cndmask_b32_e32 v19, v12, v8, vcc_lo
	s_delay_alu instid0(VALU_DEP_1) | instskip(NEXT) | instid1(VALU_DEP_4)
	v_lshlrev_b32_e32 v19, 2, v19
	v_add_nc_u32_e32 v17, v17, v18
	ds_swizzle_b32 v18, v17 offset:swizzle(BROADCAST,32,15)
	s_waitcnt lgkmcnt(0)
	v_and_b32_e32 v18, v11, v18
	s_delay_alu instid0(VALU_DEP_1) | instskip(SKIP_3) | instid1(VALU_DEP_1)
	v_add_nc_u32_e32 v17, v17, v18
	ds_bpermute_b32 v17, v19, v17
	s_waitcnt lgkmcnt(0)
	v_add_nc_u32_e32 v16, v17, v16
	v_cndmask_b32_e64 v22, v16, v2, s3
	ds_store_b32 v0, v22
	; wave barrier
	ds_load_2addr_b32 v[16:17], v0 offset0:1 offset1:2
	ds_load_2addr_b32 v[18:19], v0 offset0:3 offset1:4
	;; [unrolled: 1-line block ×3, first 2 shown]
	ds_load_b32 v23, v0 offset:28
	s_waitcnt lgkmcnt(3)
	v_add_nc_u32_e32 v16, v16, v22
	s_delay_alu instid0(VALU_DEP_1) | instskip(SKIP_1) | instid1(VALU_DEP_1)
	v_add_nc_u32_e32 v17, v17, v16
	s_waitcnt lgkmcnt(2)
	v_add_nc_u32_e32 v18, v18, v17
	s_delay_alu instid0(VALU_DEP_1) | instskip(SKIP_1) | instid1(VALU_DEP_1)
	v_add_nc_u32_e32 v19, v19, v18
	;; [unrolled: 4-line block ×3, first 2 shown]
	s_waitcnt lgkmcnt(0)
	v_add_nc_u32_e32 v22, v23, v21
	ds_store_2addr_b32 v0, v16, v17 offset0:1 offset1:2
	ds_store_2addr_b32 v0, v18, v19 offset0:3 offset1:4
	ds_store_2addr_b32 v0, v20, v21 offset0:5 offset1:6
	ds_store_b32 v0, v22 offset:28
.LBB97_25:                              ;   in Loop: Header=BB97_21 Depth=1
	s_or_b32 exec_lo, exec_lo, s17
	v_mov_b32_e32 v17, 0
	s_waitcnt lgkmcnt(0)
	s_barrier
	buffer_gl0_inv
	s_and_saveexec_b32 s17, s2
	s_cbranch_execz .LBB97_27
; %bb.26:                               ;   in Loop: Header=BB97_21 Depth=1
	ds_load_b32 v17, v9
.LBB97_27:                              ;   in Loop: Header=BB97_21 Depth=1
	s_or_b32 exec_lo, exec_lo, s17
	ds_load_b32 v16, v5 offset:1048
	s_mov_b32 s17, exec_lo
	s_waitcnt lgkmcnt(0)
	s_barrier
	buffer_gl0_inv
	v_cmpx_ne_u32_e32 0, v2
	s_cbranch_execz .LBB97_29
; %bb.28:                               ;   in Loop: Header=BB97_21 Depth=1
	v_add_nc_u32_e32 v2, v17, v3
	v_mov_b32_e32 v18, v5
	v_mov_b32_e32 v20, v5
	s_delay_alu instid0(VALU_DEP_3) | instskip(SKIP_2) | instid1(VALU_DEP_3)
	v_mul_lo_u32 v17, v2, s10
	v_mul_lo_u32 v19, v2, s4
	v_mov_b32_e32 v2, v5
	v_lshlrev_b64 v[17:18], 1, v[17:18]
	s_delay_alu instid0(VALU_DEP_3) | instskip(NEXT) | instid1(VALU_DEP_2)
	v_lshlrev_b64 v[19:20], 3, v[19:20]
	v_add_co_u32 v17, vcc_lo, s11, v17
	s_delay_alu instid0(VALU_DEP_3) | instskip(NEXT) | instid1(VALU_DEP_3)
	v_add_co_ci_u32_e32 v18, vcc_lo, s12, v18, vcc_lo
	v_add_co_u32 v19, vcc_lo, s13, v19
	s_delay_alu instid0(VALU_DEP_4)
	v_add_co_ci_u32_e32 v20, vcc_lo, s14, v20, vcc_lo
	global_store_b16 v[17:18], v14, off
	global_store_b64 v[19:20], v[1:2], off
.LBB97_29:                              ;   in Loop: Header=BB97_21 Depth=1
	s_or_b32 exec_lo, exec_lo, s17
	v_cmp_le_u32_e32 vcc_lo, s9, v6
	s_cbranch_vccnz .LBB97_20
; %bb.30:                               ;   in Loop: Header=BB97_21 Depth=1
	ds_store_b32 v7, v15
	s_waitcnt lgkmcnt(0)
	s_waitcnt_vscnt null, 0x0
	s_barrier
	buffer_gl0_inv
	s_and_saveexec_b32 s17, s0
	s_cbranch_execz .LBB97_32
; %bb.31:                               ;   in Loop: Header=BB97_21 Depth=1
	ds_load_2addr_b32 v[17:18], v0 offset1:1
	ds_load_2addr_b32 v[19:20], v0 offset0:2 offset1:3
	ds_load_2addr_b32 v[21:22], v0 offset0:4 offset1:5
	;; [unrolled: 1-line block ×3, first 2 shown]
	v_cmp_ne_u32_e32 vcc_lo, 0, v10
	; wave barrier
	s_waitcnt lgkmcnt(3)
	v_add_nc_u32_e32 v2, v18, v17
	s_waitcnt lgkmcnt(2)
	s_delay_alu instid0(VALU_DEP_1) | instskip(SKIP_1) | instid1(VALU_DEP_1)
	v_add3_u32 v2, v2, v19, v20
	s_waitcnt lgkmcnt(1)
	v_add3_u32 v2, v2, v21, v22
	s_waitcnt lgkmcnt(0)
	s_delay_alu instid0(VALU_DEP_1) | instskip(NEXT) | instid1(VALU_DEP_1)
	v_add3_u32 v2, v2, v23, v24
	v_mov_b32_dpp v18, v2 row_shr:1 row_mask:0xf bank_mask:0xf
	s_delay_alu instid0(VALU_DEP_1) | instskip(SKIP_1) | instid1(VALU_DEP_2)
	v_cndmask_b32_e32 v18, 0, v18, vcc_lo
	v_cmp_lt_u32_e32 vcc_lo, 1, v10
	v_add_nc_u32_e32 v2, v18, v2
	s_delay_alu instid0(VALU_DEP_1) | instskip(NEXT) | instid1(VALU_DEP_1)
	v_mov_b32_dpp v18, v2 row_shr:2 row_mask:0xf bank_mask:0xf
	v_cndmask_b32_e32 v18, 0, v18, vcc_lo
	v_cmp_lt_u32_e32 vcc_lo, 3, v10
	s_delay_alu instid0(VALU_DEP_2) | instskip(NEXT) | instid1(VALU_DEP_1)
	v_add_nc_u32_e32 v2, v2, v18
	v_mov_b32_dpp v18, v2 row_shr:4 row_mask:0xf bank_mask:0xf
	s_delay_alu instid0(VALU_DEP_1) | instskip(SKIP_1) | instid1(VALU_DEP_2)
	v_cndmask_b32_e32 v18, 0, v18, vcc_lo
	v_cmp_lt_u32_e32 vcc_lo, 7, v10
	v_add_nc_u32_e32 v2, v2, v18
	s_delay_alu instid0(VALU_DEP_1) | instskip(NEXT) | instid1(VALU_DEP_1)
	v_mov_b32_dpp v18, v2 row_shr:8 row_mask:0xf bank_mask:0xf
	v_cndmask_b32_e32 v18, 0, v18, vcc_lo
	v_cmp_gt_i32_e32 vcc_lo, 0, v12
	s_delay_alu instid0(VALU_DEP_2) | instskip(SKIP_4) | instid1(VALU_DEP_1)
	v_dual_cndmask_b32 v19, v12, v8 :: v_dual_add_nc_u32 v2, v2, v18
	ds_swizzle_b32 v18, v2 offset:swizzle(BROADCAST,32,15)
	v_lshlrev_b32_e32 v19, 2, v19
	s_waitcnt lgkmcnt(0)
	v_and_b32_e32 v18, v11, v18
	v_add_nc_u32_e32 v2, v2, v18
	ds_bpermute_b32 v2, v19, v2
	s_waitcnt lgkmcnt(0)
	v_add_nc_u32_e32 v2, v2, v17
	s_delay_alu instid0(VALU_DEP_1)
	v_cndmask_b32_e64 v2, v2, v15, s3
	ds_store_b32 v0, v2
	; wave barrier
	ds_load_2addr_b32 v[17:18], v0 offset0:1 offset1:2
	ds_load_2addr_b32 v[19:20], v0 offset0:3 offset1:4
	;; [unrolled: 1-line block ×3, first 2 shown]
	ds_load_b32 v23, v0 offset:28
	s_waitcnt lgkmcnt(3)
	v_add_nc_u32_e32 v2, v17, v2
	s_delay_alu instid0(VALU_DEP_1) | instskip(SKIP_1) | instid1(VALU_DEP_1)
	v_add_nc_u32_e32 v17, v18, v2
	s_waitcnt lgkmcnt(2)
	v_add_nc_u32_e32 v18, v19, v17
	s_delay_alu instid0(VALU_DEP_1) | instskip(SKIP_1) | instid1(VALU_DEP_1)
	v_add_nc_u32_e32 v19, v20, v18
	s_waitcnt lgkmcnt(1)
	v_add_nc_u32_e32 v20, v21, v19
	s_delay_alu instid0(VALU_DEP_1) | instskip(SKIP_1) | instid1(VALU_DEP_1)
	v_add_nc_u32_e32 v21, v22, v20
	s_waitcnt lgkmcnt(0)
	v_add_nc_u32_e32 v22, v23, v21
	ds_store_2addr_b32 v0, v2, v17 offset0:1 offset1:2
	ds_store_2addr_b32 v0, v18, v19 offset0:3 offset1:4
	;; [unrolled: 1-line block ×3, first 2 shown]
	ds_store_b32 v0, v22 offset:28
.LBB97_32:                              ;   in Loop: Header=BB97_21 Depth=1
	s_or_b32 exec_lo, exec_lo, s17
	v_mov_b32_e32 v2, 0
	s_waitcnt lgkmcnt(0)
	s_barrier
	buffer_gl0_inv
	s_and_saveexec_b32 s17, s2
	s_cbranch_execz .LBB97_34
; %bb.33:                               ;   in Loop: Header=BB97_21 Depth=1
	ds_load_b32 v2, v9
.LBB97_34:                              ;   in Loop: Header=BB97_21 Depth=1
	s_or_b32 exec_lo, exec_lo, s17
	ds_load_b32 v17, v5 offset:1048
	s_mov_b32 s17, exec_lo
	s_waitcnt lgkmcnt(0)
	s_barrier
	buffer_gl0_inv
	v_cmpx_ne_u32_e32 0, v15
	s_cbranch_execz .LBB97_19
; %bb.35:                               ;   in Loop: Header=BB97_21 Depth=1
	v_add_nc_u32_e32 v2, v2, v6
	s_delay_alu instid0(VALU_DEP_1)
	v_cmp_gt_u32_e32 vcc_lo, s9, v2
	s_and_b32 exec_lo, exec_lo, vcc_lo
	s_cbranch_execz .LBB97_19
; %bb.36:                               ;   in Loop: Header=BB97_21 Depth=1
	v_mul_lo_u32 v18, v2, s10
	v_mov_b32_e32 v19, v5
	v_mul_lo_u32 v20, v2, s4
	v_mov_b32_e32 v21, v5
	v_mov_b32_e32 v2, v5
	s_delay_alu instid0(VALU_DEP_4) | instskip(NEXT) | instid1(VALU_DEP_3)
	v_lshlrev_b64 v[18:19], 1, v[18:19]
	v_lshlrev_b64 v[20:21], 3, v[20:21]
	s_delay_alu instid0(VALU_DEP_2) | instskip(NEXT) | instid1(VALU_DEP_3)
	v_add_co_u32 v18, vcc_lo, s11, v18
	v_add_co_ci_u32_e32 v19, vcc_lo, s12, v19, vcc_lo
	s_delay_alu instid0(VALU_DEP_3) | instskip(NEXT) | instid1(VALU_DEP_4)
	v_add_co_u32 v20, vcc_lo, s13, v20
	v_add_co_ci_u32_e32 v21, vcc_lo, s14, v21, vcc_lo
	global_store_b16 v[18:19], v14, off
	global_store_b64 v[20:21], v[1:2], off
	s_branch .LBB97_19
	.p2align	6
.LBB97_37:                              ;   in Loop: Header=BB97_38 Depth=1
	s_add_u32 s12, s12, 4
	s_addc_u32 s13, s13, 0
	s_waitcnt lgkmcnt(0)
	s_add_i32 s44, s9, s44
	s_add_u32 s14, s14, 4
	s_addc_u32 s15, s15, 0
	s_add_i32 s8, s8, 1
	s_delay_alu instid0(SALU_CYCLE_1)
	s_cmp_lt_u32 s8, s6
	s_cbranch_scc0 .LBB97_16
.LBB97_38:                              ; =>This Inner Loop Header: Depth=1
	s_load_b32 s9, s[12:13], 0x0
	s_cmp_ge_u32 s8, s7
	s_cbranch_scc1 .LBB97_37
; %bb.39:                               ;   in Loop: Header=BB97_38 Depth=1
	s_load_b32 s10, s[14:15], 0x0
	s_waitcnt lgkmcnt(0)
	s_add_i32 s19, s9, s19
	s_add_i32 s43, s10, s43
	s_branch .LBB97_37
.LBB97_40:
	s_nop 0
	s_sendmsg sendmsg(MSG_DEALLOC_VGPRS)
	s_endpgm
	.section	.rodata,"a",@progbits
	.p2align	6, 0x0
	.amdhsa_kernel _ZN2at6native6mbtopk10gatherTopKIN3c104HalfEjLi2EEEvNS_4cuda6detail10TensorInfoIKT_T0_EESA_SA_bjSA_NS7_IS8_SA_EESA_NS7_IlSA_EESA_jjPS8_PjSF_j
		.amdhsa_group_segment_fixed_size 1068
		.amdhsa_private_segment_fixed_size 0
		.amdhsa_kernarg_size 984
		.amdhsa_user_sgpr_count 13
		.amdhsa_user_sgpr_dispatch_ptr 0
		.amdhsa_user_sgpr_queue_ptr 0
		.amdhsa_user_sgpr_kernarg_segment_ptr 1
		.amdhsa_user_sgpr_dispatch_id 0
		.amdhsa_user_sgpr_private_segment_size 0
		.amdhsa_wavefront_size32 1
		.amdhsa_uses_dynamic_stack 0
		.amdhsa_enable_private_segment 0
		.amdhsa_system_sgpr_workgroup_id_x 1
		.amdhsa_system_sgpr_workgroup_id_y 1
		.amdhsa_system_sgpr_workgroup_id_z 1
		.amdhsa_system_sgpr_workgroup_info 0
		.amdhsa_system_vgpr_workitem_id 0
		.amdhsa_next_free_vgpr 25
		.amdhsa_next_free_sgpr 48
		.amdhsa_reserve_vcc 1
		.amdhsa_float_round_mode_32 0
		.amdhsa_float_round_mode_16_64 0
		.amdhsa_float_denorm_mode_32 3
		.amdhsa_float_denorm_mode_16_64 3
		.amdhsa_dx10_clamp 1
		.amdhsa_ieee_mode 1
		.amdhsa_fp16_overflow 0
		.amdhsa_workgroup_processor_mode 1
		.amdhsa_memory_ordered 1
		.amdhsa_forward_progress 0
		.amdhsa_shared_vgpr_count 0
		.amdhsa_exception_fp_ieee_invalid_op 0
		.amdhsa_exception_fp_denorm_src 0
		.amdhsa_exception_fp_ieee_div_zero 0
		.amdhsa_exception_fp_ieee_overflow 0
		.amdhsa_exception_fp_ieee_underflow 0
		.amdhsa_exception_fp_ieee_inexact 0
		.amdhsa_exception_int_div_zero 0
	.end_amdhsa_kernel
	.section	.text._ZN2at6native6mbtopk10gatherTopKIN3c104HalfEjLi2EEEvNS_4cuda6detail10TensorInfoIKT_T0_EESA_SA_bjSA_NS7_IS8_SA_EESA_NS7_IlSA_EESA_jjPS8_PjSF_j,"axG",@progbits,_ZN2at6native6mbtopk10gatherTopKIN3c104HalfEjLi2EEEvNS_4cuda6detail10TensorInfoIKT_T0_EESA_SA_bjSA_NS7_IS8_SA_EESA_NS7_IlSA_EESA_jjPS8_PjSF_j,comdat
.Lfunc_end97:
	.size	_ZN2at6native6mbtopk10gatherTopKIN3c104HalfEjLi2EEEvNS_4cuda6detail10TensorInfoIKT_T0_EESA_SA_bjSA_NS7_IS8_SA_EESA_NS7_IlSA_EESA_jjPS8_PjSF_j, .Lfunc_end97-_ZN2at6native6mbtopk10gatherTopKIN3c104HalfEjLi2EEEvNS_4cuda6detail10TensorInfoIKT_T0_EESA_SA_bjSA_NS7_IS8_SA_EESA_NS7_IlSA_EESA_jjPS8_PjSF_j
                                        ; -- End function
	.section	.AMDGPU.csdata,"",@progbits
; Kernel info:
; codeLenInByte = 2912
; NumSgprs: 50
; NumVgprs: 25
; ScratchSize: 0
; MemoryBound: 0
; FloatMode: 240
; IeeeMode: 1
; LDSByteSize: 1068 bytes/workgroup (compile time only)
; SGPRBlocks: 6
; VGPRBlocks: 3
; NumSGPRsForWavesPerEU: 50
; NumVGPRsForWavesPerEU: 25
; Occupancy: 16
; WaveLimiterHint : 1
; COMPUTE_PGM_RSRC2:SCRATCH_EN: 0
; COMPUTE_PGM_RSRC2:USER_SGPR: 13
; COMPUTE_PGM_RSRC2:TRAP_HANDLER: 0
; COMPUTE_PGM_RSRC2:TGID_X_EN: 1
; COMPUTE_PGM_RSRC2:TGID_Y_EN: 1
; COMPUTE_PGM_RSRC2:TGID_Z_EN: 1
; COMPUTE_PGM_RSRC2:TIDIG_COMP_CNT: 0
	.section	.text._ZN2at6native6sbtopk10gatherTopKIN3c104HalfEjLi2ELb0EEEvNS_4cuda6detail10TensorInfoIKT_T0_EESA_SA_bSA_SA_NS7_IS8_SA_EESA_NS7_IlSA_EESA_PS8_,"axG",@progbits,_ZN2at6native6sbtopk10gatherTopKIN3c104HalfEjLi2ELb0EEEvNS_4cuda6detail10TensorInfoIKT_T0_EESA_SA_bSA_SA_NS7_IS8_SA_EESA_NS7_IlSA_EESA_PS8_,comdat
	.protected	_ZN2at6native6sbtopk10gatherTopKIN3c104HalfEjLi2ELb0EEEvNS_4cuda6detail10TensorInfoIKT_T0_EESA_SA_bSA_SA_NS7_IS8_SA_EESA_NS7_IlSA_EESA_PS8_ ; -- Begin function _ZN2at6native6sbtopk10gatherTopKIN3c104HalfEjLi2ELb0EEEvNS_4cuda6detail10TensorInfoIKT_T0_EESA_SA_bSA_SA_NS7_IS8_SA_EESA_NS7_IlSA_EESA_PS8_
	.globl	_ZN2at6native6sbtopk10gatherTopKIN3c104HalfEjLi2ELb0EEEvNS_4cuda6detail10TensorInfoIKT_T0_EESA_SA_bSA_SA_NS7_IS8_SA_EESA_NS7_IlSA_EESA_PS8_
	.p2align	8
	.type	_ZN2at6native6sbtopk10gatherTopKIN3c104HalfEjLi2ELb0EEEvNS_4cuda6detail10TensorInfoIKT_T0_EESA_SA_bSA_SA_NS7_IS8_SA_EESA_NS7_IlSA_EESA_PS8_,@function
_ZN2at6native6sbtopk10gatherTopKIN3c104HalfEjLi2ELb0EEEvNS_4cuda6detail10TensorInfoIKT_T0_EESA_SA_bSA_SA_NS7_IS8_SA_EESA_NS7_IlSA_EESA_PS8_: ; @_ZN2at6native6sbtopk10gatherTopKIN3c104HalfEjLi2ELb0EEEvNS_4cuda6detail10TensorInfoIKT_T0_EESA_SA_bSA_SA_NS7_IS8_SA_EESA_NS7_IlSA_EESA_PS8_
; %bb.0:
	s_clause 0x1
	s_load_b64 s[4:5], s[0:1], 0x2b8
	s_load_b128 s[24:27], s[0:1], 0xd8
	s_add_u32 s6, s0, 0x2b8
	s_addc_u32 s7, s1, 0
	s_waitcnt lgkmcnt(0)
	s_mul_i32 s2, s5, s15
	s_delay_alu instid0(SALU_CYCLE_1) | instskip(NEXT) | instid1(SALU_CYCLE_1)
	s_add_i32 s2, s2, s14
	s_mul_i32 s43, s2, s4
	s_delay_alu instid0(SALU_CYCLE_1) | instskip(NEXT) | instid1(SALU_CYCLE_1)
	s_add_i32 s43, s43, s13
	s_cmp_ge_u32 s43, s27
	s_cbranch_scc1 .LBB98_465
; %bb.1:
	s_clause 0x9
	s_load_b32 s10, s[0:1], 0xc
	s_load_b32 s45, s[0:1], 0xfc
	;; [unrolled: 1-line block ×3, first 2 shown]
	s_load_b64 s[30:31], s[0:1], 0xf0
	s_load_b64 s[36:37], s[0:1], 0x23c
	;; [unrolled: 1-line block ×4, first 2 shown]
	s_load_b32 s28, s[0:1], 0xe8
	s_load_b64 s[2:3], s[0:1], 0x6c
	s_load_b64 s[8:9], s[0:1], 0x0
	v_cmp_eq_u32_e64 s5, 0, v0
	s_mov_b32 s41, 0
	s_waitcnt lgkmcnt(0)
	v_cvt_f32_u32_e32 v1, s10
	v_cvt_f32_u32_e32 v2, s45
	;; [unrolled: 1-line block ×3, first 2 shown]
	s_sub_i32 s11, 0, s10
	s_sub_i32 s16, 0, s45
	v_rcp_iflag_f32_e32 v1, v1
	v_rcp_iflag_f32_e32 v2, v2
	;; [unrolled: 1-line block ×3, first 2 shown]
	s_sub_i32 s17, 0, s44
	s_waitcnt_depctr 0xfff
	v_dual_mul_f32 v1, 0x4f7ffffe, v1 :: v_dual_mul_f32 v2, 0x4f7ffffe, v2
	v_mul_f32_e32 v3, 0x4f7ffffe, v3
	s_delay_alu instid0(VALU_DEP_2) | instskip(NEXT) | instid1(VALU_DEP_3)
	v_cvt_u32_f32_e32 v1, v1
	v_cvt_u32_f32_e32 v2, v2
	s_delay_alu instid0(VALU_DEP_3) | instskip(NEXT) | instid1(VALU_DEP_3)
	v_cvt_u32_f32_e32 v3, v3
	v_readfirstlane_b32 s12, v1
	s_delay_alu instid0(VALU_DEP_3) | instskip(NEXT) | instid1(VALU_DEP_3)
	v_readfirstlane_b32 s14, v2
	v_readfirstlane_b32 s15, v3
	s_delay_alu instid0(VALU_DEP_3) | instskip(NEXT) | instid1(VALU_DEP_2)
	s_mul_i32 s11, s11, s12
	s_mul_i32 s16, s16, s14
	s_delay_alu instid0(VALU_DEP_1)
	s_mul_i32 s17, s17, s15
	s_mul_hi_u32 s11, s12, s11
	s_mul_hi_u32 s16, s14, s16
	;; [unrolled: 1-line block ×3, first 2 shown]
	s_add_i32 s12, s12, s11
	s_add_i32 s14, s14, s16
	;; [unrolled: 1-line block ×3, first 2 shown]
	s_mul_hi_u32 s11, s43, s12
	s_mul_hi_u32 s47, s43, s14
	;; [unrolled: 1-line block ×3, first 2 shown]
	s_and_saveexec_b32 s12, s5
	s_cbranch_execz .LBB98_3
; %bb.2:
	v_dual_mov_b32 v1, 0 :: v_dual_mov_b32 v2, s24
	s_delay_alu instid0(VALU_DEP_1)
	v_mov_b32_e32 v3, v1
	ds_store_b96 v1, v[1:3] offset:4096
.LBB98_3:
	s_or_b32 exec_lo, exec_lo, s12
	s_mul_i32 s12, s11, s10
	s_add_i32 s14, s11, 1
	s_sub_i32 s12, s43, s12
	s_waitcnt lgkmcnt(0)
	s_sub_i32 s15, s12, s10
	s_cmp_ge_u32 s12, s10
	s_barrier
	s_cselect_b32 s11, s14, s11
	s_cselect_b32 s12, s15, s12
	buffer_gl0_inv
	s_load_b32 s15, s[6:7], 0xc
	s_add_i32 s14, s11, 1
	s_cmp_ge_u32 s12, s10
	v_mbcnt_lo_u32_b32 v15, -1, 0
	s_cselect_b32 s11, s14, s11
	v_cmp_gt_u32_e32 vcc_lo, 32, v0
	s_mul_i32 s10, s11, s10
	s_mul_i32 s2, s11, s2
	s_sub_i32 s10, s43, s10
	v_dual_mov_b32 v9, 0 :: v_dual_lshlrev_b32 v16, 2, v0
	s_mul_i32 s10, s10, s3
	v_mul_lo_u32 v7, v0, s28
	s_add_i32 s40, s2, s10
	v_cmp_gt_i32_e64 s2, 4, v15
	s_lshl_b64 s[10:11], s[40:41], 1
	v_dual_mov_b32 v26, 0x8000 :: v_dual_lshlrev_b32 v19, 1, v0
	s_add_u32 s29, s8, s10
	s_addc_u32 s33, s9, s11
	s_bitcmp1_b32 s26, 0
	v_mad_u64_u32 v[12:13], null, s28, v16, s[28:29]
	s_cselect_b32 s3, -1, 0
	s_waitcnt lgkmcnt(0)
	s_and_b32 s40, s15, 0xffff
	s_bfe_u32 s8, s15, 0xb0005
	s_lshl_b32 s49, s40, 2
	s_and_b32 s48, vcc_lo, s2
	v_cvt_f32_u32_e32 v1, s49
	s_xor_b32 s50, s3, -1
	s_cmpk_gt_u32 s24, 0x600
	v_cvt_f32_u32_e32 v3, s40
	s_cselect_b32 s51, -1, 0
	v_rcp_iflag_f32_e32 v1, v1
	s_cmp_gt_u32 s40, 31
	v_dual_mov_b32 v29, 0 :: v_dual_add_nc_u32 v20, 0xc00, v19
	s_cselect_b32 s52, -1, 0
	s_add_i32 s53, s40, -1
	v_mov_b32_e32 v8, v9
	s_add_i32 s9, s53, s24
	s_cmp_lt_u32 s13, s4
	v_rcp_iflag_f32_e32 v3, v3
	s_waitcnt_depctr 0xfff
	v_mul_f32_e32 v1, 0x4f7ffffe, v1
	s_cselect_b32 s2, 12, 18
	v_dual_mov_b32 v27, 0 :: v_dual_lshlrev_b32 v22, 2, v7
	s_add_u32 s26, s6, s2
	s_delay_alu instid0(VALU_DEP_2)
	v_cvt_u32_f32_e32 v1, v1
	s_addc_u32 s27, s7, 0
	s_add_i32 s2, s8, -1
	s_bfe_u32 s54, s40, 0x30005
	s_cmp_gt_u32 s2, 6
	v_readfirstlane_b32 s2, v1
	s_cselect_b32 s55, -1, 0
	s_and_b32 s56, s8, 0x7f8
	s_cmp_lg_u32 s54, 0
	v_lshlrev_b64 v[1:2], 1, v[7:8]
	s_cselect_b32 s57, -1, 0
	s_sub_i32 s4, 0, s49
	v_lshlrev_b32_e32 v24, 3, v0
	s_mul_i32 s4, s4, s2
	v_lshl_or_b32 v25, v15, 2, 0xc00
	s_mul_hi_u32 s4, s2, s4
	v_add_co_u32 v5, vcc_lo, s29, v1
	s_add_i32 s58, s2, s4
	v_add_co_ci_u32_e32 v6, vcc_lo, s33, v2, vcc_lo
	s_mul_hi_u32 s4, s24, s58
	v_lshrrev_b32_e32 v2, 3, v0
	s_mul_i32 s4, s4, s49
	v_cmp_eq_u32_e64 s2, 0, v15
	s_sub_i32 s4, s24, s4
	v_mov_b32_e32 v30, s25
	s_sub_i32 s6, s4, s49
	s_cmp_ge_u32 s4, s49
	v_and_b32_e32 v17, 0x7c, v2
	s_cselect_b32 s6, s6, s4
	v_cmp_gt_u32_e64 s4, s24, v0
	s_sub_i32 s7, s6, s49
	s_cmp_ge_u32 s6, s49
	v_mov_b32_e32 v28, 0
	s_cselect_b32 s10, s7, s6
	s_sub_i32 s6, 0, s40
	s_sub_i32 s59, s24, s10
	s_delay_alu instid0(SALU_CYCLE_1) | instskip(SKIP_3) | instid1(VALU_DEP_2)
	v_dual_mul_f32 v1, 0x4f7ffffe, v3 :: v_dual_add_nc_u32 v18, s59, v0
	v_or_b32_e32 v3, 3, v16
	s_mul_i32 s42, s28, s40
	s_mov_b32 s71, 14
	v_cvt_u32_f32_e32 v1, v1
	v_mul_lo_u32 v8, v18, s28
	v_mul_lo_u32 v21, s28, v3
	s_movk_i32 s66, 0x3c00
	s_mov_b32 s67, 0
	v_readfirstlane_b32 s8, v1
	v_lshlrev_b64 v[1:2], v15, -1
                                        ; implicit-def: $sgpr65
                                        ; implicit-def: $sgpr70
                                        ; implicit-def: $sgpr69
                                        ; implicit-def: $sgpr72
                                        ; implicit-def: $sgpr68
                                        ; implicit-def: $sgpr73
                                        ; implicit-def: $sgpr75
                                        ; implicit-def: $sgpr74
                                        ; implicit-def: $sgpr76
                                        ; implicit-def: $sgpr77
	s_delay_alu instid0(VALU_DEP_2) | instskip(NEXT) | instid1(SALU_CYCLE_1)
	s_mul_i32 s6, s6, s8
	s_mul_hi_u32 s6, s8, s6
	s_delay_alu instid0(VALU_DEP_1) | instskip(SKIP_3) | instid1(SALU_CYCLE_1)
	v_not_b32_e32 v14, v1
	s_add_i32 s60, s8, s6
	v_lshlrev_b64 v[1:2], 1, v[8:9]
	s_mul_hi_u32 s6, s9, s60
	s_mul_i32 s7, s6, s40
	v_cmp_gt_u32_e64 s6, 2, v0
	s_sub_i32 s7, s9, s7
	s_delay_alu instid0(VALU_DEP_2)
	v_add_co_u32 v10, vcc_lo, s29, v1
	v_add3_u32 v1, s40, s24, v0
	s_sub_i32 s8, s7, s40
	s_cmp_ge_u32 s7, s40
	v_add_co_ci_u32_e32 v11, vcc_lo, s33, v2, vcc_lo
	s_cselect_b32 s8, s8, s7
	v_or_b32_e32 v2, 2, v16
	v_subrev_nc_u32_e32 v1, s10, v1
	s_sub_i32 s11, s8, s40
	s_cmp_ge_u32 s8, s40
	v_cmp_gt_u32_e64 s7, s59, v16
	s_cselect_b32 s11, s11, s8
	v_mul_lo_u32 v13, s28, v2
	v_mul_lo_u32 v23, s28, v1
	s_sub_i32 s61, s9, s11
	v_cmp_gt_u32_e64 s8, s24, v18
	v_cmp_gt_u32_e64 s9, s61, v0
	s_lshl_b32 s62, s42, 2
	s_lshl_b32 s63, s40, 3
	;; [unrolled: 1-line block ×3, first 2 shown]
	s_branch .LBB98_6
.LBB98_4:                               ;   in Loop: Header=BB98_6 Depth=1
	s_or_b32 exec_lo, exec_lo, s13
	v_dual_mov_b32 v27, v2 :: v_dual_mov_b32 v28, v1
	v_dual_mov_b32 v30, v4 :: v_dual_mov_b32 v29, v3
	s_and_not1_b32 s13, s77, exec_lo
	s_and_b32 s12, s12, exec_lo
	s_and_not1_b32 s76, s76, exec_lo
	s_or_b32 s77, s13, s12
	s_and_not1_b32 s74, s74, exec_lo
	s_and_not1_b32 s75, s75, exec_lo
	;; [unrolled: 1-line block ×3, first 2 shown]
	s_or_not1_b32 s12, s11, exec_lo
.LBB98_5:                               ;   in Loop: Header=BB98_6 Depth=1
	s_or_b32 exec_lo, exec_lo, s10
	s_delay_alu instid0(SALU_CYCLE_1) | instskip(NEXT) | instid1(SALU_CYCLE_1)
	s_and_b32 s10, exec_lo, s12
	s_or_b32 s41, s10, s41
	s_and_not1_b32 s10, s68, exec_lo
	s_and_b32 s11, s77, exec_lo
	s_and_not1_b32 s12, s72, exec_lo
	s_or_b32 s68, s10, s11
	s_and_b32 s10, s76, exec_lo
	s_and_not1_b32 s11, s69, exec_lo
	s_and_b32 s13, s74, exec_lo
	s_or_b32 s72, s12, s10
	s_or_b32 s69, s11, s13
	s_and_not1_b32 s10, s70, exec_lo
	s_and_b32 s11, s75, exec_lo
	s_and_not1_b32 s12, s65, exec_lo
	s_and_b32 s13, s73, exec_lo
	s_or_b32 s70, s10, s11
	s_or_b32 s65, s12, s13
	s_and_not1_b32 exec_lo, exec_lo, s41
	s_cbranch_execz .LBB98_403
.LBB98_6:                               ; =>This Loop Header: Depth=1
                                        ;     Child Loop BB98_11 Depth 2
                                        ;     Child Loop BB98_26 Depth 2
	;; [unrolled: 1-line block ×24, first 2 shown]
	ds_load_b64 v[1:2], v9 offset:4096
	s_waitcnt lgkmcnt(0)
	v_readfirstlane_b32 s78, v1
	s_delay_alu instid0(VALU_DEP_1)
	s_cmp_lg_u32 s78, 0
	s_cbranch_scc1 .LBB98_33
; %bb.7:                                ;   in Loop: Header=BB98_6 Depth=1
	s_and_b32 vcc_lo, exec_lo, s51
	s_cbranch_vccz .LBB98_19
; %bb.8:                                ;   in Loop: Header=BB98_6 Depth=1
	v_cmp_gt_u32_e32 vcc_lo, 0x601, v2
	s_mov_b32 s78, 0
	s_mov_b32 s10, 0
	s_cbranch_vccz .LBB98_20
; %bb.9:                                ;   in Loop: Header=BB98_6 Depth=1
	global_load_u16 v1, v9, s[26:27]
	global_load_u16 v4, v[5:6], off
	v_mov_b32_e32 v3, v0
	s_mov_b32 s12, 0
	s_waitcnt vmcnt(1)
	v_add_nc_u32_e32 v2, v0, v1
	s_delay_alu instid0(VALU_DEP_1)
	v_mul_lo_u32 v8, s28, v2
	v_mul_lo_u32 v2, s28, v1
	s_branch .LBB98_11
.LBB98_10:                              ;   in Loop: Header=BB98_11 Depth=2
	s_or_b32 exec_lo, exec_lo, s11
	v_add_nc_u32_e32 v8, v8, v2
	v_mov_b32_e32 v4, v31
	s_and_not1_b32 exec_lo, exec_lo, s12
	s_cbranch_execz .LBB98_84
.LBB98_11:                              ;   Parent Loop BB98_6 Depth=1
                                        ; =>  This Inner Loop Header: Depth=2
	s_waitcnt lgkmcnt(0)
	v_dual_mov_b32 v32, 0 :: v_dual_add_nc_u32 v3, v3, v1
	v_mov_b32_e32 v31, 0
	s_mov_b32 s11, exec_lo
	s_delay_alu instid0(VALU_DEP_2)
	v_cmp_le_u32_e32 vcc_lo, s24, v3
	v_cmpx_gt_u32_e64 s24, v3
	s_cbranch_execz .LBB98_13
; %bb.12:                               ;   in Loop: Header=BB98_11 Depth=2
	v_lshlrev_b64 v[33:34], 1, v[8:9]
	s_delay_alu instid0(VALU_DEP_1) | instskip(NEXT) | instid1(VALU_DEP_1)
	v_add_co_u32 v33, s10, s29, v33
	v_add_co_ci_u32_e64 v34, s10, s33, v34, s10
	global_load_u16 v31, v[33:34], off
.LBB98_13:                              ;   in Loop: Header=BB98_11 Depth=2
	s_or_b32 exec_lo, exec_lo, s11
	s_waitcnt vmcnt(0)
	v_cmp_lt_i16_e64 s10, -1, v4
	v_and_b32_e32 v33, 0xffff, v4
	s_delay_alu instid0(VALU_DEP_2) | instskip(SKIP_1) | instid1(VALU_DEP_2)
	v_cndmask_b32_e64 v34, 0xffff, v26, s10
	v_cmp_o_f16_e64 s10, v4, v4
	v_xor_b32_e32 v33, v34, v33
	s_delay_alu instid0(VALU_DEP_1) | instskip(NEXT) | instid1(VALU_DEP_1)
	v_cndmask_b32_e64 v33, 0xffff, v33, s10
	v_and_b32_e32 v33, v33, v27
	s_delay_alu instid0(VALU_DEP_1) | instskip(NEXT) | instid1(VALU_DEP_1)
	v_cmp_eq_u32_e64 s10, v33, v28
	s_cmp_lg_u32 s10, 0
	s_cselect_b32 s11, -1, 0
	s_delay_alu instid0(SALU_CYCLE_1) | instskip(NEXT) | instid1(SALU_CYCLE_1)
	s_and_b32 s11, s2, s11
	s_and_saveexec_b32 s13, s11
	s_cbranch_execz .LBB98_17
; %bb.14:                               ;   in Loop: Header=BB98_11 Depth=2
	s_mov_b32 s16, exec_lo
	s_bcnt1_i32_b32 s14, s10
	v_mbcnt_lo_u32_b32 v32, s16, 0
	s_mov_b32 s15, exec_lo
                                        ; implicit-def: $vgpr33
	s_delay_alu instid0(VALU_DEP_1)
	v_cmpx_eq_u32_e32 0, v32
	s_cbranch_execz .LBB98_16
; %bb.15:                               ;   in Loop: Header=BB98_11 Depth=2
	s_bcnt1_i32_b32 s11, s16
	s_delay_alu instid0(SALU_CYCLE_1) | instskip(NEXT) | instid1(SALU_CYCLE_1)
	s_mul_i32 s11, s14, s11
	v_mov_b32_e32 v33, s11
	ds_add_rtn_u32 v33, v9, v33 offset:4104
.LBB98_16:                              ;   in Loop: Header=BB98_11 Depth=2
	s_or_b32 exec_lo, exec_lo, s15
	s_waitcnt lgkmcnt(0)
	v_readfirstlane_b32 s11, v33
	s_delay_alu instid0(VALU_DEP_1)
	v_mad_u32_u24 v32, s14, v32, s11
.LBB98_17:                              ;   in Loop: Header=BB98_11 Depth=2
	s_or_b32 exec_lo, exec_lo, s13
	ds_bpermute_b32 v32, v9, v32
	s_and_b32 s11, exec_lo, vcc_lo
	s_delay_alu instid0(SALU_CYCLE_1)
	s_or_b32 s12, s11, s12
	s_and_saveexec_b32 s11, s10
	s_cbranch_execz .LBB98_10
; %bb.18:                               ;   in Loop: Header=BB98_11 Depth=2
	v_and_b32_e32 v33, s10, v14
	s_delay_alu instid0(VALU_DEP_1) | instskip(NEXT) | instid1(VALU_DEP_1)
	v_bcnt_u32_b32 v33, v33, 0
	v_lshlrev_b32_e32 v33, 1, v33
	s_waitcnt lgkmcnt(0)
	s_delay_alu instid0(VALU_DEP_1)
	v_lshl_add_u32 v32, v32, 1, v33
	ds_store_b16 v32, v4
	s_branch .LBB98_10
.LBB98_19:                              ;   in Loop: Header=BB98_6 Depth=1
	s_mov_b32 s78, -1
	s_mov_b32 s10, 0
.LBB98_20:                              ;   in Loop: Header=BB98_6 Depth=1
	s_and_b32 vcc_lo, exec_lo, s78
	s_cbranch_vccz .LBB98_31
.LBB98_21:                              ;   in Loop: Header=BB98_6 Depth=1
	v_mov_b32_e32 v1, 0
	s_and_saveexec_b32 s10, s4
	s_cbranch_execz .LBB98_23
; %bb.22:                               ;   in Loop: Header=BB98_6 Depth=1
	global_load_u16 v1, v[5:6], off
.LBB98_23:                              ;   in Loop: Header=BB98_6 Depth=1
	s_or_b32 exec_lo, exec_lo, s10
	s_and_saveexec_b32 s11, s4
	s_cbranch_execz .LBB98_28
; %bb.24:                               ;   in Loop: Header=BB98_6 Depth=1
	global_load_u16 v2, v9, s[26:27]
	v_mov_b32_e32 v32, v0
	s_mov_b32 s12, 0
	v_mov_b32_e32 v31, v19
	s_waitcnt vmcnt(0)
	v_add_nc_u32_e32 v3, v0, v2
	v_lshlrev_b32_e32 v4, 1, v2
	s_delay_alu instid0(VALU_DEP_2)
	v_mul_lo_u32 v8, s28, v3
	v_mul_lo_u32 v3, s28, v2
	s_set_inst_prefetch_distance 0x1
	s_branch .LBB98_26
	.p2align	6
.LBB98_25:                              ;   in Loop: Header=BB98_26 Depth=2
	s_or_b32 exec_lo, exec_lo, s13
	ds_store_b16 v31, v1
	v_add_nc_u32_e32 v31, v31, v4
	s_waitcnt vmcnt(0)
	v_dual_mov_b32 v1, v33 :: v_dual_add_nc_u32 v8, v8, v3
	s_and_b32 s10, exec_lo, vcc_lo
	s_delay_alu instid0(SALU_CYCLE_1) | instskip(NEXT) | instid1(SALU_CYCLE_1)
	s_or_b32 s12, s10, s12
	s_and_not1_b32 exec_lo, exec_lo, s12
	s_cbranch_execz .LBB98_28
.LBB98_26:                              ;   Parent Loop BB98_6 Depth=1
                                        ; =>  This Inner Loop Header: Depth=2
	v_dual_mov_b32 v33, 0 :: v_dual_add_nc_u32 v32, v32, v2
	s_mov_b32 s13, exec_lo
	s_delay_alu instid0(VALU_DEP_1)
	v_cmp_le_u32_e32 vcc_lo, s24, v32
	v_cmpx_gt_u32_e64 s24, v32
	s_cbranch_execz .LBB98_25
; %bb.27:                               ;   in Loop: Header=BB98_26 Depth=2
	v_lshlrev_b64 v[33:34], 1, v[8:9]
	s_delay_alu instid0(VALU_DEP_1) | instskip(NEXT) | instid1(VALU_DEP_1)
	v_add_co_u32 v33, s10, s29, v33
	v_add_co_ci_u32_e64 v34, s10, s33, v34, s10
	global_load_u16 v33, v[33:34], off
	s_branch .LBB98_25
.LBB98_28:                              ;   in Loop: Header=BB98_6 Depth=1
	s_set_inst_prefetch_distance 0x2
	s_or_b32 exec_lo, exec_lo, s11
	s_waitcnt vmcnt(0) lgkmcnt(0)
	s_barrier
	buffer_gl0_inv
	s_and_saveexec_b32 s10, s5
	s_cbranch_execz .LBB98_30
; %bb.29:                               ;   in Loop: Header=BB98_6 Depth=1
	v_mov_b32_e32 v1, s24
	ds_store_b32 v9, v1 offset:4096
.LBB98_30:                              ;   in Loop: Header=BB98_6 Depth=1
	s_or_b32 exec_lo, exec_lo, s10
	s_mov_b32 s10, -1
	s_waitcnt lgkmcnt(0)
	s_barrier
                                        ; implicit-def: $sgpr78
.LBB98_31:                              ;   in Loop: Header=BB98_6 Depth=1
	s_and_b32 vcc_lo, exec_lo, s10
	s_cbranch_vccz .LBB98_33
; %bb.32:                               ;   in Loop: Header=BB98_6 Depth=1
	buffer_gl0_inv
	ds_load_b32 v1, v9 offset:4096
	s_waitcnt lgkmcnt(0)
	v_readfirstlane_b32 s78, v1
.LBB98_33:                              ;   in Loop: Header=BB98_6 Depth=1
	s_delay_alu instid0(VALU_DEP_1)
	s_cmp_lt_i32 s78, 1
	s_cbranch_scc0 .LBB98_37
; %bb.34:                               ;   in Loop: Header=BB98_6 Depth=1
	v_dual_mov_b32 v1, 0 :: v_dual_mov_b32 v2, 0
	v_dual_mov_b32 v3, 0 :: v_dual_mov_b32 v4, 0
	s_mov_b32 s22, 0
	s_and_saveexec_b32 s21, s7
	s_cbranch_execnz .LBB98_38
; %bb.35:                               ;   in Loop: Header=BB98_6 Depth=1
	s_or_b32 exec_lo, exec_lo, s21
	v_mov_b32_e32 v32, 0
	s_and_saveexec_b32 s10, s8
	s_cbranch_execnz .LBB98_41
.LBB98_36:                              ;   in Loop: Header=BB98_6 Depth=1
	s_or_b32 exec_lo, exec_lo, s10
	s_and_saveexec_b32 s14, s8
	s_cbranch_execnz .LBB98_42
	s_branch .LBB98_47
.LBB98_37:                              ;   in Loop: Header=BB98_6 Depth=1
                                        ; implicit-def: $vgpr4
	s_cbranch_execnz .LBB98_48
	s_branch .LBB98_57
.LBB98_38:                              ;   in Loop: Header=BB98_6 Depth=1
	v_mov_b32_e32 v31, v16
	s_and_b32 s23, s71, 0xfe
	s_mov_b32 s79, 0
	s_mov_b32 s80, 0
	;; [unrolled: 1-line block ×5, first 2 shown]
.LBB98_39:                              ;   Parent Loop BB98_6 Depth=1
                                        ; =>  This Inner Loop Header: Depth=2
	v_add_nc_u32_e32 v8, s79, v22
	s_delay_alu instid0(VALU_DEP_1) | instskip(SKIP_1) | instid1(VALU_DEP_1)
	v_lshlrev_b64 v[1:2], 1, v[8:9]
	v_add_nc_u32_e32 v8, s79, v12
	v_lshlrev_b64 v[3:4], 1, v[8:9]
	s_delay_alu instid0(VALU_DEP_3) | instskip(SKIP_2) | instid1(VALU_DEP_4)
	v_add_co_u32 v1, vcc_lo, s29, v1
	v_add_nc_u32_e32 v8, s79, v13
	v_add_co_ci_u32_e32 v2, vcc_lo, s33, v2, vcc_lo
	v_add_co_u32 v3, vcc_lo, s29, v3
	s_delay_alu instid0(VALU_DEP_3)
	v_lshlrev_b64 v[32:33], 1, v[8:9]
	v_add_nc_u32_e32 v8, s79, v21
	v_add_co_ci_u32_e32 v4, vcc_lo, s33, v4, vcc_lo
	global_load_u16 v34, v[1:2], off
	s_add_i32 s79, s79, s62
	v_lshlrev_b64 v[1:2], 1, v[8:9]
	global_load_u16 v8, v[3:4], off
	v_add_co_u32 v3, vcc_lo, s29, v32
	v_add_co_ci_u32_e32 v4, vcc_lo, s33, v33, vcc_lo
	v_add_co_u32 v1, vcc_lo, s29, v1
	v_add_co_ci_u32_e32 v2, vcc_lo, s33, v2, vcc_lo
	s_clause 0x1
	global_load_u16 v3, v[3:4], off
	global_load_u16 v1, v[1:2], off
	s_waitcnt vmcnt(3)
	v_cmp_lt_i16_e64 s10, -1, v34
	v_and_b32_e32 v2, 0xffff, v34
	s_waitcnt vmcnt(2)
	v_and_b32_e32 v32, 0xffff, v8
	s_delay_alu instid0(VALU_DEP_3) | instskip(SKIP_1) | instid1(VALU_DEP_2)
	v_cndmask_b32_e64 v4, 0xffff, v26, s10
	v_cmp_lt_i16_e64 s10, -1, v8
	v_xor_b32_e32 v2, v4, v2
	s_delay_alu instid0(VALU_DEP_2)
	v_cndmask_b32_e64 v33, 0xffff, v26, s10
	v_cmp_o_f16_e64 s10, v34, v34
	s_waitcnt vmcnt(1)
	v_cmp_lt_i16_e64 s11, -1, v3
	s_waitcnt vmcnt(0)
	v_cmp_o_f16_e64 s15, v1, v1
	v_xor_b32_e32 v4, v33, v32
	v_cndmask_b32_e64 v2, 0xffff, v2, s10
	v_cmp_o_f16_e64 s10, v8, v8
	v_and_b32_e32 v32, 0xffff, v3
	v_cndmask_b32_e64 v33, 0xffff, v26, s11
	s_delay_alu instid0(VALU_DEP_4) | instskip(NEXT) | instid1(VALU_DEP_4)
	v_and_b32_e32 v34, v2, v27
	v_cndmask_b32_e64 v4, 0xffff, v4, s10
	v_cmp_lt_i16_e64 s10, -1, v1
	s_delay_alu instid0(VALU_DEP_4) | instskip(SKIP_2) | instid1(VALU_DEP_4)
	v_xor_b32_e32 v8, v33, v32
	v_bfe_u32 v2, v2, s23, 2
	v_and_b32_e32 v32, 0xffff, v1
	v_cndmask_b32_e64 v33, 0xffff, v26, s10
	v_cmp_o_f16_e64 s10, v3, v3
	s_delay_alu instid0(VALU_DEP_4)
	v_cmp_eq_u32_e64 s11, 0, v2
	v_cmp_eq_u32_e64 s12, 1, v2
	;; [unrolled: 1-line block ×4, first 2 shown]
	v_cndmask_b32_e64 v3, 0xffff, v8, s10
	v_cmp_eq_u32_e64 s10, v34, v28
	v_xor_b32_e32 v8, v33, v32
	v_and_b32_e32 v32, v4, v27
	v_bfe_u32 v4, v4, s23, 2
	v_and_b32_e32 v2, v3, v27
	v_bfe_u32 v3, v3, s23, 2
	s_and_b32 s11, s10, s11
	v_cndmask_b32_e64 v1, 0xffff, v8, s15
	v_cmp_eq_u32_e64 s15, v32, v28
	v_cmp_eq_u32_e64 s16, 0, v4
	v_cndmask_b32_e64 v8, 0, 1, s11
	v_cmp_eq_u32_e64 s11, 1, v4
	s_and_b32 s12, s10, s12
	s_and_b32 s13, s10, s13
	;; [unrolled: 1-line block ×3, first 2 shown]
	v_cndmask_b32_e64 v32, 0, 1, s12
	v_cmp_eq_u32_e64 s12, 2, v4
	v_cndmask_b32_e64 v33, 0, 1, s13
	v_cmp_eq_u32_e64 s13, 3, v4
	;; [unrolled: 2-line block ×3, first 2 shown]
	v_cmp_eq_u32_e64 s14, 0, v3
	v_and_b32_e32 v2, v1, v27
	v_bfe_u32 v1, v1, s23, 2
	s_and_b32 s16, s15, s16
	s_and_b32 s11, s15, s11
	v_cmp_ne_u32_e64 s17, 0, v8
	v_cndmask_b32_e64 v8, 0, 1, s16
	v_cmp_eq_u32_e64 s16, 1, v3
	v_cmp_ne_u32_e64 s18, 0, v32
	v_cndmask_b32_e64 v32, 0, 1, s11
	v_cmp_eq_u32_e64 s11, 2, v3
	s_and_b32 s12, s15, s12
	s_and_b32 s13, s15, s13
	;; [unrolled: 1-line block ×3, first 2 shown]
	v_cmp_ne_u32_e64 s19, 0, v33
	v_cndmask_b32_e64 v33, 0, 1, s12
	v_cmp_eq_u32_e64 s12, 3, v3
	v_cndmask_b32_e64 v3, 0, 1, s13
	v_cmp_eq_u32_e64 s13, v2, v28
	;; [unrolled: 2-line block ×3, first 2 shown]
	v_cmp_ne_u32_e64 s20, 0, v4
	v_cmp_eq_u32_e64 s15, 0, v1
	s_and_b32 s16, s10, s16
	s_and_b32 s11, s10, s11
	s_bcnt1_i32_b32 s84, s17
	v_cmp_ne_u32_e64 s17, 0, v8
	v_cndmask_b32_e64 v4, 0, 1, s16
	v_cmp_eq_u32_e64 s16, 2, v1
	v_cndmask_b32_e64 v8, 0, 1, s11
	v_cmp_eq_u32_e64 s11, 3, v1
	s_and_b32 s10, s10, s12
	s_and_b32 s14, s13, s14
	s_bcnt1_i32_b32 s87, s20
	v_cmp_ne_u32_e64 s20, 0, v3
	v_cndmask_b32_e64 v1, 0, 1, s10
	v_cndmask_b32_e64 v3, 0, 1, s14
	s_bcnt1_i32_b32 s85, s18
	v_cmp_ne_u32_e64 s18, 0, v32
	s_and_b32 s12, s13, s15
	v_cmp_ne_u32_e64 s10, 0, v2
	v_cndmask_b32_e64 v2, 0, 1, s12
	v_cmp_ne_u32_e64 s12, 0, v4
	s_and_b32 s15, s13, s16
	s_and_b32 s11, s13, s11
	v_cndmask_b32_e64 v4, 0, 1, s15
	v_cmp_ne_u32_e64 s15, 0, v1
	v_cndmask_b32_e64 v1, 0, 1, s11
	v_cmp_ne_u32_e64 s11, 0, v3
	s_bcnt1_i32_b32 s86, s19
	v_cmp_ne_u32_e64 s19, 0, v33
	s_add_i32 s82, s85, s82
	s_add_i32 s80, s87, s80
	s_bcnt1_i32_b32 s18, s18
	s_bcnt1_i32_b32 s16, s20
	v_cmp_ne_u32_e64 s14, 0, v8
	s_add_i32 s18, s82, s18
	s_add_i32 s16, s80, s16
	s_bcnt1_i32_b32 s80, s12
	s_bcnt1_i32_b32 s20, s10
	v_cmp_ne_u32_e64 s10, 0, v2
	v_cmp_ne_u32_e64 s12, 0, v4
	;; [unrolled: 1-line block ×3, first 2 shown]
	s_add_i32 s18, s18, s80
	s_bcnt1_i32_b32 s11, s11
	s_add_i32 s83, s84, s83
	s_add_i32 s81, s86, s81
	s_bcnt1_i32_b32 s17, s17
	s_bcnt1_i32_b32 s19, s19
	s_add_i32 s82, s18, s11
	s_delay_alu instid0(SALU_CYCLE_1)
	v_dual_mov_b32 v2, s82 :: v_dual_add_nc_u32 v31, s49, v31
	s_add_i32 s17, s83, s17
	s_add_i32 s19, s81, s19
	s_bcnt1_i32_b32 s14, s14
	s_bcnt1_i32_b32 s15, s15
	s_add_i32 s17, s17, s20
	s_add_i32 s14, s19, s14
	;; [unrolled: 1-line block ×3, first 2 shown]
	s_bcnt1_i32_b32 s10, s10
	s_bcnt1_i32_b32 s12, s12
	s_bcnt1_i32_b32 s13, s13
	v_cmp_le_u32_e32 vcc_lo, s59, v31
	s_add_i32 s83, s17, s10
	s_add_i32 s81, s14, s12
	;; [unrolled: 1-line block ×3, first 2 shown]
	v_mov_b32_e32 v1, s83
	v_dual_mov_b32 v3, s81 :: v_dual_mov_b32 v4, s80
	s_or_b32 s22, vcc_lo, s22
	s_delay_alu instid0(SALU_CYCLE_1)
	s_and_not1_b32 exec_lo, exec_lo, s22
	s_cbranch_execnz .LBB98_39
; %bb.40:                               ;   in Loop: Header=BB98_6 Depth=1
	s_or_b32 exec_lo, exec_lo, s22
	s_delay_alu instid0(SALU_CYCLE_1)
	s_or_b32 exec_lo, exec_lo, s21
	v_mov_b32_e32 v32, 0
	s_and_saveexec_b32 s10, s8
	s_cbranch_execz .LBB98_36
.LBB98_41:                              ;   in Loop: Header=BB98_6 Depth=1
	global_load_u16 v32, v[10:11], off
	s_or_b32 exec_lo, exec_lo, s10
	s_and_saveexec_b32 s14, s8
	s_cbranch_execz .LBB98_47
.LBB98_42:                              ;   in Loop: Header=BB98_6 Depth=1
	v_dual_mov_b32 v8, v23 :: v_dual_mov_b32 v31, v18
	s_and_b32 s16, s71, 0xfe
	s_mov_b32 s15, 0
	s_branch .LBB98_44
.LBB98_43:                              ;   in Loop: Header=BB98_44 Depth=2
	s_or_b32 exec_lo, exec_lo, s11
	s_waitcnt vmcnt(0)
	v_cmp_lt_i16_e64 s10, -1, v32
	v_and_b32_e32 v34, 0xffff, v32
	s_and_b32 s11, exec_lo, vcc_lo
	v_add_nc_u32_e32 v8, s42, v8
	s_or_b32 s15, s11, s15
	v_cndmask_b32_e64 v35, 0xffff, v26, s10
	v_cmp_o_f16_e64 s10, v32, v32
	s_delay_alu instid0(VALU_DEP_2) | instskip(NEXT) | instid1(VALU_DEP_1)
	v_xor_b32_e32 v34, v35, v34
	v_cndmask_b32_e64 v32, 0xffff, v34, s10
	s_delay_alu instid0(VALU_DEP_1) | instskip(SKIP_1) | instid1(VALU_DEP_2)
	v_and_b32_e32 v34, v32, v27
	v_bfe_u32 v32, v32, s16, 2
	v_cmp_eq_u32_e32 vcc_lo, v34, v28
	s_delay_alu instid0(VALU_DEP_2) | instskip(SKIP_3) | instid1(VALU_DEP_4)
	v_cmp_eq_u32_e64 s10, 0, v32
	v_cmp_eq_u32_e64 s11, 1, v32
	;; [unrolled: 1-line block ×4, first 2 shown]
	s_and_b32 s10, vcc_lo, s10
	s_delay_alu instid0(SALU_CYCLE_1) | instskip(SKIP_1) | instid1(SALU_CYCLE_1)
	v_cndmask_b32_e64 v32, 0, 1, s10
	s_and_b32 s10, vcc_lo, s11
	v_cndmask_b32_e64 v34, 0, 1, s10
	s_and_b32 s10, vcc_lo, s12
	s_delay_alu instid0(SALU_CYCLE_1)
	v_cndmask_b32_e64 v35, 0, 1, s10
	s_and_b32 s10, vcc_lo, s13
	v_cmp_ne_u32_e32 vcc_lo, 0, v32
	v_cndmask_b32_e64 v36, 0, 1, s10
	v_cmp_ne_u32_e64 s10, 0, v34
	v_cmp_ne_u32_e64 s11, 0, v35
	v_mov_b32_e32 v32, v33
	s_bcnt1_i32_b32 s13, vcc_lo
	v_cmp_ne_u32_e64 s12, 0, v36
	s_bcnt1_i32_b32 s10, s10
	s_bcnt1_i32_b32 s11, s11
	v_add_nc_u32_e32 v1, s13, v1
	v_add_nc_u32_e32 v2, s10, v2
	s_bcnt1_i32_b32 s12, s12
	v_add_nc_u32_e32 v3, s11, v3
	v_add_nc_u32_e32 v4, s12, v4
	s_and_not1_b32 exec_lo, exec_lo, s15
	s_cbranch_execz .LBB98_46
.LBB98_44:                              ;   Parent Loop BB98_6 Depth=1
                                        ; =>  This Inner Loop Header: Depth=2
	s_delay_alu instid0(VALU_DEP_1) | instskip(SKIP_2) | instid1(VALU_DEP_2)
	v_add_nc_u32_e32 v31, s40, v31
	v_mov_b32_e32 v33, 0
	s_mov_b32 s11, exec_lo
	v_cmp_le_u32_e32 vcc_lo, s24, v31
	v_cmpx_gt_u32_e64 s24, v31
	s_cbranch_execz .LBB98_43
; %bb.45:                               ;   in Loop: Header=BB98_44 Depth=2
	v_lshlrev_b64 v[33:34], 1, v[8:9]
	s_delay_alu instid0(VALU_DEP_1) | instskip(NEXT) | instid1(VALU_DEP_1)
	v_add_co_u32 v33, s10, s29, v33
	v_add_co_ci_u32_e64 v34, s10, s33, v34, s10
	global_load_u16 v33, v[33:34], off
	s_branch .LBB98_43
.LBB98_46:                              ;   in Loop: Header=BB98_6 Depth=1
	s_or_b32 exec_lo, exec_lo, s15
.LBB98_47:                              ;   in Loop: Header=BB98_6 Depth=1
	s_delay_alu instid0(SALU_CYCLE_1)
	s_or_b32 exec_lo, exec_lo, s14
	s_branch .LBB98_57
.LBB98_48:                              ;   in Loop: Header=BB98_6 Depth=1
	s_mul_hi_u32 s10, s78, s58
	v_dual_mov_b32 v1, 0 :: v_dual_mov_b32 v2, 0
	s_mul_i32 s10, s10, s49
	v_dual_mov_b32 v3, 0 :: v_dual_mov_b32 v4, 0
	s_sub_i32 s10, s78, s10
	s_mov_b32 s81, 0
	s_sub_i32 s11, s10, s49
	s_cmp_ge_u32 s10, s49
	s_mov_b32 s80, exec_lo
	s_cselect_b32 s10, s11, s10
	s_delay_alu instid0(SALU_CYCLE_1) | instskip(SKIP_2) | instid1(SALU_CYCLE_1)
	s_sub_i32 s11, s10, s49
	s_cmp_ge_u32 s10, s49
	s_cselect_b32 s10, s11, s10
	s_sub_i32 s79, s78, s10
	s_delay_alu instid0(SALU_CYCLE_1)
	v_cmpx_gt_u32_e64 s79, v16
	s_cbranch_execz .LBB98_52
; %bb.49:                               ;   in Loop: Header=BB98_6 Depth=1
	v_mov_b32_e32 v8, v24
	v_mov_b32_e32 v31, v16
	s_and_b32 s82, s71, 0xfe
	s_mov_b32 s83, 0
	s_mov_b32 s84, 0
	;; [unrolled: 1-line block ×4, first 2 shown]
.LBB98_50:                              ;   Parent Loop BB98_6 Depth=1
                                        ; =>  This Inner Loop Header: Depth=2
	ds_load_b64 v[1:2], v8
	s_waitcnt lgkmcnt(0)
	v_cmp_lt_i16_e64 s10, -1, v1
	v_lshrrev_b32_e32 v3, 16, v1
	v_lshrrev_b32_e32 v35, 16, v2
	v_and_b32_e32 v4, 0xffff, v1
	v_and_b32_e32 v33, 0xffff, v2
	s_waitcnt vmcnt(0)
	v_cndmask_b32_e64 v32, 0xffff, v26, s10
	v_cmp_lt_i16_e64 s10, -1, v2
	v_cmp_lt_i16_e64 s11, -1, v35
	s_delay_alu instid0(VALU_DEP_3) | instskip(NEXT) | instid1(VALU_DEP_3)
	v_xor_b32_e32 v4, v32, v4
	v_cndmask_b32_e64 v34, 0xffff, v26, s10
	v_cmp_lt_i16_e64 s10, -1, v3
	s_delay_alu instid0(VALU_DEP_2) | instskip(NEXT) | instid1(VALU_DEP_2)
	v_xor_b32_e32 v33, v34, v33
	v_cndmask_b32_e64 v32, 0xffff, v26, s10
	v_cmp_o_f16_e64 s10, v2, v2
	v_cndmask_b32_e64 v2, 0xffff, v26, s11
	v_cmp_o_f16_e64 s11, v1, v1
	s_delay_alu instid0(VALU_DEP_2) | instskip(NEXT) | instid1(VALU_DEP_2)
	v_xor_b32_e32 v2, v2, v35
	v_cndmask_b32_e64 v1, 0xffff, v4, s11
	v_xor_b32_e32 v4, v32, v3
	v_cmp_o_f16_e64 s11, v3, v3
	v_cndmask_b32_e64 v32, 0xffff, v33, s10
	v_cmp_o_f16_e64 s10, v35, v35
	s_delay_alu instid0(VALU_DEP_3)
	v_cndmask_b32_e64 v3, 0xffff, v4, s11
	v_and_b32_e32 v4, v1, v27
	v_bfe_u32 v1, v1, s82, 2
	v_and_b32_e32 v33, v32, v27
	v_bfe_u32 v32, v32, s82, 2
	v_cndmask_b32_e64 v2, 0xffff, v2, s10
	v_cmp_eq_u32_e64 s10, v4, v28
	v_cmp_eq_u32_e64 s12, 0, v1
	;; [unrolled: 1-line block ×4, first 2 shown]
	v_and_b32_e32 v4, v3, v27
	v_and_b32_e32 v33, v2, v27
	v_bfe_u32 v3, v3, s82, 2
	v_bfe_u32 v2, v2, s82, 2
	v_cmp_eq_u32_e64 s14, 1, v1
	v_cmp_eq_u32_e64 s16, 2, v1
	s_and_b32 s12, s10, s12
	v_cmp_eq_u32_e64 s15, 1, v32
	v_cmp_eq_u32_e64 s17, 2, v32
	;; [unrolled: 1-line block ×3, first 2 shown]
	v_cndmask_b32_e64 v1, 0, 1, s12
	s_and_b32 s12, s11, s13
	v_cmp_eq_u32_e64 s19, 3, v32
	v_cmp_eq_u32_e64 s20, v4, v28
	;; [unrolled: 1-line block ×5, first 2 shown]
	v_cndmask_b32_e64 v4, 0, 1, s12
	v_cmp_eq_u32_e64 s12, 1, v3
	s_and_b32 s14, s10, s14
	s_and_b32 s16, s10, s16
	v_cndmask_b32_e64 v32, 0, 1, s14
	s_and_b32 s14, s11, s15
	v_cndmask_b32_e64 v34, 0, 1, s16
	s_and_b32 s16, s11, s17
	s_and_b32 s10, s10, s18
	v_cmp_eq_u32_e64 s13, 1, v2
	v_cndmask_b32_e64 v33, 0, 1, s14
	v_cmp_eq_u32_e64 s14, 2, v3
	v_cmp_eq_u32_e64 s15, 2, v2
	v_cndmask_b32_e64 v35, 0, 1, s16
	v_cmp_eq_u32_e64 s16, 3, v3
	v_cmp_eq_u32_e64 s17, 3, v2
	v_cndmask_b32_e64 v2, 0, 1, s10
	s_and_b32 s10, s11, s19
	s_and_b32 s11, s20, s22
	;; [unrolled: 1-line block ×4, first 2 shown]
	v_cndmask_b32_e64 v3, 0, 1, s10
	v_cmp_ne_u32_e64 s10, 0, v1
	v_cndmask_b32_e64 v1, 0, 1, s11
	v_cmp_ne_u32_e64 s11, 0, v4
	v_cndmask_b32_e64 v4, 0, 1, s18
	v_cmp_ne_u32_e64 s18, 0, v32
	v_cndmask_b32_e64 v32, 0, 1, s12
	s_and_b32 s13, s21, s13
	s_and_b32 s14, s20, s14
	;; [unrolled: 1-line block ×5, first 2 shown]
	v_cmp_ne_u32_e64 s12, 0, v33
	v_cndmask_b32_e64 v33, 0, 1, s13
	v_cmp_ne_u32_e64 s13, 0, v34
	v_cndmask_b32_e64 v34, 0, 1, s14
	;; [unrolled: 2-line block ×5, first 2 shown]
	v_cmp_ne_u32_e64 s17, 0, v32
	s_bcnt1_i32_b32 s18, s18
	s_bcnt1_i32_b32 s21, s12
	v_cmp_ne_u32_e64 s12, 0, v33
	s_bcnt1_i32_b32 s19, s10
	v_cmp_ne_u32_e64 s10, 0, v1
	;; [unrolled: 2-line block ×4, first 2 shown]
	s_add_i32 s18, s18, s85
	s_bcnt1_i32_b32 s17, s17
	s_bcnt1_i32_b32 s20, s11
	s_add_i32 s17, s18, s17
	v_cmp_ne_u32_e64 s11, 0, v4
	s_bcnt1_i32_b32 s23, s14
	v_cmp_ne_u32_e64 s14, 0, v35
	s_bcnt1_i32_b32 s88, s16
	;; [unrolled: 2-line block ×3, first 2 shown]
	s_add_i32 s17, s17, s21
	s_add_i32 s19, s19, s86
	;; [unrolled: 1-line block ×4, first 2 shown]
	s_bcnt1_i32_b32 s10, s10
	s_bcnt1_i32_b32 s13, s13
	;; [unrolled: 1-line block ×3, first 2 shown]
	s_add_i32 s85, s17, s12
	s_delay_alu instid0(SALU_CYCLE_1)
	v_dual_mov_b32 v2, s85 :: v_dual_add_nc_u32 v31, s49, v31
	s_add_i32 s10, s19, s10
	s_add_i32 s13, s22, s13
	;; [unrolled: 1-line block ×3, first 2 shown]
	s_bcnt1_i32_b32 s11, s11
	s_bcnt1_i32_b32 s14, s14
	;; [unrolled: 1-line block ×3, first 2 shown]
	s_add_i32 s10, s10, s20
	s_add_i32 s13, s13, s23
	s_add_i32 s15, s15, s88
	v_cmp_le_u32_e32 vcc_lo, s79, v31
	s_add_i32 s86, s10, s11
	s_add_i32 s84, s13, s14
	;; [unrolled: 1-line block ×3, first 2 shown]
	v_dual_mov_b32 v1, s86 :: v_dual_add_nc_u32 v8, s63, v8
	v_dual_mov_b32 v3, s84 :: v_dual_mov_b32 v4, s83
	s_or_b32 s81, vcc_lo, s81
	s_delay_alu instid0(SALU_CYCLE_1)
	s_and_not1_b32 exec_lo, exec_lo, s81
	s_cbranch_execnz .LBB98_50
; %bb.51:                               ;   in Loop: Header=BB98_6 Depth=1
	s_or_b32 exec_lo, exec_lo, s81
.LBB98_52:                              ;   in Loop: Header=BB98_6 Depth=1
	s_delay_alu instid0(SALU_CYCLE_1) | instskip(SKIP_2) | instid1(VALU_DEP_1)
	s_or_b32 exec_lo, exec_lo, s80
	v_add_nc_u32_e32 v8, s79, v0
	s_mov_b32 s15, exec_lo
	v_cmpx_gt_u32_e64 s78, v8
	s_cbranch_execz .LBB98_56
; %bb.53:                               ;   in Loop: Header=BB98_6 Depth=1
	v_lshlrev_b32_e32 v31, 1, v8
	s_and_b32 s17, s71, 0xfe
	s_mov_b32 s16, 0
.LBB98_54:                              ;   Parent Loop BB98_6 Depth=1
                                        ; =>  This Inner Loop Header: Depth=2
	s_waitcnt vmcnt(0)
	ds_load_u16 v32, v31
	v_add_nc_u32_e32 v8, s40, v8
	v_add_nc_u32_e32 v31, s64, v31
	s_delay_alu instid0(VALU_DEP_2) | instskip(SKIP_3) | instid1(VALU_DEP_2)
	v_cmp_le_u32_e32 vcc_lo, s78, v8
	s_waitcnt lgkmcnt(0)
	v_cmp_lt_i16_e64 s10, -1, v32
	v_and_b32_e32 v33, 0xffff, v32
	v_cndmask_b32_e64 v34, 0xffff, v26, s10
	v_cmp_o_f16_e64 s10, v32, v32
	s_delay_alu instid0(VALU_DEP_2) | instskip(NEXT) | instid1(VALU_DEP_1)
	v_xor_b32_e32 v33, v34, v33
	v_cndmask_b32_e64 v32, 0xffff, v33, s10
	s_delay_alu instid0(VALU_DEP_1) | instskip(SKIP_1) | instid1(VALU_DEP_2)
	v_and_b32_e32 v33, v32, v27
	v_bfe_u32 v32, v32, s17, 2
	v_cmp_eq_u32_e64 s10, v33, v28
	s_delay_alu instid0(VALU_DEP_2) | instskip(SKIP_3) | instid1(VALU_DEP_4)
	v_cmp_eq_u32_e64 s11, 0, v32
	v_cmp_eq_u32_e64 s12, 1, v32
	;; [unrolled: 1-line block ×4, first 2 shown]
	s_and_b32 s11, s10, s11
	s_delay_alu instid0(SALU_CYCLE_1) | instskip(SKIP_1) | instid1(SALU_CYCLE_1)
	v_cndmask_b32_e64 v32, 0, 1, s11
	s_and_b32 s11, s10, s12
	v_cndmask_b32_e64 v33, 0, 1, s11
	s_and_b32 s11, s10, s13
	s_and_b32 s10, s10, s14
	v_cndmask_b32_e64 v34, 0, 1, s11
	v_cndmask_b32_e64 v35, 0, 1, s10
	v_cmp_ne_u32_e64 s10, 0, v32
	v_cmp_ne_u32_e64 s11, 0, v33
	s_delay_alu instid0(VALU_DEP_4) | instskip(NEXT) | instid1(VALU_DEP_4)
	v_cmp_ne_u32_e64 s12, 0, v34
	v_cmp_ne_u32_e64 s13, 0, v35
	s_delay_alu instid0(VALU_DEP_4) | instskip(NEXT) | instid1(VALU_DEP_3)
	s_bcnt1_i32_b32 s10, s10
	s_bcnt1_i32_b32 s11, s11
	v_add_nc_u32_e32 v1, s10, v1
	s_bcnt1_i32_b32 s12, s12
	s_bcnt1_i32_b32 s13, s13
	v_add_nc_u32_e32 v2, s11, v2
	v_add_nc_u32_e32 v3, s12, v3
	;; [unrolled: 1-line block ×3, first 2 shown]
	s_or_b32 s16, vcc_lo, s16
	s_delay_alu instid0(SALU_CYCLE_1)
	s_and_not1_b32 exec_lo, exec_lo, s16
	s_cbranch_execnz .LBB98_54
; %bb.55:                               ;   in Loop: Header=BB98_6 Depth=1
	s_or_b32 exec_lo, exec_lo, s16
.LBB98_56:                              ;   in Loop: Header=BB98_6 Depth=1
	s_delay_alu instid0(SALU_CYCLE_1)
	s_or_b32 exec_lo, exec_lo, s15
.LBB98_57:                              ;   in Loop: Header=BB98_6 Depth=1
	s_lshl_b32 s10, s67, 7
	s_and_saveexec_b32 s11, s2
	s_cbranch_execz .LBB98_59
; %bb.58:                               ;   in Loop: Header=BB98_6 Depth=1
	v_or_b32_e32 v8, s10, v17
	s_delay_alu instid0(VALU_DEP_1)
	v_lshlrev_b32_e32 v8, 2, v8
	ds_store_b128 v8, v[1:4] offset:3072
.LBB98_59:                              ;   in Loop: Header=BB98_6 Depth=1
	s_or_b32 exec_lo, exec_lo, s11
	s_waitcnt vmcnt(0) lgkmcnt(0)
	s_barrier
	buffer_gl0_inv
	s_and_saveexec_b32 s11, s48
	s_cbranch_execz .LBB98_69
; %bb.60:                               ;   in Loop: Header=BB98_6 Depth=1
	v_mov_b32_e32 v1, 0
	s_and_not1_b32 vcc_lo, exec_lo, s52
	s_cbranch_vccnz .LBB98_68
; %bb.61:                               ;   in Loop: Header=BB98_6 Depth=1
	v_mov_b32_e32 v1, 0
	s_and_not1_b32 vcc_lo, exec_lo, s55
	s_mov_b32 s12, 0
	s_cbranch_vccnz .LBB98_65
; %bb.62:                               ;   in Loop: Header=BB98_6 Depth=1
	v_lshl_add_u32 v2, s67, 9, v25
	v_mov_b32_e32 v1, 0
	.p2align	6
.LBB98_63:                              ;   Parent Loop BB98_6 Depth=1
                                        ; =>  This Inner Loop Header: Depth=2
	ds_load_2addr_b32 v[3:4], v2 offset1:4
	ds_load_2addr_b32 v[31:32], v2 offset0:8 offset1:12
	ds_load_2addr_b32 v[33:34], v2 offset0:16 offset1:20
	;; [unrolled: 1-line block ×3, first 2 shown]
	v_add_nc_u32_e32 v2, 0x80, v2
	s_add_i32 s12, s12, 8
	s_delay_alu instid0(SALU_CYCLE_1) | instskip(SKIP_3) | instid1(VALU_DEP_1)
	s_cmp_eq_u32 s56, s12
	s_waitcnt lgkmcnt(3)
	v_add3_u32 v1, v3, v1, v4
	s_waitcnt lgkmcnt(2)
	v_add3_u32 v1, v31, v1, v32
	s_waitcnt lgkmcnt(1)
	s_delay_alu instid0(VALU_DEP_1) | instskip(SKIP_1) | instid1(VALU_DEP_1)
	v_add3_u32 v1, v33, v1, v34
	s_waitcnt lgkmcnt(0)
	v_add3_u32 v1, v35, v1, v36
	s_cbranch_scc0 .LBB98_63
; %bb.64:                               ;   in Loop: Header=BB98_6 Depth=1
	s_mov_b32 s12, s56
.LBB98_65:                              ;   in Loop: Header=BB98_6 Depth=1
	s_and_not1_b32 vcc_lo, exec_lo, s57
	s_cbranch_vccnz .LBB98_68
; %bb.66:                               ;   in Loop: Header=BB98_6 Depth=1
	s_lshl_b32 s13, s67, 9
	s_lshl_b32 s12, s12, 4
	s_delay_alu instid0(SALU_CYCLE_1)
	v_add3_u32 v2, s13, s12, v25
	s_mov_b32 s12, s54
.LBB98_67:                              ;   Parent Loop BB98_6 Depth=1
                                        ; =>  This Inner Loop Header: Depth=2
	ds_load_b32 v3, v2
	v_add_nc_u32_e32 v2, 16, v2
	s_add_i32 s12, s12, -1
	s_delay_alu instid0(SALU_CYCLE_1)
	s_cmp_lg_u32 s12, 0
	s_waitcnt lgkmcnt(0)
	v_add_nc_u32_e32 v1, v3, v1
	s_cbranch_scc1 .LBB98_67
.LBB98_68:                              ;   in Loop: Header=BB98_6 Depth=1
	v_add_lshl_u32 v2, s10, v15, 2
	ds_store_b32 v2, v1 offset:3072
.LBB98_69:                              ;   in Loop: Header=BB98_6 Depth=1
	s_or_b32 exec_lo, exec_lo, s11
	s_lshl_b32 s10, s10, 2
	s_waitcnt lgkmcnt(0)
	v_mov_b32_e32 v1, s10
	s_barrier
	buffer_gl0_inv
	s_and_b32 s17, s71, 0xfe
	v_cmp_eq_u32_e64 s10, 1, v30
	ds_load_b128 v[1:4], v1 offset:3072
	s_lshl_b32 s13, 3, s17
	s_and_not1_b32 vcc_lo, exec_lo, s50
	s_not_b32 s14, s13
	s_waitcnt lgkmcnt(0)
	v_readfirstlane_b32 s12, v1
	v_readfirstlane_b32 s16, v2
	;; [unrolled: 1-line block ×4, first 2 shown]
	s_cbranch_vccnz .LBB98_82
; %bb.70:                               ;   in Loop: Header=BB98_6 Depth=1
	s_cmp_eq_u32 s12, 1
	v_dual_mov_b32 v1, v28 :: v_dual_mov_b32 v2, v27
	v_mov_b32_e32 v3, v29
	s_cselect_b32 s11, -1, 0
	s_mov_b32 s80, -1
	s_and_b32 s79, s11, s10
                                        ; implicit-def: $sgpr15
                                        ; implicit-def: $sgpr22
                                        ; implicit-def: $sgpr21
	s_delay_alu instid0(SALU_CYCLE_1)
	s_and_saveexec_b32 s20, s79
	s_cbranch_execz .LBB98_101
; %bb.71:                               ;   in Loop: Header=BB98_6 Depth=1
	ds_load_b32 v1, v9 offset:4096
	s_waitcnt lgkmcnt(0)
	s_barrier
	buffer_gl0_inv
	v_readfirstlane_b32 s15, v1
	s_and_saveexec_b32 s11, s6
	s_cbranch_execz .LBB98_73
; %bb.72:                               ;   in Loop: Header=BB98_6 Depth=1
	ds_store_b16 v20, v9
.LBB98_73:                              ;   in Loop: Header=BB98_6 Depth=1
	s_or_b32 exec_lo, exec_lo, s11
	v_and_b32_e32 v1, s14, v28
	v_or_b32_e32 v2, s13, v27
	s_cmp_eq_u32 s15, 0
	s_waitcnt lgkmcnt(0)
	s_barrier
	buffer_gl0_inv
	s_cbranch_scc1 .LBB98_87
; %bb.74:                               ;   in Loop: Header=BB98_6 Depth=1
	s_add_i32 s11, s15, s53
                                        ; implicit-def: $vgpr3
	s_delay_alu instid0(SALU_CYCLE_1) | instskip(NEXT) | instid1(SALU_CYCLE_1)
	s_mul_hi_u32 s21, s11, s60
	s_mul_i32 s21, s21, s40
	s_delay_alu instid0(SALU_CYCLE_1) | instskip(NEXT) | instid1(SALU_CYCLE_1)
	s_sub_i32 s21, s11, s21
	s_sub_i32 s22, s21, s40
	s_cmp_ge_u32 s21, s40
	s_cselect_b32 s21, s22, s21
	s_delay_alu instid0(SALU_CYCLE_1) | instskip(SKIP_2) | instid1(SALU_CYCLE_1)
	s_sub_i32 s22, s21, s40
	s_cmp_ge_u32 s21, s40
	s_cselect_b32 s21, s22, s21
	s_sub_i32 s22, s11, s21
	s_mov_b32 s11, 0
	s_mov_b32 s21, exec_lo
	v_cmpx_gt_u32_e64 s22, v0
	s_cbranch_execz .LBB98_89
; %bb.75:                               ;   in Loop: Header=BB98_6 Depth=1
	v_dual_mov_b32 v3, v19 :: v_dual_mov_b32 v4, v0
	s_mov_b32 s23, 0
                                        ; implicit-def: $sgpr78
	s_set_inst_prefetch_distance 0x1
	s_branch .LBB98_77
	.p2align	6
.LBB98_76:                              ;   in Loop: Header=BB98_77 Depth=2
	s_or_b32 exec_lo, exec_lo, s11
	s_waitcnt lgkmcnt(0)
	s_barrier
	buffer_gl0_inv
	ds_load_b32 v8, v9 offset:3072
	v_add_nc_u32_e32 v4, s40, v4
	v_add_nc_u32_e32 v3, s64, v3
	s_waitcnt lgkmcnt(0)
	s_barrier
	buffer_gl0_inv
	v_cmp_le_u32_e32 vcc_lo, s22, v4
	v_cmp_neq_f16_e64 s11, 0, v8
	s_delay_alu instid0(VALU_DEP_1) | instskip(NEXT) | instid1(SALU_CYCLE_1)
	s_or_b32 s80, vcc_lo, s11
	s_and_b32 s80, exec_lo, s80
	s_delay_alu instid0(SALU_CYCLE_1) | instskip(SKIP_2) | instid1(SALU_CYCLE_1)
	s_or_b32 s23, s80, s23
	s_and_not1_b32 s78, s78, exec_lo
	s_and_b32 s11, s11, exec_lo
	s_or_b32 s78, s78, s11
	s_and_not1_b32 exec_lo, exec_lo, s23
	s_cbranch_execz .LBB98_88
.LBB98_77:                              ;   Parent Loop BB98_6 Depth=1
                                        ; =>  This Inner Loop Header: Depth=2
	s_delay_alu instid0(VALU_DEP_1)
	v_cmp_gt_u32_e32 vcc_lo, s15, v4
	v_mov_b32_e32 v8, 0
	s_and_saveexec_b32 s11, vcc_lo
	s_cbranch_execz .LBB98_79
; %bb.78:                               ;   in Loop: Header=BB98_77 Depth=2
	ds_load_u16 v8, v3
.LBB98_79:                              ;   in Loop: Header=BB98_77 Depth=2
	s_or_b32 exec_lo, exec_lo, s11
	s_and_saveexec_b32 s11, vcc_lo
	s_cbranch_execz .LBB98_76
; %bb.80:                               ;   in Loop: Header=BB98_77 Depth=2
	s_waitcnt lgkmcnt(0)
	v_cmp_lt_i16_e32 vcc_lo, -1, v8
	v_dual_cndmask_b32 v32, 0xffff, v26 :: v_dual_and_b32 v31, 0xffff, v8
	v_cmp_o_f16_e32 vcc_lo, v8, v8
	s_delay_alu instid0(VALU_DEP_2) | instskip(NEXT) | instid1(VALU_DEP_1)
	v_xor_b32_e32 v31, v32, v31
	v_cndmask_b32_e32 v31, 0xffff, v31, vcc_lo
	s_delay_alu instid0(VALU_DEP_1) | instskip(NEXT) | instid1(VALU_DEP_1)
	v_and_b32_e32 v31, v31, v2
	v_cmp_eq_u32_e32 vcc_lo, v31, v1
	s_and_b32 exec_lo, exec_lo, vcc_lo
	s_cbranch_execz .LBB98_76
; %bb.81:                               ;   in Loop: Header=BB98_77 Depth=2
	v_perm_b32 v8, v8, s66, 0x5040100
	ds_store_b32 v9, v8 offset:3072
	s_branch .LBB98_76
.LBB98_82:                              ;   in Loop: Header=BB98_6 Depth=1
	s_mov_b32 s20, 0
	s_mov_b32 s11, 0
                                        ; implicit-def: $sgpr21
                                        ; implicit-def: $sgpr22
                                        ; implicit-def: $sgpr15
                                        ; implicit-def: $vgpr8
                                        ; implicit-def: $vgpr4
                                        ; implicit-def: $vgpr1
                                        ; implicit-def: $vgpr2
                                        ; implicit-def: $vgpr3
	s_cbranch_execnz .LBB98_237
.LBB98_83:                              ;   in Loop: Header=BB98_6 Depth=1
	s_mov_b32 s23, s15
	s_mov_b32 s78, s15
	s_and_saveexec_b32 s10, s20
	s_cbranch_execnz .LBB98_399
	s_branch .LBB98_400
.LBB98_84:                              ;   in Loop: Header=BB98_6 Depth=1
	s_or_b32 exec_lo, exec_lo, s12
	s_waitcnt lgkmcnt(0)
	s_barrier
	buffer_gl0_inv
	s_and_saveexec_b32 s10, s5
	s_cbranch_execz .LBB98_86
; %bb.85:                               ;   in Loop: Header=BB98_6 Depth=1
	ds_load_b32 v1, v9 offset:4104
	s_waitcnt lgkmcnt(0)
	ds_store_b32 v9, v1 offset:4096
.LBB98_86:                              ;   in Loop: Header=BB98_6 Depth=1
	s_or_b32 exec_lo, exec_lo, s10
	s_waitcnt lgkmcnt(0)
	s_mov_b32 s10, -1
	s_barrier
	s_and_b32 vcc_lo, exec_lo, s78
	s_cbranch_vccnz .LBB98_21
	s_branch .LBB98_31
.LBB98_87:                              ;   in Loop: Header=BB98_6 Depth=1
	s_mov_b32 s15, -1
	s_mov_b32 s11, 0
                                        ; implicit-def: $sgpr21
                                        ; implicit-def: $vgpr3
	s_mov_b32 s22, s15
	s_cbranch_execnz .LBB98_90
	s_branch .LBB98_100
.LBB98_88:                              ;   in Loop: Header=BB98_6 Depth=1
	s_set_inst_prefetch_distance 0x2
	s_or_b32 exec_lo, exec_lo, s23
	v_lshrrev_b32_e32 v3, 16, v8
	s_and_b32 s11, s78, exec_lo
.LBB98_89:                              ;   in Loop: Header=BB98_6 Depth=1
	s_or_b32 exec_lo, exec_lo, s21
	s_mov_b32 s21, -1
	s_mov_b32 s15, 0
	s_delay_alu instid0(SALU_CYCLE_1)
	s_mov_b32 s22, s15
	s_branch .LBB98_100
.LBB98_90:                              ;   in Loop: Header=BB98_6 Depth=1
	s_mov_b32 s11, 0
                                        ; implicit-def: $vgpr3
	s_and_saveexec_b32 s15, s9
	s_cbranch_execz .LBB98_99
; %bb.91:                               ;   in Loop: Header=BB98_6 Depth=1
	v_dual_mov_b32 v8, v7 :: v_dual_mov_b32 v3, v0
	s_mov_b32 s21, 0
                                        ; implicit-def: $sgpr22
	s_branch .LBB98_93
.LBB98_92:                              ;   in Loop: Header=BB98_93 Depth=2
	s_or_b32 exec_lo, exec_lo, s11
	s_waitcnt vmcnt(0) lgkmcnt(0)
	s_barrier
	buffer_gl0_inv
	ds_load_b32 v4, v9 offset:3072
	v_add_nc_u32_e32 v3, s40, v3
	v_add_nc_u32_e32 v8, s42, v8
	s_waitcnt lgkmcnt(0)
	s_barrier
	buffer_gl0_inv
	v_cmp_le_u32_e32 vcc_lo, s61, v3
	v_cmp_neq_f16_e64 s11, 0, v4
	s_delay_alu instid0(VALU_DEP_1) | instskip(NEXT) | instid1(SALU_CYCLE_1)
	s_or_b32 s23, vcc_lo, s11
	s_and_b32 s23, exec_lo, s23
	s_delay_alu instid0(SALU_CYCLE_1) | instskip(SKIP_2) | instid1(SALU_CYCLE_1)
	s_or_b32 s21, s23, s21
	s_and_not1_b32 s22, s22, exec_lo
	s_and_b32 s11, s11, exec_lo
	s_or_b32 s22, s22, s11
	s_and_not1_b32 exec_lo, exec_lo, s21
	s_cbranch_execz .LBB98_98
.LBB98_93:                              ;   Parent Loop BB98_6 Depth=1
                                        ; =>  This Inner Loop Header: Depth=2
	s_delay_alu instid0(VALU_DEP_1)
	v_cmp_gt_u32_e32 vcc_lo, s24, v3
	v_mov_b32_e32 v4, 0
	s_and_saveexec_b32 s23, vcc_lo
	s_cbranch_execz .LBB98_95
; %bb.94:                               ;   in Loop: Header=BB98_93 Depth=2
	v_lshlrev_b64 v[31:32], 1, v[8:9]
	s_delay_alu instid0(VALU_DEP_1) | instskip(NEXT) | instid1(VALU_DEP_1)
	v_add_co_u32 v31, s11, s29, v31
	v_add_co_ci_u32_e64 v32, s11, s33, v32, s11
	global_load_u16 v4, v[31:32], off
.LBB98_95:                              ;   in Loop: Header=BB98_93 Depth=2
	s_or_b32 exec_lo, exec_lo, s23
	s_and_saveexec_b32 s11, vcc_lo
	s_cbranch_execz .LBB98_92
; %bb.96:                               ;   in Loop: Header=BB98_93 Depth=2
	s_waitcnt vmcnt(0)
	v_cmp_lt_i16_e32 vcc_lo, -1, v4
	v_dual_cndmask_b32 v32, 0xffff, v26 :: v_dual_and_b32 v31, 0xffff, v4
	v_cmp_o_f16_e32 vcc_lo, v4, v4
	s_delay_alu instid0(VALU_DEP_2) | instskip(NEXT) | instid1(VALU_DEP_1)
	v_xor_b32_e32 v31, v32, v31
	v_cndmask_b32_e32 v31, 0xffff, v31, vcc_lo
	s_delay_alu instid0(VALU_DEP_1) | instskip(NEXT) | instid1(VALU_DEP_1)
	v_and_b32_e32 v31, v31, v2
	v_cmp_eq_u32_e32 vcc_lo, v31, v1
	s_and_b32 exec_lo, exec_lo, vcc_lo
	s_cbranch_execz .LBB98_92
; %bb.97:                               ;   in Loop: Header=BB98_93 Depth=2
	v_perm_b32 v4, v4, s66, 0x5040100
	ds_store_b32 v9, v4 offset:3072
	s_branch .LBB98_92
.LBB98_98:                              ;   in Loop: Header=BB98_6 Depth=1
	s_or_b32 exec_lo, exec_lo, s21
	v_lshrrev_b32_e32 v3, 16, v4
	s_and_b32 s11, s22, exec_lo
.LBB98_99:                              ;   in Loop: Header=BB98_6 Depth=1
	s_or_b32 exec_lo, exec_lo, s15
	s_mov_b32 s22, -1
	s_mov_b32 s15, 0
	s_mov_b32 s21, 0
.LBB98_100:                             ;   in Loop: Header=BB98_6 Depth=1
	s_or_not1_b32 s80, s11, exec_lo
.LBB98_101:                             ;   in Loop: Header=BB98_6 Depth=1
	s_or_b32 exec_lo, exec_lo, s20
	s_mov_b32 s23, 0
	s_mov_b32 s20, 0
	;; [unrolled: 1-line block ×3, first 2 shown]
                                        ; implicit-def: $vgpr8
                                        ; implicit-def: $vgpr4
	s_and_saveexec_b32 s78, s80
	s_cbranch_execz .LBB98_236
; %bb.102:                              ;   in Loop: Header=BB98_6 Depth=1
	v_mov_b32_e32 v4, 1
	v_mov_b32_e32 v8, 1
	s_xor_b32 s79, s79, -1
	s_delay_alu instid0(SALU_CYCLE_1)
	s_and_saveexec_b32 s11, s79
	s_cbranch_execz .LBB98_112
; %bb.103:                              ;   in Loop: Header=BB98_6 Depth=1
	s_mov_b32 s79, exec_lo
                                        ; implicit-def: $sgpr80
                                        ; implicit-def: $sgpr20
	v_cmpx_ge_u32_e64 s12, v30
	s_xor_b32 s79, exec_lo, s79
	s_cbranch_execz .LBB98_109
; %bb.104:                              ;   in Loop: Header=BB98_6 Depth=1
	ds_load_b32 v4, v9 offset:4096
	s_waitcnt lgkmcnt(0)
	v_cmp_ne_u32_e32 vcc_lo, 0, v4
	s_cbranch_vccnz .LBB98_108
; %bb.105:                              ;   in Loop: Header=BB98_6 Depth=1
	s_and_saveexec_b32 s20, s5
	s_cbranch_execz .LBB98_107
; %bb.106:                              ;   in Loop: Header=BB98_6 Depth=1
	v_mov_b32_e32 v4, s12
	ds_store_b32 v9, v4 offset:4100
.LBB98_107:                             ;   in Loop: Header=BB98_6 Depth=1
	s_or_b32 exec_lo, exec_lo, s20
	s_waitcnt lgkmcnt(0)
	s_barrier
	buffer_gl0_inv
.LBB98_108:                             ;   in Loop: Header=BB98_6 Depth=1
	v_and_b32_e32 v1, s14, v1
	v_or_b32_e32 v2, s13, v2
	s_mov_b32 s20, 0
	s_mov_b32 s80, 8
.LBB98_109:                             ;   in Loop: Header=BB98_6 Depth=1
	s_or_saveexec_b32 s79, s79
	v_mov_b32_e32 v8, s80
	v_mov_b32_e32 v4, v30
	s_xor_b32 exec_lo, exec_lo, s79
; %bb.110:                              ;   in Loop: Header=BB98_6 Depth=1
	v_subrev_nc_u32_e32 v4, s12, v30
	v_mov_b32_e32 v8, 0
	s_or_b32 s20, s20, exec_lo
; %bb.111:                              ;   in Loop: Header=BB98_6 Depth=1
	s_or_b32 exec_lo, exec_lo, s79
	s_delay_alu instid0(SALU_CYCLE_1)
	s_and_b32 s20, s20, exec_lo
.LBB98_112:                             ;   in Loop: Header=BB98_6 Depth=1
	s_or_b32 exec_lo, exec_lo, s11
	s_mov_b32 s11, -1
                                        ; implicit-def: $sgpr79
                                        ; implicit-def: $sgpr81
                                        ; implicit-def: $sgpr82
	s_and_saveexec_b32 s80, s20
	s_delay_alu instid0(SALU_CYCLE_1)
	s_xor_b32 s20, exec_lo, s80
	s_cbranch_execz .LBB98_233
; %bb.113:                              ;   in Loop: Header=BB98_6 Depth=1
	v_cmp_eq_u32_e32 vcc_lo, 1, v4
	s_cmp_eq_u32 s16, 1
                                        ; implicit-def: $sgpr79
                                        ; implicit-def: $sgpr81
                                        ; implicit-def: $sgpr80
	s_cselect_b32 s11, -1, 0
	s_delay_alu instid0(SALU_CYCLE_1)
	s_and_b32 s83, s11, vcc_lo
	s_mov_b32 s11, -1
	s_and_saveexec_b32 s82, s83
	s_cbranch_execz .LBB98_139
; %bb.114:                              ;   in Loop: Header=BB98_6 Depth=1
	ds_load_b32 v3, v9 offset:4096
	s_waitcnt lgkmcnt(0)
	s_barrier
	buffer_gl0_inv
	v_readfirstlane_b32 s79, v3
	s_and_saveexec_b32 s11, s6
	s_cbranch_execz .LBB98_116
; %bb.115:                              ;   in Loop: Header=BB98_6 Depth=1
	ds_store_b16 v20, v9
.LBB98_116:                             ;   in Loop: Header=BB98_6 Depth=1
	s_or_b32 exec_lo, exec_lo, s11
	s_lshl_b32 s11, 1, s17
	v_or_b32_e32 v2, s13, v2
	v_and_or_b32 v1, v1, s14, s11
	s_cmp_eq_u32 s79, 0
	s_waitcnt lgkmcnt(0)
	s_barrier
	buffer_gl0_inv
	s_cbranch_scc1 .LBB98_125
; %bb.117:                              ;   in Loop: Header=BB98_6 Depth=1
	s_add_i32 s11, s79, s53
                                        ; implicit-def: $vgpr3
	s_delay_alu instid0(SALU_CYCLE_1) | instskip(NEXT) | instid1(SALU_CYCLE_1)
	s_mul_hi_u32 s80, s11, s60
	s_mul_i32 s80, s80, s40
	s_delay_alu instid0(SALU_CYCLE_1) | instskip(NEXT) | instid1(SALU_CYCLE_1)
	s_sub_i32 s80, s11, s80
	s_sub_i32 s81, s80, s40
	s_cmp_ge_u32 s80, s40
	s_cselect_b32 s80, s81, s80
	s_delay_alu instid0(SALU_CYCLE_1) | instskip(SKIP_2) | instid1(SALU_CYCLE_1)
	s_sub_i32 s81, s80, s40
	s_cmp_ge_u32 s80, s40
	s_cselect_b32 s80, s81, s80
	s_sub_i32 s81, s11, s80
	s_mov_b32 s11, 0
	s_mov_b32 s80, exec_lo
	v_cmpx_gt_u32_e64 s81, v0
	s_cbranch_execz .LBB98_127
; %bb.118:                              ;   in Loop: Header=BB98_6 Depth=1
	v_dual_mov_b32 v3, v19 :: v_dual_mov_b32 v8, v0
	s_mov_b32 s84, 0
                                        ; implicit-def: $sgpr85
	s_set_inst_prefetch_distance 0x1
	s_branch .LBB98_120
	.p2align	6
.LBB98_119:                             ;   in Loop: Header=BB98_120 Depth=2
	s_or_b32 exec_lo, exec_lo, s11
	s_waitcnt lgkmcnt(0)
	s_barrier
	buffer_gl0_inv
	ds_load_b32 v31, v9 offset:3072
	v_add_nc_u32_e32 v8, s40, v8
	v_add_nc_u32_e32 v3, s64, v3
	s_waitcnt lgkmcnt(0)
	s_barrier
	buffer_gl0_inv
	v_cmp_le_u32_e32 vcc_lo, s81, v8
	v_cmp_neq_f16_e64 s11, 0, v31
	s_delay_alu instid0(VALU_DEP_1) | instskip(NEXT) | instid1(SALU_CYCLE_1)
	s_or_b32 s86, vcc_lo, s11
	s_and_b32 s86, exec_lo, s86
	s_delay_alu instid0(SALU_CYCLE_1) | instskip(SKIP_2) | instid1(SALU_CYCLE_1)
	s_or_b32 s84, s86, s84
	s_and_not1_b32 s85, s85, exec_lo
	s_and_b32 s11, s11, exec_lo
	s_or_b32 s85, s85, s11
	s_and_not1_b32 exec_lo, exec_lo, s84
	s_cbranch_execz .LBB98_126
.LBB98_120:                             ;   Parent Loop BB98_6 Depth=1
                                        ; =>  This Inner Loop Header: Depth=2
	s_delay_alu instid0(VALU_DEP_1)
	v_cmp_gt_u32_e32 vcc_lo, s79, v8
	v_mov_b32_e32 v31, 0
	s_and_saveexec_b32 s11, vcc_lo
	s_cbranch_execz .LBB98_122
; %bb.121:                              ;   in Loop: Header=BB98_120 Depth=2
	ds_load_u16 v31, v3
.LBB98_122:                             ;   in Loop: Header=BB98_120 Depth=2
	s_or_b32 exec_lo, exec_lo, s11
	s_and_saveexec_b32 s11, vcc_lo
	s_cbranch_execz .LBB98_119
; %bb.123:                              ;   in Loop: Header=BB98_120 Depth=2
	s_waitcnt lgkmcnt(0)
	v_cmp_lt_i16_e32 vcc_lo, -1, v31
	v_dual_cndmask_b32 v33, 0xffff, v26 :: v_dual_and_b32 v32, 0xffff, v31
	v_cmp_o_f16_e32 vcc_lo, v31, v31
	s_delay_alu instid0(VALU_DEP_2) | instskip(NEXT) | instid1(VALU_DEP_1)
	v_xor_b32_e32 v32, v33, v32
	v_cndmask_b32_e32 v32, 0xffff, v32, vcc_lo
	s_delay_alu instid0(VALU_DEP_1) | instskip(NEXT) | instid1(VALU_DEP_1)
	v_and_b32_e32 v32, v32, v2
	v_cmp_eq_u32_e32 vcc_lo, v32, v1
	s_and_b32 exec_lo, exec_lo, vcc_lo
	s_cbranch_execz .LBB98_119
; %bb.124:                              ;   in Loop: Header=BB98_120 Depth=2
	v_perm_b32 v31, v31, s66, 0x5040100
	ds_store_b32 v9, v31 offset:3072
	s_branch .LBB98_119
.LBB98_125:                             ;   in Loop: Header=BB98_6 Depth=1
	s_mov_b32 s79, -1
	s_mov_b32 s11, 0
                                        ; implicit-def: $sgpr80
                                        ; implicit-def: $vgpr3
	s_mov_b32 s81, s79
	s_cbranch_execnz .LBB98_128
	s_branch .LBB98_138
.LBB98_126:                             ;   in Loop: Header=BB98_6 Depth=1
	s_set_inst_prefetch_distance 0x2
	s_or_b32 exec_lo, exec_lo, s84
	v_lshrrev_b32_e32 v3, 16, v31
	s_and_b32 s11, s85, exec_lo
.LBB98_127:                             ;   in Loop: Header=BB98_6 Depth=1
	s_or_b32 exec_lo, exec_lo, s80
	s_mov_b32 s80, -1
	s_mov_b32 s79, 0
	s_delay_alu instid0(SALU_CYCLE_1)
	s_mov_b32 s81, s79
	s_branch .LBB98_138
.LBB98_128:                             ;   in Loop: Header=BB98_6 Depth=1
	s_mov_b32 s11, 0
                                        ; implicit-def: $vgpr3
	s_and_saveexec_b32 s79, s9
	s_cbranch_execz .LBB98_137
; %bb.129:                              ;   in Loop: Header=BB98_6 Depth=1
	v_dual_mov_b32 v8, v7 :: v_dual_mov_b32 v3, v0
	s_mov_b32 s80, 0
                                        ; implicit-def: $sgpr81
	s_branch .LBB98_131
.LBB98_130:                             ;   in Loop: Header=BB98_131 Depth=2
	s_or_b32 exec_lo, exec_lo, s11
	s_waitcnt vmcnt(0) lgkmcnt(0)
	s_barrier
	buffer_gl0_inv
	ds_load_b32 v31, v9 offset:3072
	v_add_nc_u32_e32 v3, s40, v3
	v_add_nc_u32_e32 v8, s42, v8
	s_waitcnt lgkmcnt(0)
	s_barrier
	buffer_gl0_inv
	v_cmp_le_u32_e32 vcc_lo, s61, v3
	v_cmp_neq_f16_e64 s11, 0, v31
	s_delay_alu instid0(VALU_DEP_1) | instskip(NEXT) | instid1(SALU_CYCLE_1)
	s_or_b32 s84, vcc_lo, s11
	s_and_b32 s84, exec_lo, s84
	s_delay_alu instid0(SALU_CYCLE_1) | instskip(SKIP_2) | instid1(SALU_CYCLE_1)
	s_or_b32 s80, s84, s80
	s_and_not1_b32 s81, s81, exec_lo
	s_and_b32 s11, s11, exec_lo
	s_or_b32 s81, s81, s11
	s_and_not1_b32 exec_lo, exec_lo, s80
	s_cbranch_execz .LBB98_136
.LBB98_131:                             ;   Parent Loop BB98_6 Depth=1
                                        ; =>  This Inner Loop Header: Depth=2
	s_delay_alu instid0(VALU_DEP_1)
	v_cmp_gt_u32_e32 vcc_lo, s24, v3
	v_mov_b32_e32 v31, 0
	s_and_saveexec_b32 s84, vcc_lo
	s_cbranch_execz .LBB98_133
; %bb.132:                              ;   in Loop: Header=BB98_131 Depth=2
	v_lshlrev_b64 v[31:32], 1, v[8:9]
	s_delay_alu instid0(VALU_DEP_1) | instskip(NEXT) | instid1(VALU_DEP_1)
	v_add_co_u32 v31, s11, s29, v31
	v_add_co_ci_u32_e64 v32, s11, s33, v32, s11
	global_load_u16 v31, v[31:32], off
.LBB98_133:                             ;   in Loop: Header=BB98_131 Depth=2
	s_or_b32 exec_lo, exec_lo, s84
	s_and_saveexec_b32 s11, vcc_lo
	s_cbranch_execz .LBB98_130
; %bb.134:                              ;   in Loop: Header=BB98_131 Depth=2
	s_waitcnt vmcnt(0)
	v_cmp_lt_i16_e32 vcc_lo, -1, v31
	v_dual_cndmask_b32 v33, 0xffff, v26 :: v_dual_and_b32 v32, 0xffff, v31
	v_cmp_o_f16_e32 vcc_lo, v31, v31
	s_delay_alu instid0(VALU_DEP_2) | instskip(NEXT) | instid1(VALU_DEP_1)
	v_xor_b32_e32 v32, v33, v32
	v_cndmask_b32_e32 v32, 0xffff, v32, vcc_lo
	s_delay_alu instid0(VALU_DEP_1) | instskip(NEXT) | instid1(VALU_DEP_1)
	v_and_b32_e32 v32, v32, v2
	v_cmp_eq_u32_e32 vcc_lo, v32, v1
	s_and_b32 exec_lo, exec_lo, vcc_lo
	s_cbranch_execz .LBB98_130
; %bb.135:                              ;   in Loop: Header=BB98_131 Depth=2
	v_perm_b32 v31, v31, s66, 0x5040100
	ds_store_b32 v9, v31 offset:3072
	s_branch .LBB98_130
.LBB98_136:                             ;   in Loop: Header=BB98_6 Depth=1
	s_or_b32 exec_lo, exec_lo, s80
	v_lshrrev_b32_e32 v3, 16, v31
	s_and_b32 s11, s81, exec_lo
.LBB98_137:                             ;   in Loop: Header=BB98_6 Depth=1
	s_or_b32 exec_lo, exec_lo, s79
	s_mov_b32 s81, -1
	s_mov_b32 s79, 0
	s_mov_b32 s80, 0
.LBB98_138:                             ;   in Loop: Header=BB98_6 Depth=1
	s_or_not1_b32 s11, s11, exec_lo
.LBB98_139:                             ;   in Loop: Header=BB98_6 Depth=1
	s_or_b32 exec_lo, exec_lo, s82
	s_mov_b32 s84, 0
                                        ; implicit-def: $vgpr8
	s_and_saveexec_b32 s82, s11
	s_cbranch_execz .LBB98_232
; %bb.140:                              ;   in Loop: Header=BB98_6 Depth=1
	v_dual_mov_b32 v31, 1 :: v_dual_mov_b32 v8, 1
	s_xor_b32 s83, s83, -1
	s_mov_b32 s85, 0
	s_and_saveexec_b32 s11, s83
	s_cbranch_execz .LBB98_150
; %bb.141:                              ;   in Loop: Header=BB98_6 Depth=1
	s_mov_b32 s84, exec_lo
                                        ; implicit-def: $sgpr85
                                        ; implicit-def: $sgpr83
	v_cmpx_ge_u32_e64 s16, v4
	s_xor_b32 s84, exec_lo, s84
	s_cbranch_execz .LBB98_147
; %bb.142:                              ;   in Loop: Header=BB98_6 Depth=1
	ds_load_b32 v8, v9 offset:4096
	s_waitcnt lgkmcnt(0)
	v_cmp_ne_u32_e32 vcc_lo, 0, v8
	s_cbranch_vccnz .LBB98_146
; %bb.143:                              ;   in Loop: Header=BB98_6 Depth=1
	s_and_saveexec_b32 s83, s5
	s_cbranch_execz .LBB98_145
; %bb.144:                              ;   in Loop: Header=BB98_6 Depth=1
	v_mov_b32_e32 v8, s16
	ds_store_b32 v9, v8 offset:4100
.LBB98_145:                             ;   in Loop: Header=BB98_6 Depth=1
	s_or_b32 exec_lo, exec_lo, s83
	s_waitcnt lgkmcnt(0)
	s_barrier
	buffer_gl0_inv
.LBB98_146:                             ;   in Loop: Header=BB98_6 Depth=1
	s_lshl_b32 s83, 1, s17
	v_or_b32_e32 v2, s13, v2
	v_and_or_b32 v1, v1, s14, s83
	s_mov_b32 s83, 0
	s_mov_b32 s85, 8
.LBB98_147:                             ;   in Loop: Header=BB98_6 Depth=1
	s_or_saveexec_b32 s84, s84
	v_mov_b32_e32 v8, s85
	s_xor_b32 exec_lo, exec_lo, s84
; %bb.148:                              ;   in Loop: Header=BB98_6 Depth=1
	v_subrev_nc_u32_e32 v4, s16, v4
	v_mov_b32_e32 v8, 0
	s_or_b32 s83, s83, exec_lo
; %bb.149:                              ;   in Loop: Header=BB98_6 Depth=1
	s_or_b32 exec_lo, exec_lo, s84
	s_delay_alu instid0(VALU_DEP_2)
	v_mov_b32_e32 v31, v4
	s_and_b32 s85, s83, exec_lo
.LBB98_150:                             ;   in Loop: Header=BB98_6 Depth=1
	s_or_b32 exec_lo, exec_lo, s11
	s_mov_b32 s11, -1
                                        ; implicit-def: $sgpr84
                                        ; implicit-def: $sgpr86
                                        ; implicit-def: $sgpr87
	s_and_saveexec_b32 s83, s85
	s_cbranch_execz .LBB98_231
; %bb.151:                              ;   in Loop: Header=BB98_6 Depth=1
	v_cmp_eq_u32_e32 vcc_lo, 1, v31
	s_cmp_eq_u32 s18, 1
                                        ; implicit-def: $sgpr84
                                        ; implicit-def: $sgpr86
                                        ; implicit-def: $sgpr85
	s_cselect_b32 s11, -1, 0
	s_delay_alu instid0(SALU_CYCLE_1)
	s_and_b32 s88, s11, vcc_lo
	s_mov_b32 s11, -1
	s_and_saveexec_b32 s87, s88
	s_cbranch_execz .LBB98_177
; %bb.152:                              ;   in Loop: Header=BB98_6 Depth=1
	ds_load_b32 v3, v9 offset:4096
	s_waitcnt lgkmcnt(0)
	s_barrier
	buffer_gl0_inv
	v_readfirstlane_b32 s84, v3
	s_and_saveexec_b32 s11, s6
	s_cbranch_execz .LBB98_154
; %bb.153:                              ;   in Loop: Header=BB98_6 Depth=1
	ds_store_b16 v20, v9
.LBB98_154:                             ;   in Loop: Header=BB98_6 Depth=1
	s_or_b32 exec_lo, exec_lo, s11
	s_lshl_b32 s11, 2, s17
	v_or_b32_e32 v2, s13, v2
	v_and_or_b32 v1, v1, s14, s11
	s_cmp_eq_u32 s84, 0
	s_waitcnt lgkmcnt(0)
	s_barrier
	buffer_gl0_inv
	s_cbranch_scc1 .LBB98_163
; %bb.155:                              ;   in Loop: Header=BB98_6 Depth=1
	s_add_i32 s11, s84, s53
                                        ; implicit-def: $vgpr3
	s_delay_alu instid0(SALU_CYCLE_1) | instskip(NEXT) | instid1(SALU_CYCLE_1)
	s_mul_hi_u32 s85, s11, s60
	s_mul_i32 s85, s85, s40
	s_delay_alu instid0(SALU_CYCLE_1) | instskip(NEXT) | instid1(SALU_CYCLE_1)
	s_sub_i32 s85, s11, s85
	s_sub_i32 s86, s85, s40
	s_cmp_ge_u32 s85, s40
	s_cselect_b32 s85, s86, s85
	s_delay_alu instid0(SALU_CYCLE_1) | instskip(SKIP_2) | instid1(SALU_CYCLE_1)
	s_sub_i32 s86, s85, s40
	s_cmp_ge_u32 s85, s40
	s_cselect_b32 s85, s86, s85
	s_sub_i32 s86, s11, s85
	s_mov_b32 s11, 0
	s_mov_b32 s85, exec_lo
	v_cmpx_gt_u32_e64 s86, v0
	s_cbranch_execz .LBB98_165
; %bb.156:                              ;   in Loop: Header=BB98_6 Depth=1
	v_dual_mov_b32 v3, v19 :: v_dual_mov_b32 v4, v0
	s_mov_b32 s89, 0
                                        ; implicit-def: $sgpr90
	s_set_inst_prefetch_distance 0x1
	s_branch .LBB98_158
	.p2align	6
.LBB98_157:                             ;   in Loop: Header=BB98_158 Depth=2
	s_or_b32 exec_lo, exec_lo, s11
	s_waitcnt lgkmcnt(0)
	s_barrier
	buffer_gl0_inv
	ds_load_b32 v8, v9 offset:3072
	v_add_nc_u32_e32 v4, s40, v4
	v_add_nc_u32_e32 v3, s64, v3
	s_waitcnt lgkmcnt(0)
	s_barrier
	buffer_gl0_inv
	v_cmp_le_u32_e32 vcc_lo, s86, v4
	v_cmp_neq_f16_e64 s11, 0, v8
	s_delay_alu instid0(VALU_DEP_1) | instskip(NEXT) | instid1(SALU_CYCLE_1)
	s_or_b32 s91, vcc_lo, s11
	s_and_b32 s91, exec_lo, s91
	s_delay_alu instid0(SALU_CYCLE_1) | instskip(SKIP_2) | instid1(SALU_CYCLE_1)
	s_or_b32 s89, s91, s89
	s_and_not1_b32 s90, s90, exec_lo
	s_and_b32 s11, s11, exec_lo
	s_or_b32 s90, s90, s11
	s_and_not1_b32 exec_lo, exec_lo, s89
	s_cbranch_execz .LBB98_164
.LBB98_158:                             ;   Parent Loop BB98_6 Depth=1
                                        ; =>  This Inner Loop Header: Depth=2
	s_delay_alu instid0(VALU_DEP_1)
	v_cmp_gt_u32_e32 vcc_lo, s84, v4
	v_mov_b32_e32 v8, 0
	s_and_saveexec_b32 s11, vcc_lo
	s_cbranch_execz .LBB98_160
; %bb.159:                              ;   in Loop: Header=BB98_158 Depth=2
	ds_load_u16 v8, v3
.LBB98_160:                             ;   in Loop: Header=BB98_158 Depth=2
	s_or_b32 exec_lo, exec_lo, s11
	s_and_saveexec_b32 s11, vcc_lo
	s_cbranch_execz .LBB98_157
; %bb.161:                              ;   in Loop: Header=BB98_158 Depth=2
	s_waitcnt lgkmcnt(0)
	v_cmp_lt_i16_e32 vcc_lo, -1, v8
	v_dual_cndmask_b32 v33, 0xffff, v26 :: v_dual_and_b32 v32, 0xffff, v8
	v_cmp_o_f16_e32 vcc_lo, v8, v8
	s_delay_alu instid0(VALU_DEP_2) | instskip(NEXT) | instid1(VALU_DEP_1)
	v_xor_b32_e32 v32, v33, v32
	v_cndmask_b32_e32 v32, 0xffff, v32, vcc_lo
	s_delay_alu instid0(VALU_DEP_1) | instskip(NEXT) | instid1(VALU_DEP_1)
	v_and_b32_e32 v32, v32, v2
	v_cmp_eq_u32_e32 vcc_lo, v32, v1
	s_and_b32 exec_lo, exec_lo, vcc_lo
	s_cbranch_execz .LBB98_157
; %bb.162:                              ;   in Loop: Header=BB98_158 Depth=2
	v_perm_b32 v8, v8, s66, 0x5040100
	ds_store_b32 v9, v8 offset:3072
	s_branch .LBB98_157
.LBB98_163:                             ;   in Loop: Header=BB98_6 Depth=1
	s_mov_b32 s84, -1
	s_mov_b32 s11, 0
                                        ; implicit-def: $sgpr85
                                        ; implicit-def: $vgpr3
	s_mov_b32 s86, s84
	s_cbranch_execnz .LBB98_166
	s_branch .LBB98_176
.LBB98_164:                             ;   in Loop: Header=BB98_6 Depth=1
	s_set_inst_prefetch_distance 0x2
	s_or_b32 exec_lo, exec_lo, s89
	v_lshrrev_b32_e32 v3, 16, v8
	s_and_b32 s11, s90, exec_lo
.LBB98_165:                             ;   in Loop: Header=BB98_6 Depth=1
	s_or_b32 exec_lo, exec_lo, s85
	s_mov_b32 s85, -1
	s_mov_b32 s84, 0
	s_delay_alu instid0(SALU_CYCLE_1)
	s_mov_b32 s86, s84
	s_branch .LBB98_176
.LBB98_166:                             ;   in Loop: Header=BB98_6 Depth=1
	s_mov_b32 s11, 0
                                        ; implicit-def: $vgpr3
	s_and_saveexec_b32 s84, s9
	s_cbranch_execz .LBB98_175
; %bb.167:                              ;   in Loop: Header=BB98_6 Depth=1
	v_dual_mov_b32 v8, v7 :: v_dual_mov_b32 v3, v0
	s_mov_b32 s85, 0
                                        ; implicit-def: $sgpr86
	s_branch .LBB98_169
.LBB98_168:                             ;   in Loop: Header=BB98_169 Depth=2
	s_or_b32 exec_lo, exec_lo, s11
	s_waitcnt vmcnt(0) lgkmcnt(0)
	s_barrier
	buffer_gl0_inv
	ds_load_b32 v4, v9 offset:3072
	v_add_nc_u32_e32 v3, s40, v3
	v_add_nc_u32_e32 v8, s42, v8
	s_waitcnt lgkmcnt(0)
	s_barrier
	buffer_gl0_inv
	v_cmp_le_u32_e32 vcc_lo, s61, v3
	v_cmp_neq_f16_e64 s11, 0, v4
	s_delay_alu instid0(VALU_DEP_1) | instskip(NEXT) | instid1(SALU_CYCLE_1)
	s_or_b32 s89, vcc_lo, s11
	s_and_b32 s89, exec_lo, s89
	s_delay_alu instid0(SALU_CYCLE_1) | instskip(SKIP_2) | instid1(SALU_CYCLE_1)
	s_or_b32 s85, s89, s85
	s_and_not1_b32 s86, s86, exec_lo
	s_and_b32 s11, s11, exec_lo
	s_or_b32 s86, s86, s11
	s_and_not1_b32 exec_lo, exec_lo, s85
	s_cbranch_execz .LBB98_174
.LBB98_169:                             ;   Parent Loop BB98_6 Depth=1
                                        ; =>  This Inner Loop Header: Depth=2
	s_delay_alu instid0(VALU_DEP_1)
	v_cmp_gt_u32_e32 vcc_lo, s24, v3
	v_mov_b32_e32 v4, 0
	s_and_saveexec_b32 s89, vcc_lo
	s_cbranch_execz .LBB98_171
; %bb.170:                              ;   in Loop: Header=BB98_169 Depth=2
	v_lshlrev_b64 v[32:33], 1, v[8:9]
	s_delay_alu instid0(VALU_DEP_1) | instskip(NEXT) | instid1(VALU_DEP_1)
	v_add_co_u32 v32, s11, s29, v32
	v_add_co_ci_u32_e64 v33, s11, s33, v33, s11
	global_load_u16 v4, v[32:33], off
.LBB98_171:                             ;   in Loop: Header=BB98_169 Depth=2
	s_or_b32 exec_lo, exec_lo, s89
	s_and_saveexec_b32 s11, vcc_lo
	s_cbranch_execz .LBB98_168
; %bb.172:                              ;   in Loop: Header=BB98_169 Depth=2
	s_waitcnt vmcnt(0)
	v_cmp_lt_i16_e32 vcc_lo, -1, v4
	v_dual_cndmask_b32 v33, 0xffff, v26 :: v_dual_and_b32 v32, 0xffff, v4
	v_cmp_o_f16_e32 vcc_lo, v4, v4
	s_delay_alu instid0(VALU_DEP_2) | instskip(NEXT) | instid1(VALU_DEP_1)
	v_xor_b32_e32 v32, v33, v32
	v_cndmask_b32_e32 v32, 0xffff, v32, vcc_lo
	s_delay_alu instid0(VALU_DEP_1) | instskip(NEXT) | instid1(VALU_DEP_1)
	v_and_b32_e32 v32, v32, v2
	v_cmp_eq_u32_e32 vcc_lo, v32, v1
	s_and_b32 exec_lo, exec_lo, vcc_lo
	s_cbranch_execz .LBB98_168
; %bb.173:                              ;   in Loop: Header=BB98_169 Depth=2
	v_perm_b32 v4, v4, s66, 0x5040100
	ds_store_b32 v9, v4 offset:3072
	s_branch .LBB98_168
.LBB98_174:                             ;   in Loop: Header=BB98_6 Depth=1
	s_or_b32 exec_lo, exec_lo, s85
	v_lshrrev_b32_e32 v3, 16, v4
	s_and_b32 s11, s86, exec_lo
.LBB98_175:                             ;   in Loop: Header=BB98_6 Depth=1
	s_or_b32 exec_lo, exec_lo, s84
	s_mov_b32 s86, -1
	s_mov_b32 s84, 0
	s_mov_b32 s85, 0
.LBB98_176:                             ;   in Loop: Header=BB98_6 Depth=1
	s_or_not1_b32 s11, s11, exec_lo
.LBB98_177:                             ;   in Loop: Header=BB98_6 Depth=1
	s_or_b32 exec_lo, exec_lo, s87
	s_mov_b32 s89, 0
                                        ; implicit-def: $vgpr8
	s_and_saveexec_b32 s87, s11
	s_cbranch_execz .LBB98_230
; %bb.178:                              ;   in Loop: Header=BB98_6 Depth=1
	v_mov_b32_e32 v4, 1
	v_mov_b32_e32 v8, 1
	s_xor_b32 s88, s88, -1
	s_mov_b32 s90, 0
	s_and_saveexec_b32 s11, s88
	s_cbranch_execz .LBB98_188
; %bb.179:                              ;   in Loop: Header=BB98_6 Depth=1
	s_mov_b32 s89, exec_lo
                                        ; implicit-def: $sgpr90
                                        ; implicit-def: $sgpr88
	v_cmpx_ge_u32_e64 s18, v31
	s_xor_b32 s89, exec_lo, s89
	s_cbranch_execz .LBB98_185
; %bb.180:                              ;   in Loop: Header=BB98_6 Depth=1
	ds_load_b32 v4, v9 offset:4096
	s_waitcnt lgkmcnt(0)
	v_cmp_ne_u32_e32 vcc_lo, 0, v4
	s_cbranch_vccnz .LBB98_184
; %bb.181:                              ;   in Loop: Header=BB98_6 Depth=1
	s_and_saveexec_b32 s88, s5
	s_cbranch_execz .LBB98_183
; %bb.182:                              ;   in Loop: Header=BB98_6 Depth=1
	v_mov_b32_e32 v4, s18
	ds_store_b32 v9, v4 offset:4100
.LBB98_183:                             ;   in Loop: Header=BB98_6 Depth=1
	s_or_b32 exec_lo, exec_lo, s88
	s_waitcnt lgkmcnt(0)
	s_barrier
	buffer_gl0_inv
.LBB98_184:                             ;   in Loop: Header=BB98_6 Depth=1
	s_lshl_b32 s88, 2, s17
	v_or_b32_e32 v2, s13, v2
	v_and_or_b32 v1, v1, s14, s88
	s_mov_b32 s88, 0
	s_mov_b32 s90, 8
.LBB98_185:                             ;   in Loop: Header=BB98_6 Depth=1
	s_or_saveexec_b32 s89, s89
	v_mov_b32_e32 v8, s90
	s_xor_b32 exec_lo, exec_lo, s89
; %bb.186:                              ;   in Loop: Header=BB98_6 Depth=1
	v_subrev_nc_u32_e32 v31, s18, v31
	v_mov_b32_e32 v8, 0
	s_or_b32 s88, s88, exec_lo
; %bb.187:                              ;   in Loop: Header=BB98_6 Depth=1
	s_or_b32 exec_lo, exec_lo, s89
	s_delay_alu instid0(VALU_DEP_2)
	v_mov_b32_e32 v4, v31
	s_and_b32 s90, s88, exec_lo
.LBB98_188:                             ;   in Loop: Header=BB98_6 Depth=1
	s_or_b32 exec_lo, exec_lo, s11
	s_mov_b32 s89, -1
                                        ; implicit-def: $sgpr11
                                        ; implicit-def: $sgpr92
                                        ; implicit-def: $sgpr91
	s_and_saveexec_b32 s88, s90
	s_cbranch_execz .LBB98_229
; %bb.189:                              ;   in Loop: Header=BB98_6 Depth=1
	v_cmp_eq_u32_e32 vcc_lo, 1, v4
	s_cmp_eq_u32 s19, 1
	s_mov_b32 s93, -1
	s_cselect_b32 s11, -1, 0
                                        ; implicit-def: $sgpr92
                                        ; implicit-def: $sgpr91
	s_delay_alu instid0(SALU_CYCLE_1) | instskip(NEXT) | instid1(SALU_CYCLE_1)
	s_and_b32 s89, s11, vcc_lo
                                        ; implicit-def: $sgpr11
	s_and_saveexec_b32 s90, s89
	s_cbranch_execz .LBB98_216
; %bb.190:                              ;   in Loop: Header=BB98_6 Depth=1
	ds_load_b32 v3, v9 offset:4096
	s_waitcnt lgkmcnt(0)
	s_barrier
	buffer_gl0_inv
	v_readfirstlane_b32 s91, v3
	s_and_saveexec_b32 s11, s6
	s_cbranch_execz .LBB98_192
; %bb.191:                              ;   in Loop: Header=BB98_6 Depth=1
	ds_store_b16 v20, v9
.LBB98_192:                             ;   in Loop: Header=BB98_6 Depth=1
	s_or_b32 exec_lo, exec_lo, s11
	v_or_b32_e32 v1, s13, v1
	v_or_b32_e32 v2, s13, v2
	s_cmp_eq_u32 s91, 0
	s_waitcnt lgkmcnt(0)
	s_barrier
	buffer_gl0_inv
	s_cbranch_scc1 .LBB98_201
; %bb.193:                              ;   in Loop: Header=BB98_6 Depth=1
	s_add_i32 s11, s91, s53
                                        ; implicit-def: $vgpr3
	s_delay_alu instid0(SALU_CYCLE_1) | instskip(NEXT) | instid1(SALU_CYCLE_1)
	s_mul_hi_u32 s92, s11, s60
	s_mul_i32 s92, s92, s40
	s_delay_alu instid0(SALU_CYCLE_1) | instskip(NEXT) | instid1(SALU_CYCLE_1)
	s_sub_i32 s92, s11, s92
	s_sub_i32 s93, s92, s40
	s_cmp_ge_u32 s92, s40
	s_cselect_b32 s92, s93, s92
	s_delay_alu instid0(SALU_CYCLE_1)
	s_sub_i32 s93, s92, s40
	s_cmp_ge_u32 s92, s40
	s_cselect_b32 s92, s93, s92
	s_mov_b32 s93, 0
	s_sub_i32 s94, s11, s92
	s_mov_b32 s92, exec_lo
	v_cmpx_gt_u32_e64 s94, v0
	s_cbranch_execz .LBB98_203
; %bb.194:                              ;   in Loop: Header=BB98_6 Depth=1
	v_dual_mov_b32 v3, v19 :: v_dual_mov_b32 v8, v0
                                        ; implicit-def: $sgpr95
	s_set_inst_prefetch_distance 0x1
	s_branch .LBB98_196
	.p2align	6
.LBB98_195:                             ;   in Loop: Header=BB98_196 Depth=2
	s_or_b32 exec_lo, exec_lo, s11
	s_waitcnt lgkmcnt(0)
	s_barrier
	buffer_gl0_inv
	ds_load_b32 v31, v9 offset:3072
	v_add_nc_u32_e32 v8, s40, v8
	v_add_nc_u32_e32 v3, s64, v3
	s_waitcnt lgkmcnt(0)
	s_barrier
	buffer_gl0_inv
	v_cmp_le_u32_e32 vcc_lo, s94, v8
	v_cmp_neq_f16_e64 s11, 0, v31
	s_delay_alu instid0(VALU_DEP_1) | instskip(NEXT) | instid1(SALU_CYCLE_1)
	s_or_b32 s96, vcc_lo, s11
	s_and_b32 s96, exec_lo, s96
	s_delay_alu instid0(SALU_CYCLE_1) | instskip(SKIP_2) | instid1(SALU_CYCLE_1)
	s_or_b32 s93, s96, s93
	s_and_not1_b32 s95, s95, exec_lo
	s_and_b32 s11, s11, exec_lo
	s_or_b32 s95, s95, s11
	s_and_not1_b32 exec_lo, exec_lo, s93
	s_cbranch_execz .LBB98_202
.LBB98_196:                             ;   Parent Loop BB98_6 Depth=1
                                        ; =>  This Inner Loop Header: Depth=2
	s_delay_alu instid0(VALU_DEP_1)
	v_cmp_gt_u32_e32 vcc_lo, s91, v8
	v_mov_b32_e32 v31, 0
	s_and_saveexec_b32 s11, vcc_lo
	s_cbranch_execz .LBB98_198
; %bb.197:                              ;   in Loop: Header=BB98_196 Depth=2
	ds_load_u16 v31, v3
.LBB98_198:                             ;   in Loop: Header=BB98_196 Depth=2
	s_or_b32 exec_lo, exec_lo, s11
	s_and_saveexec_b32 s11, vcc_lo
	s_cbranch_execz .LBB98_195
; %bb.199:                              ;   in Loop: Header=BB98_196 Depth=2
	s_waitcnt lgkmcnt(0)
	v_cmp_lt_i16_e32 vcc_lo, -1, v31
	v_dual_cndmask_b32 v33, 0xffff, v26 :: v_dual_and_b32 v32, 0xffff, v31
	v_cmp_o_f16_e32 vcc_lo, v31, v31
	s_delay_alu instid0(VALU_DEP_2) | instskip(NEXT) | instid1(VALU_DEP_1)
	v_xor_b32_e32 v32, v33, v32
	v_cndmask_b32_e32 v32, 0xffff, v32, vcc_lo
	s_delay_alu instid0(VALU_DEP_1) | instskip(NEXT) | instid1(VALU_DEP_1)
	v_and_b32_e32 v32, v32, v2
	v_cmp_eq_u32_e32 vcc_lo, v32, v1
	s_and_b32 exec_lo, exec_lo, vcc_lo
	s_cbranch_execz .LBB98_195
; %bb.200:                              ;   in Loop: Header=BB98_196 Depth=2
	v_perm_b32 v31, v31, s66, 0x5040100
	ds_store_b32 v9, v31 offset:3072
	s_branch .LBB98_195
.LBB98_201:                             ;   in Loop: Header=BB98_6 Depth=1
	s_mov_b32 s11, -1
	s_mov_b32 s93, 0
                                        ; implicit-def: $sgpr91
                                        ; implicit-def: $vgpr3
	s_branch .LBB98_204
.LBB98_202:                             ;   in Loop: Header=BB98_6 Depth=1
	s_set_inst_prefetch_distance 0x2
	s_or_b32 exec_lo, exec_lo, s93
	v_lshrrev_b32_e32 v3, 16, v31
	s_and_b32 s93, s95, exec_lo
.LBB98_203:                             ;   in Loop: Header=BB98_6 Depth=1
	s_or_b32 exec_lo, exec_lo, s92
	s_mov_b32 s91, -1
	s_mov_b32 s11, 0
.LBB98_204:                             ;   in Loop: Header=BB98_6 Depth=1
	s_delay_alu instid0(SALU_CYCLE_1)
	s_and_b32 vcc_lo, exec_lo, s11
	s_mov_b32 s92, s11
	s_cbranch_vccz .LBB98_215
; %bb.205:                              ;   in Loop: Header=BB98_6 Depth=1
	s_mov_b32 s93, 0
                                        ; implicit-def: $vgpr3
	s_and_saveexec_b32 s91, s9
	s_cbranch_execz .LBB98_214
; %bb.206:                              ;   in Loop: Header=BB98_6 Depth=1
	v_dual_mov_b32 v8, v7 :: v_dual_mov_b32 v3, v0
	s_mov_b32 s92, 0
                                        ; implicit-def: $sgpr93
	s_branch .LBB98_208
.LBB98_207:                             ;   in Loop: Header=BB98_208 Depth=2
	s_or_b32 exec_lo, exec_lo, s11
	s_waitcnt vmcnt(0) lgkmcnt(0)
	s_barrier
	buffer_gl0_inv
	ds_load_b32 v31, v9 offset:3072
	v_add_nc_u32_e32 v3, s40, v3
	v_add_nc_u32_e32 v8, s42, v8
	s_waitcnt lgkmcnt(0)
	s_barrier
	buffer_gl0_inv
	v_cmp_le_u32_e32 vcc_lo, s61, v3
	v_cmp_neq_f16_e64 s11, 0, v31
	s_delay_alu instid0(VALU_DEP_1) | instskip(NEXT) | instid1(SALU_CYCLE_1)
	s_or_b32 s94, vcc_lo, s11
	s_and_b32 s94, exec_lo, s94
	s_delay_alu instid0(SALU_CYCLE_1) | instskip(SKIP_2) | instid1(SALU_CYCLE_1)
	s_or_b32 s92, s94, s92
	s_and_not1_b32 s93, s93, exec_lo
	s_and_b32 s11, s11, exec_lo
	s_or_b32 s93, s93, s11
	s_and_not1_b32 exec_lo, exec_lo, s92
	s_cbranch_execz .LBB98_213
.LBB98_208:                             ;   Parent Loop BB98_6 Depth=1
                                        ; =>  This Inner Loop Header: Depth=2
	s_delay_alu instid0(VALU_DEP_1)
	v_cmp_gt_u32_e32 vcc_lo, s24, v3
	v_mov_b32_e32 v31, 0
	s_and_saveexec_b32 s94, vcc_lo
	s_cbranch_execz .LBB98_210
; %bb.209:                              ;   in Loop: Header=BB98_208 Depth=2
	v_lshlrev_b64 v[31:32], 1, v[8:9]
	s_delay_alu instid0(VALU_DEP_1) | instskip(NEXT) | instid1(VALU_DEP_1)
	v_add_co_u32 v31, s11, s29, v31
	v_add_co_ci_u32_e64 v32, s11, s33, v32, s11
	global_load_u16 v31, v[31:32], off
.LBB98_210:                             ;   in Loop: Header=BB98_208 Depth=2
	s_or_b32 exec_lo, exec_lo, s94
	s_and_saveexec_b32 s11, vcc_lo
	s_cbranch_execz .LBB98_207
; %bb.211:                              ;   in Loop: Header=BB98_208 Depth=2
	s_waitcnt vmcnt(0)
	v_cmp_lt_i16_e32 vcc_lo, -1, v31
	v_dual_cndmask_b32 v33, 0xffff, v26 :: v_dual_and_b32 v32, 0xffff, v31
	v_cmp_o_f16_e32 vcc_lo, v31, v31
	s_delay_alu instid0(VALU_DEP_2) | instskip(NEXT) | instid1(VALU_DEP_1)
	v_xor_b32_e32 v32, v33, v32
	v_cndmask_b32_e32 v32, 0xffff, v32, vcc_lo
	s_delay_alu instid0(VALU_DEP_1) | instskip(NEXT) | instid1(VALU_DEP_1)
	v_and_b32_e32 v32, v32, v2
	v_cmp_eq_u32_e32 vcc_lo, v32, v1
	s_and_b32 exec_lo, exec_lo, vcc_lo
	s_cbranch_execz .LBB98_207
; %bb.212:                              ;   in Loop: Header=BB98_208 Depth=2
	v_perm_b32 v31, v31, s66, 0x5040100
	ds_store_b32 v9, v31 offset:3072
	s_branch .LBB98_207
.LBB98_213:                             ;   in Loop: Header=BB98_6 Depth=1
	s_or_b32 exec_lo, exec_lo, s92
	v_lshrrev_b32_e32 v3, 16, v31
	s_and_b32 s93, s93, exec_lo
.LBB98_214:                             ;   in Loop: Header=BB98_6 Depth=1
	s_or_b32 exec_lo, exec_lo, s91
	s_mov_b32 s92, -1
	s_mov_b32 s11, 0
	s_mov_b32 s91, 0
.LBB98_215:                             ;   in Loop: Header=BB98_6 Depth=1
	s_or_not1_b32 s93, s93, exec_lo
.LBB98_216:                             ;   in Loop: Header=BB98_6 Depth=1
	s_or_b32 exec_lo, exec_lo, s90
	s_mov_b32 s94, 0
                                        ; implicit-def: $vgpr8
                                        ; implicit-def: $vgpr31
	s_and_saveexec_b32 s90, s93
	s_cbranch_execz .LBB98_228
; %bb.217:                              ;   in Loop: Header=BB98_6 Depth=1
	v_dual_mov_b32 v8, 1 :: v_dual_mov_b32 v31, 1
	s_xor_b32 s93, s89, -1
	s_delay_alu instid0(SALU_CYCLE_1)
	s_and_saveexec_b32 s89, s93
	s_cbranch_execz .LBB98_227
; %bb.218:                              ;   in Loop: Header=BB98_6 Depth=1
	s_mov_b32 s93, exec_lo
                                        ; implicit-def: $sgpr94
	v_cmpx_ge_u32_e64 s19, v4
	s_xor_b32 s93, exec_lo, s93
	s_cbranch_execz .LBB98_224
; %bb.219:                              ;   in Loop: Header=BB98_6 Depth=1
	ds_load_b32 v8, v9 offset:4096
	s_waitcnt lgkmcnt(0)
	v_cmp_ne_u32_e32 vcc_lo, 0, v8
	s_cbranch_vccnz .LBB98_223
; %bb.220:                              ;   in Loop: Header=BB98_6 Depth=1
	s_and_saveexec_b32 s94, s5
	s_cbranch_execz .LBB98_222
; %bb.221:                              ;   in Loop: Header=BB98_6 Depth=1
	v_mov_b32_e32 v8, s19
	ds_store_b32 v9, v8 offset:4100
.LBB98_222:                             ;   in Loop: Header=BB98_6 Depth=1
	s_or_b32 exec_lo, exec_lo, s94
	s_waitcnt lgkmcnt(0)
	s_barrier
	buffer_gl0_inv
.LBB98_223:                             ;   in Loop: Header=BB98_6 Depth=1
	v_or_b32_e32 v1, s13, v1
	v_or_b32_e32 v2, s13, v2
	s_mov_b32 s94, 8
.LBB98_224:                             ;   in Loop: Header=BB98_6 Depth=1
	s_or_saveexec_b32 s93, s93
	v_mov_b32_e32 v8, s94
	s_xor_b32 exec_lo, exec_lo, s93
; %bb.225:                              ;   in Loop: Header=BB98_6 Depth=1
	v_subrev_nc_u32_e32 v4, s19, v4
	v_mov_b32_e32 v8, 8
; %bb.226:                              ;   in Loop: Header=BB98_6 Depth=1
	s_or_b32 exec_lo, exec_lo, s93
	s_delay_alu instid0(VALU_DEP_2)
	v_mov_b32_e32 v31, v4
.LBB98_227:                             ;   in Loop: Header=BB98_6 Depth=1
	s_or_b32 exec_lo, exec_lo, s89
	s_delay_alu instid0(SALU_CYCLE_1)
	s_mov_b32 s94, exec_lo
.LBB98_228:                             ;   in Loop: Header=BB98_6 Depth=1
	s_or_b32 exec_lo, exec_lo, s90
	s_delay_alu instid0(VALU_DEP_1)
	v_mov_b32_e32 v4, v31
	s_or_not1_b32 s89, s94, exec_lo
.LBB98_229:                             ;   in Loop: Header=BB98_6 Depth=1
	s_or_b32 exec_lo, exec_lo, s88
	s_delay_alu instid0(SALU_CYCLE_1)
	s_and_not1_b32 s84, s84, exec_lo
	s_and_b32 s11, s11, exec_lo
	v_mov_b32_e32 v31, v4
	s_or_b32 s84, s84, s11
	s_and_not1_b32 s11, s86, exec_lo
	s_and_b32 s86, s92, exec_lo
	s_and_not1_b32 s85, s85, exec_lo
	s_and_b32 s88, s91, exec_lo
	s_or_b32 s86, s11, s86
	s_or_b32 s85, s85, s88
	s_and_b32 s89, s89, exec_lo
.LBB98_230:                             ;   in Loop: Header=BB98_6 Depth=1
	s_or_b32 exec_lo, exec_lo, s87
	s_delay_alu instid0(SALU_CYCLE_1)
	s_and_b32 s87, s84, exec_lo
	s_and_b32 s86, s86, exec_lo
	;; [unrolled: 1-line block ×3, first 2 shown]
	s_or_not1_b32 s11, s89, exec_lo
.LBB98_231:                             ;   in Loop: Header=BB98_6 Depth=1
	s_or_b32 exec_lo, exec_lo, s83
	s_delay_alu instid0(SALU_CYCLE_1)
	s_and_not1_b32 s79, s79, exec_lo
	s_and_b32 s83, s87, exec_lo
	v_mov_b32_e32 v4, v31
	s_or_b32 s79, s79, s83
	s_and_not1_b32 s81, s81, exec_lo
	s_and_b32 s83, s86, exec_lo
	s_and_not1_b32 s80, s80, exec_lo
	s_and_b32 s84, s84, exec_lo
	s_or_b32 s81, s81, s83
	s_or_b32 s80, s80, s84
	s_and_b32 s84, s11, exec_lo
.LBB98_232:                             ;   in Loop: Header=BB98_6 Depth=1
	s_or_b32 exec_lo, exec_lo, s82
	s_delay_alu instid0(SALU_CYCLE_1)
	s_and_b32 s82, s79, exec_lo
	s_and_b32 s81, s81, exec_lo
	;; [unrolled: 1-line block ×3, first 2 shown]
	s_or_not1_b32 s11, s84, exec_lo
.LBB98_233:                             ;   in Loop: Header=BB98_6 Depth=1
	s_or_b32 exec_lo, exec_lo, s20
	s_mov_b32 s20, 0
	s_mov_b32 s80, 0
	s_and_saveexec_b32 s83, s11
	s_delay_alu instid0(SALU_CYCLE_1)
	s_xor_b32 s83, exec_lo, s83
; %bb.234:                              ;   in Loop: Header=BB98_6 Depth=1
	v_cmp_ne_u32_e32 vcc_lo, 8, v8
	v_cmp_eq_u32_e64 s11, 8, v8
	s_and_not1_b32 s82, s82, exec_lo
	s_and_not1_b32 s81, s81, exec_lo
	;; [unrolled: 1-line block ×3, first 2 shown]
	s_and_b32 s80, vcc_lo, exec_lo
	s_and_b32 s20, s11, exec_lo
; %bb.235:                              ;   in Loop: Header=BB98_6 Depth=1
	s_or_b32 exec_lo, exec_lo, s83
	s_delay_alu instid0(SALU_CYCLE_1)
	s_and_not1_b32 s11, s15, exec_lo
	s_and_b32 s15, s82, exec_lo
	s_and_not1_b32 s21, s21, exec_lo
	s_or_b32 s15, s11, s15
	s_and_not1_b32 s11, s22, exec_lo
	s_and_b32 s22, s81, exec_lo
	s_and_b32 s79, s79, exec_lo
	s_or_b32 s22, s11, s22
	s_or_b32 s21, s21, s79
	s_and_b32 s11, s80, exec_lo
	s_and_b32 s20, s20, exec_lo
.LBB98_236:                             ;   in Loop: Header=BB98_6 Depth=1
	s_or_b32 exec_lo, exec_lo, s78
	s_delay_alu instid0(SALU_CYCLE_1)
	s_and_b32 vcc_lo, exec_lo, s23
	s_cbranch_vccz .LBB98_83
.LBB98_237:                             ;   in Loop: Header=BB98_6 Depth=1
	s_cmp_eq_u32 s19, 1
                                        ; implicit-def: $sgpr23
                                        ; implicit-def: $sgpr78
	s_cselect_b32 s15, -1, 0
	s_delay_alu instid0(SALU_CYCLE_1)
	s_and_b32 s22, s15, s10
	s_mov_b32 s10, -1
                                        ; implicit-def: $sgpr15
	s_and_saveexec_b32 s21, s22
	s_cbranch_execz .LBB98_263
; %bb.238:                              ;   in Loop: Header=BB98_6 Depth=1
	ds_load_b32 v1, v9 offset:4096
	s_waitcnt lgkmcnt(0)
	s_barrier
	buffer_gl0_inv
	v_readfirstlane_b32 s15, v1
	s_and_saveexec_b32 s10, s6
	s_cbranch_execz .LBB98_240
; %bb.239:                              ;   in Loop: Header=BB98_6 Depth=1
	ds_store_b16 v20, v9
.LBB98_240:                             ;   in Loop: Header=BB98_6 Depth=1
	s_or_b32 exec_lo, exec_lo, s10
	v_or_b32_e32 v28, s13, v28
	v_or_b32_e32 v27, s13, v27
	s_cmp_eq_u32 s15, 0
	s_waitcnt lgkmcnt(0)
	s_barrier
	buffer_gl0_inv
	s_cbranch_scc1 .LBB98_249
; %bb.241:                              ;   in Loop: Header=BB98_6 Depth=1
	s_add_i32 s10, s15, s53
                                        ; implicit-def: $vgpr29
	s_delay_alu instid0(SALU_CYCLE_1) | instskip(NEXT) | instid1(SALU_CYCLE_1)
	s_mul_hi_u32 s23, s10, s60
	s_mul_i32 s23, s23, s40
	s_delay_alu instid0(SALU_CYCLE_1) | instskip(NEXT) | instid1(SALU_CYCLE_1)
	s_sub_i32 s23, s10, s23
	s_sub_i32 s78, s23, s40
	s_cmp_ge_u32 s23, s40
	s_cselect_b32 s23, s78, s23
	s_delay_alu instid0(SALU_CYCLE_1) | instskip(SKIP_2) | instid1(SALU_CYCLE_1)
	s_sub_i32 s78, s23, s40
	s_cmp_ge_u32 s23, s40
	s_cselect_b32 s23, s78, s23
	s_sub_i32 s78, s10, s23
	s_mov_b32 s10, 0
	s_mov_b32 s23, exec_lo
	v_cmpx_gt_u32_e64 s78, v0
	s_cbranch_execz .LBB98_251
; %bb.242:                              ;   in Loop: Header=BB98_6 Depth=1
	v_dual_mov_b32 v1, v19 :: v_dual_mov_b32 v2, v0
	s_mov_b32 s79, 0
                                        ; implicit-def: $sgpr80
	s_set_inst_prefetch_distance 0x1
	s_branch .LBB98_244
	.p2align	6
.LBB98_243:                             ;   in Loop: Header=BB98_244 Depth=2
	s_or_b32 exec_lo, exec_lo, s10
	s_waitcnt lgkmcnt(0)
	s_barrier
	buffer_gl0_inv
	ds_load_b32 v3, v9 offset:3072
	v_add_nc_u32_e32 v2, s40, v2
	v_add_nc_u32_e32 v1, s64, v1
	s_waitcnt lgkmcnt(0)
	s_barrier
	buffer_gl0_inv
	v_cmp_le_u32_e32 vcc_lo, s78, v2
	v_cmp_neq_f16_e64 s10, 0, v3
	s_delay_alu instid0(VALU_DEP_1) | instskip(NEXT) | instid1(SALU_CYCLE_1)
	s_or_b32 s81, vcc_lo, s10
	s_and_b32 s81, exec_lo, s81
	s_delay_alu instid0(SALU_CYCLE_1) | instskip(SKIP_2) | instid1(SALU_CYCLE_1)
	s_or_b32 s79, s81, s79
	s_and_not1_b32 s80, s80, exec_lo
	s_and_b32 s10, s10, exec_lo
	s_or_b32 s80, s80, s10
	s_and_not1_b32 exec_lo, exec_lo, s79
	s_cbranch_execz .LBB98_250
.LBB98_244:                             ;   Parent Loop BB98_6 Depth=1
                                        ; =>  This Inner Loop Header: Depth=2
	s_delay_alu instid0(VALU_DEP_1)
	v_cmp_gt_u32_e32 vcc_lo, s15, v2
	v_mov_b32_e32 v3, 0
	s_and_saveexec_b32 s10, vcc_lo
	s_cbranch_execz .LBB98_246
; %bb.245:                              ;   in Loop: Header=BB98_244 Depth=2
	ds_load_u16 v3, v1
.LBB98_246:                             ;   in Loop: Header=BB98_244 Depth=2
	s_or_b32 exec_lo, exec_lo, s10
	s_and_saveexec_b32 s10, vcc_lo
	s_cbranch_execz .LBB98_243
; %bb.247:                              ;   in Loop: Header=BB98_244 Depth=2
	s_waitcnt lgkmcnt(0)
	v_cmp_lt_i16_e32 vcc_lo, -1, v3
	v_and_b32_e32 v4, 0xffff, v3
	v_cndmask_b32_e32 v8, 0xffff, v26, vcc_lo
	v_cmp_o_f16_e32 vcc_lo, v3, v3
	s_delay_alu instid0(VALU_DEP_2) | instskip(NEXT) | instid1(VALU_DEP_1)
	v_xor_b32_e32 v4, v8, v4
	v_cndmask_b32_e32 v4, 0xffff, v4, vcc_lo
	s_delay_alu instid0(VALU_DEP_1) | instskip(NEXT) | instid1(VALU_DEP_1)
	v_and_b32_e32 v4, v4, v27
	v_cmp_eq_u32_e32 vcc_lo, v4, v28
	s_and_b32 exec_lo, exec_lo, vcc_lo
	s_cbranch_execz .LBB98_243
; %bb.248:                              ;   in Loop: Header=BB98_244 Depth=2
	v_perm_b32 v3, v3, s66, 0x5040100
	ds_store_b32 v9, v3 offset:3072
	s_branch .LBB98_243
.LBB98_249:                             ;   in Loop: Header=BB98_6 Depth=1
	s_mov_b32 s23, -1
	s_mov_b32 s10, 0
                                        ; implicit-def: $sgpr78
                                        ; implicit-def: $vgpr29
	s_mov_b32 s15, s23
	s_cbranch_execnz .LBB98_252
	s_branch .LBB98_262
.LBB98_250:                             ;   in Loop: Header=BB98_6 Depth=1
	s_set_inst_prefetch_distance 0x2
	s_or_b32 exec_lo, exec_lo, s79
	v_lshrrev_b32_e32 v29, 16, v3
	s_and_b32 s10, s80, exec_lo
.LBB98_251:                             ;   in Loop: Header=BB98_6 Depth=1
	s_or_b32 exec_lo, exec_lo, s23
	s_mov_b32 s23, 0
	s_mov_b32 s78, -1
	s_mov_b32 s15, s23
	s_branch .LBB98_262
.LBB98_252:                             ;   in Loop: Header=BB98_6 Depth=1
	s_mov_b32 s10, 0
                                        ; implicit-def: $vgpr29
	s_and_saveexec_b32 s15, s9
	s_cbranch_execz .LBB98_261
; %bb.253:                              ;   in Loop: Header=BB98_6 Depth=1
	v_dual_mov_b32 v8, v7 :: v_dual_mov_b32 v1, v0
	s_mov_b32 s23, 0
                                        ; implicit-def: $sgpr78
	s_branch .LBB98_255
.LBB98_254:                             ;   in Loop: Header=BB98_255 Depth=2
	s_or_b32 exec_lo, exec_lo, s10
	s_waitcnt vmcnt(0) lgkmcnt(0)
	s_barrier
	buffer_gl0_inv
	ds_load_b32 v2, v9 offset:3072
	v_add_nc_u32_e32 v1, s40, v1
	v_add_nc_u32_e32 v8, s42, v8
	s_waitcnt lgkmcnt(0)
	s_barrier
	buffer_gl0_inv
	v_cmp_le_u32_e32 vcc_lo, s61, v1
	v_cmp_neq_f16_e64 s10, 0, v2
	s_delay_alu instid0(VALU_DEP_1) | instskip(NEXT) | instid1(SALU_CYCLE_1)
	s_or_b32 s79, vcc_lo, s10
	s_and_b32 s79, exec_lo, s79
	s_delay_alu instid0(SALU_CYCLE_1) | instskip(SKIP_2) | instid1(SALU_CYCLE_1)
	s_or_b32 s23, s79, s23
	s_and_not1_b32 s78, s78, exec_lo
	s_and_b32 s10, s10, exec_lo
	s_or_b32 s78, s78, s10
	s_and_not1_b32 exec_lo, exec_lo, s23
	s_cbranch_execz .LBB98_260
.LBB98_255:                             ;   Parent Loop BB98_6 Depth=1
                                        ; =>  This Inner Loop Header: Depth=2
	s_delay_alu instid0(VALU_DEP_1)
	v_cmp_gt_u32_e32 vcc_lo, s24, v1
	v_mov_b32_e32 v2, 0
	s_and_saveexec_b32 s79, vcc_lo
	s_cbranch_execz .LBB98_257
; %bb.256:                              ;   in Loop: Header=BB98_255 Depth=2
	v_lshlrev_b64 v[2:3], 1, v[8:9]
	s_delay_alu instid0(VALU_DEP_1) | instskip(NEXT) | instid1(VALU_DEP_1)
	v_add_co_u32 v2, s10, s29, v2
	v_add_co_ci_u32_e64 v3, s10, s33, v3, s10
	global_load_u16 v2, v[2:3], off
.LBB98_257:                             ;   in Loop: Header=BB98_255 Depth=2
	s_or_b32 exec_lo, exec_lo, s79
	s_and_saveexec_b32 s10, vcc_lo
	s_cbranch_execz .LBB98_254
; %bb.258:                              ;   in Loop: Header=BB98_255 Depth=2
	s_waitcnt vmcnt(0)
	v_cmp_lt_i16_e32 vcc_lo, -1, v2
	v_and_b32_e32 v3, 0xffff, v2
	v_cndmask_b32_e32 v4, 0xffff, v26, vcc_lo
	v_cmp_o_f16_e32 vcc_lo, v2, v2
	s_delay_alu instid0(VALU_DEP_2) | instskip(NEXT) | instid1(VALU_DEP_1)
	v_xor_b32_e32 v3, v4, v3
	v_cndmask_b32_e32 v3, 0xffff, v3, vcc_lo
	s_delay_alu instid0(VALU_DEP_1) | instskip(NEXT) | instid1(VALU_DEP_1)
	v_and_b32_e32 v3, v3, v27
	v_cmp_eq_u32_e32 vcc_lo, v3, v28
	s_and_b32 exec_lo, exec_lo, vcc_lo
	s_cbranch_execz .LBB98_254
; %bb.259:                              ;   in Loop: Header=BB98_255 Depth=2
	v_perm_b32 v2, v2, s66, 0x5040100
	ds_store_b32 v9, v2 offset:3072
	s_branch .LBB98_254
.LBB98_260:                             ;   in Loop: Header=BB98_6 Depth=1
	s_or_b32 exec_lo, exec_lo, s23
	v_lshrrev_b32_e32 v29, 16, v2
	s_and_b32 s10, s78, exec_lo
.LBB98_261:                             ;   in Loop: Header=BB98_6 Depth=1
	s_or_b32 exec_lo, exec_lo, s15
	s_mov_b32 s78, 0
	s_mov_b32 s23, -1
	s_mov_b32 s15, 0
.LBB98_262:                             ;   in Loop: Header=BB98_6 Depth=1
	s_or_not1_b32 s10, s10, exec_lo
.LBB98_263:                             ;   in Loop: Header=BB98_6 Depth=1
	s_or_b32 exec_lo, exec_lo, s21
                                        ; implicit-def: $vgpr8
                                        ; implicit-def: $vgpr4
                                        ; implicit-def: $vgpr1
                                        ; implicit-def: $vgpr2
                                        ; implicit-def: $vgpr3
	s_and_saveexec_b32 s21, s10
	s_cbranch_execz .LBB98_398
; %bb.264:                              ;   in Loop: Header=BB98_6 Depth=1
	v_mov_b32_e32 v4, 1
	v_mov_b32_e32 v8, 1
	s_xor_b32 s22, s22, -1
	s_mov_b32 s82, 0
	s_and_saveexec_b32 s10, s22
	s_cbranch_execz .LBB98_274
; %bb.265:                              ;   in Loop: Header=BB98_6 Depth=1
	s_mov_b32 s79, exec_lo
                                        ; implicit-def: $sgpr80
                                        ; implicit-def: $sgpr22
	v_cmpx_ge_u32_e64 s19, v30
	s_xor_b32 s79, exec_lo, s79
	s_cbranch_execz .LBB98_271
; %bb.266:                              ;   in Loop: Header=BB98_6 Depth=1
	ds_load_b32 v1, v9 offset:4096
	s_waitcnt lgkmcnt(0)
	v_cmp_ne_u32_e32 vcc_lo, 0, v1
	s_cbranch_vccnz .LBB98_270
; %bb.267:                              ;   in Loop: Header=BB98_6 Depth=1
	s_and_saveexec_b32 s22, s5
	s_cbranch_execz .LBB98_269
; %bb.268:                              ;   in Loop: Header=BB98_6 Depth=1
	v_mov_b32_e32 v1, s19
	ds_store_b32 v9, v1 offset:4100
.LBB98_269:                             ;   in Loop: Header=BB98_6 Depth=1
	s_or_b32 exec_lo, exec_lo, s22
	s_waitcnt lgkmcnt(0)
	s_barrier
	buffer_gl0_inv
.LBB98_270:                             ;   in Loop: Header=BB98_6 Depth=1
	v_or_b32_e32 v28, s13, v28
	v_or_b32_e32 v27, s13, v27
	s_mov_b32 s22, 0
	s_mov_b32 s80, 5
.LBB98_271:                             ;   in Loop: Header=BB98_6 Depth=1
	s_or_saveexec_b32 s79, s79
	v_mov_b32_e32 v8, s80
	s_xor_b32 exec_lo, exec_lo, s79
; %bb.272:                              ;   in Loop: Header=BB98_6 Depth=1
	v_subrev_nc_u32_e32 v30, s19, v30
	v_mov_b32_e32 v8, 0
	s_or_b32 s22, s22, exec_lo
; %bb.273:                              ;   in Loop: Header=BB98_6 Depth=1
	s_or_b32 exec_lo, exec_lo, s79
	s_delay_alu instid0(VALU_DEP_2)
	v_mov_b32_e32 v4, v30
	s_and_b32 s82, s22, exec_lo
.LBB98_274:                             ;   in Loop: Header=BB98_6 Depth=1
	s_or_b32 exec_lo, exec_lo, s10
	s_mov_b32 s80, -1
                                        ; implicit-def: $sgpr22
                                        ; implicit-def: $sgpr79
                                        ; implicit-def: $sgpr81
	s_and_saveexec_b32 s10, s82
	s_delay_alu instid0(SALU_CYCLE_1)
	s_xor_b32 s19, exec_lo, s10
	s_cbranch_execz .LBB98_395
; %bb.275:                              ;   in Loop: Header=BB98_6 Depth=1
	v_cmp_eq_u32_e32 vcc_lo, 1, v4
	s_cmp_eq_u32 s18, 1
                                        ; implicit-def: $sgpr22
                                        ; implicit-def: $sgpr79
                                        ; implicit-def: $sgpr80
	s_cselect_b32 s10, -1, 0
	s_delay_alu instid0(SALU_CYCLE_1)
	s_and_b32 s82, s10, vcc_lo
	s_mov_b32 s10, -1
	s_and_saveexec_b32 s81, s82
	s_cbranch_execz .LBB98_301
; %bb.276:                              ;   in Loop: Header=BB98_6 Depth=1
	ds_load_b32 v1, v9 offset:4096
	s_waitcnt lgkmcnt(0)
	s_barrier
	buffer_gl0_inv
	v_readfirstlane_b32 s22, v1
	s_and_saveexec_b32 s10, s6
	s_cbranch_execz .LBB98_278
; %bb.277:                              ;   in Loop: Header=BB98_6 Depth=1
	ds_store_b16 v20, v9
.LBB98_278:                             ;   in Loop: Header=BB98_6 Depth=1
	s_or_b32 exec_lo, exec_lo, s10
	s_lshl_b32 s10, 2, s17
	v_or_b32_e32 v27, s13, v27
	v_and_or_b32 v28, v28, s14, s10
	s_cmp_eq_u32 s22, 0
	s_waitcnt lgkmcnt(0)
	s_barrier
	buffer_gl0_inv
	s_cbranch_scc1 .LBB98_287
; %bb.279:                              ;   in Loop: Header=BB98_6 Depth=1
	s_add_i32 s10, s22, s53
                                        ; implicit-def: $vgpr29
	s_delay_alu instid0(SALU_CYCLE_1) | instskip(NEXT) | instid1(SALU_CYCLE_1)
	s_mul_hi_u32 s79, s10, s60
	s_mul_i32 s79, s79, s40
	s_delay_alu instid0(SALU_CYCLE_1) | instskip(NEXT) | instid1(SALU_CYCLE_1)
	s_sub_i32 s79, s10, s79
	s_sub_i32 s80, s79, s40
	s_cmp_ge_u32 s79, s40
	s_cselect_b32 s79, s80, s79
	s_delay_alu instid0(SALU_CYCLE_1) | instskip(SKIP_2) | instid1(SALU_CYCLE_1)
	s_sub_i32 s80, s79, s40
	s_cmp_ge_u32 s79, s40
	s_cselect_b32 s79, s80, s79
	s_sub_i32 s80, s10, s79
	s_mov_b32 s10, 0
	s_mov_b32 s79, exec_lo
	v_cmpx_gt_u32_e64 s80, v0
	s_cbranch_execz .LBB98_289
; %bb.280:                              ;   in Loop: Header=BB98_6 Depth=1
	v_dual_mov_b32 v1, v19 :: v_dual_mov_b32 v2, v0
	s_mov_b32 s83, 0
                                        ; implicit-def: $sgpr84
	s_set_inst_prefetch_distance 0x1
	s_branch .LBB98_282
	.p2align	6
.LBB98_281:                             ;   in Loop: Header=BB98_282 Depth=2
	s_or_b32 exec_lo, exec_lo, s10
	s_waitcnt lgkmcnt(0)
	s_barrier
	buffer_gl0_inv
	ds_load_b32 v3, v9 offset:3072
	v_add_nc_u32_e32 v2, s40, v2
	v_add_nc_u32_e32 v1, s64, v1
	s_waitcnt lgkmcnt(0)
	s_barrier
	buffer_gl0_inv
	v_cmp_le_u32_e32 vcc_lo, s80, v2
	v_cmp_neq_f16_e64 s10, 0, v3
	s_delay_alu instid0(VALU_DEP_1) | instskip(NEXT) | instid1(SALU_CYCLE_1)
	s_or_b32 s85, vcc_lo, s10
	s_and_b32 s85, exec_lo, s85
	s_delay_alu instid0(SALU_CYCLE_1) | instskip(SKIP_2) | instid1(SALU_CYCLE_1)
	s_or_b32 s83, s85, s83
	s_and_not1_b32 s84, s84, exec_lo
	s_and_b32 s10, s10, exec_lo
	s_or_b32 s84, s84, s10
	s_and_not1_b32 exec_lo, exec_lo, s83
	s_cbranch_execz .LBB98_288
.LBB98_282:                             ;   Parent Loop BB98_6 Depth=1
                                        ; =>  This Inner Loop Header: Depth=2
	s_delay_alu instid0(VALU_DEP_1)
	v_cmp_gt_u32_e32 vcc_lo, s22, v2
	v_mov_b32_e32 v3, 0
	s_and_saveexec_b32 s10, vcc_lo
	s_cbranch_execz .LBB98_284
; %bb.283:                              ;   in Loop: Header=BB98_282 Depth=2
	ds_load_u16 v3, v1
.LBB98_284:                             ;   in Loop: Header=BB98_282 Depth=2
	s_or_b32 exec_lo, exec_lo, s10
	s_and_saveexec_b32 s10, vcc_lo
	s_cbranch_execz .LBB98_281
; %bb.285:                              ;   in Loop: Header=BB98_282 Depth=2
	s_waitcnt lgkmcnt(0)
	v_cmp_lt_i16_e32 vcc_lo, -1, v3
	v_dual_cndmask_b32 v29, 0xffff, v26 :: v_dual_and_b32 v8, 0xffff, v3
	v_cmp_o_f16_e32 vcc_lo, v3, v3
	s_delay_alu instid0(VALU_DEP_2) | instskip(NEXT) | instid1(VALU_DEP_1)
	v_xor_b32_e32 v8, v29, v8
	v_cndmask_b32_e32 v8, 0xffff, v8, vcc_lo
	s_delay_alu instid0(VALU_DEP_1) | instskip(NEXT) | instid1(VALU_DEP_1)
	v_and_b32_e32 v8, v8, v27
	v_cmp_eq_u32_e32 vcc_lo, v8, v28
	s_and_b32 exec_lo, exec_lo, vcc_lo
	s_cbranch_execz .LBB98_281
; %bb.286:                              ;   in Loop: Header=BB98_282 Depth=2
	v_perm_b32 v3, v3, s66, 0x5040100
	ds_store_b32 v9, v3 offset:3072
	s_branch .LBB98_281
.LBB98_287:                             ;   in Loop: Header=BB98_6 Depth=1
	s_mov_b32 s22, -1
	s_mov_b32 s10, 0
                                        ; implicit-def: $sgpr79
                                        ; implicit-def: $vgpr29
	s_mov_b32 s80, s22
	s_cbranch_execnz .LBB98_290
	s_branch .LBB98_300
.LBB98_288:                             ;   in Loop: Header=BB98_6 Depth=1
	s_set_inst_prefetch_distance 0x2
	s_or_b32 exec_lo, exec_lo, s83
	v_lshrrev_b32_e32 v29, 16, v3
	s_and_b32 s10, s84, exec_lo
.LBB98_289:                             ;   in Loop: Header=BB98_6 Depth=1
	s_or_b32 exec_lo, exec_lo, s79
	s_mov_b32 s22, 0
	s_mov_b32 s79, -1
	s_mov_b32 s80, s22
	s_branch .LBB98_300
.LBB98_290:                             ;   in Loop: Header=BB98_6 Depth=1
	s_mov_b32 s10, 0
                                        ; implicit-def: $vgpr29
	s_and_saveexec_b32 s22, s9
	s_cbranch_execz .LBB98_299
; %bb.291:                              ;   in Loop: Header=BB98_6 Depth=1
	v_dual_mov_b32 v8, v7 :: v_dual_mov_b32 v1, v0
	s_mov_b32 s79, 0
                                        ; implicit-def: $sgpr80
	s_branch .LBB98_293
.LBB98_292:                             ;   in Loop: Header=BB98_293 Depth=2
	s_or_b32 exec_lo, exec_lo, s10
	s_waitcnt vmcnt(0) lgkmcnt(0)
	s_barrier
	buffer_gl0_inv
	ds_load_b32 v2, v9 offset:3072
	v_add_nc_u32_e32 v1, s40, v1
	v_add_nc_u32_e32 v8, s42, v8
	s_waitcnt lgkmcnt(0)
	s_barrier
	buffer_gl0_inv
	v_cmp_le_u32_e32 vcc_lo, s61, v1
	v_cmp_neq_f16_e64 s10, 0, v2
	s_delay_alu instid0(VALU_DEP_1) | instskip(NEXT) | instid1(SALU_CYCLE_1)
	s_or_b32 s83, vcc_lo, s10
	s_and_b32 s83, exec_lo, s83
	s_delay_alu instid0(SALU_CYCLE_1) | instskip(SKIP_2) | instid1(SALU_CYCLE_1)
	s_or_b32 s79, s83, s79
	s_and_not1_b32 s80, s80, exec_lo
	s_and_b32 s10, s10, exec_lo
	s_or_b32 s80, s80, s10
	s_and_not1_b32 exec_lo, exec_lo, s79
	s_cbranch_execz .LBB98_298
.LBB98_293:                             ;   Parent Loop BB98_6 Depth=1
                                        ; =>  This Inner Loop Header: Depth=2
	s_delay_alu instid0(VALU_DEP_1)
	v_cmp_gt_u32_e32 vcc_lo, s24, v1
	v_mov_b32_e32 v2, 0
	s_and_saveexec_b32 s83, vcc_lo
	s_cbranch_execz .LBB98_295
; %bb.294:                              ;   in Loop: Header=BB98_293 Depth=2
	v_lshlrev_b64 v[2:3], 1, v[8:9]
	s_delay_alu instid0(VALU_DEP_1) | instskip(NEXT) | instid1(VALU_DEP_1)
	v_add_co_u32 v2, s10, s29, v2
	v_add_co_ci_u32_e64 v3, s10, s33, v3, s10
	global_load_u16 v2, v[2:3], off
.LBB98_295:                             ;   in Loop: Header=BB98_293 Depth=2
	s_or_b32 exec_lo, exec_lo, s83
	s_and_saveexec_b32 s10, vcc_lo
	s_cbranch_execz .LBB98_292
; %bb.296:                              ;   in Loop: Header=BB98_293 Depth=2
	s_waitcnt vmcnt(0)
	v_cmp_lt_i16_e32 vcc_lo, -1, v2
	v_and_b32_e32 v3, 0xffff, v2
	v_cndmask_b32_e32 v29, 0xffff, v26, vcc_lo
	v_cmp_o_f16_e32 vcc_lo, v2, v2
	s_delay_alu instid0(VALU_DEP_2) | instskip(NEXT) | instid1(VALU_DEP_1)
	v_xor_b32_e32 v3, v29, v3
	v_cndmask_b32_e32 v3, 0xffff, v3, vcc_lo
	s_delay_alu instid0(VALU_DEP_1) | instskip(NEXT) | instid1(VALU_DEP_1)
	v_and_b32_e32 v3, v3, v27
	v_cmp_eq_u32_e32 vcc_lo, v3, v28
	s_and_b32 exec_lo, exec_lo, vcc_lo
	s_cbranch_execz .LBB98_292
; %bb.297:                              ;   in Loop: Header=BB98_293 Depth=2
	v_perm_b32 v2, v2, s66, 0x5040100
	ds_store_b32 v9, v2 offset:3072
	s_branch .LBB98_292
.LBB98_298:                             ;   in Loop: Header=BB98_6 Depth=1
	s_or_b32 exec_lo, exec_lo, s79
	v_lshrrev_b32_e32 v29, 16, v2
	s_and_b32 s10, s80, exec_lo
.LBB98_299:                             ;   in Loop: Header=BB98_6 Depth=1
	s_or_b32 exec_lo, exec_lo, s22
	s_mov_b32 s79, 0
	s_mov_b32 s22, -1
	s_mov_b32 s80, 0
.LBB98_300:                             ;   in Loop: Header=BB98_6 Depth=1
	s_or_not1_b32 s10, s10, exec_lo
.LBB98_301:                             ;   in Loop: Header=BB98_6 Depth=1
	s_or_b32 exec_lo, exec_lo, s81
	s_mov_b32 s83, 0
                                        ; implicit-def: $vgpr8
	s_and_saveexec_b32 s81, s10
	s_cbranch_execz .LBB98_394
; %bb.302:                              ;   in Loop: Header=BB98_6 Depth=1
	v_dual_mov_b32 v1, 1 :: v_dual_mov_b32 v8, 1
	s_xor_b32 s82, s82, -1
	s_mov_b32 s84, 0
	s_and_saveexec_b32 s10, s82
	s_cbranch_execz .LBB98_312
; %bb.303:                              ;   in Loop: Header=BB98_6 Depth=1
	s_mov_b32 s83, exec_lo
                                        ; implicit-def: $sgpr84
                                        ; implicit-def: $sgpr82
	v_cmpx_ge_u32_e64 s18, v4
	s_xor_b32 s83, exec_lo, s83
	s_cbranch_execz .LBB98_309
; %bb.304:                              ;   in Loop: Header=BB98_6 Depth=1
	ds_load_b32 v1, v9 offset:4096
	s_waitcnt lgkmcnt(0)
	v_cmp_ne_u32_e32 vcc_lo, 0, v1
	s_cbranch_vccnz .LBB98_308
; %bb.305:                              ;   in Loop: Header=BB98_6 Depth=1
	s_and_saveexec_b32 s82, s5
	s_cbranch_execz .LBB98_307
; %bb.306:                              ;   in Loop: Header=BB98_6 Depth=1
	v_mov_b32_e32 v1, s18
	ds_store_b32 v9, v1 offset:4100
.LBB98_307:                             ;   in Loop: Header=BB98_6 Depth=1
	s_or_b32 exec_lo, exec_lo, s82
	s_waitcnt lgkmcnt(0)
	s_barrier
	buffer_gl0_inv
.LBB98_308:                             ;   in Loop: Header=BB98_6 Depth=1
	s_lshl_b32 s82, 2, s17
	v_or_b32_e32 v27, s13, v27
	v_and_or_b32 v28, v28, s14, s82
	s_mov_b32 s82, 0
	s_mov_b32 s84, 5
.LBB98_309:                             ;   in Loop: Header=BB98_6 Depth=1
	s_or_saveexec_b32 s83, s83
	v_mov_b32_e32 v8, s84
	s_xor_b32 exec_lo, exec_lo, s83
; %bb.310:                              ;   in Loop: Header=BB98_6 Depth=1
	v_subrev_nc_u32_e32 v4, s18, v4
	v_mov_b32_e32 v8, 0
	s_or_b32 s82, s82, exec_lo
; %bb.311:                              ;   in Loop: Header=BB98_6 Depth=1
	s_or_b32 exec_lo, exec_lo, s83
	s_delay_alu instid0(VALU_DEP_2)
	v_mov_b32_e32 v1, v4
	s_and_b32 s84, s82, exec_lo
.LBB98_312:                             ;   in Loop: Header=BB98_6 Depth=1
	s_or_b32 exec_lo, exec_lo, s10
	s_mov_b32 s10, -1
                                        ; implicit-def: $sgpr82
                                        ; implicit-def: $sgpr83
                                        ; implicit-def: $sgpr85
	s_and_saveexec_b32 s18, s84
	s_cbranch_execz .LBB98_393
; %bb.313:                              ;   in Loop: Header=BB98_6 Depth=1
	v_cmp_eq_u32_e32 vcc_lo, 1, v1
	s_cmp_eq_u32 s16, 1
                                        ; implicit-def: $sgpr82
                                        ; implicit-def: $sgpr83
                                        ; implicit-def: $sgpr84
	s_cselect_b32 s10, -1, 0
	s_delay_alu instid0(SALU_CYCLE_1)
	s_and_b32 s86, s10, vcc_lo
	s_mov_b32 s10, -1
	s_and_saveexec_b32 s85, s86
	s_cbranch_execz .LBB98_339
; %bb.314:                              ;   in Loop: Header=BB98_6 Depth=1
	ds_load_b32 v2, v9 offset:4096
	s_waitcnt lgkmcnt(0)
	s_barrier
	buffer_gl0_inv
	v_readfirstlane_b32 s82, v2
	s_and_saveexec_b32 s10, s6
	s_cbranch_execz .LBB98_316
; %bb.315:                              ;   in Loop: Header=BB98_6 Depth=1
	ds_store_b16 v20, v9
.LBB98_316:                             ;   in Loop: Header=BB98_6 Depth=1
	s_or_b32 exec_lo, exec_lo, s10
	s_lshl_b32 s10, 1, s17
	v_or_b32_e32 v27, s13, v27
	v_and_or_b32 v28, v28, s14, s10
	s_cmp_eq_u32 s82, 0
	s_waitcnt lgkmcnt(0)
	s_barrier
	buffer_gl0_inv
	s_cbranch_scc1 .LBB98_325
; %bb.317:                              ;   in Loop: Header=BB98_6 Depth=1
	s_add_i32 s10, s82, s53
                                        ; implicit-def: $vgpr29
	s_delay_alu instid0(SALU_CYCLE_1) | instskip(NEXT) | instid1(SALU_CYCLE_1)
	s_mul_hi_u32 s83, s10, s60
	s_mul_i32 s83, s83, s40
	s_delay_alu instid0(SALU_CYCLE_1) | instskip(NEXT) | instid1(SALU_CYCLE_1)
	s_sub_i32 s83, s10, s83
	s_sub_i32 s84, s83, s40
	s_cmp_ge_u32 s83, s40
	s_cselect_b32 s83, s84, s83
	s_delay_alu instid0(SALU_CYCLE_1) | instskip(SKIP_2) | instid1(SALU_CYCLE_1)
	s_sub_i32 s84, s83, s40
	s_cmp_ge_u32 s83, s40
	s_cselect_b32 s83, s84, s83
	s_sub_i32 s84, s10, s83
	s_mov_b32 s10, 0
	s_mov_b32 s83, exec_lo
	v_cmpx_gt_u32_e64 s84, v0
	s_cbranch_execz .LBB98_327
; %bb.318:                              ;   in Loop: Header=BB98_6 Depth=1
	v_dual_mov_b32 v2, v19 :: v_dual_mov_b32 v3, v0
	s_mov_b32 s87, 0
                                        ; implicit-def: $sgpr88
	s_set_inst_prefetch_distance 0x1
	s_branch .LBB98_320
	.p2align	6
.LBB98_319:                             ;   in Loop: Header=BB98_320 Depth=2
	s_or_b32 exec_lo, exec_lo, s10
	s_waitcnt lgkmcnt(0)
	s_barrier
	buffer_gl0_inv
	ds_load_b32 v4, v9 offset:3072
	v_add_nc_u32_e32 v3, s40, v3
	v_add_nc_u32_e32 v2, s64, v2
	s_waitcnt lgkmcnt(0)
	s_barrier
	buffer_gl0_inv
	v_cmp_le_u32_e32 vcc_lo, s84, v3
	v_cmp_neq_f16_e64 s10, 0, v4
	s_delay_alu instid0(VALU_DEP_1) | instskip(NEXT) | instid1(SALU_CYCLE_1)
	s_or_b32 s89, vcc_lo, s10
	s_and_b32 s89, exec_lo, s89
	s_delay_alu instid0(SALU_CYCLE_1) | instskip(SKIP_2) | instid1(SALU_CYCLE_1)
	s_or_b32 s87, s89, s87
	s_and_not1_b32 s88, s88, exec_lo
	s_and_b32 s10, s10, exec_lo
	s_or_b32 s88, s88, s10
	s_and_not1_b32 exec_lo, exec_lo, s87
	s_cbranch_execz .LBB98_326
.LBB98_320:                             ;   Parent Loop BB98_6 Depth=1
                                        ; =>  This Inner Loop Header: Depth=2
	s_delay_alu instid0(VALU_DEP_1)
	v_cmp_gt_u32_e32 vcc_lo, s82, v3
	v_mov_b32_e32 v4, 0
	s_and_saveexec_b32 s10, vcc_lo
	s_cbranch_execz .LBB98_322
; %bb.321:                              ;   in Loop: Header=BB98_320 Depth=2
	ds_load_u16 v4, v2
.LBB98_322:                             ;   in Loop: Header=BB98_320 Depth=2
	s_or_b32 exec_lo, exec_lo, s10
	s_and_saveexec_b32 s10, vcc_lo
	s_cbranch_execz .LBB98_319
; %bb.323:                              ;   in Loop: Header=BB98_320 Depth=2
	s_waitcnt lgkmcnt(0)
	v_cmp_lt_i16_e32 vcc_lo, -1, v4
	v_dual_cndmask_b32 v29, 0xffff, v26 :: v_dual_and_b32 v8, 0xffff, v4
	v_cmp_o_f16_e32 vcc_lo, v4, v4
	s_delay_alu instid0(VALU_DEP_2) | instskip(NEXT) | instid1(VALU_DEP_1)
	v_xor_b32_e32 v8, v29, v8
	v_cndmask_b32_e32 v8, 0xffff, v8, vcc_lo
	s_delay_alu instid0(VALU_DEP_1) | instskip(NEXT) | instid1(VALU_DEP_1)
	v_and_b32_e32 v8, v8, v27
	v_cmp_eq_u32_e32 vcc_lo, v8, v28
	s_and_b32 exec_lo, exec_lo, vcc_lo
	s_cbranch_execz .LBB98_319
; %bb.324:                              ;   in Loop: Header=BB98_320 Depth=2
	v_perm_b32 v4, v4, s66, 0x5040100
	ds_store_b32 v9, v4 offset:3072
	s_branch .LBB98_319
.LBB98_325:                             ;   in Loop: Header=BB98_6 Depth=1
	s_mov_b32 s82, -1
	s_mov_b32 s10, 0
                                        ; implicit-def: $sgpr83
                                        ; implicit-def: $vgpr29
	s_mov_b32 s84, s82
	s_cbranch_execnz .LBB98_328
	s_branch .LBB98_338
.LBB98_326:                             ;   in Loop: Header=BB98_6 Depth=1
	s_set_inst_prefetch_distance 0x2
	s_or_b32 exec_lo, exec_lo, s87
	v_lshrrev_b32_e32 v29, 16, v4
	s_and_b32 s10, s88, exec_lo
.LBB98_327:                             ;   in Loop: Header=BB98_6 Depth=1
	s_or_b32 exec_lo, exec_lo, s83
	s_mov_b32 s82, 0
	s_mov_b32 s83, -1
	s_mov_b32 s84, s82
	s_branch .LBB98_338
.LBB98_328:                             ;   in Loop: Header=BB98_6 Depth=1
	s_mov_b32 s10, 0
                                        ; implicit-def: $vgpr29
	s_and_saveexec_b32 s82, s9
	s_cbranch_execz .LBB98_337
; %bb.329:                              ;   in Loop: Header=BB98_6 Depth=1
	v_mov_b32_e32 v8, v7
	v_mov_b32_e32 v2, v0
	s_mov_b32 s83, 0
                                        ; implicit-def: $sgpr84
	s_branch .LBB98_331
.LBB98_330:                             ;   in Loop: Header=BB98_331 Depth=2
	s_or_b32 exec_lo, exec_lo, s10
	s_waitcnt vmcnt(0) lgkmcnt(0)
	s_barrier
	buffer_gl0_inv
	ds_load_b32 v3, v9 offset:3072
	v_add_nc_u32_e32 v2, s40, v2
	v_add_nc_u32_e32 v8, s42, v8
	s_waitcnt lgkmcnt(0)
	s_barrier
	buffer_gl0_inv
	v_cmp_le_u32_e32 vcc_lo, s61, v2
	v_cmp_neq_f16_e64 s10, 0, v3
	s_delay_alu instid0(VALU_DEP_1) | instskip(NEXT) | instid1(SALU_CYCLE_1)
	s_or_b32 s87, vcc_lo, s10
	s_and_b32 s87, exec_lo, s87
	s_delay_alu instid0(SALU_CYCLE_1) | instskip(SKIP_2) | instid1(SALU_CYCLE_1)
	s_or_b32 s83, s87, s83
	s_and_not1_b32 s84, s84, exec_lo
	s_and_b32 s10, s10, exec_lo
	s_or_b32 s84, s84, s10
	s_and_not1_b32 exec_lo, exec_lo, s83
	s_cbranch_execz .LBB98_336
.LBB98_331:                             ;   Parent Loop BB98_6 Depth=1
                                        ; =>  This Inner Loop Header: Depth=2
	s_delay_alu instid0(VALU_DEP_1)
	v_cmp_gt_u32_e32 vcc_lo, s24, v2
	v_mov_b32_e32 v3, 0
	s_and_saveexec_b32 s87, vcc_lo
	s_cbranch_execz .LBB98_333
; %bb.332:                              ;   in Loop: Header=BB98_331 Depth=2
	v_lshlrev_b64 v[3:4], 1, v[8:9]
	s_delay_alu instid0(VALU_DEP_1) | instskip(NEXT) | instid1(VALU_DEP_1)
	v_add_co_u32 v3, s10, s29, v3
	v_add_co_ci_u32_e64 v4, s10, s33, v4, s10
	global_load_u16 v3, v[3:4], off
.LBB98_333:                             ;   in Loop: Header=BB98_331 Depth=2
	s_or_b32 exec_lo, exec_lo, s87
	s_and_saveexec_b32 s10, vcc_lo
	s_cbranch_execz .LBB98_330
; %bb.334:                              ;   in Loop: Header=BB98_331 Depth=2
	s_waitcnt vmcnt(0)
	v_cmp_lt_i16_e32 vcc_lo, -1, v3
	v_dual_cndmask_b32 v29, 0xffff, v26 :: v_dual_and_b32 v4, 0xffff, v3
	v_cmp_o_f16_e32 vcc_lo, v3, v3
	s_delay_alu instid0(VALU_DEP_2) | instskip(NEXT) | instid1(VALU_DEP_1)
	v_xor_b32_e32 v4, v29, v4
	v_cndmask_b32_e32 v4, 0xffff, v4, vcc_lo
	s_delay_alu instid0(VALU_DEP_1) | instskip(NEXT) | instid1(VALU_DEP_1)
	v_and_b32_e32 v4, v4, v27
	v_cmp_eq_u32_e32 vcc_lo, v4, v28
	s_and_b32 exec_lo, exec_lo, vcc_lo
	s_cbranch_execz .LBB98_330
; %bb.335:                              ;   in Loop: Header=BB98_331 Depth=2
	v_perm_b32 v3, v3, s66, 0x5040100
	ds_store_b32 v9, v3 offset:3072
	s_branch .LBB98_330
.LBB98_336:                             ;   in Loop: Header=BB98_6 Depth=1
	s_or_b32 exec_lo, exec_lo, s83
	v_lshrrev_b32_e32 v29, 16, v3
	s_and_b32 s10, s84, exec_lo
.LBB98_337:                             ;   in Loop: Header=BB98_6 Depth=1
	s_or_b32 exec_lo, exec_lo, s82
	s_mov_b32 s83, 0
	s_mov_b32 s82, -1
	s_mov_b32 s84, 0
.LBB98_338:                             ;   in Loop: Header=BB98_6 Depth=1
	s_or_not1_b32 s10, s10, exec_lo
.LBB98_339:                             ;   in Loop: Header=BB98_6 Depth=1
	s_or_b32 exec_lo, exec_lo, s85
	s_mov_b32 s87, 0
                                        ; implicit-def: $vgpr8
	s_and_saveexec_b32 s85, s10
	s_cbranch_execz .LBB98_392
; %bb.340:                              ;   in Loop: Header=BB98_6 Depth=1
	v_mov_b32_e32 v2, 1
	v_mov_b32_e32 v8, 1
	s_xor_b32 s87, s86, -1
	s_mov_b32 s86, 0
	s_and_saveexec_b32 s10, s87
	s_cbranch_execz .LBB98_350
; %bb.341:                              ;   in Loop: Header=BB98_6 Depth=1
	s_mov_b32 s87, exec_lo
                                        ; implicit-def: $sgpr88
                                        ; implicit-def: $sgpr86
	v_cmpx_ge_u32_e64 s16, v1
	s_xor_b32 s87, exec_lo, s87
	s_cbranch_execz .LBB98_347
; %bb.342:                              ;   in Loop: Header=BB98_6 Depth=1
	ds_load_b32 v2, v9 offset:4096
	s_waitcnt lgkmcnt(0)
	v_cmp_ne_u32_e32 vcc_lo, 0, v2
	s_cbranch_vccnz .LBB98_346
; %bb.343:                              ;   in Loop: Header=BB98_6 Depth=1
	s_and_saveexec_b32 s86, s5
	s_cbranch_execz .LBB98_345
; %bb.344:                              ;   in Loop: Header=BB98_6 Depth=1
	v_mov_b32_e32 v2, s16
	ds_store_b32 v9, v2 offset:4100
.LBB98_345:                             ;   in Loop: Header=BB98_6 Depth=1
	s_or_b32 exec_lo, exec_lo, s86
	s_waitcnt lgkmcnt(0)
	s_barrier
	buffer_gl0_inv
.LBB98_346:                             ;   in Loop: Header=BB98_6 Depth=1
	s_lshl_b32 s17, 1, s17
	v_or_b32_e32 v27, s13, v27
	v_and_or_b32 v28, v28, s14, s17
	s_mov_b32 s86, 0
	s_mov_b32 s88, 5
.LBB98_347:                             ;   in Loop: Header=BB98_6 Depth=1
	s_or_saveexec_b32 s17, s87
	v_mov_b32_e32 v8, s88
	s_xor_b32 exec_lo, exec_lo, s17
; %bb.348:                              ;   in Loop: Header=BB98_6 Depth=1
	v_subrev_nc_u32_e32 v1, s16, v1
	v_mov_b32_e32 v8, 0
	s_or_b32 s86, s86, exec_lo
; %bb.349:                              ;   in Loop: Header=BB98_6 Depth=1
	s_or_b32 exec_lo, exec_lo, s17
	s_delay_alu instid0(VALU_DEP_2)
	v_mov_b32_e32 v2, v1
	s_and_b32 s86, s86, exec_lo
.LBB98_350:                             ;   in Loop: Header=BB98_6 Depth=1
	s_or_b32 exec_lo, exec_lo, s10
	s_mov_b32 s17, -1
                                        ; implicit-def: $sgpr10
                                        ; implicit-def: $sgpr87
                                        ; implicit-def: $sgpr88
	s_and_saveexec_b32 s16, s86
	s_cbranch_execz .LBB98_391
; %bb.351:                              ;   in Loop: Header=BB98_6 Depth=1
	v_cmp_eq_u32_e32 vcc_lo, 1, v2
	s_cmp_eq_u32 s12, 1
	s_mov_b32 s89, -1
	s_cselect_b32 s10, -1, 0
                                        ; implicit-def: $sgpr87
                                        ; implicit-def: $sgpr88
	s_delay_alu instid0(SALU_CYCLE_1) | instskip(NEXT) | instid1(SALU_CYCLE_1)
	s_and_b32 s17, s10, vcc_lo
                                        ; implicit-def: $sgpr10
	s_and_saveexec_b32 s86, s17
	s_cbranch_execz .LBB98_378
; %bb.352:                              ;   in Loop: Header=BB98_6 Depth=1
	ds_load_b32 v1, v9 offset:4096
	s_waitcnt lgkmcnt(0)
	s_barrier
	buffer_gl0_inv
	v_readfirstlane_b32 s87, v1
	s_and_saveexec_b32 s10, s6
	s_cbranch_execz .LBB98_354
; %bb.353:                              ;   in Loop: Header=BB98_6 Depth=1
	ds_store_b16 v20, v9
.LBB98_354:                             ;   in Loop: Header=BB98_6 Depth=1
	s_or_b32 exec_lo, exec_lo, s10
	v_and_b32_e32 v28, s14, v28
	v_or_b32_e32 v27, s13, v27
	s_cmp_eq_u32 s87, 0
	s_waitcnt lgkmcnt(0)
	s_barrier
	buffer_gl0_inv
	s_cbranch_scc1 .LBB98_363
; %bb.355:                              ;   in Loop: Header=BB98_6 Depth=1
	s_add_i32 s10, s87, s53
                                        ; implicit-def: $vgpr29
	s_delay_alu instid0(SALU_CYCLE_1) | instskip(NEXT) | instid1(SALU_CYCLE_1)
	s_mul_hi_u32 s88, s10, s60
	s_mul_i32 s88, s88, s40
	s_delay_alu instid0(SALU_CYCLE_1) | instskip(NEXT) | instid1(SALU_CYCLE_1)
	s_sub_i32 s88, s10, s88
	s_sub_i32 s89, s88, s40
	s_cmp_ge_u32 s88, s40
	s_cselect_b32 s88, s89, s88
	s_delay_alu instid0(SALU_CYCLE_1)
	s_sub_i32 s89, s88, s40
	s_cmp_ge_u32 s88, s40
	s_cselect_b32 s88, s89, s88
	s_mov_b32 s89, 0
	s_sub_i32 s90, s10, s88
	s_mov_b32 s88, exec_lo
	v_cmpx_gt_u32_e64 s90, v0
	s_cbranch_execz .LBB98_365
; %bb.356:                              ;   in Loop: Header=BB98_6 Depth=1
	v_mov_b32_e32 v1, v19
	v_mov_b32_e32 v3, v0
                                        ; implicit-def: $sgpr91
	s_set_inst_prefetch_distance 0x1
	s_branch .LBB98_358
	.p2align	6
.LBB98_357:                             ;   in Loop: Header=BB98_358 Depth=2
	s_or_b32 exec_lo, exec_lo, s10
	s_waitcnt lgkmcnt(0)
	s_barrier
	buffer_gl0_inv
	ds_load_b32 v4, v9 offset:3072
	v_add_nc_u32_e32 v3, s40, v3
	v_add_nc_u32_e32 v1, s64, v1
	s_waitcnt lgkmcnt(0)
	s_barrier
	buffer_gl0_inv
	v_cmp_le_u32_e32 vcc_lo, s90, v3
	v_cmp_neq_f16_e64 s10, 0, v4
	s_delay_alu instid0(VALU_DEP_1) | instskip(NEXT) | instid1(SALU_CYCLE_1)
	s_or_b32 s92, vcc_lo, s10
	s_and_b32 s92, exec_lo, s92
	s_delay_alu instid0(SALU_CYCLE_1) | instskip(SKIP_2) | instid1(SALU_CYCLE_1)
	s_or_b32 s89, s92, s89
	s_and_not1_b32 s91, s91, exec_lo
	s_and_b32 s10, s10, exec_lo
	s_or_b32 s91, s91, s10
	s_and_not1_b32 exec_lo, exec_lo, s89
	s_cbranch_execz .LBB98_364
.LBB98_358:                             ;   Parent Loop BB98_6 Depth=1
                                        ; =>  This Inner Loop Header: Depth=2
	s_delay_alu instid0(VALU_DEP_1)
	v_cmp_gt_u32_e32 vcc_lo, s87, v3
	v_mov_b32_e32 v4, 0
	s_and_saveexec_b32 s10, vcc_lo
	s_cbranch_execz .LBB98_360
; %bb.359:                              ;   in Loop: Header=BB98_358 Depth=2
	ds_load_u16 v4, v1
.LBB98_360:                             ;   in Loop: Header=BB98_358 Depth=2
	s_or_b32 exec_lo, exec_lo, s10
	s_and_saveexec_b32 s10, vcc_lo
	s_cbranch_execz .LBB98_357
; %bb.361:                              ;   in Loop: Header=BB98_358 Depth=2
	s_waitcnt lgkmcnt(0)
	v_cmp_lt_i16_e32 vcc_lo, -1, v4
	v_dual_cndmask_b32 v29, 0xffff, v26 :: v_dual_and_b32 v8, 0xffff, v4
	v_cmp_o_f16_e32 vcc_lo, v4, v4
	s_delay_alu instid0(VALU_DEP_2) | instskip(NEXT) | instid1(VALU_DEP_1)
	v_xor_b32_e32 v8, v29, v8
	v_cndmask_b32_e32 v8, 0xffff, v8, vcc_lo
	s_delay_alu instid0(VALU_DEP_1) | instskip(NEXT) | instid1(VALU_DEP_1)
	v_and_b32_e32 v8, v8, v27
	v_cmp_eq_u32_e32 vcc_lo, v8, v28
	s_and_b32 exec_lo, exec_lo, vcc_lo
	s_cbranch_execz .LBB98_357
; %bb.362:                              ;   in Loop: Header=BB98_358 Depth=2
	v_perm_b32 v4, v4, s66, 0x5040100
	ds_store_b32 v9, v4 offset:3072
	s_branch .LBB98_357
.LBB98_363:                             ;   in Loop: Header=BB98_6 Depth=1
	s_mov_b32 s10, -1
	s_mov_b32 s89, 0
                                        ; implicit-def: $sgpr87
                                        ; implicit-def: $vgpr29
	s_branch .LBB98_366
.LBB98_364:                             ;   in Loop: Header=BB98_6 Depth=1
	s_set_inst_prefetch_distance 0x2
	s_or_b32 exec_lo, exec_lo, s89
	v_lshrrev_b32_e32 v29, 16, v4
	s_and_b32 s89, s91, exec_lo
.LBB98_365:                             ;   in Loop: Header=BB98_6 Depth=1
	s_or_b32 exec_lo, exec_lo, s88
	s_mov_b32 s10, 0
	s_mov_b32 s87, -1
.LBB98_366:                             ;   in Loop: Header=BB98_6 Depth=1
	s_and_b32 vcc_lo, exec_lo, s10
	s_mov_b32 s88, s10
	s_cbranch_vccz .LBB98_377
; %bb.367:                              ;   in Loop: Header=BB98_6 Depth=1
	s_mov_b32 s89, 0
                                        ; implicit-def: $vgpr29
	s_and_saveexec_b32 s87, s9
	s_cbranch_execz .LBB98_376
; %bb.368:                              ;   in Loop: Header=BB98_6 Depth=1
	v_dual_mov_b32 v8, v7 :: v_dual_mov_b32 v1, v0
	s_mov_b32 s88, 0
                                        ; implicit-def: $sgpr89
	s_branch .LBB98_370
.LBB98_369:                             ;   in Loop: Header=BB98_370 Depth=2
	s_or_b32 exec_lo, exec_lo, s10
	s_waitcnt vmcnt(0) lgkmcnt(0)
	s_barrier
	buffer_gl0_inv
	ds_load_b32 v3, v9 offset:3072
	v_add_nc_u32_e32 v1, s40, v1
	v_add_nc_u32_e32 v8, s42, v8
	s_waitcnt lgkmcnt(0)
	s_barrier
	buffer_gl0_inv
	v_cmp_le_u32_e32 vcc_lo, s61, v1
	v_cmp_neq_f16_e64 s10, 0, v3
	s_delay_alu instid0(VALU_DEP_1) | instskip(NEXT) | instid1(SALU_CYCLE_1)
	s_or_b32 s90, vcc_lo, s10
	s_and_b32 s90, exec_lo, s90
	s_delay_alu instid0(SALU_CYCLE_1) | instskip(SKIP_2) | instid1(SALU_CYCLE_1)
	s_or_b32 s88, s90, s88
	s_and_not1_b32 s89, s89, exec_lo
	s_and_b32 s10, s10, exec_lo
	s_or_b32 s89, s89, s10
	s_and_not1_b32 exec_lo, exec_lo, s88
	s_cbranch_execz .LBB98_375
.LBB98_370:                             ;   Parent Loop BB98_6 Depth=1
                                        ; =>  This Inner Loop Header: Depth=2
	s_delay_alu instid0(VALU_DEP_1)
	v_cmp_gt_u32_e32 vcc_lo, s24, v1
	v_mov_b32_e32 v3, 0
	s_and_saveexec_b32 s90, vcc_lo
	s_cbranch_execz .LBB98_372
; %bb.371:                              ;   in Loop: Header=BB98_370 Depth=2
	v_lshlrev_b64 v[3:4], 1, v[8:9]
	s_delay_alu instid0(VALU_DEP_1) | instskip(NEXT) | instid1(VALU_DEP_1)
	v_add_co_u32 v3, s10, s29, v3
	v_add_co_ci_u32_e64 v4, s10, s33, v4, s10
	global_load_u16 v3, v[3:4], off
.LBB98_372:                             ;   in Loop: Header=BB98_370 Depth=2
	s_or_b32 exec_lo, exec_lo, s90
	s_and_saveexec_b32 s10, vcc_lo
	s_cbranch_execz .LBB98_369
; %bb.373:                              ;   in Loop: Header=BB98_370 Depth=2
	s_waitcnt vmcnt(0)
	v_cmp_lt_i16_e32 vcc_lo, -1, v3
	v_dual_cndmask_b32 v29, 0xffff, v26 :: v_dual_and_b32 v4, 0xffff, v3
	v_cmp_o_f16_e32 vcc_lo, v3, v3
	s_delay_alu instid0(VALU_DEP_2) | instskip(NEXT) | instid1(VALU_DEP_1)
	v_xor_b32_e32 v4, v29, v4
	v_cndmask_b32_e32 v4, 0xffff, v4, vcc_lo
	s_delay_alu instid0(VALU_DEP_1) | instskip(NEXT) | instid1(VALU_DEP_1)
	v_and_b32_e32 v4, v4, v27
	v_cmp_eq_u32_e32 vcc_lo, v4, v28
	s_and_b32 exec_lo, exec_lo, vcc_lo
	s_cbranch_execz .LBB98_369
; %bb.374:                              ;   in Loop: Header=BB98_370 Depth=2
	v_perm_b32 v3, v3, s66, 0x5040100
	ds_store_b32 v9, v3 offset:3072
	s_branch .LBB98_369
.LBB98_375:                             ;   in Loop: Header=BB98_6 Depth=1
	s_or_b32 exec_lo, exec_lo, s88
	v_lshrrev_b32_e32 v29, 16, v3
	s_and_b32 s89, s89, exec_lo
.LBB98_376:                             ;   in Loop: Header=BB98_6 Depth=1
	s_or_b32 exec_lo, exec_lo, s87
	s_mov_b32 s87, 0
	s_mov_b32 s10, -1
	s_mov_b32 s88, 0
.LBB98_377:                             ;   in Loop: Header=BB98_6 Depth=1
	s_or_not1_b32 s89, s89, exec_lo
.LBB98_378:                             ;   in Loop: Header=BB98_6 Depth=1
	s_or_b32 exec_lo, exec_lo, s86
	s_mov_b32 s90, 0
                                        ; implicit-def: $vgpr8
                                        ; implicit-def: $vgpr1
	s_and_saveexec_b32 s86, s89
	s_cbranch_execz .LBB98_390
; %bb.379:                              ;   in Loop: Header=BB98_6 Depth=1
	v_dual_mov_b32 v8, 1 :: v_dual_mov_b32 v1, 1
	s_xor_b32 s89, s17, -1
	s_delay_alu instid0(SALU_CYCLE_1)
	s_and_saveexec_b32 s17, s89
	s_cbranch_execz .LBB98_389
; %bb.380:                              ;   in Loop: Header=BB98_6 Depth=1
	s_mov_b32 s89, exec_lo
                                        ; implicit-def: $sgpr90
	v_cmpx_ge_u32_e64 s12, v2
	s_xor_b32 s89, exec_lo, s89
	s_cbranch_execz .LBB98_386
; %bb.381:                              ;   in Loop: Header=BB98_6 Depth=1
	ds_load_b32 v1, v9 offset:4096
	s_waitcnt lgkmcnt(0)
	v_cmp_ne_u32_e32 vcc_lo, 0, v1
	s_cbranch_vccnz .LBB98_385
; %bb.382:                              ;   in Loop: Header=BB98_6 Depth=1
	s_and_saveexec_b32 s90, s5
	s_cbranch_execz .LBB98_384
; %bb.383:                              ;   in Loop: Header=BB98_6 Depth=1
	v_mov_b32_e32 v1, s12
	ds_store_b32 v9, v1 offset:4100
.LBB98_384:                             ;   in Loop: Header=BB98_6 Depth=1
	s_or_b32 exec_lo, exec_lo, s90
	s_waitcnt lgkmcnt(0)
	s_barrier
	buffer_gl0_inv
.LBB98_385:                             ;   in Loop: Header=BB98_6 Depth=1
	v_and_b32_e32 v28, s14, v28
	v_or_b32_e32 v27, s13, v27
	s_mov_b32 s90, 5
.LBB98_386:                             ;   in Loop: Header=BB98_6 Depth=1
	s_or_saveexec_b32 s13, s89
	v_mov_b32_e32 v8, s90
	s_xor_b32 exec_lo, exec_lo, s13
; %bb.387:                              ;   in Loop: Header=BB98_6 Depth=1
	v_subrev_nc_u32_e32 v2, s12, v2
	v_mov_b32_e32 v8, 5
; %bb.388:                              ;   in Loop: Header=BB98_6 Depth=1
	s_or_b32 exec_lo, exec_lo, s13
	s_delay_alu instid0(VALU_DEP_2)
	v_mov_b32_e32 v1, v2
.LBB98_389:                             ;   in Loop: Header=BB98_6 Depth=1
	s_or_b32 exec_lo, exec_lo, s17
	s_delay_alu instid0(SALU_CYCLE_1)
	s_mov_b32 s90, exec_lo
.LBB98_390:                             ;   in Loop: Header=BB98_6 Depth=1
	s_or_b32 exec_lo, exec_lo, s86
	s_delay_alu instid0(VALU_DEP_1)
	v_mov_b32_e32 v2, v1
	s_or_not1_b32 s17, s90, exec_lo
.LBB98_391:                             ;   in Loop: Header=BB98_6 Depth=1
	s_or_b32 exec_lo, exec_lo, s16
	s_delay_alu instid0(SALU_CYCLE_1)
	s_and_not1_b32 s12, s82, exec_lo
	s_and_b32 s10, s10, exec_lo
	s_and_not1_b32 s13, s84, exec_lo
	s_or_b32 s82, s12, s10
	s_and_not1_b32 s10, s83, exec_lo
	s_and_b32 s12, s87, exec_lo
	s_and_b32 s14, s88, exec_lo
	v_mov_b32_e32 v1, v2
	s_or_b32 s83, s10, s12
	s_or_b32 s84, s13, s14
	s_and_b32 s87, s17, exec_lo
.LBB98_392:                             ;   in Loop: Header=BB98_6 Depth=1
	s_or_b32 exec_lo, exec_lo, s85
	s_delay_alu instid0(SALU_CYCLE_1)
	s_and_b32 s85, s82, exec_lo
	s_and_b32 s83, s83, exec_lo
	s_and_b32 s82, s84, exec_lo
	s_or_not1_b32 s10, s87, exec_lo
.LBB98_393:                             ;   in Loop: Header=BB98_6 Depth=1
	s_or_b32 exec_lo, exec_lo, s18
	s_delay_alu instid0(SALU_CYCLE_1)
	s_and_not1_b32 s12, s22, exec_lo
	s_and_b32 s13, s85, exec_lo
	s_and_not1_b32 s14, s80, exec_lo
	s_or_b32 s22, s12, s13
	s_and_not1_b32 s12, s79, exec_lo
	s_and_b32 s13, s83, exec_lo
	s_and_b32 s16, s82, exec_lo
	v_mov_b32_e32 v4, v1
	s_or_b32 s79, s12, s13
	s_or_b32 s80, s14, s16
	s_and_b32 s83, s10, exec_lo
.LBB98_394:                             ;   in Loop: Header=BB98_6 Depth=1
	s_or_b32 exec_lo, exec_lo, s81
	s_delay_alu instid0(SALU_CYCLE_1)
	s_and_b32 s81, s22, exec_lo
	s_and_b32 s79, s79, exec_lo
	;; [unrolled: 1-line block ×3, first 2 shown]
	s_or_not1_b32 s80, s83, exec_lo
.LBB98_395:                             ;   in Loop: Header=BB98_6 Depth=1
	s_or_b32 exec_lo, exec_lo, s19
	s_mov_b32 s10, s20
	s_mov_b32 s12, s11
	s_and_saveexec_b32 s13, s80
; %bb.396:                              ;   in Loop: Header=BB98_6 Depth=1
	v_cmp_eq_u32_e32 vcc_lo, 5, v8
	v_cmp_ne_u32_e64 s10, 5, v8
	s_and_not1_b32 s12, s11, exec_lo
	s_and_not1_b32 s14, s20, exec_lo
	;; [unrolled: 1-line block ×3, first 2 shown]
	s_and_b32 s16, vcc_lo, exec_lo
	s_and_b32 s10, s10, exec_lo
	s_and_not1_b32 s79, s79, exec_lo
	s_and_not1_b32 s22, s22, exec_lo
	s_or_b32 s12, s12, s10
	s_or_b32 s10, s14, s16
; %bb.397:                              ;   in Loop: Header=BB98_6 Depth=1
	s_or_b32 exec_lo, exec_lo, s13
	s_delay_alu instid0(SALU_CYCLE_1)
	s_and_not1_b32 s13, s23, exec_lo
	s_and_b32 s14, s81, exec_lo
	v_dual_mov_b32 v1, v28 :: v_dual_mov_b32 v2, v27
	s_or_b32 s23, s13, s14
	s_and_not1_b32 s13, s78, exec_lo
	s_and_b32 s14, s79, exec_lo
	v_mov_b32_e32 v3, v29
	s_and_not1_b32 s15, s15, exec_lo
	s_and_b32 s16, s22, exec_lo
	s_or_b32 s78, s13, s14
	s_and_not1_b32 s11, s11, exec_lo
	s_and_b32 s12, s12, exec_lo
	s_and_not1_b32 s13, s20, exec_lo
	s_and_b32 s10, s10, exec_lo
	s_or_b32 s15, s15, s16
	s_or_b32 s11, s11, s12
	;; [unrolled: 1-line block ×3, first 2 shown]
.LBB98_398:                             ;   in Loop: Header=BB98_6 Depth=1
	s_or_b32 exec_lo, exec_lo, s21
	s_mov_b32 s22, s15
	s_mov_b32 s21, s15
	s_and_saveexec_b32 s10, s20
.LBB98_399:                             ;   in Loop: Header=BB98_6 Depth=1
	v_mov_b32_e32 v8, 0
	s_and_not1_b32 s15, s15, exec_lo
	s_and_not1_b32 s23, s23, exec_lo
	;; [unrolled: 1-line block ×5, first 2 shown]
	s_or_b32 s11, s11, exec_lo
.LBB98_400:                             ;   in Loop: Header=BB98_6 Depth=1
	s_or_b32 exec_lo, exec_lo, s10
	s_delay_alu instid0(SALU_CYCLE_1)
	s_and_not1_b32 s10, s77, exec_lo
	s_and_b32 s13, s15, exec_lo
	s_and_not1_b32 s14, s74, exec_lo
	s_or_b32 s77, s10, s13
	s_and_not1_b32 s10, s76, exec_lo
	s_and_b32 s13, s23, exec_lo
	s_and_b32 s15, s78, exec_lo
	s_or_b32 s76, s10, s13
	s_or_b32 s74, s14, s15
	s_and_not1_b32 s10, s75, exec_lo
	s_and_b32 s13, s22, exec_lo
	s_and_not1_b32 s14, s73, exec_lo
	s_and_b32 s15, s21, exec_lo
	s_mov_b32 s12, -1
	s_or_b32 s75, s10, s13
	s_or_b32 s73, s14, s15
                                        ; implicit-def: $vgpr27
                                        ; implicit-def: $vgpr28
                                        ; implicit-def: $vgpr30
                                        ; implicit-def: $vgpr29
	s_and_saveexec_b32 s10, s11
	s_delay_alu instid0(SALU_CYCLE_1)
	s_xor_b32 s10, exec_lo, s10
	s_cbranch_execz .LBB98_5
; %bb.401:                              ;   in Loop: Header=BB98_6 Depth=1
	s_mov_b32 s11, -1
	s_mov_b32 s13, exec_lo
	v_cmpx_eq_u32_e32 0, v8
	s_cbranch_execz .LBB98_4
; %bb.402:                              ;   in Loop: Header=BB98_6 Depth=1
	s_xor_b32 s67, s67, 1
	s_add_i32 s14, s71, -2
	s_cmp_eq_u32 s71, 0
	s_mov_b32 s71, s14
	s_cselect_b32 s11, -1, 0
	s_xor_b32 s12, exec_lo, -1
	s_or_not1_b32 s11, s11, exec_lo
	s_branch .LBB98_4
.LBB98_403:
	s_or_b32 exec_lo, exec_lo, s41
	s_xor_b32 s7, s72, -1
	s_xor_b32 s12, s69, -1
	;; [unrolled: 1-line block ×5, first 2 shown]
	s_mov_b32 s9, 0
	s_and_saveexec_b32 s10, s8
	s_delay_alu instid0(SALU_CYCLE_1)
	s_xor_b32 s8, exec_lo, s10
	s_cbranch_execz .LBB98_462
; %bb.404:
	s_mov_b32 s10, 0
	s_and_saveexec_b32 s9, s11
	s_delay_alu instid0(SALU_CYCLE_1)
	s_xor_b32 s9, exec_lo, s9
	s_cbranch_execz .LBB98_460
; %bb.405:
	;; [unrolled: 6-line block ×4, first 2 shown]
	s_and_saveexec_b32 s7, s6
	s_delay_alu instid0(SALU_CYCLE_1)
	s_xor_b32 s6, exec_lo, s7
; %bb.408:
	v_and_b32_e32 v2, 0x8000, v1
	v_mov_b32_e32 v3, 0xffff
	s_delay_alu instid0(VALU_DEP_2) | instskip(NEXT) | instid1(VALU_DEP_2)
	v_cmp_eq_u32_e32 vcc_lo, 0, v2
	v_cndmask_b32_e32 v2, 0x8000, v3, vcc_lo
	s_delay_alu instid0(VALU_DEP_1)
	v_xor_b32_e32 v3, v2, v1
; %bb.409:
	s_or_b32 exec_lo, exec_lo, s6
	s_and_saveexec_b32 s6, s5
	s_cbranch_execz .LBB98_411
; %bb.410:
	v_mov_b32_e32 v1, 0
	ds_store_b32 v1, v1 offset:4108
.LBB98_411:
	s_or_b32 exec_lo, exec_lo, s6
	v_mov_b32_e32 v9, 0
	s_waitcnt lgkmcnt(0)
	s_barrier
	buffer_gl0_inv
	s_and_saveexec_b32 s5, s4
	s_cbranch_execz .LBB98_413
; %bb.412:
	global_load_u16 v9, v[5:6], off
.LBB98_413:
	s_or_b32 exec_lo, exec_lo, s5
	s_mul_i32 s6, s47, s45
	s_add_i32 s5, s24, 31
	s_sub_i32 s6, s43, s6
	s_and_not1_b32 s5, s5, 31
	s_add_i32 s7, s47, 1
	s_sub_i32 s12, s6, s45
	s_cmp_ge_u32 s6, s45
	v_mov_b32_e32 v8, 0x8000
	s_cselect_b32 s7, s7, s47
	s_cselect_b32 s6, s12, s6
	s_add_i32 s12, s7, 1
	s_cmp_ge_u32 s6, s45
	v_cmp_lt_i16_e32 vcc_lo, -1, v3
	s_cselect_b32 s6, s12, s7
	s_mul_i32 s12, s46, s44
	s_mul_i32 s7, s6, s45
	;; [unrolled: 1-line block ×3, first 2 shown]
	s_sub_i32 s7, s43, s7
	s_sub_i32 s12, s43, s12
	s_mul_i32 s7, s7, s39
	s_sub_i32 s13, s12, s44
	s_add_i32 s6, s6, s7
	s_add_i32 s7, s46, 1
	s_cmp_ge_u32 s12, s44
	v_dual_cndmask_b32 v2, 0xffff, v8 :: v_dual_and_b32 v1, 0xffff, v3
	s_cselect_b32 s7, s7, s46
	s_cselect_b32 s12, s13, s12
	s_add_i32 s13, s7, 1
	s_cmp_ge_u32 s12, s44
	v_xor_b32_e32 v1, v2, v1
	s_cselect_b32 s14, s13, s7
	s_clause 0x1
	s_load_b32 s12, s[0:1], 0x1c8
	s_load_b32 s13, s[0:1], 0x2a8
	s_mul_i32 s1, s14, s44
	v_cmp_o_f16_e32 vcc_lo, v3, v3
	s_sub_i32 s1, s43, s1
	s_mov_b32 s7, 0
	s_mul_i32 s1, s1, s37
	s_mul_i32 s16, s14, s36
	s_lshl_b64 s[14:15], s[6:7], 1
	s_add_i32 s16, s16, s1
	s_mov_b32 s17, s7
	s_add_u32 s6, s30, s14
	v_cndmask_b32_e32 v7, 0xffff, v1, vcc_lo
	s_addc_u32 s14, s31, s15
	s_lshl_b64 s[16:17], s[16:17], 3
	v_cmp_gt_u32_e32 vcc_lo, s5, v0
	s_add_u32 s15, s34, s16
	s_mov_b32 s0, -1
	s_addc_u32 s16, s35, s17
	s_mov_b32 s1, 0
	s_and_saveexec_b32 s17, vcc_lo
	s_cbranch_execz .LBB98_431
; %bb.414:
	v_dual_mov_b32 v2, 0 :: v_dual_add_nc_u32 v1, s40, v0
	v_mov_b32_e32 v3, v0
	s_mov_b32 s18, 0
                                        ; implicit-def: $sgpr19
                                        ; implicit-def: $vgpr11
	s_delay_alu instid0(VALU_DEP_2)
	v_mul_lo_u32 v1, s28, v1
	s_branch .LBB98_416
.LBB98_415:                             ;   in Loop: Header=BB98_416 Depth=1
	s_or_b32 exec_lo, exec_lo, s20
	s_xor_b32 s0, s22, -1
	s_and_b32 s1, exec_lo, s1
	v_mov_b32_e32 v3, v10
	s_or_b32 s18, s1, s18
	s_waitcnt vmcnt(0)
	v_mov_b32_e32 v9, v12
	s_and_not1_b32 s1, s19, exec_lo
	s_and_b32 s0, s0, exec_lo
	s_delay_alu instid0(SALU_CYCLE_1)
	s_or_b32 s19, s1, s0
	s_and_not1_b32 exec_lo, exec_lo, s18
	s_cbranch_execz .LBB98_430
.LBB98_416:                             ; =>This Inner Loop Header: Depth=1
	s_delay_alu instid0(VALU_DEP_2) | instskip(SKIP_2) | instid1(VALU_DEP_2)
	v_add_nc_u32_e32 v10, s40, v3
	v_mov_b32_e32 v12, 0
	s_mov_b32 s1, exec_lo
	v_cmpx_gt_u32_e64 s24, v10
	s_cbranch_execz .LBB98_418
; %bb.417:                              ;   in Loop: Header=BB98_416 Depth=1
	s_delay_alu instid0(VALU_DEP_4) | instskip(NEXT) | instid1(VALU_DEP_1)
	v_lshlrev_b64 v[12:13], 1, v[1:2]
	v_add_co_u32 v12, s0, s29, v12
	s_delay_alu instid0(VALU_DEP_1)
	v_add_co_ci_u32_e64 v13, s0, s33, v13, s0
	global_load_u16 v12, v[12:13], off
.LBB98_418:                             ;   in Loop: Header=BB98_416 Depth=1
	s_or_b32 exec_lo, exec_lo, s1
	s_mov_b32 s20, 0
	s_mov_b32 s1, exec_lo
	v_cmpx_gt_u32_e64 s24, v3
	s_cbranch_execz .LBB98_420
; %bb.419:                              ;   in Loop: Header=BB98_416 Depth=1
	s_waitcnt vmcnt(0)
	v_cmp_lt_i16_e64 s0, -1, v9
	v_and_b32_e32 v4, 0xffff, v9
	s_delay_alu instid0(VALU_DEP_2) | instskip(SKIP_1) | instid1(VALU_DEP_2)
	v_cndmask_b32_e64 v13, 0xffff, v8, s0
	v_cmp_o_f16_e64 s0, v9, v9
	v_xor_b32_e32 v4, v13, v4
	s_delay_alu instid0(VALU_DEP_1) | instskip(NEXT) | instid1(VALU_DEP_1)
	v_cndmask_b32_e64 v4, 0xffff, v4, s0
	v_cmp_gt_u32_e64 s0, v4, v7
	s_delay_alu instid0(VALU_DEP_1) | instskip(SKIP_1) | instid1(VALU_DEP_1)
	v_cndmask_b32_e64 v13, 0, 1, s0
	v_cmp_lt_u32_e64 s0, v4, v7
	v_cndmask_b32_e64 v4, 0, 1, s0
	s_delay_alu instid0(VALU_DEP_1) | instskip(NEXT) | instid1(VALU_DEP_1)
	v_cndmask_b32_e64 v4, v4, v13, s3
	v_and_b32_e32 v4, 1, v4
	s_delay_alu instid0(VALU_DEP_1) | instskip(NEXT) | instid1(VALU_DEP_1)
	v_cmp_eq_u32_e64 s0, 1, v4
	s_and_b32 s20, s0, exec_lo
.LBB98_420:                             ;   in Loop: Header=BB98_416 Depth=1
	s_or_b32 exec_lo, exec_lo, s1
	v_cndmask_b32_e64 v4, 0, 1, s20
	s_delay_alu instid0(VALU_DEP_1) | instskip(NEXT) | instid1(VALU_DEP_1)
	v_cmp_ne_u32_e64 s0, 0, v4
	s_cmp_lg_u32 s0, 0
	s_cselect_b32 s1, -1, 0
	s_delay_alu instid0(SALU_CYCLE_1) | instskip(NEXT) | instid1(SALU_CYCLE_1)
	s_and_b32 s1, s2, s1
	s_and_saveexec_b32 s21, s1
	s_cbranch_execz .LBB98_424
; %bb.421:                              ;   in Loop: Header=BB98_416 Depth=1
	s_mov_b32 s26, exec_lo
	s_bcnt1_i32_b32 s22, s0
	v_mbcnt_lo_u32_b32 v4, s26, 0
	s_mov_b32 s23, exec_lo
                                        ; implicit-def: $vgpr11
	s_delay_alu instid0(VALU_DEP_1)
	v_cmpx_eq_u32_e32 0, v4
	s_cbranch_execz .LBB98_423
; %bb.422:                              ;   in Loop: Header=BB98_416 Depth=1
	s_bcnt1_i32_b32 s1, s26
	s_delay_alu instid0(SALU_CYCLE_1)
	s_mul_i32 s1, s22, s1
	s_waitcnt lgkmcnt(0)
	v_mov_b32_e32 v11, s1
	ds_add_rtn_u32 v11, v2, v11 offset:4108
.LBB98_423:                             ;   in Loop: Header=BB98_416 Depth=1
	s_or_b32 exec_lo, exec_lo, s23
	s_waitcnt lgkmcnt(0)
	v_readfirstlane_b32 s1, v11
	s_delay_alu instid0(VALU_DEP_1)
	v_mad_u32_u24 v11, s22, v4, s1
.LBB98_424:                             ;   in Loop: Header=BB98_416 Depth=1
	s_or_b32 exec_lo, exec_lo, s21
	s_waitcnt lgkmcnt(0)
	ds_bpermute_b32 v11, v2, v11
	s_mov_b32 s1, -1
	s_mov_b32 s23, -1
                                        ; implicit-def: $sgpr22
	s_and_saveexec_b32 s21, s20
	s_cbranch_execz .LBB98_428
; %bb.425:                              ;   in Loop: Header=BB98_416 Depth=1
	v_and_b32_e32 v4, s0, v14
	s_mov_b32 s20, 0
	s_mov_b32 s22, exec_lo
	s_waitcnt lgkmcnt(0)
	s_delay_alu instid0(VALU_DEP_1) | instskip(NEXT) | instid1(VALU_DEP_1)
	v_bcnt_u32_b32 v4, v4, v11
	v_cmpx_gt_u32_e64 s25, v4
	s_cbranch_execz .LBB98_427
; %bb.426:                              ;   in Loop: Header=BB98_416 Depth=1
	v_mul_lo_u32 v15, v4, s12
	v_mov_b32_e32 v16, v2
	v_mul_lo_u32 v17, v4, s13
	v_mov_b32_e32 v18, v2
	v_mov_b32_e32 v4, v2
	s_mov_b32 s20, exec_lo
	v_lshlrev_b64 v[15:16], 1, v[15:16]
	s_delay_alu instid0(VALU_DEP_3) | instskip(NEXT) | instid1(VALU_DEP_2)
	v_lshlrev_b64 v[17:18], 3, v[17:18]
	v_add_co_u32 v15, s0, s6, v15
	s_delay_alu instid0(VALU_DEP_1) | instskip(NEXT) | instid1(VALU_DEP_3)
	v_add_co_ci_u32_e64 v16, s0, s14, v16, s0
	v_add_co_u32 v17, s0, s15, v17
	s_delay_alu instid0(VALU_DEP_1)
	v_add_co_ci_u32_e64 v18, s0, s16, v18, s0
	s_waitcnt vmcnt(0)
	global_store_b16 v[15:16], v9, off
	global_store_b64 v[17:18], v[3:4], off
.LBB98_427:                             ;   in Loop: Header=BB98_416 Depth=1
	s_or_b32 exec_lo, exec_lo, s22
	s_mov_b32 s22, -1
	s_or_not1_b32 s23, s20, exec_lo
.LBB98_428:                             ;   in Loop: Header=BB98_416 Depth=1
	s_or_b32 exec_lo, exec_lo, s21
	s_and_saveexec_b32 s20, s23
	s_cbranch_execz .LBB98_415
; %bb.429:                              ;   in Loop: Header=BB98_416 Depth=1
	v_cmp_le_u32_e64 s0, s5, v10
	v_add_nc_u32_e32 v1, s42, v1
	s_and_not1_b32 s22, s22, exec_lo
	s_delay_alu instid0(VALU_DEP_2)
	s_or_not1_b32 s1, s0, exec_lo
	s_branch .LBB98_415
.LBB98_430:
	s_or_b32 exec_lo, exec_lo, s18
	s_delay_alu instid0(SALU_CYCLE_1)
	s_mov_b32 s1, exec_lo
	s_or_not1_b32 s0, s19, exec_lo
.LBB98_431:
	s_or_b32 exec_lo, exec_lo, s17
	s_and_saveexec_b32 s3, s0
	s_cbranch_execz .LBB98_454
; %bb.432:
	v_mov_b32_e32 v8, 0
	s_waitcnt vmcnt(0) lgkmcnt(0)
	s_waitcnt_vscnt null, 0x0
	s_barrier
	buffer_gl0_inv
	s_and_saveexec_b32 s0, s4
	s_cbranch_execz .LBB98_434
; %bb.433:
	global_load_u16 v8, v[5:6], off
.LBB98_434:
	s_or_b32 exec_lo, exec_lo, s0
	s_mov_b32 s0, 0
	s_and_saveexec_b32 s4, vcc_lo
	s_cbranch_execz .LBB98_453
; %bb.435:
	v_dual_mov_b32 v4, 0x8000 :: v_dual_add_nc_u32 v1, s40, v0
	v_mov_b32_e32 v3, 0
	s_mov_b32 s17, 0
                                        ; implicit-def: $sgpr7
                                        ; implicit-def: $vgpr5
	s_delay_alu instid0(VALU_DEP_2)
	v_mul_lo_u32 v2, s28, v1
	s_branch .LBB98_438
.LBB98_436:                             ;   in Loop: Header=BB98_438 Depth=1
	s_or_b32 exec_lo, exec_lo, s19
	v_mov_b32_e32 v8, v9
	v_mov_b32_e32 v0, v6
	s_or_not1_b32 s20, s20, exec_lo
	s_or_not1_b32 s18, s18, exec_lo
.LBB98_437:                             ;   in Loop: Header=BB98_438 Depth=1
	s_or_b32 exec_lo, exec_lo, s0
	s_xor_b32 s0, s20, -1
	s_and_b32 s18, exec_lo, s18
	s_delay_alu instid0(SALU_CYCLE_1) | instskip(SKIP_2) | instid1(SALU_CYCLE_1)
	s_or_b32 s17, s18, s17
	s_and_not1_b32 s7, s7, exec_lo
	s_and_b32 s0, s0, exec_lo
	s_or_b32 s7, s7, s0
	s_and_not1_b32 exec_lo, exec_lo, s17
	s_cbranch_execz .LBB98_451
.LBB98_438:                             ; =>This Inner Loop Header: Depth=1
	v_dual_mov_b32 v9, 0 :: v_dual_add_nc_u32 v6, s40, v0
	s_mov_b32 s0, exec_lo
	s_delay_alu instid0(VALU_DEP_1)
	v_cmpx_gt_u32_e64 s24, v6
	s_cbranch_execz .LBB98_440
; %bb.439:                              ;   in Loop: Header=BB98_438 Depth=1
	s_delay_alu instid0(VALU_DEP_3) | instskip(NEXT) | instid1(VALU_DEP_1)
	v_lshlrev_b64 v[9:10], 1, v[2:3]
	v_add_co_u32 v9, vcc_lo, s29, v9
	s_delay_alu instid0(VALU_DEP_2)
	v_add_co_ci_u32_e32 v10, vcc_lo, s33, v10, vcc_lo
	global_load_u16 v9, v[9:10], off
.LBB98_440:                             ;   in Loop: Header=BB98_438 Depth=1
	s_or_b32 exec_lo, exec_lo, s0
	s_waitcnt vmcnt(0)
	v_cmp_lt_i16_e32 vcc_lo, -1, v8
	v_and_b32_e32 v1, 0xffff, v8
	v_cndmask_b32_e32 v10, 0xffff, v4, vcc_lo
	v_cmp_o_f16_e32 vcc_lo, v8, v8
	s_delay_alu instid0(VALU_DEP_2) | instskip(NEXT) | instid1(VALU_DEP_1)
	v_xor_b32_e32 v1, v10, v1
	v_cndmask_b32_e32 v1, 0xffff, v1, vcc_lo
	v_cmp_gt_u32_e32 vcc_lo, s24, v0
	s_delay_alu instid0(VALU_DEP_2) | instskip(NEXT) | instid1(VALU_DEP_1)
	v_cmp_eq_u32_e64 s0, v1, v7
	s_and_b32 s19, vcc_lo, s0
	s_delay_alu instid0(SALU_CYCLE_1) | instskip(NEXT) | instid1(VALU_DEP_1)
	v_cndmask_b32_e64 v1, 0, 1, s19
	v_cmp_ne_u32_e32 vcc_lo, 0, v1
	s_cmp_lg_u32 vcc_lo, 0
	s_cselect_b32 s0, -1, 0
	s_delay_alu instid0(SALU_CYCLE_1) | instskip(NEXT) | instid1(SALU_CYCLE_1)
	s_and_b32 s0, s2, s0
	s_and_saveexec_b32 s18, s0
	s_cbranch_execz .LBB98_444
; %bb.441:                              ;   in Loop: Header=BB98_438 Depth=1
	s_mov_b32 s22, exec_lo
	s_bcnt1_i32_b32 s20, vcc_lo
	v_mbcnt_lo_u32_b32 v1, s22, 0
	s_mov_b32 s21, exec_lo
                                        ; implicit-def: $vgpr5
	s_delay_alu instid0(VALU_DEP_1)
	v_cmpx_eq_u32_e32 0, v1
	s_cbranch_execz .LBB98_443
; %bb.442:                              ;   in Loop: Header=BB98_438 Depth=1
	s_bcnt1_i32_b32 s0, s22
	s_delay_alu instid0(SALU_CYCLE_1) | instskip(NEXT) | instid1(SALU_CYCLE_1)
	s_mul_i32 s0, s20, s0
	v_mov_b32_e32 v5, s0
	ds_add_rtn_u32 v5, v3, v5 offset:4108
.LBB98_443:                             ;   in Loop: Header=BB98_438 Depth=1
	s_or_b32 exec_lo, exec_lo, s21
	s_waitcnt lgkmcnt(0)
	v_readfirstlane_b32 s0, v5
	s_delay_alu instid0(VALU_DEP_1)
	v_mad_u32_u24 v5, s20, v1, s0
.LBB98_444:                             ;   in Loop: Header=BB98_438 Depth=1
	s_or_b32 exec_lo, exec_lo, s18
	ds_bpermute_b32 v5, v3, v5
	s_cmp_eq_u32 vcc_lo, 0
	s_mov_b32 s18, -1
	s_cselect_b32 s20, -1, 0
	s_waitcnt lgkmcnt(0)
	v_cmp_gt_u32_e64 s0, s25, v5
	s_delay_alu instid0(VALU_DEP_1)
	s_or_b32 s21, s20, s0
	s_mov_b32 s20, -1
	s_and_saveexec_b32 s0, s21
	s_cbranch_execz .LBB98_437
; %bb.445:                              ;   in Loop: Header=BB98_438 Depth=1
	v_and_b32_e32 v1, vcc_lo, v14
	v_sub_nc_u32_e32 v10, s25, v5
	s_mov_b32 s21, -1
	s_delay_alu instid0(VALU_DEP_2) | instskip(NEXT) | instid1(VALU_DEP_1)
	v_bcnt_u32_b32 v1, v1, 0
	v_bcnt_u32_b32 v1, 0, v1
	s_delay_alu instid0(VALU_DEP_1) | instskip(SKIP_1) | instid1(SALU_CYCLE_1)
	v_cmp_gt_u32_e32 vcc_lo, v10, v1
	s_and_b32 s22, s19, vcc_lo
	s_and_saveexec_b32 s19, s22
	s_cbranch_execz .LBB98_449
; %bb.446:                              ;   in Loop: Header=BB98_438 Depth=1
	v_add_nc_u32_e32 v1, v5, v1
	s_mov_b32 s21, 0
	s_mov_b32 s20, exec_lo
	s_delay_alu instid0(VALU_DEP_1)
	v_cmpx_gt_u32_e64 s25, v1
	s_cbranch_execz .LBB98_448
; %bb.447:                              ;   in Loop: Header=BB98_438 Depth=1
	v_mul_lo_u32 v10, v1, s12
	v_mov_b32_e32 v11, v3
	v_mul_lo_u32 v12, v1, s13
	v_mov_b32_e32 v13, v3
	v_mov_b32_e32 v1, v3
	s_mov_b32 s21, exec_lo
	v_lshlrev_b64 v[10:11], 1, v[10:11]
	s_delay_alu instid0(VALU_DEP_3) | instskip(NEXT) | instid1(VALU_DEP_2)
	v_lshlrev_b64 v[12:13], 3, v[12:13]
	v_add_co_u32 v10, vcc_lo, s6, v10
	s_delay_alu instid0(VALU_DEP_3) | instskip(NEXT) | instid1(VALU_DEP_3)
	v_add_co_ci_u32_e32 v11, vcc_lo, s14, v11, vcc_lo
	v_add_co_u32 v12, vcc_lo, s15, v12
	s_delay_alu instid0(VALU_DEP_4)
	v_add_co_ci_u32_e32 v13, vcc_lo, s16, v13, vcc_lo
	global_store_b16 v[10:11], v8, off
	global_store_b64 v[12:13], v[0:1], off
.LBB98_448:                             ;   in Loop: Header=BB98_438 Depth=1
	s_or_b32 exec_lo, exec_lo, s20
	s_delay_alu instid0(SALU_CYCLE_1)
	s_xor_b32 s20, exec_lo, -1
	s_or_not1_b32 s21, s21, exec_lo
.LBB98_449:                             ;   in Loop: Header=BB98_438 Depth=1
	s_or_b32 exec_lo, exec_lo, s19
	s_and_saveexec_b32 s19, s21
	s_cbranch_execz .LBB98_436
; %bb.450:                              ;   in Loop: Header=BB98_438 Depth=1
	v_cmp_le_u32_e32 vcc_lo, s5, v6
	v_add_nc_u32_e32 v2, s42, v2
	s_or_b32 s20, s20, exec_lo
	s_or_not1_b32 s18, vcc_lo, exec_lo
	s_branch .LBB98_436
.LBB98_451:
	s_or_b32 exec_lo, exec_lo, s17
	s_mov_b32 s0, 0
	s_and_saveexec_b32 s2, s7
	s_delay_alu instid0(SALU_CYCLE_1)
	s_xor_b32 s2, exec_lo, s2
	s_cbranch_execnz .LBB98_486
.LBB98_452:
	s_or_b32 exec_lo, exec_lo, s2
	s_delay_alu instid0(SALU_CYCLE_1)
	s_and_b32 s0, s0, exec_lo
.LBB98_453:
	s_or_b32 exec_lo, exec_lo, s4
	s_delay_alu instid0(SALU_CYCLE_1)
	s_and_b32 s7, s0, exec_lo
	s_and_not1_b32 s1, s1, exec_lo
.LBB98_454:
	s_or_b32 exec_lo, exec_lo, s3
	s_and_saveexec_b32 s0, s1
	s_delay_alu instid0(SALU_CYCLE_1)
	s_xor_b32 s0, exec_lo, s0
	s_cbranch_execnz .LBB98_480
.LBB98_455:
	s_or_b32 exec_lo, exec_lo, s0
	s_waitcnt lgkmcnt(0)
	s_and_b32 s12, s7, exec_lo
.LBB98_456:
	s_and_not1_saveexec_b32 s0, s11
	s_cbranch_execnz .LBB98_476
.LBB98_457:
	s_or_b32 exec_lo, exec_lo, s0
	s_delay_alu instid0(SALU_CYCLE_1)
	s_and_b32 s11, s12, exec_lo
.LBB98_458:
	s_and_not1_saveexec_b32 s0, s10
	s_cbranch_execnz .LBB98_472
.LBB98_459:
	s_or_b32 exec_lo, exec_lo, s0
	s_delay_alu instid0(SALU_CYCLE_1)
	s_and_b32 s10, s11, exec_lo
.LBB98_460:
	s_and_not1_saveexec_b32 s0, s9
	s_cbranch_execnz .LBB98_468
.LBB98_461:
	s_or_b32 exec_lo, exec_lo, s0
	s_delay_alu instid0(SALU_CYCLE_1)
	s_and_b32 s9, s10, exec_lo
.LBB98_462:
	s_and_not1_saveexec_b32 s0, s8
	s_cbranch_execnz .LBB98_466
; %bb.463:
	s_or_b32 exec_lo, exec_lo, s0
	s_and_saveexec_b32 s0, s9
.LBB98_464:
	; divergent unreachable
.LBB98_465:
	s_nop 0
	s_sendmsg sendmsg(MSG_DEALLOC_VGPRS)
	s_endpgm
.LBB98_466:
	s_cbranch_execnz .LBB98_470
; %bb.467:
	s_or_b32 s9, s9, exec_lo
	s_or_b32 exec_lo, exec_lo, s0
	s_and_saveexec_b32 s0, s9
	s_cbranch_execnz .LBB98_464
	s_branch .LBB98_465
.LBB98_468:
	s_cbranch_execnz .LBB98_474
; %bb.469:
	s_or_b32 s10, s10, exec_lo
	s_branch .LBB98_461
.LBB98_470:
	s_trap 2
	s_sendmsg_rtn_b32 s0, sendmsg(MSG_RTN_GET_DOORBELL)
	s_mov_b32 ttmp2, m0
	s_waitcnt lgkmcnt(0)
	s_and_b32 s0, s0, 0x3ff
	s_delay_alu instid0(SALU_CYCLE_1) | instskip(NEXT) | instid1(SALU_CYCLE_1)
	s_bitset1_b32 s0, 10
	s_mov_b32 m0, s0
	s_sendmsg sendmsg(MSG_INTERRUPT)
	s_mov_b32 m0, ttmp2
.LBB98_471:                             ; =>This Inner Loop Header: Depth=1
	s_sethalt 5
	s_branch .LBB98_471
.LBB98_472:
	s_cbranch_execnz .LBB98_478
; %bb.473:
	s_or_b32 s11, s11, exec_lo
	s_branch .LBB98_459
.LBB98_474:
	s_trap 2
	s_sendmsg_rtn_b32 s0, sendmsg(MSG_RTN_GET_DOORBELL)
	s_mov_b32 ttmp2, m0
	s_waitcnt lgkmcnt(0)
	s_and_b32 s0, s0, 0x3ff
	s_delay_alu instid0(SALU_CYCLE_1) | instskip(NEXT) | instid1(SALU_CYCLE_1)
	s_bitset1_b32 s0, 10
	s_mov_b32 m0, s0
	s_sendmsg sendmsg(MSG_INTERRUPT)
	s_mov_b32 m0, ttmp2
.LBB98_475:                             ; =>This Inner Loop Header: Depth=1
	s_sethalt 5
	s_branch .LBB98_475
.LBB98_476:
	s_cbranch_execnz .LBB98_482
; %bb.477:
	s_or_b32 s12, s12, exec_lo
	s_branch .LBB98_457
.LBB98_478:
	s_trap 2
	s_sendmsg_rtn_b32 s0, sendmsg(MSG_RTN_GET_DOORBELL)
	s_mov_b32 ttmp2, m0
	s_waitcnt lgkmcnt(0)
	s_and_b32 s0, s0, 0x3ff
	s_delay_alu instid0(SALU_CYCLE_1) | instskip(NEXT) | instid1(SALU_CYCLE_1)
	s_bitset1_b32 s0, 10
	s_mov_b32 m0, s0
	s_sendmsg sendmsg(MSG_INTERRUPT)
	s_mov_b32 m0, ttmp2
.LBB98_479:                             ; =>This Inner Loop Header: Depth=1
	s_sethalt 5
	s_branch .LBB98_479
.LBB98_480:
	s_cbranch_execnz .LBB98_484
; %bb.481:
	s_or_b32 s7, s7, exec_lo
	s_branch .LBB98_455
.LBB98_482:
	s_trap 2
	s_sendmsg_rtn_b32 s0, sendmsg(MSG_RTN_GET_DOORBELL)
	s_mov_b32 ttmp2, m0
	s_waitcnt lgkmcnt(0)
	s_and_b32 s0, s0, 0x3ff
	s_delay_alu instid0(SALU_CYCLE_1) | instskip(NEXT) | instid1(SALU_CYCLE_1)
	s_bitset1_b32 s0, 10
	s_mov_b32 m0, s0
	s_sendmsg sendmsg(MSG_INTERRUPT)
	s_mov_b32 m0, ttmp2
.LBB98_483:                             ; =>This Inner Loop Header: Depth=1
	s_sethalt 5
	s_branch .LBB98_483
.LBB98_484:
	s_trap 2
	s_sendmsg_rtn_b32 s0, sendmsg(MSG_RTN_GET_DOORBELL)
	s_mov_b32 ttmp2, m0
	s_waitcnt lgkmcnt(0)
	s_and_b32 s0, s0, 0x3ff
	s_delay_alu instid0(SALU_CYCLE_1) | instskip(NEXT) | instid1(SALU_CYCLE_1)
	s_bitset1_b32 s0, 10
	s_mov_b32 m0, s0
	s_sendmsg sendmsg(MSG_INTERRUPT)
	s_mov_b32 m0, ttmp2
.LBB98_485:                             ; =>This Inner Loop Header: Depth=1
	s_sethalt 5
	s_branch .LBB98_485
.LBB98_486:
	s_cbranch_execnz .LBB98_488
; %bb.487:
	s_mov_b32 s0, exec_lo
	s_branch .LBB98_452
.LBB98_488:
	s_trap 2
	s_sendmsg_rtn_b32 s0, sendmsg(MSG_RTN_GET_DOORBELL)
	s_mov_b32 ttmp2, m0
	s_waitcnt lgkmcnt(0)
	s_and_b32 s0, s0, 0x3ff
	s_delay_alu instid0(SALU_CYCLE_1) | instskip(NEXT) | instid1(SALU_CYCLE_1)
	s_bitset1_b32 s0, 10
	s_mov_b32 m0, s0
	s_sendmsg sendmsg(MSG_INTERRUPT)
	s_mov_b32 m0, ttmp2
.LBB98_489:                             ; =>This Inner Loop Header: Depth=1
	s_sethalt 5
	s_branch .LBB98_489
	.section	.rodata,"a",@progbits
	.p2align	6, 0x0
	.amdhsa_kernel _ZN2at6native6sbtopk10gatherTopKIN3c104HalfEjLi2ELb0EEEvNS_4cuda6detail10TensorInfoIKT_T0_EESA_SA_bSA_SA_NS7_IS8_SA_EESA_NS7_IlSA_EESA_PS8_
		.amdhsa_group_segment_fixed_size 4112
		.amdhsa_private_segment_fixed_size 0
		.amdhsa_kernarg_size 952
		.amdhsa_user_sgpr_count 13
		.amdhsa_user_sgpr_dispatch_ptr 0
		.amdhsa_user_sgpr_queue_ptr 0
		.amdhsa_user_sgpr_kernarg_segment_ptr 1
		.amdhsa_user_sgpr_dispatch_id 0
		.amdhsa_user_sgpr_private_segment_size 0
		.amdhsa_wavefront_size32 1
		.amdhsa_uses_dynamic_stack 0
		.amdhsa_enable_private_segment 0
		.amdhsa_system_sgpr_workgroup_id_x 1
		.amdhsa_system_sgpr_workgroup_id_y 1
		.amdhsa_system_sgpr_workgroup_id_z 1
		.amdhsa_system_sgpr_workgroup_info 0
		.amdhsa_system_vgpr_workitem_id 0
		.amdhsa_next_free_vgpr 37
		.amdhsa_next_free_sgpr 97
		.amdhsa_reserve_vcc 1
		.amdhsa_float_round_mode_32 0
		.amdhsa_float_round_mode_16_64 0
		.amdhsa_float_denorm_mode_32 3
		.amdhsa_float_denorm_mode_16_64 3
		.amdhsa_dx10_clamp 1
		.amdhsa_ieee_mode 1
		.amdhsa_fp16_overflow 0
		.amdhsa_workgroup_processor_mode 1
		.amdhsa_memory_ordered 1
		.amdhsa_forward_progress 0
		.amdhsa_shared_vgpr_count 0
		.amdhsa_exception_fp_ieee_invalid_op 0
		.amdhsa_exception_fp_denorm_src 0
		.amdhsa_exception_fp_ieee_div_zero 0
		.amdhsa_exception_fp_ieee_overflow 0
		.amdhsa_exception_fp_ieee_underflow 0
		.amdhsa_exception_fp_ieee_inexact 0
		.amdhsa_exception_int_div_zero 0
	.end_amdhsa_kernel
	.section	.text._ZN2at6native6sbtopk10gatherTopKIN3c104HalfEjLi2ELb0EEEvNS_4cuda6detail10TensorInfoIKT_T0_EESA_SA_bSA_SA_NS7_IS8_SA_EESA_NS7_IlSA_EESA_PS8_,"axG",@progbits,_ZN2at6native6sbtopk10gatherTopKIN3c104HalfEjLi2ELb0EEEvNS_4cuda6detail10TensorInfoIKT_T0_EESA_SA_bSA_SA_NS7_IS8_SA_EESA_NS7_IlSA_EESA_PS8_,comdat
.Lfunc_end98:
	.size	_ZN2at6native6sbtopk10gatherTopKIN3c104HalfEjLi2ELb0EEEvNS_4cuda6detail10TensorInfoIKT_T0_EESA_SA_bSA_SA_NS7_IS8_SA_EESA_NS7_IlSA_EESA_PS8_, .Lfunc_end98-_ZN2at6native6sbtopk10gatherTopKIN3c104HalfEjLi2ELb0EEEvNS_4cuda6detail10TensorInfoIKT_T0_EESA_SA_bSA_SA_NS7_IS8_SA_EESA_NS7_IlSA_EESA_PS8_
                                        ; -- End function
	.section	.AMDGPU.csdata,"",@progbits
; Kernel info:
; codeLenInByte = 16776
; NumSgprs: 99
; NumVgprs: 37
; ScratchSize: 0
; MemoryBound: 0
; FloatMode: 240
; IeeeMode: 1
; LDSByteSize: 4112 bytes/workgroup (compile time only)
; SGPRBlocks: 12
; VGPRBlocks: 4
; NumSGPRsForWavesPerEU: 99
; NumVGPRsForWavesPerEU: 37
; Occupancy: 16
; WaveLimiterHint : 1
; COMPUTE_PGM_RSRC2:SCRATCH_EN: 0
; COMPUTE_PGM_RSRC2:USER_SGPR: 13
; COMPUTE_PGM_RSRC2:TRAP_HANDLER: 0
; COMPUTE_PGM_RSRC2:TGID_X_EN: 1
; COMPUTE_PGM_RSRC2:TGID_Y_EN: 1
; COMPUTE_PGM_RSRC2:TGID_Z_EN: 1
; COMPUTE_PGM_RSRC2:TIDIG_COMP_CNT: 0
	.section	.text._ZN2at6native6mbtopk23computeBlockDigitCountsIN3c104HalfEjjLi3EEEvNS_4cuda6detail10TensorInfoIKT_T0_EEjPjjSA_iijT1_PSD_Ps,"axG",@progbits,_ZN2at6native6mbtopk23computeBlockDigitCountsIN3c104HalfEjjLi3EEEvNS_4cuda6detail10TensorInfoIKT_T0_EEjPjjSA_iijT1_PSD_Ps,comdat
	.protected	_ZN2at6native6mbtopk23computeBlockDigitCountsIN3c104HalfEjjLi3EEEvNS_4cuda6detail10TensorInfoIKT_T0_EEjPjjSA_iijT1_PSD_Ps ; -- Begin function _ZN2at6native6mbtopk23computeBlockDigitCountsIN3c104HalfEjjLi3EEEvNS_4cuda6detail10TensorInfoIKT_T0_EEjPjjSA_iijT1_PSD_Ps
	.globl	_ZN2at6native6mbtopk23computeBlockDigitCountsIN3c104HalfEjjLi3EEEvNS_4cuda6detail10TensorInfoIKT_T0_EEjPjjSA_iijT1_PSD_Ps
	.p2align	8
	.type	_ZN2at6native6mbtopk23computeBlockDigitCountsIN3c104HalfEjjLi3EEEvNS_4cuda6detail10TensorInfoIKT_T0_EEjPjjSA_iijT1_PSD_Ps,@function
_ZN2at6native6mbtopk23computeBlockDigitCountsIN3c104HalfEjjLi3EEEvNS_4cuda6detail10TensorInfoIKT_T0_EEjPjjSA_iijT1_PSD_Ps: ; @_ZN2at6native6mbtopk23computeBlockDigitCountsIN3c104HalfEjjLi3EEEvNS_4cuda6detail10TensorInfoIKT_T0_EEjPjjSA_iijT1_PSD_Ps
; %bb.0:
	s_clause 0x2
	s_load_b64 s[2:3], s[0:1], 0xf8
	s_load_b128 s[8:11], s[0:1], 0xe8
	s_load_b64 s[4:5], s[0:1], 0x110
	s_waitcnt lgkmcnt(0)
	v_cvt_f32_u32_e32 v1, s2
	s_sub_i32 s7, 0, s2
	s_mul_i32 s5, s5, s15
	s_mov_b32 s15, 0
	s_add_i32 s5, s5, s14
	v_rcp_iflag_f32_e32 v1, v1
	s_mul_i32 s18, s5, s4
	s_delay_alu instid0(SALU_CYCLE_1) | instskip(SKIP_2) | instid1(VALU_DEP_1)
	s_add_i32 s18, s18, s13
	s_waitcnt_depctr 0xfff
	v_mul_f32_e32 v1, 0x4f7ffffe, v1
	v_cvt_u32_f32_e32 v1, v1
	s_delay_alu instid0(VALU_DEP_1) | instskip(NEXT) | instid1(VALU_DEP_1)
	v_readfirstlane_b32 s6, v1
	s_mul_i32 s7, s7, s6
	s_delay_alu instid0(SALU_CYCLE_1) | instskip(NEXT) | instid1(SALU_CYCLE_1)
	s_mul_hi_u32 s4, s6, s7
	s_add_i32 s6, s6, s4
	s_delay_alu instid0(SALU_CYCLE_1) | instskip(NEXT) | instid1(SALU_CYCLE_1)
	s_mul_hi_u32 s4, s18, s6
	s_mul_i32 s5, s4, s2
	s_add_i32 s6, s4, 1
	s_sub_i32 s5, s18, s5
	s_delay_alu instid0(SALU_CYCLE_1)
	s_sub_i32 s7, s5, s2
	s_cmp_ge_u32 s5, s2
	s_cselect_b32 s4, s6, s4
	s_cselect_b32 s5, s7, s5
	s_add_i32 s6, s4, 1
	s_cmp_ge_u32 s5, s2
	s_cselect_b32 s14, s6, s4
	s_delay_alu instid0(SALU_CYCLE_1)
	s_cmp_ge_u32 s14, s8
	s_cbranch_scc1 .LBB99_29
; %bb.1:
	s_clause 0x1
	s_load_b64 s[12:13], s[0:1], 0xc
	s_load_b128 s[4:7], s[0:1], 0x100
	s_lshl_b64 s[16:17], s[14:15], 2
	v_cmp_gt_u32_e32 vcc_lo, 0x100, v0
	v_lshlrev_b32_e32 v3, 2, v0
	s_waitcnt lgkmcnt(0)
	v_cvt_f32_u32_e32 v1, s13
	v_cvt_f32_u32_e32 v2, s12
	s_add_u32 s16, s4, s16
	s_addc_u32 s17, s5, s17
	s_sub_i32 s4, 0, s13
	v_rcp_iflag_f32_e32 v1, v1
	v_rcp_iflag_f32_e32 v2, v2
	s_waitcnt_depctr 0xfff
	v_mul_f32_e32 v1, 0x4f7ffffe, v1
	s_delay_alu instid0(VALU_DEP_1) | instskip(NEXT) | instid1(VALU_DEP_1)
	v_cvt_u32_f32_e32 v1, v1
	v_readfirstlane_b32 s8, v1
	v_mul_f32_e32 v1, 0x4f7ffffe, v2
	s_delay_alu instid0(VALU_DEP_2) | instskip(NEXT) | instid1(VALU_DEP_1)
	s_mul_i32 s4, s4, s8
	v_cvt_u32_f32_e32 v1, v1
	s_mul_hi_u32 s4, s8, s4
	s_delay_alu instid0(SALU_CYCLE_1) | instskip(NEXT) | instid1(VALU_DEP_1)
	s_add_i32 s8, s8, s4
	v_readfirstlane_b32 s19, v1
	s_mul_hi_u32 s4, s14, s8
	s_delay_alu instid0(SALU_CYCLE_1) | instskip(SKIP_2) | instid1(SALU_CYCLE_1)
	s_mul_i32 s5, s4, s13
	s_add_i32 s8, s4, 1
	s_sub_i32 s5, s14, s5
	s_sub_i32 s15, s5, s13
	s_cmp_ge_u32 s5, s13
	s_cselect_b32 s4, s8, s4
	s_cselect_b32 s5, s15, s5
	s_add_i32 s8, s4, 1
	s_cmp_ge_u32 s5, s13
	s_cselect_b32 s4, s8, s4
	s_and_saveexec_b32 s5, vcc_lo
	s_cbranch_execz .LBB99_3
; %bb.2:
	v_mov_b32_e32 v1, 0
	ds_store_b32 v3, v1
.LBB99_3:
	s_or_b32 exec_lo, exec_lo, s5
	s_load_b32 s8, s[0:1], 0xd8
	s_mul_i32 s5, s14, s2
	s_waitcnt lgkmcnt(0)
	s_sub_i32 s5, s18, s5
	s_barrier
	s_mul_i32 s15, s11, s5
	s_add_i32 s5, s5, 1
	s_lshl_b32 s15, s15, 8
	buffer_gl0_inv
	s_sub_i32 s20, s8, s15
	s_delay_alu instid0(SALU_CYCLE_1) | instskip(SKIP_4) | instid1(VALU_DEP_1)
	s_add_u32 s20, s20, 0xff
	s_addc_u32 s21, 0, 0
	s_cmp_lt_u32 s5, s2
	v_alignbit_b32 v1, s21, s20, 8
	s_mov_b32 s5, 0
	v_readfirstlane_b32 s20, v1
	s_delay_alu instid0(VALU_DEP_1) | instskip(NEXT) | instid1(SALU_CYCLE_1)
	s_cselect_b32 s11, s11, s20
	s_cmp_lt_i32 s11, 1
	s_cbranch_scc1 .LBB99_25
; %bb.4:
	s_sub_i32 s2, 0, s12
	s_clause 0x1
	s_load_b128 s[20:23], s[0:1], 0x6c
	s_load_b64 s[24:25], s[0:1], 0x0
	s_mul_i32 s2, s2, s19
	s_mul_i32 s13, s4, s13
	s_mul_hi_u32 s2, s19, s2
	s_sub_i32 s13, s14, s13
	s_add_i32 s19, s19, s2
	s_delay_alu instid0(SALU_CYCLE_1) | instskip(NEXT) | instid1(SALU_CYCLE_1)
	s_mul_hi_u32 s2, s4, s19
	s_mul_i32 s19, s2, s12
	s_delay_alu instid0(SALU_CYCLE_1)
	s_sub_i32 s14, s4, s19
	s_add_i32 s19, s2, 1
	s_waitcnt lgkmcnt(0)
	s_sub_i32 s23, s14, s12
	s_cmp_ge_u32 s14, s12
	s_cselect_b32 s0, s19, s2
	s_cselect_b32 s1, s23, s14
	s_add_i32 s2, s0, 1
	s_cmp_ge_u32 s1, s12
	s_load_b32 s1, s[16:17], 0x0
	s_cselect_b32 s0, s2, s0
	s_mul_i32 s13, s13, s22
	s_mul_i32 s2, s0, s12
	;; [unrolled: 1-line block ×3, first 2 shown]
	s_sub_i32 s2, s4, s2
	s_delay_alu instid0(SALU_CYCLE_1) | instskip(NEXT) | instid1(SALU_CYCLE_1)
	s_mul_i32 s2, s2, s21
	s_add_i32 s2, s2, s13
	s_delay_alu instid0(SALU_CYCLE_1) | instskip(NEXT) | instid1(SALU_CYCLE_1)
	s_add_i32 s4, s2, s0
	s_lshl_b64 s[12:13], s[4:5], 1
	s_delay_alu instid0(SALU_CYCLE_1)
	s_add_u32 s2, s24, s12
	s_addc_u32 s4, s25, s13
	s_and_b32 s10, s10, 0xff
	s_cmp_lt_u32 s11, 4
	s_cbranch_scc1 .LBB99_19
; %bb.5:
	v_dual_mov_b32 v10, 0x8000 :: v_dual_add_nc_u32 v1, s15, v0
	s_and_b32 s5, s11, 0x7ffffffc
	s_lshl_b32 s12, s9, 10
	s_mov_b32 s13, 0
	s_delay_alu instid0(VALU_DEP_1) | instskip(SKIP_2) | instid1(VALU_DEP_2)
	v_add_nc_u32_e32 v2, 0x200, v1
	s_mov_b32 s14, 0
	v_mov_b32_e32 v9, 1
	v_mul_lo_u32 v6, s9, v2
	v_mov_b32_e32 v2, 0
	v_add_nc_u32_e32 v4, 0x300, v1
	v_add_nc_u32_e32 v7, 0x100, v1
	v_mul_lo_u32 v8, s9, v1
	s_delay_alu instid0(VALU_DEP_3) | instskip(NEXT) | instid1(VALU_DEP_3)
	v_mul_lo_u32 v5, s9, v4
	v_mul_lo_u32 v7, s9, v7
	s_branch .LBB99_7
.LBB99_6:                               ;   in Loop: Header=BB99_7 Depth=1
	s_or_b32 exec_lo, exec_lo, s16
	v_add_nc_u32_e32 v4, 0x400, v4
	s_add_i32 s14, s14, 4
	s_add_i32 s13, s13, s12
	s_cmp_eq_u32 s5, s14
	s_cbranch_scc1 .LBB99_19
.LBB99_7:                               ; =>This Inner Loop Header: Depth=1
	v_add_nc_u32_e32 v1, 0xfffffd00, v4
	s_mov_b32 s16, exec_lo
	s_delay_alu instid0(VALU_DEP_1)
	v_cmpx_gt_u32_e64 s8, v1
	s_cbranch_execz .LBB99_10
; %bb.8:                                ;   in Loop: Header=BB99_7 Depth=1
	v_add_nc_u32_e32 v1, s13, v8
	s_delay_alu instid0(VALU_DEP_1) | instskip(NEXT) | instid1(VALU_DEP_1)
	v_lshlrev_b64 v[11:12], 1, v[1:2]
	v_add_co_u32 v11, s0, s2, v11
	s_delay_alu instid0(VALU_DEP_1) | instskip(SKIP_4) | instid1(VALU_DEP_2)
	v_add_co_ci_u32_e64 v12, s0, s4, v12, s0
	global_load_u16 v1, v[11:12], off
	s_waitcnt vmcnt(0)
	v_cmp_lt_i16_e64 s0, -1, v1
	v_and_b32_e32 v11, 0xffff, v1
	v_cndmask_b32_e64 v12, 0xffff, v10, s0
	v_cmp_o_f16_e64 s0, v1, v1
	s_delay_alu instid0(VALU_DEP_2) | instskip(NEXT) | instid1(VALU_DEP_1)
	v_xor_b32_e32 v11, v12, v11
	v_cndmask_b32_e64 v1, 0xffff, v11, s0
	s_waitcnt lgkmcnt(0)
	s_delay_alu instid0(VALU_DEP_1) | instskip(NEXT) | instid1(VALU_DEP_1)
	v_xor_b32_e32 v11, s1, v1
	v_and_b32_e32 v11, s3, v11
	s_delay_alu instid0(VALU_DEP_1) | instskip(NEXT) | instid1(VALU_DEP_1)
	v_cmp_eq_u32_e64 s0, 0, v11
	s_and_b32 exec_lo, exec_lo, s0
	s_cbranch_execz .LBB99_10
; %bb.9:                                ;   in Loop: Header=BB99_7 Depth=1
	v_bfe_u32 v1, v1, s10, 8
	s_delay_alu instid0(VALU_DEP_1)
	v_lshlrev_b32_e32 v1, 2, v1
	ds_add_u32 v1, v9
.LBB99_10:                              ;   in Loop: Header=BB99_7 Depth=1
	s_or_b32 exec_lo, exec_lo, s16
	v_add_nc_u32_e32 v1, 0xfffffe00, v4
	s_mov_b32 s16, exec_lo
	s_delay_alu instid0(VALU_DEP_1)
	v_cmpx_gt_u32_e64 s8, v1
	s_cbranch_execz .LBB99_13
; %bb.11:                               ;   in Loop: Header=BB99_7 Depth=1
	v_add_nc_u32_e32 v1, s13, v7
	s_delay_alu instid0(VALU_DEP_1) | instskip(NEXT) | instid1(VALU_DEP_1)
	v_lshlrev_b64 v[11:12], 1, v[1:2]
	v_add_co_u32 v11, s0, s2, v11
	s_delay_alu instid0(VALU_DEP_1) | instskip(SKIP_4) | instid1(VALU_DEP_2)
	v_add_co_ci_u32_e64 v12, s0, s4, v12, s0
	global_load_u16 v1, v[11:12], off
	s_waitcnt vmcnt(0)
	v_cmp_lt_i16_e64 s0, -1, v1
	v_and_b32_e32 v11, 0xffff, v1
	v_cndmask_b32_e64 v12, 0xffff, v10, s0
	v_cmp_o_f16_e64 s0, v1, v1
	s_delay_alu instid0(VALU_DEP_2) | instskip(NEXT) | instid1(VALU_DEP_1)
	v_xor_b32_e32 v11, v12, v11
	v_cndmask_b32_e64 v1, 0xffff, v11, s0
	s_waitcnt lgkmcnt(0)
	s_delay_alu instid0(VALU_DEP_1) | instskip(NEXT) | instid1(VALU_DEP_1)
	v_xor_b32_e32 v11, s1, v1
	v_and_b32_e32 v11, s3, v11
	s_delay_alu instid0(VALU_DEP_1) | instskip(NEXT) | instid1(VALU_DEP_1)
	v_cmp_eq_u32_e64 s0, 0, v11
	s_and_b32 exec_lo, exec_lo, s0
	s_cbranch_execz .LBB99_13
; %bb.12:                               ;   in Loop: Header=BB99_7 Depth=1
	v_bfe_u32 v1, v1, s10, 8
	s_delay_alu instid0(VALU_DEP_1)
	v_lshlrev_b32_e32 v1, 2, v1
	ds_add_u32 v1, v9
.LBB99_13:                              ;   in Loop: Header=BB99_7 Depth=1
	s_or_b32 exec_lo, exec_lo, s16
	v_add_nc_u32_e32 v1, 0xffffff00, v4
	s_mov_b32 s16, exec_lo
	s_delay_alu instid0(VALU_DEP_1)
	v_cmpx_gt_u32_e64 s8, v1
	s_cbranch_execz .LBB99_16
; %bb.14:                               ;   in Loop: Header=BB99_7 Depth=1
	v_add_nc_u32_e32 v1, s13, v6
	s_delay_alu instid0(VALU_DEP_1) | instskip(NEXT) | instid1(VALU_DEP_1)
	v_lshlrev_b64 v[11:12], 1, v[1:2]
	v_add_co_u32 v11, s0, s2, v11
	s_delay_alu instid0(VALU_DEP_1) | instskip(SKIP_4) | instid1(VALU_DEP_2)
	v_add_co_ci_u32_e64 v12, s0, s4, v12, s0
	global_load_u16 v1, v[11:12], off
	s_waitcnt vmcnt(0)
	v_cmp_lt_i16_e64 s0, -1, v1
	v_and_b32_e32 v11, 0xffff, v1
	v_cndmask_b32_e64 v12, 0xffff, v10, s0
	v_cmp_o_f16_e64 s0, v1, v1
	s_delay_alu instid0(VALU_DEP_2) | instskip(NEXT) | instid1(VALU_DEP_1)
	v_xor_b32_e32 v11, v12, v11
	v_cndmask_b32_e64 v1, 0xffff, v11, s0
	s_waitcnt lgkmcnt(0)
	s_delay_alu instid0(VALU_DEP_1) | instskip(NEXT) | instid1(VALU_DEP_1)
	v_xor_b32_e32 v11, s1, v1
	v_and_b32_e32 v11, s3, v11
	s_delay_alu instid0(VALU_DEP_1) | instskip(NEXT) | instid1(VALU_DEP_1)
	v_cmp_eq_u32_e64 s0, 0, v11
	s_and_b32 exec_lo, exec_lo, s0
	s_cbranch_execz .LBB99_16
; %bb.15:                               ;   in Loop: Header=BB99_7 Depth=1
	v_bfe_u32 v1, v1, s10, 8
	s_delay_alu instid0(VALU_DEP_1)
	v_lshlrev_b32_e32 v1, 2, v1
	ds_add_u32 v1, v9
.LBB99_16:                              ;   in Loop: Header=BB99_7 Depth=1
	s_or_b32 exec_lo, exec_lo, s16
	s_delay_alu instid0(SALU_CYCLE_1)
	s_mov_b32 s16, exec_lo
	v_cmpx_gt_u32_e64 s8, v4
	s_cbranch_execz .LBB99_6
; %bb.17:                               ;   in Loop: Header=BB99_7 Depth=1
	v_add_nc_u32_e32 v1, s13, v5
	s_delay_alu instid0(VALU_DEP_1) | instskip(NEXT) | instid1(VALU_DEP_1)
	v_lshlrev_b64 v[11:12], 1, v[1:2]
	v_add_co_u32 v11, s0, s2, v11
	s_delay_alu instid0(VALU_DEP_1) | instskip(SKIP_4) | instid1(VALU_DEP_2)
	v_add_co_ci_u32_e64 v12, s0, s4, v12, s0
	global_load_u16 v1, v[11:12], off
	s_waitcnt vmcnt(0)
	v_cmp_lt_i16_e64 s0, -1, v1
	v_and_b32_e32 v11, 0xffff, v1
	v_cndmask_b32_e64 v12, 0xffff, v10, s0
	v_cmp_o_f16_e64 s0, v1, v1
	s_delay_alu instid0(VALU_DEP_2) | instskip(NEXT) | instid1(VALU_DEP_1)
	v_xor_b32_e32 v11, v12, v11
	v_cndmask_b32_e64 v1, 0xffff, v11, s0
	s_waitcnt lgkmcnt(0)
	s_delay_alu instid0(VALU_DEP_1) | instskip(NEXT) | instid1(VALU_DEP_1)
	v_xor_b32_e32 v11, s1, v1
	v_and_b32_e32 v11, s3, v11
	s_delay_alu instid0(VALU_DEP_1) | instskip(NEXT) | instid1(VALU_DEP_1)
	v_cmp_eq_u32_e64 s0, 0, v11
	s_and_b32 exec_lo, exec_lo, s0
	s_cbranch_execz .LBB99_6
; %bb.18:                               ;   in Loop: Header=BB99_7 Depth=1
	v_bfe_u32 v1, v1, s10, 8
	s_delay_alu instid0(VALU_DEP_1)
	v_lshlrev_b32_e32 v1, 2, v1
	ds_add_u32 v1, v9
	s_branch .LBB99_6
.LBB99_19:
	s_and_b32 s11, s11, 3
	s_delay_alu instid0(SALU_CYCLE_1)
	s_cmp_eq_u32 s11, 0
	s_cbranch_scc1 .LBB99_25
; %bb.20:
	s_lshl_b32 s0, s5, 8
	v_dual_mov_b32 v2, 0 :: v_dual_mov_b32 v5, 1
	v_add3_u32 v4, s0, s15, v0
	v_mov_b32_e32 v6, 0x8000
	s_lshl_b32 s5, s9, 8
	s_delay_alu instid0(VALU_DEP_2)
	v_mul_lo_u32 v1, s9, v4
	s_set_inst_prefetch_distance 0x1
	s_branch .LBB99_22
	.p2align	6
.LBB99_21:                              ;   in Loop: Header=BB99_22 Depth=1
	s_or_b32 exec_lo, exec_lo, s9
	s_delay_alu instid0(VALU_DEP_2) | instskip(SKIP_2) | instid1(SALU_CYCLE_1)
	v_add_nc_u32_e32 v1, s5, v1
	v_add_nc_u32_e32 v4, 0x100, v4
	s_add_i32 s11, s11, -1
	s_cmp_lg_u32 s11, 0
	s_cbranch_scc0 .LBB99_25
.LBB99_22:                              ; =>This Inner Loop Header: Depth=1
	s_mov_b32 s9, exec_lo
	v_cmpx_gt_u32_e64 s8, v4
	s_cbranch_execz .LBB99_21
; %bb.23:                               ;   in Loop: Header=BB99_22 Depth=1
	s_delay_alu instid0(VALU_DEP_2) | instskip(NEXT) | instid1(VALU_DEP_1)
	v_lshlrev_b64 v[7:8], 1, v[1:2]
	v_add_co_u32 v7, s0, s2, v7
	s_delay_alu instid0(VALU_DEP_1) | instskip(SKIP_4) | instid1(VALU_DEP_2)
	v_add_co_ci_u32_e64 v8, s0, s4, v8, s0
	global_load_u16 v7, v[7:8], off
	s_waitcnt vmcnt(0)
	v_cmp_lt_i16_e64 s0, -1, v7
	v_and_b32_e32 v8, 0xffff, v7
	v_cndmask_b32_e64 v9, 0xffff, v6, s0
	v_cmp_o_f16_e64 s0, v7, v7
	s_delay_alu instid0(VALU_DEP_2) | instskip(NEXT) | instid1(VALU_DEP_1)
	v_xor_b32_e32 v8, v9, v8
	v_cndmask_b32_e64 v7, 0xffff, v8, s0
	s_waitcnt lgkmcnt(0)
	s_delay_alu instid0(VALU_DEP_1) | instskip(NEXT) | instid1(VALU_DEP_1)
	v_xor_b32_e32 v8, s1, v7
	v_and_b32_e32 v8, s3, v8
	s_delay_alu instid0(VALU_DEP_1) | instskip(NEXT) | instid1(VALU_DEP_1)
	v_cmp_eq_u32_e64 s0, 0, v8
	s_and_b32 exec_lo, exec_lo, s0
	s_cbranch_execz .LBB99_21
; %bb.24:                               ;   in Loop: Header=BB99_22 Depth=1
	v_bfe_u32 v7, v7, s10, 8
	s_delay_alu instid0(VALU_DEP_1)
	v_lshlrev_b32_e32 v7, 2, v7
	ds_add_u32 v7, v5
	s_branch .LBB99_21
.LBB99_25:
	s_set_inst_prefetch_distance 0x2
	v_mov_b32_e32 v1, 0
	s_waitcnt lgkmcnt(0)
	s_barrier
	buffer_gl0_inv
	s_and_saveexec_b32 s0, vcc_lo
	s_cbranch_execz .LBB99_27
; %bb.26:
	ds_load_b32 v1, v3
.LBB99_27:
	s_or_b32 exec_lo, exec_lo, s0
	s_and_saveexec_b32 s0, vcc_lo
	s_cbranch_execz .LBB99_29
; %bb.28:
	v_lshl_or_b32 v2, s18, 8, v0
	v_mov_b32_e32 v3, 0
	s_delay_alu instid0(VALU_DEP_1) | instskip(NEXT) | instid1(VALU_DEP_1)
	v_lshlrev_b64 v[2:3], 1, v[2:3]
	v_add_co_u32 v2, vcc_lo, s6, v2
	s_delay_alu instid0(VALU_DEP_2)
	v_add_co_ci_u32_e32 v3, vcc_lo, s7, v3, vcc_lo
	s_waitcnt lgkmcnt(0)
	global_store_b16 v[2:3], v1, off
.LBB99_29:
	s_nop 0
	s_sendmsg sendmsg(MSG_DEALLOC_VGPRS)
	s_endpgm
	.section	.rodata,"a",@progbits
	.p2align	6, 0x0
	.amdhsa_kernel _ZN2at6native6mbtopk23computeBlockDigitCountsIN3c104HalfEjjLi3EEEvNS_4cuda6detail10TensorInfoIKT_T0_EEjPjjSA_iijT1_PSD_Ps
		.amdhsa_group_segment_fixed_size 1024
		.amdhsa_private_segment_fixed_size 0
		.amdhsa_kernarg_size 528
		.amdhsa_user_sgpr_count 13
		.amdhsa_user_sgpr_dispatch_ptr 0
		.amdhsa_user_sgpr_queue_ptr 0
		.amdhsa_user_sgpr_kernarg_segment_ptr 1
		.amdhsa_user_sgpr_dispatch_id 0
		.amdhsa_user_sgpr_private_segment_size 0
		.amdhsa_wavefront_size32 1
		.amdhsa_uses_dynamic_stack 0
		.amdhsa_enable_private_segment 0
		.amdhsa_system_sgpr_workgroup_id_x 1
		.amdhsa_system_sgpr_workgroup_id_y 1
		.amdhsa_system_sgpr_workgroup_id_z 1
		.amdhsa_system_sgpr_workgroup_info 0
		.amdhsa_system_vgpr_workitem_id 0
		.amdhsa_next_free_vgpr 13
		.amdhsa_next_free_sgpr 26
		.amdhsa_reserve_vcc 1
		.amdhsa_float_round_mode_32 0
		.amdhsa_float_round_mode_16_64 0
		.amdhsa_float_denorm_mode_32 3
		.amdhsa_float_denorm_mode_16_64 3
		.amdhsa_dx10_clamp 1
		.amdhsa_ieee_mode 1
		.amdhsa_fp16_overflow 0
		.amdhsa_workgroup_processor_mode 1
		.amdhsa_memory_ordered 1
		.amdhsa_forward_progress 0
		.amdhsa_shared_vgpr_count 0
		.amdhsa_exception_fp_ieee_invalid_op 0
		.amdhsa_exception_fp_denorm_src 0
		.amdhsa_exception_fp_ieee_div_zero 0
		.amdhsa_exception_fp_ieee_overflow 0
		.amdhsa_exception_fp_ieee_underflow 0
		.amdhsa_exception_fp_ieee_inexact 0
		.amdhsa_exception_int_div_zero 0
	.end_amdhsa_kernel
	.section	.text._ZN2at6native6mbtopk23computeBlockDigitCountsIN3c104HalfEjjLi3EEEvNS_4cuda6detail10TensorInfoIKT_T0_EEjPjjSA_iijT1_PSD_Ps,"axG",@progbits,_ZN2at6native6mbtopk23computeBlockDigitCountsIN3c104HalfEjjLi3EEEvNS_4cuda6detail10TensorInfoIKT_T0_EEjPjjSA_iijT1_PSD_Ps,comdat
.Lfunc_end99:
	.size	_ZN2at6native6mbtopk23computeBlockDigitCountsIN3c104HalfEjjLi3EEEvNS_4cuda6detail10TensorInfoIKT_T0_EEjPjjSA_iijT1_PSD_Ps, .Lfunc_end99-_ZN2at6native6mbtopk23computeBlockDigitCountsIN3c104HalfEjjLi3EEEvNS_4cuda6detail10TensorInfoIKT_T0_EEjPjjSA_iijT1_PSD_Ps
                                        ; -- End function
	.section	.AMDGPU.csdata,"",@progbits
; Kernel info:
; codeLenInByte = 1956
; NumSgprs: 28
; NumVgprs: 13
; ScratchSize: 0
; MemoryBound: 0
; FloatMode: 240
; IeeeMode: 1
; LDSByteSize: 1024 bytes/workgroup (compile time only)
; SGPRBlocks: 3
; VGPRBlocks: 1
; NumSGPRsForWavesPerEU: 28
; NumVGPRsForWavesPerEU: 13
; Occupancy: 16
; WaveLimiterHint : 1
; COMPUTE_PGM_RSRC2:SCRATCH_EN: 0
; COMPUTE_PGM_RSRC2:USER_SGPR: 13
; COMPUTE_PGM_RSRC2:TRAP_HANDLER: 0
; COMPUTE_PGM_RSRC2:TGID_X_EN: 1
; COMPUTE_PGM_RSRC2:TGID_Y_EN: 1
; COMPUTE_PGM_RSRC2:TGID_Z_EN: 1
; COMPUTE_PGM_RSRC2:TIDIG_COMP_CNT: 0
	.section	.text._ZN2at6native6mbtopk10gatherTopKIN3c104HalfEjLi3EEEvNS_4cuda6detail10TensorInfoIKT_T0_EESA_SA_bjSA_NS7_IS8_SA_EESA_NS7_IlSA_EESA_jjPS8_PjSF_j,"axG",@progbits,_ZN2at6native6mbtopk10gatherTopKIN3c104HalfEjLi3EEEvNS_4cuda6detail10TensorInfoIKT_T0_EESA_SA_bjSA_NS7_IS8_SA_EESA_NS7_IlSA_EESA_jjPS8_PjSF_j,comdat
	.protected	_ZN2at6native6mbtopk10gatherTopKIN3c104HalfEjLi3EEEvNS_4cuda6detail10TensorInfoIKT_T0_EESA_SA_bjSA_NS7_IS8_SA_EESA_NS7_IlSA_EESA_jjPS8_PjSF_j ; -- Begin function _ZN2at6native6mbtopk10gatherTopKIN3c104HalfEjLi3EEEvNS_4cuda6detail10TensorInfoIKT_T0_EESA_SA_bjSA_NS7_IS8_SA_EESA_NS7_IlSA_EESA_jjPS8_PjSF_j
	.globl	_ZN2at6native6mbtopk10gatherTopKIN3c104HalfEjLi3EEEvNS_4cuda6detail10TensorInfoIKT_T0_EESA_SA_bjSA_NS7_IS8_SA_EESA_NS7_IlSA_EESA_jjPS8_PjSF_j
	.p2align	8
	.type	_ZN2at6native6mbtopk10gatherTopKIN3c104HalfEjLi3EEEvNS_4cuda6detail10TensorInfoIKT_T0_EESA_SA_bjSA_NS7_IS8_SA_EESA_NS7_IlSA_EESA_jjPS8_PjSF_j,@function
_ZN2at6native6mbtopk10gatherTopKIN3c104HalfEjLi3EEEvNS_4cuda6detail10TensorInfoIKT_T0_EESA_SA_bjSA_NS7_IS8_SA_EESA_NS7_IlSA_EESA_jjPS8_PjSF_j: ; @_ZN2at6native6mbtopk10gatherTopKIN3c104HalfEjLi3EEEvNS_4cuda6detail10TensorInfoIKT_T0_EESA_SA_bjSA_NS7_IS8_SA_EESA_NS7_IlSA_EESA_jjPS8_PjSF_j
; %bb.0:
	s_clause 0x1
	s_load_b64 s[2:3], s[0:1], 0x2d8
	s_load_b32 s4, s[0:1], 0x2d0
	s_waitcnt lgkmcnt(0)
	s_mul_i32 s3, s3, s15
	s_delay_alu instid0(SALU_CYCLE_1) | instskip(NEXT) | instid1(SALU_CYCLE_1)
	s_add_i32 s3, s3, s14
	s_mul_i32 s2, s3, s2
	s_delay_alu instid0(SALU_CYCLE_1) | instskip(NEXT) | instid1(SALU_CYCLE_1)
	s_add_i32 s2, s2, s13
	s_cmp_ge_u32 s2, s4
	s_cbranch_scc1 .LBB100_40
; %bb.1:
	s_clause 0x3
	s_load_b256 s[4:11], s[0:1], 0x2a8
	s_load_b64 s[36:37], s[0:1], 0xc
	s_load_b64 s[34:35], s[0:1], 0xfc
	;; [unrolled: 1-line block ×3, first 2 shown]
	s_mov_b32 s39, 0
	s_load_b64 s[28:29], s[0:1], 0x1d0
	s_waitcnt lgkmcnt(0)
	v_cvt_f32_u32_e32 v1, s6
	v_cvt_f32_u32_e32 v2, s37
	s_sub_i32 s3, 0, s6
	v_cvt_f32_u32_e32 v3, s36
	v_cvt_f32_u32_e32 v4, s35
	v_rcp_iflag_f32_e32 v1, v1
	v_rcp_iflag_f32_e32 v2, v2
	v_cvt_f32_u32_e32 v5, s34
	v_rcp_iflag_f32_e32 v3, v3
	v_rcp_iflag_f32_e32 v4, v4
	v_cvt_f32_u32_e32 v6, s31
	s_delay_alu instid0(VALU_DEP_2) | instskip(NEXT) | instid1(VALU_DEP_1)
	v_rcp_iflag_f32_e32 v5, v5
	v_rcp_iflag_f32_e32 v6, v6
	v_dual_mul_f32 v1, 0x4f7ffffe, v1 :: v_dual_mul_f32 v2, 0x4f7ffffe, v2
	v_mul_f32_e32 v3, 0x4f7ffffe, v3
	s_delay_alu instid0(VALU_DEP_2) | instskip(NEXT) | instid1(VALU_DEP_3)
	v_cvt_u32_f32_e32 v1, v1
	v_cvt_u32_f32_e32 v2, v2
	s_delay_alu instid0(VALU_DEP_2) | instskip(NEXT) | instid1(VALU_DEP_2)
	v_readfirstlane_b32 s7, v1
	v_readfirstlane_b32 s14, v2
	v_mul_f32_e32 v2, 0x4f7ffffe, v4
	v_cvt_u32_f32_e32 v3, v3
	s_delay_alu instid0(TRANS32_DEP_1) | instskip(SKIP_1) | instid1(VALU_DEP_3)
	v_dual_mul_f32 v4, 0x4f7ffffe, v5 :: v_dual_mul_f32 v5, 0x4f7ffffe, v6
	s_mul_i32 s3, s3, s7
	v_cvt_u32_f32_e32 v2, v2
	s_mul_hi_u32 s3, s7, s3
	v_cvt_f32_u32_e32 v1, s30
	s_add_i32 s7, s7, s3
	s_delay_alu instid0(SALU_CYCLE_1) | instskip(NEXT) | instid1(SALU_CYCLE_1)
	s_mul_hi_u32 s3, s2, s7
	s_mul_i32 s7, s3, s6
	s_add_i32 s12, s3, 1
	s_sub_i32 s7, s2, s7
	v_rcp_iflag_f32_e32 v1, v1
	s_sub_i32 s13, s7, s6
	s_cmp_ge_u32 s7, s6
	s_cselect_b32 s3, s12, s3
	s_cselect_b32 s7, s13, s7
	s_add_i32 s12, s3, 1
	s_cmp_ge_u32 s7, s6
	s_cselect_b32 s38, s12, s3
	s_sub_i32 s3, 0, s37
	s_mul_i32 s24, s38, s6
	s_mul_i32 s3, s3, s14
	s_sub_i32 s7, s2, s24
	s_mul_hi_u32 s3, s14, s3
	s_waitcnt_depctr 0xfff
	v_mul_f32_e32 v1, 0x4f7ffffe, v1
	s_add_i32 s14, s14, s3
	s_delay_alu instid0(SALU_CYCLE_1)
	s_mul_hi_u32 s3, s38, s14
	v_readfirstlane_b32 s14, v2
	s_mul_i32 s12, s3, s37
	v_cvt_u32_f32_e32 v2, v4
	s_sub_i32 s2, s38, s12
	s_add_i32 s12, s3, 1
	s_sub_i32 s13, s2, s37
	s_cmp_ge_u32 s2, s37
	v_cvt_u32_f32_e32 v1, v1
	s_cselect_b32 s3, s12, s3
	s_cselect_b32 s2, s13, s2
	s_add_i32 s12, s3, 1
	s_cmp_ge_u32 s2, s37
	s_cselect_b32 s49, s12, s3
	s_sub_i32 s2, 0, s35
	v_readfirstlane_b32 s3, v3
	s_mul_i32 s2, s2, s14
	s_sub_i32 s12, 0, s36
	s_mul_hi_u32 s2, s14, s2
	v_cvt_u32_f32_e32 v3, v5
	s_add_i32 s14, s14, s2
	s_mul_i32 s12, s12, s3
	s_mul_hi_u32 s2, s38, s14
	s_mul_hi_u32 s12, s3, s12
	s_mul_i32 s13, s2, s35
	s_add_i32 s25, s3, s12
	s_sub_i32 s3, s38, s13
	s_add_i32 s12, s2, 1
	s_sub_i32 s13, s3, s35
	s_cmp_ge_u32 s3, s35
	v_readfirstlane_b32 s14, v3
	s_cselect_b32 s2, s12, s2
	s_cselect_b32 s3, s13, s3
	s_add_i32 s12, s2, 1
	s_cmp_ge_u32 s3, s35
	v_readfirstlane_b32 s3, v2
	s_cselect_b32 s48, s12, s2
	s_sub_i32 s2, 0, s31
	s_sub_i32 s12, 0, s34
	s_mul_i32 s2, s2, s14
	s_mul_i32 s12, s12, s3
	s_mul_hi_u32 s2, s14, s2
	s_mul_hi_u32 s12, s3, s12
	s_add_i32 s14, s14, s2
	s_add_i32 s26, s3, s12
	s_mul_hi_u32 s2, s38, s14
	v_readfirstlane_b32 s14, v1
	s_mul_i32 s13, s2, s31
	s_add_i32 s12, s2, 1
	s_sub_i32 s3, s38, s13
	v_mov_b32_e32 v1, 0
	s_sub_i32 s13, s3, s31
	s_cmp_ge_u32 s3, s31
	s_mul_hi_u32 s50, s49, s25
	s_cselect_b32 s2, s12, s2
	s_cselect_b32 s3, s13, s3
	s_add_i32 s12, s2, 1
	s_cmp_ge_u32 s3, s31
	s_cselect_b32 s33, s12, s2
	s_sub_i32 s2, 0, s30
	s_delay_alu instid0(SALU_CYCLE_1) | instskip(NEXT) | instid1(SALU_CYCLE_1)
	s_mul_i32 s2, s2, s14
	s_mul_hi_u32 s12, s14, s2
	s_lshl_b64 s[2:3], s[38:39], 1
	s_add_i32 s27, s14, s12
	s_add_u32 s2, s8, s2
	s_addc_u32 s3, s9, s3
	global_load_u16 v1, v1, s[2:3]
	s_clause 0x4
	s_load_b64 s[42:43], s[0:1], 0x0
	s_load_b128 s[16:19], s[0:1], 0x15c
	s_load_b128 s[12:15], s[0:1], 0x23c
	s_load_b64 s[40:41], s[0:1], 0xf0
	s_load_b128 s[20:23], s[0:1], 0x6c
	v_cmp_ne_u32_e64 s2, 0, v0
	v_cmp_eq_u32_e64 s3, 0, v0
	s_waitcnt lgkmcnt(0)
	s_mul_hi_u32 s23, s48, s26
	s_mul_hi_u32 s19, s33, s27
	s_waitcnt vmcnt(0)
	v_readfirstlane_b32 s15, v1
	s_and_saveexec_b32 s51, s3
	s_cbranch_execz .LBB100_17
; %bb.2:
	s_load_b64 s[8:9], s[0:1], 0x2c8
	s_mov_b32 s25, s39
	s_delay_alu instid0(SALU_CYCLE_1) | instskip(NEXT) | instid1(SALU_CYCLE_1)
	s_lshl_b64 s[44:45], s[24:25], 2
	s_add_u32 s24, s10, s44
	s_addc_u32 s25, s11, s45
	s_waitcnt lgkmcnt(0)
	s_add_u32 s26, s8, s44
	s_addc_u32 s27, s9, s45
	s_cmp_lt_u32 s6, 4
	s_cbranch_scc1 .LBB100_14
; %bb.3:
	s_mov_b32 s52, s39
	s_mov_b32 s53, s39
	;; [unrolled: 1-line block ×3, first 2 shown]
.LBB100_4:                              ; =>This Inner Loop Header: Depth=1
	s_add_u32 s24, s10, s44
	s_addc_u32 s25, s11, s45
	s_add_u32 s46, s8, s44
	s_load_b128 s[24:27], s[24:25], 0x0
	s_addc_u32 s47, s9, s45
	s_cmp_ge_u32 s54, s7
	s_cbranch_scc0 .LBB100_11
; %bb.5:                                ;   in Loop: Header=BB100_4 Depth=1
	s_add_i32 s55, s54, 1
	s_delay_alu instid0(SALU_CYCLE_1)
	s_cmp_ge_u32 s55, s7
	s_cbranch_scc0 .LBB100_12
.LBB100_6:                              ;   in Loop: Header=BB100_4 Depth=1
	s_add_i32 s55, s55, 1
	s_delay_alu instid0(SALU_CYCLE_1)
	s_cmp_ge_u32 s55, s7
	s_cbranch_scc0 .LBB100_13
.LBB100_7:                              ;   in Loop: Header=BB100_4 Depth=1
	s_add_i32 s55, s55, 1
	s_delay_alu instid0(SALU_CYCLE_1)
	s_cmp_ge_u32 s55, s7
	s_cbranch_scc1 .LBB100_9
.LBB100_8:                              ;   in Loop: Header=BB100_4 Depth=1
	s_load_b32 s46, s[46:47], 0xc
	s_waitcnt lgkmcnt(0)
	s_add_i32 s39, s39, s27
	s_add_i32 s52, s46, s52
.LBB100_9:                              ;   in Loop: Header=BB100_4 Depth=1
	s_waitcnt lgkmcnt(0)
	s_add_i32 s24, s24, s53
	s_delay_alu instid0(SALU_CYCLE_1) | instskip(NEXT) | instid1(SALU_CYCLE_1)
	s_add_i32 s24, s24, s25
	s_add_i32 s24, s24, s26
	s_delay_alu instid0(SALU_CYCLE_1)
	s_add_i32 s53, s24, s27
	s_add_u32 s10, s10, 16
	s_addc_u32 s11, s11, 0
	s_add_u32 s8, s8, 16
	s_addc_u32 s9, s9, 0
	s_add_i32 s47, s55, 4
	s_add_u32 s26, s8, s44
	s_addc_u32 s27, s9, s45
	s_add_u32 s24, s10, s44
	s_addc_u32 s25, s11, s45
	s_add_i32 s46, s55, 1
	s_cmp_ge_u32 s47, s6
	s_cbranch_scc1 .LBB100_15
; %bb.10:                               ;   in Loop: Header=BB100_4 Depth=1
	s_mov_b32 s54, s46
	s_branch .LBB100_4
.LBB100_11:                             ;   in Loop: Header=BB100_4 Depth=1
	s_load_b32 s55, s[46:47], 0x0
	s_waitcnt lgkmcnt(0)
	s_add_i32 s39, s24, s39
	s_add_i32 s52, s55, s52
	;; [unrolled: 1-line block ×3, first 2 shown]
	s_delay_alu instid0(SALU_CYCLE_1)
	s_cmp_ge_u32 s55, s7
	s_cbranch_scc1 .LBB100_6
.LBB100_12:                             ;   in Loop: Header=BB100_4 Depth=1
	s_load_b32 s56, s[46:47], 0x4
	s_waitcnt lgkmcnt(0)
	s_add_i32 s39, s39, s25
	s_add_i32 s52, s56, s52
	;; [unrolled: 1-line block ×3, first 2 shown]
	s_delay_alu instid0(SALU_CYCLE_1)
	s_cmp_ge_u32 s55, s7
	s_cbranch_scc1 .LBB100_7
.LBB100_13:                             ;   in Loop: Header=BB100_4 Depth=1
	s_load_b32 s56, s[46:47], 0x8
	s_waitcnt lgkmcnt(0)
	s_add_i32 s39, s39, s26
	s_add_i32 s52, s56, s52
	;; [unrolled: 1-line block ×3, first 2 shown]
	s_delay_alu instid0(SALU_CYCLE_1)
	s_cmp_ge_u32 s55, s7
	s_cbranch_scc0 .LBB100_8
	s_branch .LBB100_9
.LBB100_14:
	s_mov_b32 s52, 0
	s_mov_b32 s53, 0
	;; [unrolled: 1-line block ×3, first 2 shown]
	s_delay_alu instid0(SALU_CYCLE_1)
	s_cmp_ge_u32 s8, s6
	s_cbranch_scc0 .LBB100_38
	s_branch .LBB100_16
.LBB100_15:
	s_add_i32 s8, s54, 4
	s_delay_alu instid0(SALU_CYCLE_1)
	s_cmp_ge_u32 s8, s6
	s_cbranch_scc0 .LBB100_38
.LBB100_16:
	v_dual_mov_b32 v1, s52 :: v_dual_mov_b32 v2, s53
	v_dual_mov_b32 v3, s39 :: v_dual_mov_b32 v4, 0
	ds_store_b96 v4, v[1:3] offset:1056
.LBB100_17:
	s_or_b32 exec_lo, exec_lo, s51
	s_load_b128 s[8:11], s[0:1], 0xd8
	s_waitcnt lgkmcnt(0)
	s_mul_i32 s11, s5, s7
	s_add_i32 s7, s7, 1
	s_lshl_b32 s24, s11, 8
	s_barrier
	buffer_gl0_inv
	s_sub_i32 s11, s8, s24
	s_delay_alu instid0(SALU_CYCLE_1) | instskip(SKIP_4) | instid1(VALU_DEP_1)
	s_add_u32 s11, s11, 0xff
	s_addc_u32 s25, 0, 0
	s_cmp_lt_u32 s7, s6
	v_alignbit_b32 v1, s25, s11, 8
	s_mov_b32 s7, 0
	v_readfirstlane_b32 s11, v1
	s_delay_alu instid0(VALU_DEP_1) | instskip(NEXT) | instid1(SALU_CYCLE_1)
	s_cselect_b32 s5, s5, s11
	s_cmp_eq_u32 s5, 0
	s_cbranch_scc1 .LBB100_40
; %bb.18:
	s_mul_i32 s11, s50, s36
	s_mul_i32 s6, s49, s37
	s_sub_i32 s11, s49, s11
	s_sub_i32 s6, s38, s6
	s_add_i32 s25, s50, 1
	s_sub_i32 s26, s11, s36
	s_cmp_ge_u32 s11, s36
	s_mul_i32 s6, s6, s22
	s_cselect_b32 s25, s25, s50
	s_cselect_b32 s11, s26, s11
	s_add_i32 s26, s25, 1
	s_cmp_ge_u32 s11, s36
	s_mul_i32 s11, s48, s35
	s_cselect_b32 s25, s26, s25
	s_mul_i32 s26, s23, s34
	s_mul_i32 s27, s25, s36
	;; [unrolled: 1-line block ×3, first 2 shown]
	s_sub_i32 s22, s49, s27
	s_sub_i32 s20, s48, s26
	s_mul_i32 s21, s22, s21
	s_sub_i32 s11, s38, s11
	s_add_i32 s6, s21, s6
	s_add_i32 s21, s23, 1
	;; [unrolled: 1-line block ×3, first 2 shown]
	s_sub_i32 s22, s20, s34
	s_cmp_ge_u32 s20, s34
	s_mul_i32 s11, s11, s18
	s_cselect_b32 s21, s21, s23
	s_cselect_b32 s20, s22, s20
	s_add_i32 s22, s21, 1
	s_cmp_ge_u32 s20, s34
	s_mul_i32 s23, s19, s30
	s_cselect_b32 s20, s22, s21
	s_mul_i32 s21, s33, s31
	s_mul_i32 s22, s20, s34
	;; [unrolled: 1-line block ×3, first 2 shown]
	s_sub_i32 s22, s48, s22
	s_sub_i32 s18, s38, s21
	s_mul_i32 s17, s22, s17
	s_mul_i32 s18, s18, s14
	s_add_i32 s11, s17, s11
	s_add_i32 s17, s19, 1
	;; [unrolled: 1-line block ×3, first 2 shown]
	s_sub_i32 s11, s33, s23
	v_mov_b32_e32 v5, 0
	s_sub_i32 s20, s11, s30
	s_cmp_ge_u32 s11, s30
	v_lshrrev_b32_e32 v4, 5, v0
	s_cselect_b32 s17, s17, s19
	s_cselect_b32 s11, s20, s11
	s_add_i32 s19, s17, 1
	s_cmp_ge_u32 s11, s30
	ds_load_b96 v[1:3], v5 offset:1056
	s_cselect_b32 s11, s19, s17
	s_mov_b32 s17, s7
	s_mul_i32 s19, s11, s30
	s_mul_i32 s11, s11, s12
	s_sub_i32 s19, s33, s19
	v_add_nc_u32_e32 v9, -1, v0
	s_mul_i32 s13, s19, s13
	s_mov_b32 s19, s7
	s_add_i32 s14, s13, s18
	s_lshl_b64 s[12:13], s[6:7], 1
	s_add_i32 s18, s14, s11
	s_add_u32 s6, s42, s12
	s_addc_u32 s11, s43, s13
	s_lshl_b64 s[12:13], s[16:17], 1
	v_add_lshl_u32 v7, v4, v0, 2
	s_add_u32 s12, s40, s12
	s_addc_u32 s13, s41, s13
	s_lshl_b64 s[16:17], s[18:19], 3
	s_load_b32 s18, s[0:1], 0xe8
	s_add_u32 s7, s28, s16
	s_sext_i32_i16 s16, s15
	s_addc_u32 s14, s29, s17
	s_and_b32 s17, 0xffff, s15
	s_cmp_gt_i32 s16, -1
	s_mov_b32 s16, 0x8000
	v_cmp_o_f16_e64 s15, s15, s15
	s_cselect_b32 s16, s16, 0xffff
	s_waitcnt lgkmcnt(0)
	v_add_nc_u32_e32 v6, v1, v2
	s_xor_b32 s16, s16, s17
	v_dual_mov_b32 v13, 0x8000 :: v_dual_lshlrev_b32 v2, 3, v0
	s_and_b32 s15, s15, exec_lo
	s_cselect_b32 s15, s16, 0xffff
	s_bitcmp1_b32 s10, 0
	s_load_b32 s10, s[0:1], 0x1c8
	v_lshrrev_b32_e32 v4, 2, v0
	v_add_nc_u32_e32 v1, s24, v0
	v_lshrrev_b32_e32 v10, 5, v9
	v_mbcnt_lo_u32_b32 v8, -1, 0
	v_cmp_gt_u32_e64 s0, 32, v0
	v_add_lshl_u32 v0, v4, v2, 2
	v_mul_lo_u32 v4, s18, v1
	v_add_lshl_u32 v9, v10, v9, 2
	v_and_b32_e32 v10, 15, v8
	v_bfe_i32 v11, v8, 4, 1
	v_add_nc_u32_e32 v12, -1, v8
	s_cselect_b32 s1, -1, 0
	s_lshl_b32 s16, s18, 8
                                        ; implicit-def: $vgpr14
	s_branch .LBB100_21
.LBB100_19:                             ;   in Loop: Header=BB100_21 Depth=1
	s_or_b32 exec_lo, exec_lo, s17
	v_add_nc_u32_e32 v6, v17, v6
.LBB100_20:                             ;   in Loop: Header=BB100_21 Depth=1
	v_add_nc_u32_e32 v3, v16, v3
	v_add_nc_u32_e32 v4, s16, v4
	v_add_nc_u32_e32 v1, 0x100, v1
	s_add_i32 s5, s5, -1
	s_delay_alu instid0(SALU_CYCLE_1)
	s_cmp_lg_u32 s5, 0
	s_cbranch_scc0 .LBB100_40
.LBB100_21:                             ; =>This Inner Loop Header: Depth=1
	v_dual_mov_b32 v2, 0 :: v_dual_mov_b32 v15, 0
	s_mov_b32 s17, exec_lo
	v_cmpx_gt_u32_e64 s8, v1
	s_cbranch_execz .LBB100_23
; %bb.22:                               ;   in Loop: Header=BB100_21 Depth=1
	v_lshlrev_b64 v[14:15], 1, v[4:5]
	s_delay_alu instid0(VALU_DEP_1) | instskip(NEXT) | instid1(VALU_DEP_2)
	v_add_co_u32 v14, vcc_lo, s6, v14
	v_add_co_ci_u32_e32 v15, vcc_lo, s11, v15, vcc_lo
	global_load_u16 v14, v[14:15], off
	s_waitcnt vmcnt(0)
	v_cmp_lt_i16_e32 vcc_lo, -1, v14
	v_dual_cndmask_b32 v15, 0xffff, v13 :: v_dual_and_b32 v2, 0xffff, v14
	v_cmp_o_f16_e32 vcc_lo, v14, v14
	s_delay_alu instid0(VALU_DEP_2) | instskip(NEXT) | instid1(VALU_DEP_1)
	v_xor_b32_e32 v2, v15, v2
	v_cndmask_b32_e32 v15, 0xffff, v2, vcc_lo
	s_delay_alu instid0(VALU_DEP_1) | instskip(SKIP_4) | instid1(VALU_DEP_2)
	v_cmp_lt_u32_e32 vcc_lo, s15, v15
	v_cndmask_b32_e64 v2, 0, 1, vcc_lo
	v_cmp_gt_u32_e32 vcc_lo, s15, v15
	v_cndmask_b32_e64 v16, 0, 1, vcc_lo
	v_cmp_eq_u32_e32 vcc_lo, s15, v15
	v_cndmask_b32_e64 v2, v16, v2, s1
	v_cndmask_b32_e64 v15, 0, 1, vcc_lo
	s_delay_alu instid0(VALU_DEP_2)
	v_and_b32_e32 v2, 1, v2
.LBB100_23:                             ;   in Loop: Header=BB100_21 Depth=1
	s_or_b32 exec_lo, exec_lo, s17
	ds_store_b32 v7, v2
	s_waitcnt lgkmcnt(0)
	s_waitcnt_vscnt null, 0x0
	s_barrier
	buffer_gl0_inv
	s_and_saveexec_b32 s17, s0
	s_cbranch_execz .LBB100_25
; %bb.24:                               ;   in Loop: Header=BB100_21 Depth=1
	ds_load_2addr_b32 v[16:17], v0 offset1:1
	ds_load_2addr_b32 v[18:19], v0 offset0:2 offset1:3
	ds_load_2addr_b32 v[20:21], v0 offset0:4 offset1:5
	;; [unrolled: 1-line block ×3, first 2 shown]
	v_cmp_ne_u32_e32 vcc_lo, 0, v10
	; wave barrier
	s_waitcnt lgkmcnt(3)
	v_add_nc_u32_e32 v17, v17, v16
	s_waitcnt lgkmcnt(2)
	s_delay_alu instid0(VALU_DEP_1) | instskip(SKIP_1) | instid1(VALU_DEP_1)
	v_add3_u32 v17, v17, v18, v19
	s_waitcnt lgkmcnt(1)
	v_add3_u32 v17, v17, v20, v21
	s_waitcnt lgkmcnt(0)
	s_delay_alu instid0(VALU_DEP_1) | instskip(NEXT) | instid1(VALU_DEP_1)
	v_add3_u32 v17, v17, v22, v23
	v_mov_b32_dpp v18, v17 row_shr:1 row_mask:0xf bank_mask:0xf
	s_delay_alu instid0(VALU_DEP_1) | instskip(SKIP_1) | instid1(VALU_DEP_2)
	v_cndmask_b32_e32 v18, 0, v18, vcc_lo
	v_cmp_lt_u32_e32 vcc_lo, 1, v10
	v_add_nc_u32_e32 v17, v18, v17
	s_delay_alu instid0(VALU_DEP_1) | instskip(NEXT) | instid1(VALU_DEP_1)
	v_mov_b32_dpp v18, v17 row_shr:2 row_mask:0xf bank_mask:0xf
	v_cndmask_b32_e32 v18, 0, v18, vcc_lo
	v_cmp_lt_u32_e32 vcc_lo, 3, v10
	s_delay_alu instid0(VALU_DEP_2) | instskip(NEXT) | instid1(VALU_DEP_1)
	v_add_nc_u32_e32 v17, v17, v18
	v_mov_b32_dpp v18, v17 row_shr:4 row_mask:0xf bank_mask:0xf
	s_delay_alu instid0(VALU_DEP_1) | instskip(SKIP_1) | instid1(VALU_DEP_2)
	v_cndmask_b32_e32 v18, 0, v18, vcc_lo
	v_cmp_lt_u32_e32 vcc_lo, 7, v10
	v_add_nc_u32_e32 v17, v17, v18
	s_delay_alu instid0(VALU_DEP_1) | instskip(NEXT) | instid1(VALU_DEP_1)
	v_mov_b32_dpp v18, v17 row_shr:8 row_mask:0xf bank_mask:0xf
	v_cndmask_b32_e32 v18, 0, v18, vcc_lo
	v_cmp_gt_i32_e32 vcc_lo, 0, v12
	v_cndmask_b32_e32 v19, v12, v8, vcc_lo
	s_delay_alu instid0(VALU_DEP_1) | instskip(NEXT) | instid1(VALU_DEP_4)
	v_lshlrev_b32_e32 v19, 2, v19
	v_add_nc_u32_e32 v17, v17, v18
	ds_swizzle_b32 v18, v17 offset:swizzle(BROADCAST,32,15)
	s_waitcnt lgkmcnt(0)
	v_and_b32_e32 v18, v11, v18
	s_delay_alu instid0(VALU_DEP_1) | instskip(SKIP_3) | instid1(VALU_DEP_1)
	v_add_nc_u32_e32 v17, v17, v18
	ds_bpermute_b32 v17, v19, v17
	s_waitcnt lgkmcnt(0)
	v_add_nc_u32_e32 v16, v17, v16
	v_cndmask_b32_e64 v22, v16, v2, s3
	ds_store_b32 v0, v22
	; wave barrier
	ds_load_2addr_b32 v[16:17], v0 offset0:1 offset1:2
	ds_load_2addr_b32 v[18:19], v0 offset0:3 offset1:4
	;; [unrolled: 1-line block ×3, first 2 shown]
	ds_load_b32 v23, v0 offset:28
	s_waitcnt lgkmcnt(3)
	v_add_nc_u32_e32 v16, v16, v22
	s_delay_alu instid0(VALU_DEP_1) | instskip(SKIP_1) | instid1(VALU_DEP_1)
	v_add_nc_u32_e32 v17, v17, v16
	s_waitcnt lgkmcnt(2)
	v_add_nc_u32_e32 v18, v18, v17
	s_delay_alu instid0(VALU_DEP_1) | instskip(SKIP_1) | instid1(VALU_DEP_1)
	v_add_nc_u32_e32 v19, v19, v18
	;; [unrolled: 4-line block ×3, first 2 shown]
	s_waitcnt lgkmcnt(0)
	v_add_nc_u32_e32 v22, v23, v21
	ds_store_2addr_b32 v0, v16, v17 offset0:1 offset1:2
	ds_store_2addr_b32 v0, v18, v19 offset0:3 offset1:4
	;; [unrolled: 1-line block ×3, first 2 shown]
	ds_store_b32 v0, v22 offset:28
.LBB100_25:                             ;   in Loop: Header=BB100_21 Depth=1
	s_or_b32 exec_lo, exec_lo, s17
	v_mov_b32_e32 v17, 0
	s_waitcnt lgkmcnt(0)
	s_barrier
	buffer_gl0_inv
	s_and_saveexec_b32 s17, s2
	s_cbranch_execz .LBB100_27
; %bb.26:                               ;   in Loop: Header=BB100_21 Depth=1
	ds_load_b32 v17, v9
.LBB100_27:                             ;   in Loop: Header=BB100_21 Depth=1
	s_or_b32 exec_lo, exec_lo, s17
	ds_load_b32 v16, v5 offset:1048
	s_mov_b32 s17, exec_lo
	s_waitcnt lgkmcnt(0)
	s_barrier
	buffer_gl0_inv
	v_cmpx_ne_u32_e32 0, v2
	s_cbranch_execz .LBB100_29
; %bb.28:                               ;   in Loop: Header=BB100_21 Depth=1
	v_add_nc_u32_e32 v2, v17, v3
	v_mov_b32_e32 v18, v5
	v_mov_b32_e32 v20, v5
	s_delay_alu instid0(VALU_DEP_3) | instskip(SKIP_2) | instid1(VALU_DEP_3)
	v_mul_lo_u32 v17, v2, s10
	v_mul_lo_u32 v19, v2, s4
	v_mov_b32_e32 v2, v5
	v_lshlrev_b64 v[17:18], 1, v[17:18]
	s_delay_alu instid0(VALU_DEP_3) | instskip(NEXT) | instid1(VALU_DEP_2)
	v_lshlrev_b64 v[19:20], 3, v[19:20]
	v_add_co_u32 v17, vcc_lo, s12, v17
	s_delay_alu instid0(VALU_DEP_3) | instskip(NEXT) | instid1(VALU_DEP_3)
	v_add_co_ci_u32_e32 v18, vcc_lo, s13, v18, vcc_lo
	v_add_co_u32 v19, vcc_lo, s7, v19
	s_delay_alu instid0(VALU_DEP_4)
	v_add_co_ci_u32_e32 v20, vcc_lo, s14, v20, vcc_lo
	global_store_b16 v[17:18], v14, off
	global_store_b64 v[19:20], v[1:2], off
.LBB100_29:                             ;   in Loop: Header=BB100_21 Depth=1
	s_or_b32 exec_lo, exec_lo, s17
	v_cmp_le_u32_e32 vcc_lo, s9, v6
	s_cbranch_vccnz .LBB100_20
; %bb.30:                               ;   in Loop: Header=BB100_21 Depth=1
	ds_store_b32 v7, v15
	s_waitcnt lgkmcnt(0)
	s_waitcnt_vscnt null, 0x0
	s_barrier
	buffer_gl0_inv
	s_and_saveexec_b32 s17, s0
	s_cbranch_execz .LBB100_32
; %bb.31:                               ;   in Loop: Header=BB100_21 Depth=1
	ds_load_2addr_b32 v[17:18], v0 offset1:1
	ds_load_2addr_b32 v[19:20], v0 offset0:2 offset1:3
	ds_load_2addr_b32 v[21:22], v0 offset0:4 offset1:5
	;; [unrolled: 1-line block ×3, first 2 shown]
	v_cmp_ne_u32_e32 vcc_lo, 0, v10
	; wave barrier
	s_waitcnt lgkmcnt(3)
	v_add_nc_u32_e32 v2, v18, v17
	s_waitcnt lgkmcnt(2)
	s_delay_alu instid0(VALU_DEP_1) | instskip(SKIP_1) | instid1(VALU_DEP_1)
	v_add3_u32 v2, v2, v19, v20
	s_waitcnt lgkmcnt(1)
	v_add3_u32 v2, v2, v21, v22
	s_waitcnt lgkmcnt(0)
	s_delay_alu instid0(VALU_DEP_1) | instskip(NEXT) | instid1(VALU_DEP_1)
	v_add3_u32 v2, v2, v23, v24
	v_mov_b32_dpp v18, v2 row_shr:1 row_mask:0xf bank_mask:0xf
	s_delay_alu instid0(VALU_DEP_1) | instskip(SKIP_1) | instid1(VALU_DEP_2)
	v_cndmask_b32_e32 v18, 0, v18, vcc_lo
	v_cmp_lt_u32_e32 vcc_lo, 1, v10
	v_add_nc_u32_e32 v2, v18, v2
	s_delay_alu instid0(VALU_DEP_1) | instskip(NEXT) | instid1(VALU_DEP_1)
	v_mov_b32_dpp v18, v2 row_shr:2 row_mask:0xf bank_mask:0xf
	v_cndmask_b32_e32 v18, 0, v18, vcc_lo
	v_cmp_lt_u32_e32 vcc_lo, 3, v10
	s_delay_alu instid0(VALU_DEP_2) | instskip(NEXT) | instid1(VALU_DEP_1)
	v_add_nc_u32_e32 v2, v2, v18
	v_mov_b32_dpp v18, v2 row_shr:4 row_mask:0xf bank_mask:0xf
	s_delay_alu instid0(VALU_DEP_1) | instskip(SKIP_1) | instid1(VALU_DEP_2)
	v_cndmask_b32_e32 v18, 0, v18, vcc_lo
	v_cmp_lt_u32_e32 vcc_lo, 7, v10
	v_add_nc_u32_e32 v2, v2, v18
	s_delay_alu instid0(VALU_DEP_1) | instskip(NEXT) | instid1(VALU_DEP_1)
	v_mov_b32_dpp v18, v2 row_shr:8 row_mask:0xf bank_mask:0xf
	v_cndmask_b32_e32 v18, 0, v18, vcc_lo
	v_cmp_gt_i32_e32 vcc_lo, 0, v12
	s_delay_alu instid0(VALU_DEP_2) | instskip(SKIP_4) | instid1(VALU_DEP_1)
	v_dual_cndmask_b32 v19, v12, v8 :: v_dual_add_nc_u32 v2, v2, v18
	ds_swizzle_b32 v18, v2 offset:swizzle(BROADCAST,32,15)
	v_lshlrev_b32_e32 v19, 2, v19
	s_waitcnt lgkmcnt(0)
	v_and_b32_e32 v18, v11, v18
	v_add_nc_u32_e32 v2, v2, v18
	ds_bpermute_b32 v2, v19, v2
	s_waitcnt lgkmcnt(0)
	v_add_nc_u32_e32 v2, v2, v17
	s_delay_alu instid0(VALU_DEP_1)
	v_cndmask_b32_e64 v2, v2, v15, s3
	ds_store_b32 v0, v2
	; wave barrier
	ds_load_2addr_b32 v[17:18], v0 offset0:1 offset1:2
	ds_load_2addr_b32 v[19:20], v0 offset0:3 offset1:4
	;; [unrolled: 1-line block ×3, first 2 shown]
	ds_load_b32 v23, v0 offset:28
	s_waitcnt lgkmcnt(3)
	v_add_nc_u32_e32 v2, v17, v2
	s_delay_alu instid0(VALU_DEP_1) | instskip(SKIP_1) | instid1(VALU_DEP_1)
	v_add_nc_u32_e32 v17, v18, v2
	s_waitcnt lgkmcnt(2)
	v_add_nc_u32_e32 v18, v19, v17
	s_delay_alu instid0(VALU_DEP_1) | instskip(SKIP_1) | instid1(VALU_DEP_1)
	v_add_nc_u32_e32 v19, v20, v18
	;; [unrolled: 4-line block ×3, first 2 shown]
	s_waitcnt lgkmcnt(0)
	v_add_nc_u32_e32 v22, v23, v21
	ds_store_2addr_b32 v0, v2, v17 offset0:1 offset1:2
	ds_store_2addr_b32 v0, v18, v19 offset0:3 offset1:4
	;; [unrolled: 1-line block ×3, first 2 shown]
	ds_store_b32 v0, v22 offset:28
.LBB100_32:                             ;   in Loop: Header=BB100_21 Depth=1
	s_or_b32 exec_lo, exec_lo, s17
	v_mov_b32_e32 v2, 0
	s_waitcnt lgkmcnt(0)
	s_barrier
	buffer_gl0_inv
	s_and_saveexec_b32 s17, s2
	s_cbranch_execz .LBB100_34
; %bb.33:                               ;   in Loop: Header=BB100_21 Depth=1
	ds_load_b32 v2, v9
.LBB100_34:                             ;   in Loop: Header=BB100_21 Depth=1
	s_or_b32 exec_lo, exec_lo, s17
	ds_load_b32 v17, v5 offset:1048
	s_mov_b32 s17, exec_lo
	s_waitcnt lgkmcnt(0)
	s_barrier
	buffer_gl0_inv
	v_cmpx_ne_u32_e32 0, v15
	s_cbranch_execz .LBB100_19
; %bb.35:                               ;   in Loop: Header=BB100_21 Depth=1
	v_add_nc_u32_e32 v2, v2, v6
	s_delay_alu instid0(VALU_DEP_1)
	v_cmp_gt_u32_e32 vcc_lo, s9, v2
	s_and_b32 exec_lo, exec_lo, vcc_lo
	s_cbranch_execz .LBB100_19
; %bb.36:                               ;   in Loop: Header=BB100_21 Depth=1
	v_mul_lo_u32 v18, v2, s10
	v_mov_b32_e32 v19, v5
	v_mul_lo_u32 v20, v2, s4
	v_mov_b32_e32 v21, v5
	v_mov_b32_e32 v2, v5
	s_delay_alu instid0(VALU_DEP_4) | instskip(NEXT) | instid1(VALU_DEP_3)
	v_lshlrev_b64 v[18:19], 1, v[18:19]
	v_lshlrev_b64 v[20:21], 3, v[20:21]
	s_delay_alu instid0(VALU_DEP_2) | instskip(NEXT) | instid1(VALU_DEP_3)
	v_add_co_u32 v18, vcc_lo, s12, v18
	v_add_co_ci_u32_e32 v19, vcc_lo, s13, v19, vcc_lo
	s_delay_alu instid0(VALU_DEP_3) | instskip(NEXT) | instid1(VALU_DEP_4)
	v_add_co_u32 v20, vcc_lo, s7, v20
	v_add_co_ci_u32_e32 v21, vcc_lo, s14, v21, vcc_lo
	global_store_b16 v[18:19], v14, off
	global_store_b64 v[20:21], v[1:2], off
	s_branch .LBB100_19
	.p2align	6
.LBB100_37:                             ;   in Loop: Header=BB100_38 Depth=1
	s_add_u32 s24, s24, 4
	s_addc_u32 s25, s25, 0
	s_waitcnt lgkmcnt(0)
	s_add_i32 s53, s9, s53
	s_add_u32 s26, s26, 4
	s_addc_u32 s27, s27, 0
	s_add_i32 s8, s8, 1
	s_delay_alu instid0(SALU_CYCLE_1)
	s_cmp_lt_u32 s8, s6
	s_cbranch_scc0 .LBB100_16
.LBB100_38:                             ; =>This Inner Loop Header: Depth=1
	s_load_b32 s9, s[24:25], 0x0
	s_cmp_ge_u32 s8, s7
	s_cbranch_scc1 .LBB100_37
; %bb.39:                               ;   in Loop: Header=BB100_38 Depth=1
	s_load_b32 s10, s[26:27], 0x0
	s_waitcnt lgkmcnt(0)
	s_add_i32 s39, s9, s39
	s_add_i32 s52, s10, s52
	s_branch .LBB100_37
.LBB100_40:
	s_nop 0
	s_sendmsg sendmsg(MSG_DEALLOC_VGPRS)
	s_endpgm
	.section	.rodata,"a",@progbits
	.p2align	6, 0x0
	.amdhsa_kernel _ZN2at6native6mbtopk10gatherTopKIN3c104HalfEjLi3EEEvNS_4cuda6detail10TensorInfoIKT_T0_EESA_SA_bjSA_NS7_IS8_SA_EESA_NS7_IlSA_EESA_jjPS8_PjSF_j
		.amdhsa_group_segment_fixed_size 1068
		.amdhsa_private_segment_fixed_size 0
		.amdhsa_kernarg_size 984
		.amdhsa_user_sgpr_count 13
		.amdhsa_user_sgpr_dispatch_ptr 0
		.amdhsa_user_sgpr_queue_ptr 0
		.amdhsa_user_sgpr_kernarg_segment_ptr 1
		.amdhsa_user_sgpr_dispatch_id 0
		.amdhsa_user_sgpr_private_segment_size 0
		.amdhsa_wavefront_size32 1
		.amdhsa_uses_dynamic_stack 0
		.amdhsa_enable_private_segment 0
		.amdhsa_system_sgpr_workgroup_id_x 1
		.amdhsa_system_sgpr_workgroup_id_y 1
		.amdhsa_system_sgpr_workgroup_id_z 1
		.amdhsa_system_sgpr_workgroup_info 0
		.amdhsa_system_vgpr_workitem_id 0
		.amdhsa_next_free_vgpr 25
		.amdhsa_next_free_sgpr 57
		.amdhsa_reserve_vcc 1
		.amdhsa_float_round_mode_32 0
		.amdhsa_float_round_mode_16_64 0
		.amdhsa_float_denorm_mode_32 3
		.amdhsa_float_denorm_mode_16_64 3
		.amdhsa_dx10_clamp 1
		.amdhsa_ieee_mode 1
		.amdhsa_fp16_overflow 0
		.amdhsa_workgroup_processor_mode 1
		.amdhsa_memory_ordered 1
		.amdhsa_forward_progress 0
		.amdhsa_shared_vgpr_count 0
		.amdhsa_exception_fp_ieee_invalid_op 0
		.amdhsa_exception_fp_denorm_src 0
		.amdhsa_exception_fp_ieee_div_zero 0
		.amdhsa_exception_fp_ieee_overflow 0
		.amdhsa_exception_fp_ieee_underflow 0
		.amdhsa_exception_fp_ieee_inexact 0
		.amdhsa_exception_int_div_zero 0
	.end_amdhsa_kernel
	.section	.text._ZN2at6native6mbtopk10gatherTopKIN3c104HalfEjLi3EEEvNS_4cuda6detail10TensorInfoIKT_T0_EESA_SA_bjSA_NS7_IS8_SA_EESA_NS7_IlSA_EESA_jjPS8_PjSF_j,"axG",@progbits,_ZN2at6native6mbtopk10gatherTopKIN3c104HalfEjLi3EEEvNS_4cuda6detail10TensorInfoIKT_T0_EESA_SA_bjSA_NS7_IS8_SA_EESA_NS7_IlSA_EESA_jjPS8_PjSF_j,comdat
.Lfunc_end100:
	.size	_ZN2at6native6mbtopk10gatherTopKIN3c104HalfEjLi3EEEvNS_4cuda6detail10TensorInfoIKT_T0_EESA_SA_bjSA_NS7_IS8_SA_EESA_NS7_IlSA_EESA_jjPS8_PjSF_j, .Lfunc_end100-_ZN2at6native6mbtopk10gatherTopKIN3c104HalfEjLi3EEEvNS_4cuda6detail10TensorInfoIKT_T0_EESA_SA_bjSA_NS7_IS8_SA_EESA_NS7_IlSA_EESA_jjPS8_PjSF_j
                                        ; -- End function
	.section	.AMDGPU.csdata,"",@progbits
; Kernel info:
; codeLenInByte = 3216
; NumSgprs: 59
; NumVgprs: 25
; ScratchSize: 0
; MemoryBound: 0
; FloatMode: 240
; IeeeMode: 1
; LDSByteSize: 1068 bytes/workgroup (compile time only)
; SGPRBlocks: 7
; VGPRBlocks: 3
; NumSGPRsForWavesPerEU: 59
; NumVGPRsForWavesPerEU: 25
; Occupancy: 16
; WaveLimiterHint : 1
; COMPUTE_PGM_RSRC2:SCRATCH_EN: 0
; COMPUTE_PGM_RSRC2:USER_SGPR: 13
; COMPUTE_PGM_RSRC2:TRAP_HANDLER: 0
; COMPUTE_PGM_RSRC2:TGID_X_EN: 1
; COMPUTE_PGM_RSRC2:TGID_Y_EN: 1
; COMPUTE_PGM_RSRC2:TGID_Z_EN: 1
; COMPUTE_PGM_RSRC2:TIDIG_COMP_CNT: 0
	.section	.text._ZN2at6native6sbtopk10gatherTopKIN3c104HalfEjLi3ELb0EEEvNS_4cuda6detail10TensorInfoIKT_T0_EESA_SA_bSA_SA_NS7_IS8_SA_EESA_NS7_IlSA_EESA_PS8_,"axG",@progbits,_ZN2at6native6sbtopk10gatherTopKIN3c104HalfEjLi3ELb0EEEvNS_4cuda6detail10TensorInfoIKT_T0_EESA_SA_bSA_SA_NS7_IS8_SA_EESA_NS7_IlSA_EESA_PS8_,comdat
	.protected	_ZN2at6native6sbtopk10gatherTopKIN3c104HalfEjLi3ELb0EEEvNS_4cuda6detail10TensorInfoIKT_T0_EESA_SA_bSA_SA_NS7_IS8_SA_EESA_NS7_IlSA_EESA_PS8_ ; -- Begin function _ZN2at6native6sbtopk10gatherTopKIN3c104HalfEjLi3ELb0EEEvNS_4cuda6detail10TensorInfoIKT_T0_EESA_SA_bSA_SA_NS7_IS8_SA_EESA_NS7_IlSA_EESA_PS8_
	.globl	_ZN2at6native6sbtopk10gatherTopKIN3c104HalfEjLi3ELb0EEEvNS_4cuda6detail10TensorInfoIKT_T0_EESA_SA_bSA_SA_NS7_IS8_SA_EESA_NS7_IlSA_EESA_PS8_
	.p2align	8
	.type	_ZN2at6native6sbtopk10gatherTopKIN3c104HalfEjLi3ELb0EEEvNS_4cuda6detail10TensorInfoIKT_T0_EESA_SA_bSA_SA_NS7_IS8_SA_EESA_NS7_IlSA_EESA_PS8_,@function
_ZN2at6native6sbtopk10gatherTopKIN3c104HalfEjLi3ELb0EEEvNS_4cuda6detail10TensorInfoIKT_T0_EESA_SA_bSA_SA_NS7_IS8_SA_EESA_NS7_IlSA_EESA_PS8_: ; @_ZN2at6native6sbtopk10gatherTopKIN3c104HalfEjLi3ELb0EEEvNS_4cuda6detail10TensorInfoIKT_T0_EESA_SA_bSA_SA_NS7_IS8_SA_EESA_NS7_IlSA_EESA_PS8_
; %bb.0:
	s_clause 0x1
	s_load_b64 s[4:5], s[0:1], 0x2b8
	s_load_b128 s[24:27], s[0:1], 0xd8
	s_add_u32 s6, s0, 0x2b8
	s_addc_u32 s7, s1, 0
	s_waitcnt lgkmcnt(0)
	s_mul_i32 s2, s5, s15
	s_delay_alu instid0(SALU_CYCLE_1) | instskip(NEXT) | instid1(SALU_CYCLE_1)
	s_add_i32 s2, s2, s14
	s_mul_i32 s50, s2, s4
	s_delay_alu instid0(SALU_CYCLE_1) | instskip(NEXT) | instid1(SALU_CYCLE_1)
	s_add_i32 s50, s50, s13
	s_cmp_ge_u32 s50, s27
	s_cbranch_scc1 .LBB101_465
; %bb.1:
	s_clause 0x9
	s_load_b64 s[14:15], s[0:1], 0xc
	s_load_b64 s[46:47], s[0:1], 0xfc
	;; [unrolled: 1-line block ×4, first 2 shown]
	s_load_b128 s[28:31], s[0:1], 0x23c
	s_load_b64 s[40:41], s[0:1], 0x1d0
	s_load_b128 s[36:39], s[0:1], 0x15c
	s_load_b64 s[42:43], s[0:1], 0xf0
	s_load_b32 s34, s[0:1], 0xe8
	s_load_b128 s[8:11], s[0:1], 0x6c
	s_mov_b32 s49, 0
	s_waitcnt lgkmcnt(0)
	v_cvt_f32_u32_e32 v1, s15
	v_cvt_f32_u32_e32 v2, s14
	;; [unrolled: 1-line block ×4, first 2 shown]
	s_sub_i32 s11, 0, s15
	v_rcp_iflag_f32_e32 v1, v1
	v_rcp_iflag_f32_e32 v2, v2
	;; [unrolled: 1-line block ×4, first 2 shown]
	v_cvt_f32_u32_e32 v5, s45
	v_cvt_f32_u32_e32 v6, s44
	s_delay_alu instid0(VALU_DEP_2)
	v_rcp_iflag_f32_e32 v5, v5
	v_dual_mul_f32 v1, 0x4f7ffffe, v1 :: v_dual_mul_f32 v2, 0x4f7ffffe, v2
	s_waitcnt_depctr 0xfff
	v_dual_mul_f32 v3, 0x4f7ffffe, v3 :: v_dual_mul_f32 v4, 0x4f7ffffe, v4
	v_cvt_u32_f32_e32 v1, v1
	v_cvt_u32_f32_e32 v2, v2
	s_delay_alu instid0(VALU_DEP_3) | instskip(SKIP_1) | instid1(VALU_DEP_4)
	v_cvt_u32_f32_e32 v3, v3
	v_mul_f32_e32 v5, 0x4f7ffffe, v5
	v_readfirstlane_b32 s5, v1
	v_rcp_iflag_f32_e32 v1, v6
	s_delay_alu instid0(VALU_DEP_3) | instskip(SKIP_1) | instid1(VALU_DEP_3)
	v_readfirstlane_b32 s17, v3
	v_cvt_u32_f32_e32 v3, v4
	s_mul_i32 s11, s11, s5
	s_delay_alu instid0(SALU_CYCLE_1) | instskip(NEXT) | instid1(SALU_CYCLE_1)
	s_mul_hi_u32 s11, s5, s11
	s_add_i32 s5, s5, s11
	s_waitcnt_depctr 0xfff
	v_mul_f32_e32 v1, 0x4f7ffffe, v1
	s_mul_hi_u32 s5, s50, s5
	s_delay_alu instid0(SALU_CYCLE_1)
	s_mul_i32 s11, s5, s15
	s_add_i32 s12, s5, 1
	s_sub_i32 s11, s50, s11
	v_cvt_u32_f32_e32 v1, v1
	s_sub_i32 s16, s11, s15
	s_cmp_ge_u32 s11, s15
	s_cselect_b32 s5, s12, s5
	s_cselect_b32 s11, s16, s11
	s_add_i32 s12, s5, 1
	s_cmp_ge_u32 s11, s15
	v_readfirstlane_b32 s20, v1
	s_cselect_b32 s11, s12, s5
	s_sub_i32 s5, 0, s47
	v_readfirstlane_b32 s12, v2
	s_mul_i32 s5, s5, s17
	s_sub_i32 s16, 0, s14
	s_mul_hi_u32 s5, s17, s5
	v_cvt_u32_f32_e32 v2, v5
	s_add_i32 s17, s17, s5
	s_mul_i32 s16, s16, s12
	s_mul_hi_u32 s5, s50, s17
	s_mul_hi_u32 s16, s12, s16
	s_mul_i32 s17, s5, s47
	s_add_i32 s12, s12, s16
	s_sub_i32 s16, s50, s17
	s_add_i32 s17, s5, 1
	s_sub_i32 s18, s16, s47
	s_cmp_ge_u32 s16, s47
	v_readfirstlane_b32 s19, v2
	s_cselect_b32 s5, s17, s5
	s_cselect_b32 s16, s18, s16
	s_add_i32 s17, s5, 1
	s_cmp_ge_u32 s16, s47
	v_readfirstlane_b32 s16, v3
	s_cselect_b32 s52, s17, s5
	s_sub_i32 s5, 0, s45
	s_sub_i32 s17, 0, s46
	s_mul_i32 s5, s5, s19
	s_mul_i32 s17, s17, s16
	s_mul_hi_u32 s5, s19, s5
	s_mul_hi_u32 s17, s16, s17
	s_add_i32 s19, s19, s5
	s_add_i32 s16, s16, s17
	s_mul_hi_u32 s5, s50, s19
	s_mul_hi_u32 s12, s11, s12
	s_mul_i32 s18, s5, s45
	s_mul_hi_u32 s54, s52, s16
	s_sub_i32 s17, s50, s18
	s_add_i32 s18, s5, 1
	s_sub_i32 s19, s17, s45
	s_cmp_ge_u32 s17, s45
	s_cselect_b32 s5, s18, s5
	s_cselect_b32 s17, s19, s17
	s_add_i32 s18, s5, 1
	s_cmp_ge_u32 s17, s45
	s_cselect_b32 s51, s18, s5
	s_sub_i32 s5, 0, s44
	s_delay_alu instid0(SALU_CYCLE_1) | instskip(NEXT) | instid1(SALU_CYCLE_1)
	s_mul_i32 s5, s5, s20
	s_mul_hi_u32 s17, s20, s5
	v_cmp_eq_u32_e64 s5, 0, v0
	s_add_i32 s20, s20, s17
	s_delay_alu instid0(SALU_CYCLE_1) | instskip(NEXT) | instid1(VALU_DEP_1)
	s_mul_hi_u32 s53, s51, s20
	s_and_saveexec_b32 s16, s5
	s_cbranch_execz .LBB101_3
; %bb.2:
	v_dual_mov_b32 v1, 0 :: v_dual_mov_b32 v2, s24
	s_delay_alu instid0(VALU_DEP_1)
	v_mov_b32_e32 v3, v1
	ds_store_b96 v1, v[1:3] offset:4096
.LBB101_3:
	s_or_b32 exec_lo, exec_lo, s16
	s_mul_i32 s16, s12, s14
	s_mul_i32 s15, s11, s15
	s_sub_i32 s16, s11, s16
	s_sub_i32 s15, s50, s15
	s_add_i32 s17, s12, 1
	s_sub_i32 s18, s16, s14
	s_cmp_ge_u32 s16, s14
	s_waitcnt lgkmcnt(0)
	s_cselect_b32 s12, s17, s12
	s_cselect_b32 s16, s18, s16
	s_add_i32 s17, s12, 1
	s_cmp_ge_u32 s16, s14
	s_barrier
	buffer_gl0_inv
	s_load_b32 s16, s[6:7], 0xc
	s_cselect_b32 s12, s17, s12
	s_mul_i32 s15, s15, s10
	s_mul_i32 s14, s12, s14
	;; [unrolled: 1-line block ×3, first 2 shown]
	s_sub_i32 s11, s11, s14
	v_mbcnt_lo_u32_b32 v15, -1, 0
	s_mul_i32 s9, s11, s9
	v_cmp_gt_u32_e32 vcc_lo, 32, v0
	s_add_i32 s8, s9, s15
	v_dual_mov_b32 v9, 0 :: v_dual_lshlrev_b32 v16, 2, v0
	s_add_i32 s48, s8, s12
	v_mul_lo_u32 v7, v0, s34
	s_lshl_b64 s[8:9], s[48:49], 1
	v_dual_mov_b32 v26, 0x8000 :: v_dual_lshlrev_b32 v19, 1, v0
	s_add_u32 s31, s2, s8
	s_addc_u32 s33, s3, s9
	s_bitcmp1_b32 s26, 0
	v_cmp_gt_i32_e64 s2, 4, v15
	s_cselect_b32 s3, -1, 0
	s_waitcnt lgkmcnt(0)
	s_and_b32 s35, s16, 0xffff
	s_xor_b32 s48, s3, -1
	s_lshl_b32 s55, s35, 2
	s_bfe_u32 s8, s16, 0xb0005
	v_cvt_f32_u32_e32 v1, s55
	s_and_b32 s56, vcc_lo, s2
	s_cmpk_gt_u32 s24, 0x600
	v_cvt_f32_u32_e32 v3, s35
	s_cselect_b32 s57, -1, 0
	v_rcp_iflag_f32_e32 v1, v1
	s_cmp_gt_u32 s35, 31
	v_mad_u64_u32 v[12:13], null, s34, v16, s[34:35]
	s_cselect_b32 s58, -1, 0
	s_add_i32 s59, s35, -1
	v_mov_b32_e32 v8, v9
	s_add_i32 s9, s59, s24
	s_cmp_lt_u32 s13, s4
	v_rcp_iflag_f32_e32 v3, v3
	s_waitcnt_depctr 0xfff
	v_mul_f32_e32 v1, 0x4f7ffffe, v1
	s_cselect_b32 s2, 12, 18
	v_dual_mov_b32 v29, 0 :: v_dual_add_nc_u32 v20, 0xc00, v19
	s_add_u32 s26, s6, s2
	s_delay_alu instid0(VALU_DEP_2)
	v_cvt_u32_f32_e32 v1, v1
	s_addc_u32 s27, s7, 0
	s_add_i32 s2, s8, -1
	s_bfe_u32 s60, s35, 0x30005
	s_cmp_gt_u32 s2, 6
	v_readfirstlane_b32 s2, v1
	s_cselect_b32 s61, -1, 0
	s_and_b32 s62, s8, 0x7f8
	s_cmp_lg_u32 s60, 0
	v_lshlrev_b64 v[1:2], 1, v[7:8]
	s_cselect_b32 s63, -1, 0
	s_sub_i32 s4, 0, s55
	v_dual_mov_b32 v27, 0 :: v_dual_lshlrev_b32 v22, 2, v7
	s_mul_i32 s4, s4, s2
	s_delay_alu instid0(VALU_DEP_2)
	v_add_co_u32 v5, vcc_lo, s31, v1
	s_mul_hi_u32 s4, s2, s4
	v_add_co_ci_u32_e32 v6, vcc_lo, s33, v2, vcc_lo
	s_add_i32 s64, s2, s4
	v_lshrrev_b32_e32 v2, 3, v0
	s_mul_hi_u32 s4, s24, s64
	v_cmp_eq_u32_e64 s2, 0, v15
	s_mul_i32 s4, s4, s55
	v_lshlrev_b32_e32 v24, 3, v0
	s_sub_i32 s4, s24, s4
	v_dual_mov_b32 v30, s25 :: v_dual_and_b32 v17, 0x7c, v2
	s_sub_i32 s6, s4, s55
	s_cmp_ge_u32 s4, s55
	v_lshl_or_b32 v25, v15, 2, 0xc00
	s_cselect_b32 s6, s6, s4
	v_cmp_gt_u32_e64 s4, s24, v0
	s_sub_i32 s7, s6, s55
	s_cmp_ge_u32 s6, s55
	v_mov_b32_e32 v28, 0
	s_cselect_b32 s10, s7, s6
	s_sub_i32 s6, 0, s35
	s_sub_i32 s65, s24, s10
	s_delay_alu instid0(SALU_CYCLE_1) | instskip(SKIP_3) | instid1(VALU_DEP_2)
	v_dual_mul_f32 v1, 0x4f7ffffe, v3 :: v_dual_add_nc_u32 v18, s65, v0
	v_or_b32_e32 v3, 3, v16
	s_mul_i32 s39, s34, s35
	s_mov_b32 s77, 14
	v_cvt_u32_f32_e32 v1, v1
	v_mul_lo_u32 v8, v18, s34
	v_mul_lo_u32 v21, s34, v3
	s_movk_i32 s72, 0x3c00
	s_mov_b32 s73, 0
	v_readfirstlane_b32 s8, v1
	v_lshlrev_b64 v[1:2], v15, -1
                                        ; implicit-def: $sgpr71
                                        ; implicit-def: $sgpr76
                                        ; implicit-def: $sgpr75
                                        ; implicit-def: $sgpr78
                                        ; implicit-def: $sgpr74
                                        ; implicit-def: $sgpr79
                                        ; implicit-def: $sgpr81
                                        ; implicit-def: $sgpr80
                                        ; implicit-def: $sgpr82
                                        ; implicit-def: $sgpr83
	s_delay_alu instid0(VALU_DEP_2) | instskip(NEXT) | instid1(SALU_CYCLE_1)
	s_mul_i32 s6, s6, s8
	s_mul_hi_u32 s6, s8, s6
	s_delay_alu instid0(VALU_DEP_1) | instskip(SKIP_3) | instid1(SALU_CYCLE_1)
	v_not_b32_e32 v14, v1
	s_add_i32 s66, s8, s6
	v_lshlrev_b64 v[1:2], 1, v[8:9]
	s_mul_hi_u32 s6, s9, s66
	s_mul_i32 s7, s6, s35
	v_cmp_gt_u32_e64 s6, 2, v0
	s_sub_i32 s7, s9, s7
	s_delay_alu instid0(VALU_DEP_2)
	v_add_co_u32 v10, vcc_lo, s31, v1
	v_add3_u32 v1, s35, s24, v0
	s_sub_i32 s8, s7, s35
	s_cmp_ge_u32 s7, s35
	v_add_co_ci_u32_e32 v11, vcc_lo, s33, v2, vcc_lo
	s_cselect_b32 s8, s8, s7
	v_or_b32_e32 v2, 2, v16
	v_subrev_nc_u32_e32 v1, s10, v1
	s_sub_i32 s11, s8, s35
	s_cmp_ge_u32 s8, s35
	v_cmp_gt_u32_e64 s7, s65, v16
	s_cselect_b32 s11, s11, s8
	v_mul_lo_u32 v13, s34, v2
	v_mul_lo_u32 v23, s34, v1
	s_sub_i32 s67, s9, s11
	v_cmp_gt_u32_e64 s8, s24, v18
	v_cmp_gt_u32_e64 s9, s67, v0
	s_lshl_b32 s68, s39, 2
	s_lshl_b32 s69, s35, 3
	;; [unrolled: 1-line block ×3, first 2 shown]
	s_branch .LBB101_6
.LBB101_4:                              ;   in Loop: Header=BB101_6 Depth=1
	s_or_b32 exec_lo, exec_lo, s13
	v_dual_mov_b32 v27, v2 :: v_dual_mov_b32 v28, v1
	v_dual_mov_b32 v30, v4 :: v_dual_mov_b32 v29, v3
	s_and_not1_b32 s13, s83, exec_lo
	s_and_b32 s12, s12, exec_lo
	s_and_not1_b32 s82, s82, exec_lo
	s_or_b32 s83, s13, s12
	s_and_not1_b32 s80, s80, exec_lo
	s_and_not1_b32 s81, s81, exec_lo
	;; [unrolled: 1-line block ×3, first 2 shown]
	s_or_not1_b32 s12, s11, exec_lo
.LBB101_5:                              ;   in Loop: Header=BB101_6 Depth=1
	s_or_b32 exec_lo, exec_lo, s10
	s_delay_alu instid0(SALU_CYCLE_1) | instskip(NEXT) | instid1(SALU_CYCLE_1)
	s_and_b32 s10, exec_lo, s12
	s_or_b32 s49, s10, s49
	s_and_not1_b32 s10, s74, exec_lo
	s_and_b32 s11, s83, exec_lo
	s_and_not1_b32 s12, s78, exec_lo
	s_or_b32 s74, s10, s11
	s_and_b32 s10, s82, exec_lo
	s_and_not1_b32 s11, s75, exec_lo
	s_and_b32 s13, s80, exec_lo
	s_or_b32 s78, s12, s10
	s_or_b32 s75, s11, s13
	s_and_not1_b32 s10, s76, exec_lo
	s_and_b32 s11, s81, exec_lo
	s_and_not1_b32 s12, s71, exec_lo
	s_and_b32 s13, s79, exec_lo
	s_or_b32 s76, s10, s11
	s_or_b32 s71, s12, s13
	s_and_not1_b32 exec_lo, exec_lo, s49
	s_cbranch_execz .LBB101_403
.LBB101_6:                              ; =>This Loop Header: Depth=1
                                        ;     Child Loop BB101_11 Depth 2
                                        ;     Child Loop BB101_26 Depth 2
	;; [unrolled: 1-line block ×24, first 2 shown]
	ds_load_b64 v[1:2], v9 offset:4096
	s_waitcnt lgkmcnt(0)
	v_readfirstlane_b32 s84, v1
	s_delay_alu instid0(VALU_DEP_1)
	s_cmp_lg_u32 s84, 0
	s_cbranch_scc1 .LBB101_33
; %bb.7:                                ;   in Loop: Header=BB101_6 Depth=1
	s_and_b32 vcc_lo, exec_lo, s57
	s_cbranch_vccz .LBB101_19
; %bb.8:                                ;   in Loop: Header=BB101_6 Depth=1
	v_cmp_gt_u32_e32 vcc_lo, 0x601, v2
	s_mov_b32 s84, 0
	s_mov_b32 s10, 0
	s_cbranch_vccz .LBB101_20
; %bb.9:                                ;   in Loop: Header=BB101_6 Depth=1
	global_load_u16 v1, v9, s[26:27]
	global_load_u16 v4, v[5:6], off
	v_mov_b32_e32 v3, v0
	s_mov_b32 s12, 0
	s_waitcnt vmcnt(1)
	v_add_nc_u32_e32 v2, v0, v1
	s_delay_alu instid0(VALU_DEP_1)
	v_mul_lo_u32 v8, s34, v2
	v_mul_lo_u32 v2, s34, v1
	s_branch .LBB101_11
.LBB101_10:                             ;   in Loop: Header=BB101_11 Depth=2
	s_or_b32 exec_lo, exec_lo, s11
	v_add_nc_u32_e32 v8, v8, v2
	v_mov_b32_e32 v4, v31
	s_and_not1_b32 exec_lo, exec_lo, s12
	s_cbranch_execz .LBB101_84
.LBB101_11:                             ;   Parent Loop BB101_6 Depth=1
                                        ; =>  This Inner Loop Header: Depth=2
	s_waitcnt lgkmcnt(0)
	v_dual_mov_b32 v32, 0 :: v_dual_add_nc_u32 v3, v3, v1
	v_mov_b32_e32 v31, 0
	s_mov_b32 s11, exec_lo
	s_delay_alu instid0(VALU_DEP_2)
	v_cmp_le_u32_e32 vcc_lo, s24, v3
	v_cmpx_gt_u32_e64 s24, v3
	s_cbranch_execz .LBB101_13
; %bb.12:                               ;   in Loop: Header=BB101_11 Depth=2
	v_lshlrev_b64 v[33:34], 1, v[8:9]
	s_delay_alu instid0(VALU_DEP_1) | instskip(NEXT) | instid1(VALU_DEP_1)
	v_add_co_u32 v33, s10, s31, v33
	v_add_co_ci_u32_e64 v34, s10, s33, v34, s10
	global_load_u16 v31, v[33:34], off
.LBB101_13:                             ;   in Loop: Header=BB101_11 Depth=2
	s_or_b32 exec_lo, exec_lo, s11
	s_waitcnt vmcnt(0)
	v_cmp_lt_i16_e64 s10, -1, v4
	v_and_b32_e32 v33, 0xffff, v4
	s_delay_alu instid0(VALU_DEP_2) | instskip(SKIP_1) | instid1(VALU_DEP_2)
	v_cndmask_b32_e64 v34, 0xffff, v26, s10
	v_cmp_o_f16_e64 s10, v4, v4
	v_xor_b32_e32 v33, v34, v33
	s_delay_alu instid0(VALU_DEP_1) | instskip(NEXT) | instid1(VALU_DEP_1)
	v_cndmask_b32_e64 v33, 0xffff, v33, s10
	v_and_b32_e32 v33, v33, v27
	s_delay_alu instid0(VALU_DEP_1) | instskip(NEXT) | instid1(VALU_DEP_1)
	v_cmp_eq_u32_e64 s10, v33, v28
	s_cmp_lg_u32 s10, 0
	s_cselect_b32 s11, -1, 0
	s_delay_alu instid0(SALU_CYCLE_1) | instskip(NEXT) | instid1(SALU_CYCLE_1)
	s_and_b32 s11, s2, s11
	s_and_saveexec_b32 s13, s11
	s_cbranch_execz .LBB101_17
; %bb.14:                               ;   in Loop: Header=BB101_11 Depth=2
	s_mov_b32 s16, exec_lo
	s_bcnt1_i32_b32 s14, s10
	v_mbcnt_lo_u32_b32 v32, s16, 0
	s_mov_b32 s15, exec_lo
                                        ; implicit-def: $vgpr33
	s_delay_alu instid0(VALU_DEP_1)
	v_cmpx_eq_u32_e32 0, v32
	s_cbranch_execz .LBB101_16
; %bb.15:                               ;   in Loop: Header=BB101_11 Depth=2
	s_bcnt1_i32_b32 s11, s16
	s_delay_alu instid0(SALU_CYCLE_1) | instskip(NEXT) | instid1(SALU_CYCLE_1)
	s_mul_i32 s11, s14, s11
	v_mov_b32_e32 v33, s11
	ds_add_rtn_u32 v33, v9, v33 offset:4104
.LBB101_16:                             ;   in Loop: Header=BB101_11 Depth=2
	s_or_b32 exec_lo, exec_lo, s15
	s_waitcnt lgkmcnt(0)
	v_readfirstlane_b32 s11, v33
	s_delay_alu instid0(VALU_DEP_1)
	v_mad_u32_u24 v32, s14, v32, s11
.LBB101_17:                             ;   in Loop: Header=BB101_11 Depth=2
	s_or_b32 exec_lo, exec_lo, s13
	ds_bpermute_b32 v32, v9, v32
	s_and_b32 s11, exec_lo, vcc_lo
	s_delay_alu instid0(SALU_CYCLE_1)
	s_or_b32 s12, s11, s12
	s_and_saveexec_b32 s11, s10
	s_cbranch_execz .LBB101_10
; %bb.18:                               ;   in Loop: Header=BB101_11 Depth=2
	v_and_b32_e32 v33, s10, v14
	s_delay_alu instid0(VALU_DEP_1) | instskip(NEXT) | instid1(VALU_DEP_1)
	v_bcnt_u32_b32 v33, v33, 0
	v_lshlrev_b32_e32 v33, 1, v33
	s_waitcnt lgkmcnt(0)
	s_delay_alu instid0(VALU_DEP_1)
	v_lshl_add_u32 v32, v32, 1, v33
	ds_store_b16 v32, v4
	s_branch .LBB101_10
.LBB101_19:                             ;   in Loop: Header=BB101_6 Depth=1
	s_mov_b32 s84, -1
	s_mov_b32 s10, 0
.LBB101_20:                             ;   in Loop: Header=BB101_6 Depth=1
	s_and_b32 vcc_lo, exec_lo, s84
	s_cbranch_vccz .LBB101_31
.LBB101_21:                             ;   in Loop: Header=BB101_6 Depth=1
	v_mov_b32_e32 v1, 0
	s_and_saveexec_b32 s10, s4
	s_cbranch_execz .LBB101_23
; %bb.22:                               ;   in Loop: Header=BB101_6 Depth=1
	global_load_u16 v1, v[5:6], off
.LBB101_23:                             ;   in Loop: Header=BB101_6 Depth=1
	s_or_b32 exec_lo, exec_lo, s10
	s_and_saveexec_b32 s11, s4
	s_cbranch_execz .LBB101_28
; %bb.24:                               ;   in Loop: Header=BB101_6 Depth=1
	global_load_u16 v2, v9, s[26:27]
	v_mov_b32_e32 v32, v0
	s_mov_b32 s12, 0
	v_mov_b32_e32 v31, v19
	s_waitcnt vmcnt(0)
	v_add_nc_u32_e32 v3, v0, v2
	v_lshlrev_b32_e32 v4, 1, v2
	s_delay_alu instid0(VALU_DEP_2)
	v_mul_lo_u32 v8, s34, v3
	v_mul_lo_u32 v3, s34, v2
	s_set_inst_prefetch_distance 0x1
	s_branch .LBB101_26
	.p2align	6
.LBB101_25:                             ;   in Loop: Header=BB101_26 Depth=2
	s_or_b32 exec_lo, exec_lo, s13
	ds_store_b16 v31, v1
	v_add_nc_u32_e32 v31, v31, v4
	s_waitcnt vmcnt(0)
	v_dual_mov_b32 v1, v33 :: v_dual_add_nc_u32 v8, v8, v3
	s_and_b32 s10, exec_lo, vcc_lo
	s_delay_alu instid0(SALU_CYCLE_1) | instskip(NEXT) | instid1(SALU_CYCLE_1)
	s_or_b32 s12, s10, s12
	s_and_not1_b32 exec_lo, exec_lo, s12
	s_cbranch_execz .LBB101_28
.LBB101_26:                             ;   Parent Loop BB101_6 Depth=1
                                        ; =>  This Inner Loop Header: Depth=2
	v_dual_mov_b32 v33, 0 :: v_dual_add_nc_u32 v32, v32, v2
	s_mov_b32 s13, exec_lo
	s_delay_alu instid0(VALU_DEP_1)
	v_cmp_le_u32_e32 vcc_lo, s24, v32
	v_cmpx_gt_u32_e64 s24, v32
	s_cbranch_execz .LBB101_25
; %bb.27:                               ;   in Loop: Header=BB101_26 Depth=2
	v_lshlrev_b64 v[33:34], 1, v[8:9]
	s_delay_alu instid0(VALU_DEP_1) | instskip(NEXT) | instid1(VALU_DEP_1)
	v_add_co_u32 v33, s10, s31, v33
	v_add_co_ci_u32_e64 v34, s10, s33, v34, s10
	global_load_u16 v33, v[33:34], off
	s_branch .LBB101_25
.LBB101_28:                             ;   in Loop: Header=BB101_6 Depth=1
	s_set_inst_prefetch_distance 0x2
	s_or_b32 exec_lo, exec_lo, s11
	s_waitcnt vmcnt(0) lgkmcnt(0)
	s_barrier
	buffer_gl0_inv
	s_and_saveexec_b32 s10, s5
	s_cbranch_execz .LBB101_30
; %bb.29:                               ;   in Loop: Header=BB101_6 Depth=1
	v_mov_b32_e32 v1, s24
	ds_store_b32 v9, v1 offset:4096
.LBB101_30:                             ;   in Loop: Header=BB101_6 Depth=1
	s_or_b32 exec_lo, exec_lo, s10
	s_mov_b32 s10, -1
	s_waitcnt lgkmcnt(0)
	s_barrier
                                        ; implicit-def: $sgpr84
.LBB101_31:                             ;   in Loop: Header=BB101_6 Depth=1
	s_and_b32 vcc_lo, exec_lo, s10
	s_cbranch_vccz .LBB101_33
; %bb.32:                               ;   in Loop: Header=BB101_6 Depth=1
	buffer_gl0_inv
	ds_load_b32 v1, v9 offset:4096
	s_waitcnt lgkmcnt(0)
	v_readfirstlane_b32 s84, v1
.LBB101_33:                             ;   in Loop: Header=BB101_6 Depth=1
	s_delay_alu instid0(VALU_DEP_1)
	s_cmp_lt_i32 s84, 1
	s_cbranch_scc0 .LBB101_37
; %bb.34:                               ;   in Loop: Header=BB101_6 Depth=1
	v_dual_mov_b32 v1, 0 :: v_dual_mov_b32 v2, 0
	v_dual_mov_b32 v3, 0 :: v_dual_mov_b32 v4, 0
	s_mov_b32 s22, 0
	s_and_saveexec_b32 s21, s7
	s_cbranch_execnz .LBB101_38
; %bb.35:                               ;   in Loop: Header=BB101_6 Depth=1
	s_or_b32 exec_lo, exec_lo, s21
	v_mov_b32_e32 v32, 0
	s_and_saveexec_b32 s10, s8
	s_cbranch_execnz .LBB101_41
.LBB101_36:                             ;   in Loop: Header=BB101_6 Depth=1
	s_or_b32 exec_lo, exec_lo, s10
	s_and_saveexec_b32 s14, s8
	s_cbranch_execnz .LBB101_42
	s_branch .LBB101_47
.LBB101_37:                             ;   in Loop: Header=BB101_6 Depth=1
                                        ; implicit-def: $vgpr4
	s_cbranch_execnz .LBB101_48
	s_branch .LBB101_57
.LBB101_38:                             ;   in Loop: Header=BB101_6 Depth=1
	v_mov_b32_e32 v31, v16
	s_and_b32 s23, s77, 0xfe
	s_mov_b32 s85, 0
	s_mov_b32 s86, 0
	;; [unrolled: 1-line block ×5, first 2 shown]
.LBB101_39:                             ;   Parent Loop BB101_6 Depth=1
                                        ; =>  This Inner Loop Header: Depth=2
	v_add_nc_u32_e32 v8, s85, v22
	s_delay_alu instid0(VALU_DEP_1) | instskip(SKIP_1) | instid1(VALU_DEP_1)
	v_lshlrev_b64 v[1:2], 1, v[8:9]
	v_add_nc_u32_e32 v8, s85, v12
	v_lshlrev_b64 v[3:4], 1, v[8:9]
	s_delay_alu instid0(VALU_DEP_3) | instskip(SKIP_2) | instid1(VALU_DEP_4)
	v_add_co_u32 v1, vcc_lo, s31, v1
	v_add_nc_u32_e32 v8, s85, v13
	v_add_co_ci_u32_e32 v2, vcc_lo, s33, v2, vcc_lo
	v_add_co_u32 v3, vcc_lo, s31, v3
	s_delay_alu instid0(VALU_DEP_3)
	v_lshlrev_b64 v[32:33], 1, v[8:9]
	v_add_nc_u32_e32 v8, s85, v21
	v_add_co_ci_u32_e32 v4, vcc_lo, s33, v4, vcc_lo
	global_load_u16 v34, v[1:2], off
	s_add_i32 s85, s85, s68
	v_lshlrev_b64 v[1:2], 1, v[8:9]
	global_load_u16 v8, v[3:4], off
	v_add_co_u32 v3, vcc_lo, s31, v32
	v_add_co_ci_u32_e32 v4, vcc_lo, s33, v33, vcc_lo
	v_add_co_u32 v1, vcc_lo, s31, v1
	v_add_co_ci_u32_e32 v2, vcc_lo, s33, v2, vcc_lo
	s_clause 0x1
	global_load_u16 v3, v[3:4], off
	global_load_u16 v1, v[1:2], off
	s_waitcnt vmcnt(3)
	v_cmp_lt_i16_e64 s10, -1, v34
	v_and_b32_e32 v2, 0xffff, v34
	s_waitcnt vmcnt(2)
	v_and_b32_e32 v32, 0xffff, v8
	s_delay_alu instid0(VALU_DEP_3) | instskip(SKIP_1) | instid1(VALU_DEP_2)
	v_cndmask_b32_e64 v4, 0xffff, v26, s10
	v_cmp_lt_i16_e64 s10, -1, v8
	v_xor_b32_e32 v2, v4, v2
	s_delay_alu instid0(VALU_DEP_2)
	v_cndmask_b32_e64 v33, 0xffff, v26, s10
	v_cmp_o_f16_e64 s10, v34, v34
	s_waitcnt vmcnt(1)
	v_cmp_lt_i16_e64 s11, -1, v3
	s_waitcnt vmcnt(0)
	v_cmp_o_f16_e64 s15, v1, v1
	v_xor_b32_e32 v4, v33, v32
	v_cndmask_b32_e64 v2, 0xffff, v2, s10
	v_cmp_o_f16_e64 s10, v8, v8
	v_and_b32_e32 v32, 0xffff, v3
	v_cndmask_b32_e64 v33, 0xffff, v26, s11
	s_delay_alu instid0(VALU_DEP_4) | instskip(NEXT) | instid1(VALU_DEP_4)
	v_and_b32_e32 v34, v2, v27
	v_cndmask_b32_e64 v4, 0xffff, v4, s10
	v_cmp_lt_i16_e64 s10, -1, v1
	s_delay_alu instid0(VALU_DEP_4) | instskip(SKIP_2) | instid1(VALU_DEP_4)
	v_xor_b32_e32 v8, v33, v32
	v_bfe_u32 v2, v2, s23, 2
	v_and_b32_e32 v32, 0xffff, v1
	v_cndmask_b32_e64 v33, 0xffff, v26, s10
	v_cmp_o_f16_e64 s10, v3, v3
	s_delay_alu instid0(VALU_DEP_4)
	v_cmp_eq_u32_e64 s11, 0, v2
	v_cmp_eq_u32_e64 s12, 1, v2
	;; [unrolled: 1-line block ×4, first 2 shown]
	v_cndmask_b32_e64 v3, 0xffff, v8, s10
	v_cmp_eq_u32_e64 s10, v34, v28
	v_xor_b32_e32 v8, v33, v32
	v_and_b32_e32 v32, v4, v27
	v_bfe_u32 v4, v4, s23, 2
	v_and_b32_e32 v2, v3, v27
	v_bfe_u32 v3, v3, s23, 2
	s_and_b32 s11, s10, s11
	v_cndmask_b32_e64 v1, 0xffff, v8, s15
	v_cmp_eq_u32_e64 s15, v32, v28
	v_cmp_eq_u32_e64 s16, 0, v4
	v_cndmask_b32_e64 v8, 0, 1, s11
	v_cmp_eq_u32_e64 s11, 1, v4
	s_and_b32 s12, s10, s12
	s_and_b32 s13, s10, s13
	s_and_b32 s10, s10, s14
	v_cndmask_b32_e64 v32, 0, 1, s12
	v_cmp_eq_u32_e64 s12, 2, v4
	v_cndmask_b32_e64 v33, 0, 1, s13
	v_cmp_eq_u32_e64 s13, 3, v4
	v_cndmask_b32_e64 v4, 0, 1, s10
	v_cmp_eq_u32_e64 s10, v2, v28
	v_cmp_eq_u32_e64 s14, 0, v3
	v_and_b32_e32 v2, v1, v27
	v_bfe_u32 v1, v1, s23, 2
	s_and_b32 s16, s15, s16
	s_and_b32 s11, s15, s11
	v_cmp_ne_u32_e64 s17, 0, v8
	v_cndmask_b32_e64 v8, 0, 1, s16
	v_cmp_eq_u32_e64 s16, 1, v3
	v_cmp_ne_u32_e64 s18, 0, v32
	v_cndmask_b32_e64 v32, 0, 1, s11
	v_cmp_eq_u32_e64 s11, 2, v3
	s_and_b32 s12, s15, s12
	s_and_b32 s13, s15, s13
	;; [unrolled: 1-line block ×3, first 2 shown]
	v_cmp_ne_u32_e64 s19, 0, v33
	v_cndmask_b32_e64 v33, 0, 1, s12
	v_cmp_eq_u32_e64 s12, 3, v3
	v_cndmask_b32_e64 v3, 0, 1, s13
	v_cmp_eq_u32_e64 s13, v2, v28
	;; [unrolled: 2-line block ×3, first 2 shown]
	v_cmp_ne_u32_e64 s20, 0, v4
	v_cmp_eq_u32_e64 s15, 0, v1
	s_and_b32 s16, s10, s16
	s_and_b32 s11, s10, s11
	s_bcnt1_i32_b32 s90, s17
	v_cmp_ne_u32_e64 s17, 0, v8
	v_cndmask_b32_e64 v4, 0, 1, s16
	v_cmp_eq_u32_e64 s16, 2, v1
	v_cndmask_b32_e64 v8, 0, 1, s11
	v_cmp_eq_u32_e64 s11, 3, v1
	s_and_b32 s10, s10, s12
	s_and_b32 s14, s13, s14
	s_bcnt1_i32_b32 s93, s20
	v_cmp_ne_u32_e64 s20, 0, v3
	v_cndmask_b32_e64 v1, 0, 1, s10
	v_cndmask_b32_e64 v3, 0, 1, s14
	s_bcnt1_i32_b32 s91, s18
	v_cmp_ne_u32_e64 s18, 0, v32
	s_and_b32 s12, s13, s15
	v_cmp_ne_u32_e64 s10, 0, v2
	v_cndmask_b32_e64 v2, 0, 1, s12
	v_cmp_ne_u32_e64 s12, 0, v4
	s_and_b32 s15, s13, s16
	s_and_b32 s11, s13, s11
	v_cndmask_b32_e64 v4, 0, 1, s15
	v_cmp_ne_u32_e64 s15, 0, v1
	v_cndmask_b32_e64 v1, 0, 1, s11
	v_cmp_ne_u32_e64 s11, 0, v3
	s_bcnt1_i32_b32 s92, s19
	v_cmp_ne_u32_e64 s19, 0, v33
	s_add_i32 s88, s91, s88
	s_add_i32 s86, s93, s86
	s_bcnt1_i32_b32 s18, s18
	s_bcnt1_i32_b32 s16, s20
	v_cmp_ne_u32_e64 s14, 0, v8
	s_add_i32 s18, s88, s18
	s_add_i32 s16, s86, s16
	s_bcnt1_i32_b32 s86, s12
	s_bcnt1_i32_b32 s20, s10
	v_cmp_ne_u32_e64 s10, 0, v2
	v_cmp_ne_u32_e64 s12, 0, v4
	;; [unrolled: 1-line block ×3, first 2 shown]
	s_add_i32 s18, s18, s86
	s_bcnt1_i32_b32 s11, s11
	s_add_i32 s89, s90, s89
	s_add_i32 s87, s92, s87
	s_bcnt1_i32_b32 s17, s17
	s_bcnt1_i32_b32 s19, s19
	s_add_i32 s88, s18, s11
	s_delay_alu instid0(SALU_CYCLE_1)
	v_dual_mov_b32 v2, s88 :: v_dual_add_nc_u32 v31, s55, v31
	s_add_i32 s17, s89, s17
	s_add_i32 s19, s87, s19
	s_bcnt1_i32_b32 s14, s14
	s_bcnt1_i32_b32 s15, s15
	s_add_i32 s17, s17, s20
	s_add_i32 s14, s19, s14
	;; [unrolled: 1-line block ×3, first 2 shown]
	s_bcnt1_i32_b32 s10, s10
	s_bcnt1_i32_b32 s12, s12
	;; [unrolled: 1-line block ×3, first 2 shown]
	v_cmp_le_u32_e32 vcc_lo, s65, v31
	s_add_i32 s89, s17, s10
	s_add_i32 s87, s14, s12
	;; [unrolled: 1-line block ×3, first 2 shown]
	v_mov_b32_e32 v1, s89
	v_dual_mov_b32 v3, s87 :: v_dual_mov_b32 v4, s86
	s_or_b32 s22, vcc_lo, s22
	s_delay_alu instid0(SALU_CYCLE_1)
	s_and_not1_b32 exec_lo, exec_lo, s22
	s_cbranch_execnz .LBB101_39
; %bb.40:                               ;   in Loop: Header=BB101_6 Depth=1
	s_or_b32 exec_lo, exec_lo, s22
	s_delay_alu instid0(SALU_CYCLE_1)
	s_or_b32 exec_lo, exec_lo, s21
	v_mov_b32_e32 v32, 0
	s_and_saveexec_b32 s10, s8
	s_cbranch_execz .LBB101_36
.LBB101_41:                             ;   in Loop: Header=BB101_6 Depth=1
	global_load_u16 v32, v[10:11], off
	s_or_b32 exec_lo, exec_lo, s10
	s_and_saveexec_b32 s14, s8
	s_cbranch_execz .LBB101_47
.LBB101_42:                             ;   in Loop: Header=BB101_6 Depth=1
	v_dual_mov_b32 v8, v23 :: v_dual_mov_b32 v31, v18
	s_and_b32 s16, s77, 0xfe
	s_mov_b32 s15, 0
	s_branch .LBB101_44
.LBB101_43:                             ;   in Loop: Header=BB101_44 Depth=2
	s_or_b32 exec_lo, exec_lo, s11
	s_waitcnt vmcnt(0)
	v_cmp_lt_i16_e64 s10, -1, v32
	v_and_b32_e32 v34, 0xffff, v32
	s_and_b32 s11, exec_lo, vcc_lo
	v_add_nc_u32_e32 v8, s39, v8
	s_or_b32 s15, s11, s15
	v_cndmask_b32_e64 v35, 0xffff, v26, s10
	v_cmp_o_f16_e64 s10, v32, v32
	s_delay_alu instid0(VALU_DEP_2) | instskip(NEXT) | instid1(VALU_DEP_1)
	v_xor_b32_e32 v34, v35, v34
	v_cndmask_b32_e64 v32, 0xffff, v34, s10
	s_delay_alu instid0(VALU_DEP_1) | instskip(SKIP_1) | instid1(VALU_DEP_2)
	v_and_b32_e32 v34, v32, v27
	v_bfe_u32 v32, v32, s16, 2
	v_cmp_eq_u32_e32 vcc_lo, v34, v28
	s_delay_alu instid0(VALU_DEP_2) | instskip(SKIP_3) | instid1(VALU_DEP_4)
	v_cmp_eq_u32_e64 s10, 0, v32
	v_cmp_eq_u32_e64 s11, 1, v32
	;; [unrolled: 1-line block ×4, first 2 shown]
	s_and_b32 s10, vcc_lo, s10
	s_delay_alu instid0(SALU_CYCLE_1) | instskip(SKIP_1) | instid1(SALU_CYCLE_1)
	v_cndmask_b32_e64 v32, 0, 1, s10
	s_and_b32 s10, vcc_lo, s11
	v_cndmask_b32_e64 v34, 0, 1, s10
	s_and_b32 s10, vcc_lo, s12
	s_delay_alu instid0(SALU_CYCLE_1)
	v_cndmask_b32_e64 v35, 0, 1, s10
	s_and_b32 s10, vcc_lo, s13
	v_cmp_ne_u32_e32 vcc_lo, 0, v32
	v_cndmask_b32_e64 v36, 0, 1, s10
	v_cmp_ne_u32_e64 s10, 0, v34
	v_cmp_ne_u32_e64 s11, 0, v35
	v_mov_b32_e32 v32, v33
	s_bcnt1_i32_b32 s13, vcc_lo
	v_cmp_ne_u32_e64 s12, 0, v36
	s_bcnt1_i32_b32 s10, s10
	s_bcnt1_i32_b32 s11, s11
	v_add_nc_u32_e32 v1, s13, v1
	v_add_nc_u32_e32 v2, s10, v2
	s_bcnt1_i32_b32 s12, s12
	v_add_nc_u32_e32 v3, s11, v3
	v_add_nc_u32_e32 v4, s12, v4
	s_and_not1_b32 exec_lo, exec_lo, s15
	s_cbranch_execz .LBB101_46
.LBB101_44:                             ;   Parent Loop BB101_6 Depth=1
                                        ; =>  This Inner Loop Header: Depth=2
	s_delay_alu instid0(VALU_DEP_1) | instskip(SKIP_2) | instid1(VALU_DEP_2)
	v_add_nc_u32_e32 v31, s35, v31
	v_mov_b32_e32 v33, 0
	s_mov_b32 s11, exec_lo
	v_cmp_le_u32_e32 vcc_lo, s24, v31
	v_cmpx_gt_u32_e64 s24, v31
	s_cbranch_execz .LBB101_43
; %bb.45:                               ;   in Loop: Header=BB101_44 Depth=2
	v_lshlrev_b64 v[33:34], 1, v[8:9]
	s_delay_alu instid0(VALU_DEP_1) | instskip(NEXT) | instid1(VALU_DEP_1)
	v_add_co_u32 v33, s10, s31, v33
	v_add_co_ci_u32_e64 v34, s10, s33, v34, s10
	global_load_u16 v33, v[33:34], off
	s_branch .LBB101_43
.LBB101_46:                             ;   in Loop: Header=BB101_6 Depth=1
	s_or_b32 exec_lo, exec_lo, s15
.LBB101_47:                             ;   in Loop: Header=BB101_6 Depth=1
	s_delay_alu instid0(SALU_CYCLE_1)
	s_or_b32 exec_lo, exec_lo, s14
	s_branch .LBB101_57
.LBB101_48:                             ;   in Loop: Header=BB101_6 Depth=1
	s_mul_hi_u32 s10, s84, s64
	v_dual_mov_b32 v1, 0 :: v_dual_mov_b32 v2, 0
	s_mul_i32 s10, s10, s55
	v_dual_mov_b32 v3, 0 :: v_dual_mov_b32 v4, 0
	s_sub_i32 s10, s84, s10
	s_mov_b32 s87, 0
	s_sub_i32 s11, s10, s55
	s_cmp_ge_u32 s10, s55
	s_mov_b32 s86, exec_lo
	s_cselect_b32 s10, s11, s10
	s_delay_alu instid0(SALU_CYCLE_1) | instskip(SKIP_2) | instid1(SALU_CYCLE_1)
	s_sub_i32 s11, s10, s55
	s_cmp_ge_u32 s10, s55
	s_cselect_b32 s10, s11, s10
	s_sub_i32 s85, s84, s10
	s_delay_alu instid0(SALU_CYCLE_1)
	v_cmpx_gt_u32_e64 s85, v16
	s_cbranch_execz .LBB101_52
; %bb.49:                               ;   in Loop: Header=BB101_6 Depth=1
	v_mov_b32_e32 v8, v24
	v_mov_b32_e32 v31, v16
	s_and_b32 s88, s77, 0xfe
	s_mov_b32 s89, 0
	s_mov_b32 s90, 0
	;; [unrolled: 1-line block ×4, first 2 shown]
.LBB101_50:                             ;   Parent Loop BB101_6 Depth=1
                                        ; =>  This Inner Loop Header: Depth=2
	ds_load_b64 v[1:2], v8
	s_waitcnt lgkmcnt(0)
	v_cmp_lt_i16_e64 s10, -1, v1
	v_lshrrev_b32_e32 v3, 16, v1
	v_lshrrev_b32_e32 v35, 16, v2
	v_and_b32_e32 v4, 0xffff, v1
	v_and_b32_e32 v33, 0xffff, v2
	s_waitcnt vmcnt(0)
	v_cndmask_b32_e64 v32, 0xffff, v26, s10
	v_cmp_lt_i16_e64 s10, -1, v2
	v_cmp_lt_i16_e64 s11, -1, v35
	s_delay_alu instid0(VALU_DEP_3) | instskip(NEXT) | instid1(VALU_DEP_3)
	v_xor_b32_e32 v4, v32, v4
	v_cndmask_b32_e64 v34, 0xffff, v26, s10
	v_cmp_lt_i16_e64 s10, -1, v3
	s_delay_alu instid0(VALU_DEP_2) | instskip(NEXT) | instid1(VALU_DEP_2)
	v_xor_b32_e32 v33, v34, v33
	v_cndmask_b32_e64 v32, 0xffff, v26, s10
	v_cmp_o_f16_e64 s10, v2, v2
	v_cndmask_b32_e64 v2, 0xffff, v26, s11
	v_cmp_o_f16_e64 s11, v1, v1
	s_delay_alu instid0(VALU_DEP_2) | instskip(NEXT) | instid1(VALU_DEP_2)
	v_xor_b32_e32 v2, v2, v35
	v_cndmask_b32_e64 v1, 0xffff, v4, s11
	v_xor_b32_e32 v4, v32, v3
	v_cmp_o_f16_e64 s11, v3, v3
	v_cndmask_b32_e64 v32, 0xffff, v33, s10
	v_cmp_o_f16_e64 s10, v35, v35
	s_delay_alu instid0(VALU_DEP_3)
	v_cndmask_b32_e64 v3, 0xffff, v4, s11
	v_and_b32_e32 v4, v1, v27
	v_bfe_u32 v1, v1, s88, 2
	v_and_b32_e32 v33, v32, v27
	v_bfe_u32 v32, v32, s88, 2
	v_cndmask_b32_e64 v2, 0xffff, v2, s10
	v_cmp_eq_u32_e64 s10, v4, v28
	v_cmp_eq_u32_e64 s12, 0, v1
	;; [unrolled: 1-line block ×4, first 2 shown]
	v_and_b32_e32 v4, v3, v27
	v_and_b32_e32 v33, v2, v27
	v_bfe_u32 v3, v3, s88, 2
	v_bfe_u32 v2, v2, s88, 2
	v_cmp_eq_u32_e64 s14, 1, v1
	v_cmp_eq_u32_e64 s16, 2, v1
	s_and_b32 s12, s10, s12
	v_cmp_eq_u32_e64 s15, 1, v32
	v_cmp_eq_u32_e64 s17, 2, v32
	v_cmp_eq_u32_e64 s18, 3, v1
	v_cndmask_b32_e64 v1, 0, 1, s12
	s_and_b32 s12, s11, s13
	v_cmp_eq_u32_e64 s19, 3, v32
	v_cmp_eq_u32_e64 s20, v4, v28
	;; [unrolled: 1-line block ×5, first 2 shown]
	v_cndmask_b32_e64 v4, 0, 1, s12
	v_cmp_eq_u32_e64 s12, 1, v3
	s_and_b32 s14, s10, s14
	s_and_b32 s16, s10, s16
	v_cndmask_b32_e64 v32, 0, 1, s14
	s_and_b32 s14, s11, s15
	v_cndmask_b32_e64 v34, 0, 1, s16
	s_and_b32 s16, s11, s17
	s_and_b32 s10, s10, s18
	v_cmp_eq_u32_e64 s13, 1, v2
	v_cndmask_b32_e64 v33, 0, 1, s14
	v_cmp_eq_u32_e64 s14, 2, v3
	v_cmp_eq_u32_e64 s15, 2, v2
	v_cndmask_b32_e64 v35, 0, 1, s16
	v_cmp_eq_u32_e64 s16, 3, v3
	v_cmp_eq_u32_e64 s17, 3, v2
	v_cndmask_b32_e64 v2, 0, 1, s10
	s_and_b32 s10, s11, s19
	s_and_b32 s11, s20, s22
	;; [unrolled: 1-line block ×4, first 2 shown]
	v_cndmask_b32_e64 v3, 0, 1, s10
	v_cmp_ne_u32_e64 s10, 0, v1
	v_cndmask_b32_e64 v1, 0, 1, s11
	v_cmp_ne_u32_e64 s11, 0, v4
	v_cndmask_b32_e64 v4, 0, 1, s18
	v_cmp_ne_u32_e64 s18, 0, v32
	v_cndmask_b32_e64 v32, 0, 1, s12
	s_and_b32 s13, s21, s13
	s_and_b32 s14, s20, s14
	;; [unrolled: 1-line block ×5, first 2 shown]
	v_cmp_ne_u32_e64 s12, 0, v33
	v_cndmask_b32_e64 v33, 0, 1, s13
	v_cmp_ne_u32_e64 s13, 0, v34
	v_cndmask_b32_e64 v34, 0, 1, s14
	;; [unrolled: 2-line block ×5, first 2 shown]
	v_cmp_ne_u32_e64 s17, 0, v32
	s_bcnt1_i32_b32 s18, s18
	s_bcnt1_i32_b32 s21, s12
	v_cmp_ne_u32_e64 s12, 0, v33
	s_bcnt1_i32_b32 s19, s10
	v_cmp_ne_u32_e64 s10, 0, v1
	;; [unrolled: 2-line block ×4, first 2 shown]
	s_add_i32 s18, s18, s91
	s_bcnt1_i32_b32 s17, s17
	s_bcnt1_i32_b32 s20, s11
	s_add_i32 s17, s18, s17
	v_cmp_ne_u32_e64 s11, 0, v4
	s_bcnt1_i32_b32 s23, s14
	v_cmp_ne_u32_e64 s14, 0, v35
	s_bcnt1_i32_b32 s94, s16
	;; [unrolled: 2-line block ×3, first 2 shown]
	s_add_i32 s17, s17, s21
	s_add_i32 s19, s19, s92
	;; [unrolled: 1-line block ×4, first 2 shown]
	s_bcnt1_i32_b32 s10, s10
	s_bcnt1_i32_b32 s13, s13
	;; [unrolled: 1-line block ×3, first 2 shown]
	s_add_i32 s91, s17, s12
	s_delay_alu instid0(SALU_CYCLE_1)
	v_dual_mov_b32 v2, s91 :: v_dual_add_nc_u32 v31, s55, v31
	s_add_i32 s10, s19, s10
	s_add_i32 s13, s22, s13
	;; [unrolled: 1-line block ×3, first 2 shown]
	s_bcnt1_i32_b32 s11, s11
	s_bcnt1_i32_b32 s14, s14
	;; [unrolled: 1-line block ×3, first 2 shown]
	s_add_i32 s10, s10, s20
	s_add_i32 s13, s13, s23
	;; [unrolled: 1-line block ×3, first 2 shown]
	v_cmp_le_u32_e32 vcc_lo, s85, v31
	s_add_i32 s92, s10, s11
	s_add_i32 s90, s13, s14
	s_add_i32 s89, s15, s16
	v_dual_mov_b32 v1, s92 :: v_dual_add_nc_u32 v8, s69, v8
	v_dual_mov_b32 v3, s90 :: v_dual_mov_b32 v4, s89
	s_or_b32 s87, vcc_lo, s87
	s_delay_alu instid0(SALU_CYCLE_1)
	s_and_not1_b32 exec_lo, exec_lo, s87
	s_cbranch_execnz .LBB101_50
; %bb.51:                               ;   in Loop: Header=BB101_6 Depth=1
	s_or_b32 exec_lo, exec_lo, s87
.LBB101_52:                             ;   in Loop: Header=BB101_6 Depth=1
	s_delay_alu instid0(SALU_CYCLE_1) | instskip(SKIP_2) | instid1(VALU_DEP_1)
	s_or_b32 exec_lo, exec_lo, s86
	v_add_nc_u32_e32 v8, s85, v0
	s_mov_b32 s15, exec_lo
	v_cmpx_gt_u32_e64 s84, v8
	s_cbranch_execz .LBB101_56
; %bb.53:                               ;   in Loop: Header=BB101_6 Depth=1
	v_lshlrev_b32_e32 v31, 1, v8
	s_and_b32 s17, s77, 0xfe
	s_mov_b32 s16, 0
.LBB101_54:                             ;   Parent Loop BB101_6 Depth=1
                                        ; =>  This Inner Loop Header: Depth=2
	s_waitcnt vmcnt(0)
	ds_load_u16 v32, v31
	v_add_nc_u32_e32 v8, s35, v8
	v_add_nc_u32_e32 v31, s70, v31
	s_delay_alu instid0(VALU_DEP_2) | instskip(SKIP_3) | instid1(VALU_DEP_2)
	v_cmp_le_u32_e32 vcc_lo, s84, v8
	s_waitcnt lgkmcnt(0)
	v_cmp_lt_i16_e64 s10, -1, v32
	v_and_b32_e32 v33, 0xffff, v32
	v_cndmask_b32_e64 v34, 0xffff, v26, s10
	v_cmp_o_f16_e64 s10, v32, v32
	s_delay_alu instid0(VALU_DEP_2) | instskip(NEXT) | instid1(VALU_DEP_1)
	v_xor_b32_e32 v33, v34, v33
	v_cndmask_b32_e64 v32, 0xffff, v33, s10
	s_delay_alu instid0(VALU_DEP_1) | instskip(SKIP_1) | instid1(VALU_DEP_2)
	v_and_b32_e32 v33, v32, v27
	v_bfe_u32 v32, v32, s17, 2
	v_cmp_eq_u32_e64 s10, v33, v28
	s_delay_alu instid0(VALU_DEP_2) | instskip(SKIP_3) | instid1(VALU_DEP_4)
	v_cmp_eq_u32_e64 s11, 0, v32
	v_cmp_eq_u32_e64 s12, 1, v32
	v_cmp_eq_u32_e64 s13, 2, v32
	v_cmp_eq_u32_e64 s14, 3, v32
	s_and_b32 s11, s10, s11
	s_delay_alu instid0(SALU_CYCLE_1) | instskip(SKIP_1) | instid1(SALU_CYCLE_1)
	v_cndmask_b32_e64 v32, 0, 1, s11
	s_and_b32 s11, s10, s12
	v_cndmask_b32_e64 v33, 0, 1, s11
	s_and_b32 s11, s10, s13
	s_and_b32 s10, s10, s14
	v_cndmask_b32_e64 v34, 0, 1, s11
	v_cndmask_b32_e64 v35, 0, 1, s10
	v_cmp_ne_u32_e64 s10, 0, v32
	v_cmp_ne_u32_e64 s11, 0, v33
	s_delay_alu instid0(VALU_DEP_4) | instskip(NEXT) | instid1(VALU_DEP_4)
	v_cmp_ne_u32_e64 s12, 0, v34
	v_cmp_ne_u32_e64 s13, 0, v35
	s_delay_alu instid0(VALU_DEP_4) | instskip(NEXT) | instid1(VALU_DEP_3)
	s_bcnt1_i32_b32 s10, s10
	s_bcnt1_i32_b32 s11, s11
	v_add_nc_u32_e32 v1, s10, v1
	s_bcnt1_i32_b32 s12, s12
	s_bcnt1_i32_b32 s13, s13
	v_add_nc_u32_e32 v2, s11, v2
	v_add_nc_u32_e32 v3, s12, v3
	v_add_nc_u32_e32 v4, s13, v4
	s_or_b32 s16, vcc_lo, s16
	s_delay_alu instid0(SALU_CYCLE_1)
	s_and_not1_b32 exec_lo, exec_lo, s16
	s_cbranch_execnz .LBB101_54
; %bb.55:                               ;   in Loop: Header=BB101_6 Depth=1
	s_or_b32 exec_lo, exec_lo, s16
.LBB101_56:                             ;   in Loop: Header=BB101_6 Depth=1
	s_delay_alu instid0(SALU_CYCLE_1)
	s_or_b32 exec_lo, exec_lo, s15
.LBB101_57:                             ;   in Loop: Header=BB101_6 Depth=1
	s_lshl_b32 s10, s73, 7
	s_and_saveexec_b32 s11, s2
	s_cbranch_execz .LBB101_59
; %bb.58:                               ;   in Loop: Header=BB101_6 Depth=1
	v_or_b32_e32 v8, s10, v17
	s_delay_alu instid0(VALU_DEP_1)
	v_lshlrev_b32_e32 v8, 2, v8
	ds_store_b128 v8, v[1:4] offset:3072
.LBB101_59:                             ;   in Loop: Header=BB101_6 Depth=1
	s_or_b32 exec_lo, exec_lo, s11
	s_waitcnt vmcnt(0) lgkmcnt(0)
	s_barrier
	buffer_gl0_inv
	s_and_saveexec_b32 s11, s56
	s_cbranch_execz .LBB101_69
; %bb.60:                               ;   in Loop: Header=BB101_6 Depth=1
	v_mov_b32_e32 v1, 0
	s_and_not1_b32 vcc_lo, exec_lo, s58
	s_cbranch_vccnz .LBB101_68
; %bb.61:                               ;   in Loop: Header=BB101_6 Depth=1
	v_mov_b32_e32 v1, 0
	s_and_not1_b32 vcc_lo, exec_lo, s61
	s_mov_b32 s12, 0
	s_cbranch_vccnz .LBB101_65
; %bb.62:                               ;   in Loop: Header=BB101_6 Depth=1
	v_lshl_add_u32 v2, s73, 9, v25
	v_mov_b32_e32 v1, 0
	.p2align	6
.LBB101_63:                             ;   Parent Loop BB101_6 Depth=1
                                        ; =>  This Inner Loop Header: Depth=2
	ds_load_2addr_b32 v[3:4], v2 offset1:4
	ds_load_2addr_b32 v[31:32], v2 offset0:8 offset1:12
	ds_load_2addr_b32 v[33:34], v2 offset0:16 offset1:20
	;; [unrolled: 1-line block ×3, first 2 shown]
	v_add_nc_u32_e32 v2, 0x80, v2
	s_add_i32 s12, s12, 8
	s_delay_alu instid0(SALU_CYCLE_1) | instskip(SKIP_3) | instid1(VALU_DEP_1)
	s_cmp_eq_u32 s62, s12
	s_waitcnt lgkmcnt(3)
	v_add3_u32 v1, v3, v1, v4
	s_waitcnt lgkmcnt(2)
	v_add3_u32 v1, v31, v1, v32
	s_waitcnt lgkmcnt(1)
	s_delay_alu instid0(VALU_DEP_1) | instskip(SKIP_1) | instid1(VALU_DEP_1)
	v_add3_u32 v1, v33, v1, v34
	s_waitcnt lgkmcnt(0)
	v_add3_u32 v1, v35, v1, v36
	s_cbranch_scc0 .LBB101_63
; %bb.64:                               ;   in Loop: Header=BB101_6 Depth=1
	s_mov_b32 s12, s62
.LBB101_65:                             ;   in Loop: Header=BB101_6 Depth=1
	s_and_not1_b32 vcc_lo, exec_lo, s63
	s_cbranch_vccnz .LBB101_68
; %bb.66:                               ;   in Loop: Header=BB101_6 Depth=1
	s_lshl_b32 s13, s73, 9
	s_lshl_b32 s12, s12, 4
	s_delay_alu instid0(SALU_CYCLE_1)
	v_add3_u32 v2, s13, s12, v25
	s_mov_b32 s12, s60
.LBB101_67:                             ;   Parent Loop BB101_6 Depth=1
                                        ; =>  This Inner Loop Header: Depth=2
	ds_load_b32 v3, v2
	v_add_nc_u32_e32 v2, 16, v2
	s_add_i32 s12, s12, -1
	s_delay_alu instid0(SALU_CYCLE_1)
	s_cmp_lg_u32 s12, 0
	s_waitcnt lgkmcnt(0)
	v_add_nc_u32_e32 v1, v3, v1
	s_cbranch_scc1 .LBB101_67
.LBB101_68:                             ;   in Loop: Header=BB101_6 Depth=1
	v_add_lshl_u32 v2, s10, v15, 2
	ds_store_b32 v2, v1 offset:3072
.LBB101_69:                             ;   in Loop: Header=BB101_6 Depth=1
	s_or_b32 exec_lo, exec_lo, s11
	s_lshl_b32 s10, s10, 2
	s_waitcnt lgkmcnt(0)
	v_mov_b32_e32 v1, s10
	s_barrier
	buffer_gl0_inv
	s_and_b32 s17, s77, 0xfe
	v_cmp_eq_u32_e64 s10, 1, v30
	ds_load_b128 v[1:4], v1 offset:3072
	s_lshl_b32 s13, 3, s17
	s_and_not1_b32 vcc_lo, exec_lo, s48
	s_not_b32 s14, s13
	s_waitcnt lgkmcnt(0)
	v_readfirstlane_b32 s12, v1
	v_readfirstlane_b32 s16, v2
	;; [unrolled: 1-line block ×4, first 2 shown]
	s_cbranch_vccnz .LBB101_82
; %bb.70:                               ;   in Loop: Header=BB101_6 Depth=1
	s_cmp_eq_u32 s12, 1
	v_dual_mov_b32 v1, v28 :: v_dual_mov_b32 v2, v27
	v_mov_b32_e32 v3, v29
	s_cselect_b32 s11, -1, 0
	s_mov_b32 s86, -1
	s_and_b32 s85, s11, s10
                                        ; implicit-def: $sgpr15
                                        ; implicit-def: $sgpr22
                                        ; implicit-def: $sgpr21
	s_delay_alu instid0(SALU_CYCLE_1)
	s_and_saveexec_b32 s20, s85
	s_cbranch_execz .LBB101_101
; %bb.71:                               ;   in Loop: Header=BB101_6 Depth=1
	ds_load_b32 v1, v9 offset:4096
	s_waitcnt lgkmcnt(0)
	s_barrier
	buffer_gl0_inv
	v_readfirstlane_b32 s15, v1
	s_and_saveexec_b32 s11, s6
	s_cbranch_execz .LBB101_73
; %bb.72:                               ;   in Loop: Header=BB101_6 Depth=1
	ds_store_b16 v20, v9
.LBB101_73:                             ;   in Loop: Header=BB101_6 Depth=1
	s_or_b32 exec_lo, exec_lo, s11
	v_and_b32_e32 v1, s14, v28
	v_or_b32_e32 v2, s13, v27
	s_cmp_eq_u32 s15, 0
	s_waitcnt lgkmcnt(0)
	s_barrier
	buffer_gl0_inv
	s_cbranch_scc1 .LBB101_87
; %bb.74:                               ;   in Loop: Header=BB101_6 Depth=1
	s_add_i32 s11, s15, s59
                                        ; implicit-def: $vgpr3
	s_delay_alu instid0(SALU_CYCLE_1) | instskip(NEXT) | instid1(SALU_CYCLE_1)
	s_mul_hi_u32 s21, s11, s66
	s_mul_i32 s21, s21, s35
	s_delay_alu instid0(SALU_CYCLE_1) | instskip(NEXT) | instid1(SALU_CYCLE_1)
	s_sub_i32 s21, s11, s21
	s_sub_i32 s22, s21, s35
	s_cmp_ge_u32 s21, s35
	s_cselect_b32 s21, s22, s21
	s_delay_alu instid0(SALU_CYCLE_1) | instskip(SKIP_2) | instid1(SALU_CYCLE_1)
	s_sub_i32 s22, s21, s35
	s_cmp_ge_u32 s21, s35
	s_cselect_b32 s21, s22, s21
	s_sub_i32 s22, s11, s21
	s_mov_b32 s11, 0
	s_mov_b32 s21, exec_lo
	v_cmpx_gt_u32_e64 s22, v0
	s_cbranch_execz .LBB101_89
; %bb.75:                               ;   in Loop: Header=BB101_6 Depth=1
	v_dual_mov_b32 v3, v19 :: v_dual_mov_b32 v4, v0
	s_mov_b32 s23, 0
                                        ; implicit-def: $sgpr84
	s_set_inst_prefetch_distance 0x1
	s_branch .LBB101_77
	.p2align	6
.LBB101_76:                             ;   in Loop: Header=BB101_77 Depth=2
	s_or_b32 exec_lo, exec_lo, s11
	s_waitcnt lgkmcnt(0)
	s_barrier
	buffer_gl0_inv
	ds_load_b32 v8, v9 offset:3072
	v_add_nc_u32_e32 v4, s35, v4
	v_add_nc_u32_e32 v3, s70, v3
	s_waitcnt lgkmcnt(0)
	s_barrier
	buffer_gl0_inv
	v_cmp_le_u32_e32 vcc_lo, s22, v4
	v_cmp_neq_f16_e64 s11, 0, v8
	s_delay_alu instid0(VALU_DEP_1) | instskip(NEXT) | instid1(SALU_CYCLE_1)
	s_or_b32 s86, vcc_lo, s11
	s_and_b32 s86, exec_lo, s86
	s_delay_alu instid0(SALU_CYCLE_1) | instskip(SKIP_2) | instid1(SALU_CYCLE_1)
	s_or_b32 s23, s86, s23
	s_and_not1_b32 s84, s84, exec_lo
	s_and_b32 s11, s11, exec_lo
	s_or_b32 s84, s84, s11
	s_and_not1_b32 exec_lo, exec_lo, s23
	s_cbranch_execz .LBB101_88
.LBB101_77:                             ;   Parent Loop BB101_6 Depth=1
                                        ; =>  This Inner Loop Header: Depth=2
	s_delay_alu instid0(VALU_DEP_1)
	v_cmp_gt_u32_e32 vcc_lo, s15, v4
	v_mov_b32_e32 v8, 0
	s_and_saveexec_b32 s11, vcc_lo
	s_cbranch_execz .LBB101_79
; %bb.78:                               ;   in Loop: Header=BB101_77 Depth=2
	ds_load_u16 v8, v3
.LBB101_79:                             ;   in Loop: Header=BB101_77 Depth=2
	s_or_b32 exec_lo, exec_lo, s11
	s_and_saveexec_b32 s11, vcc_lo
	s_cbranch_execz .LBB101_76
; %bb.80:                               ;   in Loop: Header=BB101_77 Depth=2
	s_waitcnt lgkmcnt(0)
	v_cmp_lt_i16_e32 vcc_lo, -1, v8
	v_dual_cndmask_b32 v32, 0xffff, v26 :: v_dual_and_b32 v31, 0xffff, v8
	v_cmp_o_f16_e32 vcc_lo, v8, v8
	s_delay_alu instid0(VALU_DEP_2) | instskip(NEXT) | instid1(VALU_DEP_1)
	v_xor_b32_e32 v31, v32, v31
	v_cndmask_b32_e32 v31, 0xffff, v31, vcc_lo
	s_delay_alu instid0(VALU_DEP_1) | instskip(NEXT) | instid1(VALU_DEP_1)
	v_and_b32_e32 v31, v31, v2
	v_cmp_eq_u32_e32 vcc_lo, v31, v1
	s_and_b32 exec_lo, exec_lo, vcc_lo
	s_cbranch_execz .LBB101_76
; %bb.81:                               ;   in Loop: Header=BB101_77 Depth=2
	v_perm_b32 v8, v8, s72, 0x5040100
	ds_store_b32 v9, v8 offset:3072
	s_branch .LBB101_76
.LBB101_82:                             ;   in Loop: Header=BB101_6 Depth=1
	s_mov_b32 s20, 0
	s_mov_b32 s11, 0
                                        ; implicit-def: $sgpr21
                                        ; implicit-def: $sgpr22
                                        ; implicit-def: $sgpr15
                                        ; implicit-def: $vgpr8
                                        ; implicit-def: $vgpr4
                                        ; implicit-def: $vgpr1
                                        ; implicit-def: $vgpr2
                                        ; implicit-def: $vgpr3
	s_cbranch_execnz .LBB101_237
.LBB101_83:                             ;   in Loop: Header=BB101_6 Depth=1
	s_mov_b32 s23, s15
	s_mov_b32 s84, s15
	s_and_saveexec_b32 s10, s20
	s_cbranch_execnz .LBB101_399
	s_branch .LBB101_400
.LBB101_84:                             ;   in Loop: Header=BB101_6 Depth=1
	s_or_b32 exec_lo, exec_lo, s12
	s_waitcnt lgkmcnt(0)
	s_barrier
	buffer_gl0_inv
	s_and_saveexec_b32 s10, s5
	s_cbranch_execz .LBB101_86
; %bb.85:                               ;   in Loop: Header=BB101_6 Depth=1
	ds_load_b32 v1, v9 offset:4104
	s_waitcnt lgkmcnt(0)
	ds_store_b32 v9, v1 offset:4096
.LBB101_86:                             ;   in Loop: Header=BB101_6 Depth=1
	s_or_b32 exec_lo, exec_lo, s10
	s_waitcnt lgkmcnt(0)
	s_mov_b32 s10, -1
	s_barrier
	s_and_b32 vcc_lo, exec_lo, s84
	s_cbranch_vccnz .LBB101_21
	s_branch .LBB101_31
.LBB101_87:                             ;   in Loop: Header=BB101_6 Depth=1
	s_mov_b32 s15, -1
	s_mov_b32 s11, 0
                                        ; implicit-def: $sgpr21
                                        ; implicit-def: $vgpr3
	s_mov_b32 s22, s15
	s_cbranch_execnz .LBB101_90
	s_branch .LBB101_100
.LBB101_88:                             ;   in Loop: Header=BB101_6 Depth=1
	s_set_inst_prefetch_distance 0x2
	s_or_b32 exec_lo, exec_lo, s23
	v_lshrrev_b32_e32 v3, 16, v8
	s_and_b32 s11, s84, exec_lo
.LBB101_89:                             ;   in Loop: Header=BB101_6 Depth=1
	s_or_b32 exec_lo, exec_lo, s21
	s_mov_b32 s21, -1
	s_mov_b32 s15, 0
	s_delay_alu instid0(SALU_CYCLE_1)
	s_mov_b32 s22, s15
	s_branch .LBB101_100
.LBB101_90:                             ;   in Loop: Header=BB101_6 Depth=1
	s_mov_b32 s11, 0
                                        ; implicit-def: $vgpr3
	s_and_saveexec_b32 s15, s9
	s_cbranch_execz .LBB101_99
; %bb.91:                               ;   in Loop: Header=BB101_6 Depth=1
	v_dual_mov_b32 v8, v7 :: v_dual_mov_b32 v3, v0
	s_mov_b32 s21, 0
                                        ; implicit-def: $sgpr22
	s_branch .LBB101_93
.LBB101_92:                             ;   in Loop: Header=BB101_93 Depth=2
	s_or_b32 exec_lo, exec_lo, s11
	s_waitcnt vmcnt(0) lgkmcnt(0)
	s_barrier
	buffer_gl0_inv
	ds_load_b32 v4, v9 offset:3072
	v_add_nc_u32_e32 v3, s35, v3
	v_add_nc_u32_e32 v8, s39, v8
	s_waitcnt lgkmcnt(0)
	s_barrier
	buffer_gl0_inv
	v_cmp_le_u32_e32 vcc_lo, s67, v3
	v_cmp_neq_f16_e64 s11, 0, v4
	s_delay_alu instid0(VALU_DEP_1) | instskip(NEXT) | instid1(SALU_CYCLE_1)
	s_or_b32 s23, vcc_lo, s11
	s_and_b32 s23, exec_lo, s23
	s_delay_alu instid0(SALU_CYCLE_1) | instskip(SKIP_2) | instid1(SALU_CYCLE_1)
	s_or_b32 s21, s23, s21
	s_and_not1_b32 s22, s22, exec_lo
	s_and_b32 s11, s11, exec_lo
	s_or_b32 s22, s22, s11
	s_and_not1_b32 exec_lo, exec_lo, s21
	s_cbranch_execz .LBB101_98
.LBB101_93:                             ;   Parent Loop BB101_6 Depth=1
                                        ; =>  This Inner Loop Header: Depth=2
	s_delay_alu instid0(VALU_DEP_1)
	v_cmp_gt_u32_e32 vcc_lo, s24, v3
	v_mov_b32_e32 v4, 0
	s_and_saveexec_b32 s23, vcc_lo
	s_cbranch_execz .LBB101_95
; %bb.94:                               ;   in Loop: Header=BB101_93 Depth=2
	v_lshlrev_b64 v[31:32], 1, v[8:9]
	s_delay_alu instid0(VALU_DEP_1) | instskip(NEXT) | instid1(VALU_DEP_1)
	v_add_co_u32 v31, s11, s31, v31
	v_add_co_ci_u32_e64 v32, s11, s33, v32, s11
	global_load_u16 v4, v[31:32], off
.LBB101_95:                             ;   in Loop: Header=BB101_93 Depth=2
	s_or_b32 exec_lo, exec_lo, s23
	s_and_saveexec_b32 s11, vcc_lo
	s_cbranch_execz .LBB101_92
; %bb.96:                               ;   in Loop: Header=BB101_93 Depth=2
	s_waitcnt vmcnt(0)
	v_cmp_lt_i16_e32 vcc_lo, -1, v4
	v_dual_cndmask_b32 v32, 0xffff, v26 :: v_dual_and_b32 v31, 0xffff, v4
	v_cmp_o_f16_e32 vcc_lo, v4, v4
	s_delay_alu instid0(VALU_DEP_2) | instskip(NEXT) | instid1(VALU_DEP_1)
	v_xor_b32_e32 v31, v32, v31
	v_cndmask_b32_e32 v31, 0xffff, v31, vcc_lo
	s_delay_alu instid0(VALU_DEP_1) | instskip(NEXT) | instid1(VALU_DEP_1)
	v_and_b32_e32 v31, v31, v2
	v_cmp_eq_u32_e32 vcc_lo, v31, v1
	s_and_b32 exec_lo, exec_lo, vcc_lo
	s_cbranch_execz .LBB101_92
; %bb.97:                               ;   in Loop: Header=BB101_93 Depth=2
	v_perm_b32 v4, v4, s72, 0x5040100
	ds_store_b32 v9, v4 offset:3072
	s_branch .LBB101_92
.LBB101_98:                             ;   in Loop: Header=BB101_6 Depth=1
	s_or_b32 exec_lo, exec_lo, s21
	v_lshrrev_b32_e32 v3, 16, v4
	s_and_b32 s11, s22, exec_lo
.LBB101_99:                             ;   in Loop: Header=BB101_6 Depth=1
	s_or_b32 exec_lo, exec_lo, s15
	s_mov_b32 s22, -1
	s_mov_b32 s15, 0
	s_mov_b32 s21, 0
.LBB101_100:                            ;   in Loop: Header=BB101_6 Depth=1
	s_or_not1_b32 s86, s11, exec_lo
.LBB101_101:                            ;   in Loop: Header=BB101_6 Depth=1
	s_or_b32 exec_lo, exec_lo, s20
	s_mov_b32 s23, 0
	s_mov_b32 s20, 0
	s_mov_b32 s11, 0
                                        ; implicit-def: $vgpr8
                                        ; implicit-def: $vgpr4
	s_and_saveexec_b32 s84, s86
	s_cbranch_execz .LBB101_236
; %bb.102:                              ;   in Loop: Header=BB101_6 Depth=1
	v_mov_b32_e32 v4, 1
	v_mov_b32_e32 v8, 1
	s_xor_b32 s85, s85, -1
	s_delay_alu instid0(SALU_CYCLE_1)
	s_and_saveexec_b32 s11, s85
	s_cbranch_execz .LBB101_112
; %bb.103:                              ;   in Loop: Header=BB101_6 Depth=1
	s_mov_b32 s85, exec_lo
                                        ; implicit-def: $sgpr86
                                        ; implicit-def: $sgpr20
	v_cmpx_ge_u32_e64 s12, v30
	s_xor_b32 s85, exec_lo, s85
	s_cbranch_execz .LBB101_109
; %bb.104:                              ;   in Loop: Header=BB101_6 Depth=1
	ds_load_b32 v4, v9 offset:4096
	s_waitcnt lgkmcnt(0)
	v_cmp_ne_u32_e32 vcc_lo, 0, v4
	s_cbranch_vccnz .LBB101_108
; %bb.105:                              ;   in Loop: Header=BB101_6 Depth=1
	s_and_saveexec_b32 s20, s5
	s_cbranch_execz .LBB101_107
; %bb.106:                              ;   in Loop: Header=BB101_6 Depth=1
	v_mov_b32_e32 v4, s12
	ds_store_b32 v9, v4 offset:4100
.LBB101_107:                            ;   in Loop: Header=BB101_6 Depth=1
	s_or_b32 exec_lo, exec_lo, s20
	s_waitcnt lgkmcnt(0)
	s_barrier
	buffer_gl0_inv
.LBB101_108:                            ;   in Loop: Header=BB101_6 Depth=1
	v_and_b32_e32 v1, s14, v1
	v_or_b32_e32 v2, s13, v2
	s_mov_b32 s20, 0
	s_mov_b32 s86, 8
.LBB101_109:                            ;   in Loop: Header=BB101_6 Depth=1
	s_or_saveexec_b32 s85, s85
	v_mov_b32_e32 v8, s86
	v_mov_b32_e32 v4, v30
	s_xor_b32 exec_lo, exec_lo, s85
; %bb.110:                              ;   in Loop: Header=BB101_6 Depth=1
	v_subrev_nc_u32_e32 v4, s12, v30
	v_mov_b32_e32 v8, 0
	s_or_b32 s20, s20, exec_lo
; %bb.111:                              ;   in Loop: Header=BB101_6 Depth=1
	s_or_b32 exec_lo, exec_lo, s85
	s_delay_alu instid0(SALU_CYCLE_1)
	s_and_b32 s20, s20, exec_lo
.LBB101_112:                            ;   in Loop: Header=BB101_6 Depth=1
	s_or_b32 exec_lo, exec_lo, s11
	s_mov_b32 s11, -1
                                        ; implicit-def: $sgpr85
                                        ; implicit-def: $sgpr87
                                        ; implicit-def: $sgpr88
	s_and_saveexec_b32 s86, s20
	s_delay_alu instid0(SALU_CYCLE_1)
	s_xor_b32 s20, exec_lo, s86
	s_cbranch_execz .LBB101_233
; %bb.113:                              ;   in Loop: Header=BB101_6 Depth=1
	v_cmp_eq_u32_e32 vcc_lo, 1, v4
	s_cmp_eq_u32 s16, 1
                                        ; implicit-def: $sgpr85
                                        ; implicit-def: $sgpr87
                                        ; implicit-def: $sgpr86
	s_cselect_b32 s11, -1, 0
	s_delay_alu instid0(SALU_CYCLE_1)
	s_and_b32 s89, s11, vcc_lo
	s_mov_b32 s11, -1
	s_and_saveexec_b32 s88, s89
	s_cbranch_execz .LBB101_139
; %bb.114:                              ;   in Loop: Header=BB101_6 Depth=1
	ds_load_b32 v3, v9 offset:4096
	s_waitcnt lgkmcnt(0)
	s_barrier
	buffer_gl0_inv
	v_readfirstlane_b32 s85, v3
	s_and_saveexec_b32 s11, s6
	s_cbranch_execz .LBB101_116
; %bb.115:                              ;   in Loop: Header=BB101_6 Depth=1
	ds_store_b16 v20, v9
.LBB101_116:                            ;   in Loop: Header=BB101_6 Depth=1
	s_or_b32 exec_lo, exec_lo, s11
	s_lshl_b32 s11, 1, s17
	v_or_b32_e32 v2, s13, v2
	v_and_or_b32 v1, v1, s14, s11
	s_cmp_eq_u32 s85, 0
	s_waitcnt lgkmcnt(0)
	s_barrier
	buffer_gl0_inv
	s_cbranch_scc1 .LBB101_125
; %bb.117:                              ;   in Loop: Header=BB101_6 Depth=1
	s_add_i32 s11, s85, s59
                                        ; implicit-def: $vgpr3
	s_delay_alu instid0(SALU_CYCLE_1) | instskip(NEXT) | instid1(SALU_CYCLE_1)
	s_mul_hi_u32 s86, s11, s66
	s_mul_i32 s86, s86, s35
	s_delay_alu instid0(SALU_CYCLE_1) | instskip(NEXT) | instid1(SALU_CYCLE_1)
	s_sub_i32 s86, s11, s86
	s_sub_i32 s87, s86, s35
	s_cmp_ge_u32 s86, s35
	s_cselect_b32 s86, s87, s86
	s_delay_alu instid0(SALU_CYCLE_1) | instskip(SKIP_2) | instid1(SALU_CYCLE_1)
	s_sub_i32 s87, s86, s35
	s_cmp_ge_u32 s86, s35
	s_cselect_b32 s86, s87, s86
	s_sub_i32 s87, s11, s86
	s_mov_b32 s11, 0
	s_mov_b32 s86, exec_lo
	v_cmpx_gt_u32_e64 s87, v0
	s_cbranch_execz .LBB101_127
; %bb.118:                              ;   in Loop: Header=BB101_6 Depth=1
	v_dual_mov_b32 v3, v19 :: v_dual_mov_b32 v8, v0
	s_mov_b32 s90, 0
                                        ; implicit-def: $sgpr91
	s_set_inst_prefetch_distance 0x1
	s_branch .LBB101_120
	.p2align	6
.LBB101_119:                            ;   in Loop: Header=BB101_120 Depth=2
	s_or_b32 exec_lo, exec_lo, s11
	s_waitcnt lgkmcnt(0)
	s_barrier
	buffer_gl0_inv
	ds_load_b32 v31, v9 offset:3072
	v_add_nc_u32_e32 v8, s35, v8
	v_add_nc_u32_e32 v3, s70, v3
	s_waitcnt lgkmcnt(0)
	s_barrier
	buffer_gl0_inv
	v_cmp_le_u32_e32 vcc_lo, s87, v8
	v_cmp_neq_f16_e64 s11, 0, v31
	s_delay_alu instid0(VALU_DEP_1) | instskip(NEXT) | instid1(SALU_CYCLE_1)
	s_or_b32 s92, vcc_lo, s11
	s_and_b32 s92, exec_lo, s92
	s_delay_alu instid0(SALU_CYCLE_1) | instskip(SKIP_2) | instid1(SALU_CYCLE_1)
	s_or_b32 s90, s92, s90
	s_and_not1_b32 s91, s91, exec_lo
	s_and_b32 s11, s11, exec_lo
	s_or_b32 s91, s91, s11
	s_and_not1_b32 exec_lo, exec_lo, s90
	s_cbranch_execz .LBB101_126
.LBB101_120:                            ;   Parent Loop BB101_6 Depth=1
                                        ; =>  This Inner Loop Header: Depth=2
	s_delay_alu instid0(VALU_DEP_1)
	v_cmp_gt_u32_e32 vcc_lo, s85, v8
	v_mov_b32_e32 v31, 0
	s_and_saveexec_b32 s11, vcc_lo
	s_cbranch_execz .LBB101_122
; %bb.121:                              ;   in Loop: Header=BB101_120 Depth=2
	ds_load_u16 v31, v3
.LBB101_122:                            ;   in Loop: Header=BB101_120 Depth=2
	s_or_b32 exec_lo, exec_lo, s11
	s_and_saveexec_b32 s11, vcc_lo
	s_cbranch_execz .LBB101_119
; %bb.123:                              ;   in Loop: Header=BB101_120 Depth=2
	s_waitcnt lgkmcnt(0)
	v_cmp_lt_i16_e32 vcc_lo, -1, v31
	v_dual_cndmask_b32 v33, 0xffff, v26 :: v_dual_and_b32 v32, 0xffff, v31
	v_cmp_o_f16_e32 vcc_lo, v31, v31
	s_delay_alu instid0(VALU_DEP_2) | instskip(NEXT) | instid1(VALU_DEP_1)
	v_xor_b32_e32 v32, v33, v32
	v_cndmask_b32_e32 v32, 0xffff, v32, vcc_lo
	s_delay_alu instid0(VALU_DEP_1) | instskip(NEXT) | instid1(VALU_DEP_1)
	v_and_b32_e32 v32, v32, v2
	v_cmp_eq_u32_e32 vcc_lo, v32, v1
	s_and_b32 exec_lo, exec_lo, vcc_lo
	s_cbranch_execz .LBB101_119
; %bb.124:                              ;   in Loop: Header=BB101_120 Depth=2
	v_perm_b32 v31, v31, s72, 0x5040100
	ds_store_b32 v9, v31 offset:3072
	s_branch .LBB101_119
.LBB101_125:                            ;   in Loop: Header=BB101_6 Depth=1
	s_mov_b32 s85, -1
	s_mov_b32 s11, 0
                                        ; implicit-def: $sgpr86
                                        ; implicit-def: $vgpr3
	s_mov_b32 s87, s85
	s_cbranch_execnz .LBB101_128
	s_branch .LBB101_138
.LBB101_126:                            ;   in Loop: Header=BB101_6 Depth=1
	s_set_inst_prefetch_distance 0x2
	s_or_b32 exec_lo, exec_lo, s90
	v_lshrrev_b32_e32 v3, 16, v31
	s_and_b32 s11, s91, exec_lo
.LBB101_127:                            ;   in Loop: Header=BB101_6 Depth=1
	s_or_b32 exec_lo, exec_lo, s86
	s_mov_b32 s86, -1
	s_mov_b32 s85, 0
	s_delay_alu instid0(SALU_CYCLE_1)
	s_mov_b32 s87, s85
	s_branch .LBB101_138
.LBB101_128:                            ;   in Loop: Header=BB101_6 Depth=1
	s_mov_b32 s11, 0
                                        ; implicit-def: $vgpr3
	s_and_saveexec_b32 s85, s9
	s_cbranch_execz .LBB101_137
; %bb.129:                              ;   in Loop: Header=BB101_6 Depth=1
	v_dual_mov_b32 v8, v7 :: v_dual_mov_b32 v3, v0
	s_mov_b32 s86, 0
                                        ; implicit-def: $sgpr87
	s_branch .LBB101_131
.LBB101_130:                            ;   in Loop: Header=BB101_131 Depth=2
	s_or_b32 exec_lo, exec_lo, s11
	s_waitcnt vmcnt(0) lgkmcnt(0)
	s_barrier
	buffer_gl0_inv
	ds_load_b32 v31, v9 offset:3072
	v_add_nc_u32_e32 v3, s35, v3
	v_add_nc_u32_e32 v8, s39, v8
	s_waitcnt lgkmcnt(0)
	s_barrier
	buffer_gl0_inv
	v_cmp_le_u32_e32 vcc_lo, s67, v3
	v_cmp_neq_f16_e64 s11, 0, v31
	s_delay_alu instid0(VALU_DEP_1) | instskip(NEXT) | instid1(SALU_CYCLE_1)
	s_or_b32 s90, vcc_lo, s11
	s_and_b32 s90, exec_lo, s90
	s_delay_alu instid0(SALU_CYCLE_1) | instskip(SKIP_2) | instid1(SALU_CYCLE_1)
	s_or_b32 s86, s90, s86
	s_and_not1_b32 s87, s87, exec_lo
	s_and_b32 s11, s11, exec_lo
	s_or_b32 s87, s87, s11
	s_and_not1_b32 exec_lo, exec_lo, s86
	s_cbranch_execz .LBB101_136
.LBB101_131:                            ;   Parent Loop BB101_6 Depth=1
                                        ; =>  This Inner Loop Header: Depth=2
	s_delay_alu instid0(VALU_DEP_1)
	v_cmp_gt_u32_e32 vcc_lo, s24, v3
	v_mov_b32_e32 v31, 0
	s_and_saveexec_b32 s90, vcc_lo
	s_cbranch_execz .LBB101_133
; %bb.132:                              ;   in Loop: Header=BB101_131 Depth=2
	v_lshlrev_b64 v[31:32], 1, v[8:9]
	s_delay_alu instid0(VALU_DEP_1) | instskip(NEXT) | instid1(VALU_DEP_1)
	v_add_co_u32 v31, s11, s31, v31
	v_add_co_ci_u32_e64 v32, s11, s33, v32, s11
	global_load_u16 v31, v[31:32], off
.LBB101_133:                            ;   in Loop: Header=BB101_131 Depth=2
	s_or_b32 exec_lo, exec_lo, s90
	s_and_saveexec_b32 s11, vcc_lo
	s_cbranch_execz .LBB101_130
; %bb.134:                              ;   in Loop: Header=BB101_131 Depth=2
	s_waitcnt vmcnt(0)
	v_cmp_lt_i16_e32 vcc_lo, -1, v31
	v_dual_cndmask_b32 v33, 0xffff, v26 :: v_dual_and_b32 v32, 0xffff, v31
	v_cmp_o_f16_e32 vcc_lo, v31, v31
	s_delay_alu instid0(VALU_DEP_2) | instskip(NEXT) | instid1(VALU_DEP_1)
	v_xor_b32_e32 v32, v33, v32
	v_cndmask_b32_e32 v32, 0xffff, v32, vcc_lo
	s_delay_alu instid0(VALU_DEP_1) | instskip(NEXT) | instid1(VALU_DEP_1)
	v_and_b32_e32 v32, v32, v2
	v_cmp_eq_u32_e32 vcc_lo, v32, v1
	s_and_b32 exec_lo, exec_lo, vcc_lo
	s_cbranch_execz .LBB101_130
; %bb.135:                              ;   in Loop: Header=BB101_131 Depth=2
	v_perm_b32 v31, v31, s72, 0x5040100
	ds_store_b32 v9, v31 offset:3072
	s_branch .LBB101_130
.LBB101_136:                            ;   in Loop: Header=BB101_6 Depth=1
	s_or_b32 exec_lo, exec_lo, s86
	v_lshrrev_b32_e32 v3, 16, v31
	s_and_b32 s11, s87, exec_lo
.LBB101_137:                            ;   in Loop: Header=BB101_6 Depth=1
	s_or_b32 exec_lo, exec_lo, s85
	s_mov_b32 s87, -1
	s_mov_b32 s85, 0
	s_mov_b32 s86, 0
.LBB101_138:                            ;   in Loop: Header=BB101_6 Depth=1
	s_or_not1_b32 s11, s11, exec_lo
.LBB101_139:                            ;   in Loop: Header=BB101_6 Depth=1
	s_or_b32 exec_lo, exec_lo, s88
	s_mov_b32 s90, 0
                                        ; implicit-def: $vgpr8
	s_and_saveexec_b32 s88, s11
	s_cbranch_execz .LBB101_232
; %bb.140:                              ;   in Loop: Header=BB101_6 Depth=1
	v_dual_mov_b32 v31, 1 :: v_dual_mov_b32 v8, 1
	s_xor_b32 s89, s89, -1
	s_mov_b32 s91, 0
	s_and_saveexec_b32 s11, s89
	s_cbranch_execz .LBB101_150
; %bb.141:                              ;   in Loop: Header=BB101_6 Depth=1
	s_mov_b32 s90, exec_lo
                                        ; implicit-def: $sgpr91
                                        ; implicit-def: $sgpr89
	v_cmpx_ge_u32_e64 s16, v4
	s_xor_b32 s90, exec_lo, s90
	s_cbranch_execz .LBB101_147
; %bb.142:                              ;   in Loop: Header=BB101_6 Depth=1
	ds_load_b32 v8, v9 offset:4096
	s_waitcnt lgkmcnt(0)
	v_cmp_ne_u32_e32 vcc_lo, 0, v8
	s_cbranch_vccnz .LBB101_146
; %bb.143:                              ;   in Loop: Header=BB101_6 Depth=1
	s_and_saveexec_b32 s89, s5
	s_cbranch_execz .LBB101_145
; %bb.144:                              ;   in Loop: Header=BB101_6 Depth=1
	v_mov_b32_e32 v8, s16
	ds_store_b32 v9, v8 offset:4100
.LBB101_145:                            ;   in Loop: Header=BB101_6 Depth=1
	s_or_b32 exec_lo, exec_lo, s89
	s_waitcnt lgkmcnt(0)
	s_barrier
	buffer_gl0_inv
.LBB101_146:                            ;   in Loop: Header=BB101_6 Depth=1
	s_lshl_b32 s89, 1, s17
	v_or_b32_e32 v2, s13, v2
	v_and_or_b32 v1, v1, s14, s89
	s_mov_b32 s89, 0
	s_mov_b32 s91, 8
.LBB101_147:                            ;   in Loop: Header=BB101_6 Depth=1
	s_or_saveexec_b32 s90, s90
	v_mov_b32_e32 v8, s91
	s_xor_b32 exec_lo, exec_lo, s90
; %bb.148:                              ;   in Loop: Header=BB101_6 Depth=1
	v_subrev_nc_u32_e32 v4, s16, v4
	v_mov_b32_e32 v8, 0
	s_or_b32 s89, s89, exec_lo
; %bb.149:                              ;   in Loop: Header=BB101_6 Depth=1
	s_or_b32 exec_lo, exec_lo, s90
	s_delay_alu instid0(VALU_DEP_2)
	v_mov_b32_e32 v31, v4
	s_and_b32 s91, s89, exec_lo
.LBB101_150:                            ;   in Loop: Header=BB101_6 Depth=1
	s_or_b32 exec_lo, exec_lo, s11
	s_mov_b32 s11, -1
                                        ; implicit-def: $sgpr90
                                        ; implicit-def: $sgpr92
                                        ; implicit-def: $sgpr93
	s_and_saveexec_b32 s89, s91
	s_cbranch_execz .LBB101_231
; %bb.151:                              ;   in Loop: Header=BB101_6 Depth=1
	v_cmp_eq_u32_e32 vcc_lo, 1, v31
	s_cmp_eq_u32 s18, 1
                                        ; implicit-def: $sgpr90
                                        ; implicit-def: $sgpr92
                                        ; implicit-def: $sgpr91
	s_cselect_b32 s11, -1, 0
	s_delay_alu instid0(SALU_CYCLE_1)
	s_and_b32 s94, s11, vcc_lo
	s_mov_b32 s11, -1
	s_and_saveexec_b32 s93, s94
	s_cbranch_execz .LBB101_177
; %bb.152:                              ;   in Loop: Header=BB101_6 Depth=1
	ds_load_b32 v3, v9 offset:4096
	s_waitcnt lgkmcnt(0)
	s_barrier
	buffer_gl0_inv
	v_readfirstlane_b32 s90, v3
	s_and_saveexec_b32 s11, s6
	s_cbranch_execz .LBB101_154
; %bb.153:                              ;   in Loop: Header=BB101_6 Depth=1
	ds_store_b16 v20, v9
.LBB101_154:                            ;   in Loop: Header=BB101_6 Depth=1
	s_or_b32 exec_lo, exec_lo, s11
	s_lshl_b32 s11, 2, s17
	v_or_b32_e32 v2, s13, v2
	v_and_or_b32 v1, v1, s14, s11
	s_cmp_eq_u32 s90, 0
	s_waitcnt lgkmcnt(0)
	s_barrier
	buffer_gl0_inv
	s_cbranch_scc1 .LBB101_163
; %bb.155:                              ;   in Loop: Header=BB101_6 Depth=1
	s_add_i32 s11, s90, s59
                                        ; implicit-def: $vgpr3
	s_delay_alu instid0(SALU_CYCLE_1) | instskip(NEXT) | instid1(SALU_CYCLE_1)
	s_mul_hi_u32 s91, s11, s66
	s_mul_i32 s91, s91, s35
	s_delay_alu instid0(SALU_CYCLE_1) | instskip(NEXT) | instid1(SALU_CYCLE_1)
	s_sub_i32 s91, s11, s91
	s_sub_i32 s92, s91, s35
	s_cmp_ge_u32 s91, s35
	s_cselect_b32 s91, s92, s91
	s_delay_alu instid0(SALU_CYCLE_1) | instskip(SKIP_2) | instid1(SALU_CYCLE_1)
	s_sub_i32 s92, s91, s35
	s_cmp_ge_u32 s91, s35
	s_cselect_b32 s91, s92, s91
	s_sub_i32 s92, s11, s91
	s_mov_b32 s11, 0
	s_mov_b32 s91, exec_lo
	v_cmpx_gt_u32_e64 s92, v0
	s_cbranch_execz .LBB101_165
; %bb.156:                              ;   in Loop: Header=BB101_6 Depth=1
	v_dual_mov_b32 v3, v19 :: v_dual_mov_b32 v4, v0
	s_mov_b32 s95, 0
                                        ; implicit-def: $sgpr96
	s_set_inst_prefetch_distance 0x1
	s_branch .LBB101_158
	.p2align	6
.LBB101_157:                            ;   in Loop: Header=BB101_158 Depth=2
	s_or_b32 exec_lo, exec_lo, s11
	s_waitcnt lgkmcnt(0)
	s_barrier
	buffer_gl0_inv
	ds_load_b32 v8, v9 offset:3072
	v_add_nc_u32_e32 v4, s35, v4
	v_add_nc_u32_e32 v3, s70, v3
	s_waitcnt lgkmcnt(0)
	s_barrier
	buffer_gl0_inv
	v_cmp_le_u32_e32 vcc_lo, s92, v4
	v_cmp_neq_f16_e64 s11, 0, v8
	s_delay_alu instid0(VALU_DEP_1) | instskip(NEXT) | instid1(SALU_CYCLE_1)
	s_or_b32 s97, vcc_lo, s11
	s_and_b32 s97, exec_lo, s97
	s_delay_alu instid0(SALU_CYCLE_1) | instskip(SKIP_2) | instid1(SALU_CYCLE_1)
	s_or_b32 s95, s97, s95
	s_and_not1_b32 s96, s96, exec_lo
	s_and_b32 s11, s11, exec_lo
	s_or_b32 s96, s96, s11
	s_and_not1_b32 exec_lo, exec_lo, s95
	s_cbranch_execz .LBB101_164
.LBB101_158:                            ;   Parent Loop BB101_6 Depth=1
                                        ; =>  This Inner Loop Header: Depth=2
	s_delay_alu instid0(VALU_DEP_1)
	v_cmp_gt_u32_e32 vcc_lo, s90, v4
	v_mov_b32_e32 v8, 0
	s_and_saveexec_b32 s11, vcc_lo
	s_cbranch_execz .LBB101_160
; %bb.159:                              ;   in Loop: Header=BB101_158 Depth=2
	ds_load_u16 v8, v3
.LBB101_160:                            ;   in Loop: Header=BB101_158 Depth=2
	s_or_b32 exec_lo, exec_lo, s11
	s_and_saveexec_b32 s11, vcc_lo
	s_cbranch_execz .LBB101_157
; %bb.161:                              ;   in Loop: Header=BB101_158 Depth=2
	s_waitcnt lgkmcnt(0)
	v_cmp_lt_i16_e32 vcc_lo, -1, v8
	v_dual_cndmask_b32 v33, 0xffff, v26 :: v_dual_and_b32 v32, 0xffff, v8
	v_cmp_o_f16_e32 vcc_lo, v8, v8
	s_delay_alu instid0(VALU_DEP_2) | instskip(NEXT) | instid1(VALU_DEP_1)
	v_xor_b32_e32 v32, v33, v32
	v_cndmask_b32_e32 v32, 0xffff, v32, vcc_lo
	s_delay_alu instid0(VALU_DEP_1) | instskip(NEXT) | instid1(VALU_DEP_1)
	v_and_b32_e32 v32, v32, v2
	v_cmp_eq_u32_e32 vcc_lo, v32, v1
	s_and_b32 exec_lo, exec_lo, vcc_lo
	s_cbranch_execz .LBB101_157
; %bb.162:                              ;   in Loop: Header=BB101_158 Depth=2
	v_perm_b32 v8, v8, s72, 0x5040100
	ds_store_b32 v9, v8 offset:3072
	s_branch .LBB101_157
.LBB101_163:                            ;   in Loop: Header=BB101_6 Depth=1
	s_mov_b32 s90, -1
	s_mov_b32 s11, 0
                                        ; implicit-def: $sgpr91
                                        ; implicit-def: $vgpr3
	s_mov_b32 s92, s90
	s_cbranch_execnz .LBB101_166
	s_branch .LBB101_176
.LBB101_164:                            ;   in Loop: Header=BB101_6 Depth=1
	s_set_inst_prefetch_distance 0x2
	s_or_b32 exec_lo, exec_lo, s95
	v_lshrrev_b32_e32 v3, 16, v8
	s_and_b32 s11, s96, exec_lo
.LBB101_165:                            ;   in Loop: Header=BB101_6 Depth=1
	s_or_b32 exec_lo, exec_lo, s91
	s_mov_b32 s91, -1
	s_mov_b32 s90, 0
	s_delay_alu instid0(SALU_CYCLE_1)
	s_mov_b32 s92, s90
	s_branch .LBB101_176
.LBB101_166:                            ;   in Loop: Header=BB101_6 Depth=1
	s_mov_b32 s11, 0
                                        ; implicit-def: $vgpr3
	s_and_saveexec_b32 s90, s9
	s_cbranch_execz .LBB101_175
; %bb.167:                              ;   in Loop: Header=BB101_6 Depth=1
	v_dual_mov_b32 v8, v7 :: v_dual_mov_b32 v3, v0
	s_mov_b32 s91, 0
                                        ; implicit-def: $sgpr92
	s_branch .LBB101_169
.LBB101_168:                            ;   in Loop: Header=BB101_169 Depth=2
	s_or_b32 exec_lo, exec_lo, s11
	s_waitcnt vmcnt(0) lgkmcnt(0)
	s_barrier
	buffer_gl0_inv
	ds_load_b32 v4, v9 offset:3072
	v_add_nc_u32_e32 v3, s35, v3
	v_add_nc_u32_e32 v8, s39, v8
	s_waitcnt lgkmcnt(0)
	s_barrier
	buffer_gl0_inv
	v_cmp_le_u32_e32 vcc_lo, s67, v3
	v_cmp_neq_f16_e64 s11, 0, v4
	s_delay_alu instid0(VALU_DEP_1) | instskip(NEXT) | instid1(SALU_CYCLE_1)
	s_or_b32 s95, vcc_lo, s11
	s_and_b32 s95, exec_lo, s95
	s_delay_alu instid0(SALU_CYCLE_1) | instskip(SKIP_2) | instid1(SALU_CYCLE_1)
	s_or_b32 s91, s95, s91
	s_and_not1_b32 s92, s92, exec_lo
	s_and_b32 s11, s11, exec_lo
	s_or_b32 s92, s92, s11
	s_and_not1_b32 exec_lo, exec_lo, s91
	s_cbranch_execz .LBB101_174
.LBB101_169:                            ;   Parent Loop BB101_6 Depth=1
                                        ; =>  This Inner Loop Header: Depth=2
	s_delay_alu instid0(VALU_DEP_1)
	v_cmp_gt_u32_e32 vcc_lo, s24, v3
	v_mov_b32_e32 v4, 0
	s_and_saveexec_b32 s95, vcc_lo
	s_cbranch_execz .LBB101_171
; %bb.170:                              ;   in Loop: Header=BB101_169 Depth=2
	v_lshlrev_b64 v[32:33], 1, v[8:9]
	s_delay_alu instid0(VALU_DEP_1) | instskip(NEXT) | instid1(VALU_DEP_1)
	v_add_co_u32 v32, s11, s31, v32
	v_add_co_ci_u32_e64 v33, s11, s33, v33, s11
	global_load_u16 v4, v[32:33], off
.LBB101_171:                            ;   in Loop: Header=BB101_169 Depth=2
	s_or_b32 exec_lo, exec_lo, s95
	s_and_saveexec_b32 s11, vcc_lo
	s_cbranch_execz .LBB101_168
; %bb.172:                              ;   in Loop: Header=BB101_169 Depth=2
	s_waitcnt vmcnt(0)
	v_cmp_lt_i16_e32 vcc_lo, -1, v4
	v_dual_cndmask_b32 v33, 0xffff, v26 :: v_dual_and_b32 v32, 0xffff, v4
	v_cmp_o_f16_e32 vcc_lo, v4, v4
	s_delay_alu instid0(VALU_DEP_2) | instskip(NEXT) | instid1(VALU_DEP_1)
	v_xor_b32_e32 v32, v33, v32
	v_cndmask_b32_e32 v32, 0xffff, v32, vcc_lo
	s_delay_alu instid0(VALU_DEP_1) | instskip(NEXT) | instid1(VALU_DEP_1)
	v_and_b32_e32 v32, v32, v2
	v_cmp_eq_u32_e32 vcc_lo, v32, v1
	s_and_b32 exec_lo, exec_lo, vcc_lo
	s_cbranch_execz .LBB101_168
; %bb.173:                              ;   in Loop: Header=BB101_169 Depth=2
	v_perm_b32 v4, v4, s72, 0x5040100
	ds_store_b32 v9, v4 offset:3072
	s_branch .LBB101_168
.LBB101_174:                            ;   in Loop: Header=BB101_6 Depth=1
	s_or_b32 exec_lo, exec_lo, s91
	v_lshrrev_b32_e32 v3, 16, v4
	s_and_b32 s11, s92, exec_lo
.LBB101_175:                            ;   in Loop: Header=BB101_6 Depth=1
	s_or_b32 exec_lo, exec_lo, s90
	s_mov_b32 s92, -1
	s_mov_b32 s90, 0
	s_mov_b32 s91, 0
.LBB101_176:                            ;   in Loop: Header=BB101_6 Depth=1
	s_or_not1_b32 s11, s11, exec_lo
.LBB101_177:                            ;   in Loop: Header=BB101_6 Depth=1
	s_or_b32 exec_lo, exec_lo, s93
	s_mov_b32 s95, 0
                                        ; implicit-def: $vgpr8
	s_and_saveexec_b32 s93, s11
	s_cbranch_execz .LBB101_230
; %bb.178:                              ;   in Loop: Header=BB101_6 Depth=1
	v_mov_b32_e32 v4, 1
	v_mov_b32_e32 v8, 1
	s_xor_b32 s94, s94, -1
	s_mov_b32 s96, 0
	s_and_saveexec_b32 s11, s94
	s_cbranch_execz .LBB101_188
; %bb.179:                              ;   in Loop: Header=BB101_6 Depth=1
	s_mov_b32 s95, exec_lo
                                        ; implicit-def: $sgpr96
                                        ; implicit-def: $sgpr94
	v_cmpx_ge_u32_e64 s18, v31
	s_xor_b32 s95, exec_lo, s95
	s_cbranch_execz .LBB101_185
; %bb.180:                              ;   in Loop: Header=BB101_6 Depth=1
	ds_load_b32 v4, v9 offset:4096
	s_waitcnt lgkmcnt(0)
	v_cmp_ne_u32_e32 vcc_lo, 0, v4
	s_cbranch_vccnz .LBB101_184
; %bb.181:                              ;   in Loop: Header=BB101_6 Depth=1
	s_and_saveexec_b32 s94, s5
	s_cbranch_execz .LBB101_183
; %bb.182:                              ;   in Loop: Header=BB101_6 Depth=1
	v_mov_b32_e32 v4, s18
	ds_store_b32 v9, v4 offset:4100
.LBB101_183:                            ;   in Loop: Header=BB101_6 Depth=1
	s_or_b32 exec_lo, exec_lo, s94
	s_waitcnt lgkmcnt(0)
	s_barrier
	buffer_gl0_inv
.LBB101_184:                            ;   in Loop: Header=BB101_6 Depth=1
	s_lshl_b32 s94, 2, s17
	v_or_b32_e32 v2, s13, v2
	v_and_or_b32 v1, v1, s14, s94
	s_mov_b32 s94, 0
	s_mov_b32 s96, 8
.LBB101_185:                            ;   in Loop: Header=BB101_6 Depth=1
	s_or_saveexec_b32 s95, s95
	v_mov_b32_e32 v8, s96
	s_xor_b32 exec_lo, exec_lo, s95
; %bb.186:                              ;   in Loop: Header=BB101_6 Depth=1
	v_subrev_nc_u32_e32 v31, s18, v31
	v_mov_b32_e32 v8, 0
	s_or_b32 s94, s94, exec_lo
; %bb.187:                              ;   in Loop: Header=BB101_6 Depth=1
	s_or_b32 exec_lo, exec_lo, s95
	s_delay_alu instid0(VALU_DEP_2)
	v_mov_b32_e32 v4, v31
	s_and_b32 s96, s94, exec_lo
.LBB101_188:                            ;   in Loop: Header=BB101_6 Depth=1
	s_or_b32 exec_lo, exec_lo, s11
	s_mov_b32 s95, -1
                                        ; implicit-def: $sgpr11
                                        ; implicit-def: $sgpr98
                                        ; implicit-def: $sgpr97
	s_and_saveexec_b32 s94, s96
	s_cbranch_execz .LBB101_229
; %bb.189:                              ;   in Loop: Header=BB101_6 Depth=1
	v_cmp_eq_u32_e32 vcc_lo, 1, v4
	s_cmp_eq_u32 s19, 1
	s_mov_b32 s99, -1
	s_cselect_b32 s11, -1, 0
                                        ; implicit-def: $sgpr98
                                        ; implicit-def: $sgpr97
	s_delay_alu instid0(SALU_CYCLE_1) | instskip(NEXT) | instid1(SALU_CYCLE_1)
	s_and_b32 s95, s11, vcc_lo
                                        ; implicit-def: $sgpr11
	s_and_saveexec_b32 s96, s95
	s_cbranch_execz .LBB101_216
; %bb.190:                              ;   in Loop: Header=BB101_6 Depth=1
	ds_load_b32 v3, v9 offset:4096
	s_waitcnt lgkmcnt(0)
	s_barrier
	buffer_gl0_inv
	v_readfirstlane_b32 s97, v3
	s_and_saveexec_b32 s11, s6
	s_cbranch_execz .LBB101_192
; %bb.191:                              ;   in Loop: Header=BB101_6 Depth=1
	ds_store_b16 v20, v9
.LBB101_192:                            ;   in Loop: Header=BB101_6 Depth=1
	s_or_b32 exec_lo, exec_lo, s11
	v_or_b32_e32 v1, s13, v1
	v_or_b32_e32 v2, s13, v2
	s_cmp_eq_u32 s97, 0
	s_waitcnt lgkmcnt(0)
	s_barrier
	buffer_gl0_inv
	s_cbranch_scc1 .LBB101_201
; %bb.193:                              ;   in Loop: Header=BB101_6 Depth=1
	s_add_i32 s11, s97, s59
                                        ; implicit-def: $vgpr3
	s_delay_alu instid0(SALU_CYCLE_1) | instskip(NEXT) | instid1(SALU_CYCLE_1)
	s_mul_hi_u32 s98, s11, s66
	s_mul_i32 s98, s98, s35
	s_delay_alu instid0(SALU_CYCLE_1) | instskip(NEXT) | instid1(SALU_CYCLE_1)
	s_sub_i32 s98, s11, s98
	s_sub_i32 s99, s98, s35
	s_cmp_ge_u32 s98, s35
	s_cselect_b32 s98, s99, s98
	s_delay_alu instid0(SALU_CYCLE_1)
	s_sub_i32 s99, s98, s35
	s_cmp_ge_u32 s98, s35
	s_cselect_b32 s98, s99, s98
	s_mov_b32 s99, 0
	s_sub_i32 s100, s11, s98
	s_mov_b32 s98, exec_lo
	v_cmpx_gt_u32_e64 s100, v0
	s_cbranch_execz .LBB101_203
; %bb.194:                              ;   in Loop: Header=BB101_6 Depth=1
	v_dual_mov_b32 v3, v19 :: v_dual_mov_b32 v8, v0
                                        ; implicit-def: $sgpr101
	s_set_inst_prefetch_distance 0x1
	s_branch .LBB101_196
	.p2align	6
.LBB101_195:                            ;   in Loop: Header=BB101_196 Depth=2
	s_or_b32 exec_lo, exec_lo, s11
	s_waitcnt lgkmcnt(0)
	s_barrier
	buffer_gl0_inv
	ds_load_b32 v31, v9 offset:3072
	v_add_nc_u32_e32 v8, s35, v8
	v_add_nc_u32_e32 v3, s70, v3
	s_waitcnt lgkmcnt(0)
	s_barrier
	buffer_gl0_inv
	v_cmp_le_u32_e32 vcc_lo, s100, v8
	v_cmp_neq_f16_e64 s11, 0, v31
	s_delay_alu instid0(VALU_DEP_1) | instskip(NEXT) | instid1(SALU_CYCLE_1)
	s_or_b32 s102, vcc_lo, s11
	s_and_b32 s102, exec_lo, s102
	s_delay_alu instid0(SALU_CYCLE_1) | instskip(SKIP_2) | instid1(SALU_CYCLE_1)
	s_or_b32 s99, s102, s99
	s_and_not1_b32 s101, s101, exec_lo
	s_and_b32 s11, s11, exec_lo
	s_or_b32 s101, s101, s11
	s_and_not1_b32 exec_lo, exec_lo, s99
	s_cbranch_execz .LBB101_202
.LBB101_196:                            ;   Parent Loop BB101_6 Depth=1
                                        ; =>  This Inner Loop Header: Depth=2
	s_delay_alu instid0(VALU_DEP_1)
	v_cmp_gt_u32_e32 vcc_lo, s97, v8
	v_mov_b32_e32 v31, 0
	s_and_saveexec_b32 s11, vcc_lo
	s_cbranch_execz .LBB101_198
; %bb.197:                              ;   in Loop: Header=BB101_196 Depth=2
	ds_load_u16 v31, v3
.LBB101_198:                            ;   in Loop: Header=BB101_196 Depth=2
	s_or_b32 exec_lo, exec_lo, s11
	s_and_saveexec_b32 s11, vcc_lo
	s_cbranch_execz .LBB101_195
; %bb.199:                              ;   in Loop: Header=BB101_196 Depth=2
	s_waitcnt lgkmcnt(0)
	v_cmp_lt_i16_e32 vcc_lo, -1, v31
	v_dual_cndmask_b32 v33, 0xffff, v26 :: v_dual_and_b32 v32, 0xffff, v31
	v_cmp_o_f16_e32 vcc_lo, v31, v31
	s_delay_alu instid0(VALU_DEP_2) | instskip(NEXT) | instid1(VALU_DEP_1)
	v_xor_b32_e32 v32, v33, v32
	v_cndmask_b32_e32 v32, 0xffff, v32, vcc_lo
	s_delay_alu instid0(VALU_DEP_1) | instskip(NEXT) | instid1(VALU_DEP_1)
	v_and_b32_e32 v32, v32, v2
	v_cmp_eq_u32_e32 vcc_lo, v32, v1
	s_and_b32 exec_lo, exec_lo, vcc_lo
	s_cbranch_execz .LBB101_195
; %bb.200:                              ;   in Loop: Header=BB101_196 Depth=2
	v_perm_b32 v31, v31, s72, 0x5040100
	ds_store_b32 v9, v31 offset:3072
	s_branch .LBB101_195
.LBB101_201:                            ;   in Loop: Header=BB101_6 Depth=1
	s_mov_b32 s11, -1
	s_mov_b32 s99, 0
                                        ; implicit-def: $sgpr97
                                        ; implicit-def: $vgpr3
	s_branch .LBB101_204
.LBB101_202:                            ;   in Loop: Header=BB101_6 Depth=1
	s_set_inst_prefetch_distance 0x2
	s_or_b32 exec_lo, exec_lo, s99
	v_lshrrev_b32_e32 v3, 16, v31
	s_and_b32 s99, s101, exec_lo
.LBB101_203:                            ;   in Loop: Header=BB101_6 Depth=1
	s_or_b32 exec_lo, exec_lo, s98
	s_mov_b32 s97, -1
	s_mov_b32 s11, 0
.LBB101_204:                            ;   in Loop: Header=BB101_6 Depth=1
	s_delay_alu instid0(SALU_CYCLE_1)
	s_and_b32 vcc_lo, exec_lo, s11
	s_mov_b32 s98, s11
	s_cbranch_vccz .LBB101_215
; %bb.205:                              ;   in Loop: Header=BB101_6 Depth=1
	s_mov_b32 s99, 0
                                        ; implicit-def: $vgpr3
	s_and_saveexec_b32 s97, s9
	s_cbranch_execz .LBB101_214
; %bb.206:                              ;   in Loop: Header=BB101_6 Depth=1
	v_dual_mov_b32 v8, v7 :: v_dual_mov_b32 v3, v0
	s_mov_b32 s98, 0
                                        ; implicit-def: $sgpr99
	s_branch .LBB101_208
.LBB101_207:                            ;   in Loop: Header=BB101_208 Depth=2
	s_or_b32 exec_lo, exec_lo, s11
	s_waitcnt vmcnt(0) lgkmcnt(0)
	s_barrier
	buffer_gl0_inv
	ds_load_b32 v31, v9 offset:3072
	v_add_nc_u32_e32 v3, s35, v3
	v_add_nc_u32_e32 v8, s39, v8
	s_waitcnt lgkmcnt(0)
	s_barrier
	buffer_gl0_inv
	v_cmp_le_u32_e32 vcc_lo, s67, v3
	v_cmp_neq_f16_e64 s11, 0, v31
	s_delay_alu instid0(VALU_DEP_1) | instskip(NEXT) | instid1(SALU_CYCLE_1)
	s_or_b32 s100, vcc_lo, s11
	s_and_b32 s100, exec_lo, s100
	s_delay_alu instid0(SALU_CYCLE_1) | instskip(SKIP_2) | instid1(SALU_CYCLE_1)
	s_or_b32 s98, s100, s98
	s_and_not1_b32 s99, s99, exec_lo
	s_and_b32 s11, s11, exec_lo
	s_or_b32 s99, s99, s11
	s_and_not1_b32 exec_lo, exec_lo, s98
	s_cbranch_execz .LBB101_213
.LBB101_208:                            ;   Parent Loop BB101_6 Depth=1
                                        ; =>  This Inner Loop Header: Depth=2
	s_delay_alu instid0(VALU_DEP_1)
	v_cmp_gt_u32_e32 vcc_lo, s24, v3
	v_mov_b32_e32 v31, 0
	s_and_saveexec_b32 s100, vcc_lo
	s_cbranch_execz .LBB101_210
; %bb.209:                              ;   in Loop: Header=BB101_208 Depth=2
	v_lshlrev_b64 v[31:32], 1, v[8:9]
	s_delay_alu instid0(VALU_DEP_1) | instskip(NEXT) | instid1(VALU_DEP_1)
	v_add_co_u32 v31, s11, s31, v31
	v_add_co_ci_u32_e64 v32, s11, s33, v32, s11
	global_load_u16 v31, v[31:32], off
.LBB101_210:                            ;   in Loop: Header=BB101_208 Depth=2
	s_or_b32 exec_lo, exec_lo, s100
	s_and_saveexec_b32 s11, vcc_lo
	s_cbranch_execz .LBB101_207
; %bb.211:                              ;   in Loop: Header=BB101_208 Depth=2
	s_waitcnt vmcnt(0)
	v_cmp_lt_i16_e32 vcc_lo, -1, v31
	v_dual_cndmask_b32 v33, 0xffff, v26 :: v_dual_and_b32 v32, 0xffff, v31
	v_cmp_o_f16_e32 vcc_lo, v31, v31
	s_delay_alu instid0(VALU_DEP_2) | instskip(NEXT) | instid1(VALU_DEP_1)
	v_xor_b32_e32 v32, v33, v32
	v_cndmask_b32_e32 v32, 0xffff, v32, vcc_lo
	s_delay_alu instid0(VALU_DEP_1) | instskip(NEXT) | instid1(VALU_DEP_1)
	v_and_b32_e32 v32, v32, v2
	v_cmp_eq_u32_e32 vcc_lo, v32, v1
	s_and_b32 exec_lo, exec_lo, vcc_lo
	s_cbranch_execz .LBB101_207
; %bb.212:                              ;   in Loop: Header=BB101_208 Depth=2
	v_perm_b32 v31, v31, s72, 0x5040100
	ds_store_b32 v9, v31 offset:3072
	s_branch .LBB101_207
.LBB101_213:                            ;   in Loop: Header=BB101_6 Depth=1
	s_or_b32 exec_lo, exec_lo, s98
	v_lshrrev_b32_e32 v3, 16, v31
	s_and_b32 s99, s99, exec_lo
.LBB101_214:                            ;   in Loop: Header=BB101_6 Depth=1
	s_or_b32 exec_lo, exec_lo, s97
	s_mov_b32 s98, -1
	s_mov_b32 s11, 0
	s_mov_b32 s97, 0
.LBB101_215:                            ;   in Loop: Header=BB101_6 Depth=1
	s_or_not1_b32 s99, s99, exec_lo
.LBB101_216:                            ;   in Loop: Header=BB101_6 Depth=1
	s_or_b32 exec_lo, exec_lo, s96
	s_mov_b32 s100, 0
                                        ; implicit-def: $vgpr8
                                        ; implicit-def: $vgpr31
	s_and_saveexec_b32 s96, s99
	s_cbranch_execz .LBB101_228
; %bb.217:                              ;   in Loop: Header=BB101_6 Depth=1
	v_dual_mov_b32 v8, 1 :: v_dual_mov_b32 v31, 1
	s_xor_b32 s99, s95, -1
	s_delay_alu instid0(SALU_CYCLE_1)
	s_and_saveexec_b32 s95, s99
	s_cbranch_execz .LBB101_227
; %bb.218:                              ;   in Loop: Header=BB101_6 Depth=1
	s_mov_b32 s99, exec_lo
                                        ; implicit-def: $sgpr100
	v_cmpx_ge_u32_e64 s19, v4
	s_xor_b32 s99, exec_lo, s99
	s_cbranch_execz .LBB101_224
; %bb.219:                              ;   in Loop: Header=BB101_6 Depth=1
	ds_load_b32 v8, v9 offset:4096
	s_waitcnt lgkmcnt(0)
	v_cmp_ne_u32_e32 vcc_lo, 0, v8
	s_cbranch_vccnz .LBB101_223
; %bb.220:                              ;   in Loop: Header=BB101_6 Depth=1
	s_and_saveexec_b32 s100, s5
	s_cbranch_execz .LBB101_222
; %bb.221:                              ;   in Loop: Header=BB101_6 Depth=1
	v_mov_b32_e32 v8, s19
	ds_store_b32 v9, v8 offset:4100
.LBB101_222:                            ;   in Loop: Header=BB101_6 Depth=1
	s_or_b32 exec_lo, exec_lo, s100
	s_waitcnt lgkmcnt(0)
	s_barrier
	buffer_gl0_inv
.LBB101_223:                            ;   in Loop: Header=BB101_6 Depth=1
	v_or_b32_e32 v1, s13, v1
	v_or_b32_e32 v2, s13, v2
	s_mov_b32 s100, 8
.LBB101_224:                            ;   in Loop: Header=BB101_6 Depth=1
	s_or_saveexec_b32 s99, s99
	v_mov_b32_e32 v8, s100
	s_xor_b32 exec_lo, exec_lo, s99
; %bb.225:                              ;   in Loop: Header=BB101_6 Depth=1
	v_subrev_nc_u32_e32 v4, s19, v4
	v_mov_b32_e32 v8, 8
; %bb.226:                              ;   in Loop: Header=BB101_6 Depth=1
	s_or_b32 exec_lo, exec_lo, s99
	s_delay_alu instid0(VALU_DEP_2)
	v_mov_b32_e32 v31, v4
.LBB101_227:                            ;   in Loop: Header=BB101_6 Depth=1
	s_or_b32 exec_lo, exec_lo, s95
	s_delay_alu instid0(SALU_CYCLE_1)
	s_mov_b32 s100, exec_lo
.LBB101_228:                            ;   in Loop: Header=BB101_6 Depth=1
	s_or_b32 exec_lo, exec_lo, s96
	s_delay_alu instid0(VALU_DEP_1)
	v_mov_b32_e32 v4, v31
	s_or_not1_b32 s95, s100, exec_lo
.LBB101_229:                            ;   in Loop: Header=BB101_6 Depth=1
	s_or_b32 exec_lo, exec_lo, s94
	s_delay_alu instid0(SALU_CYCLE_1)
	s_and_not1_b32 s90, s90, exec_lo
	s_and_b32 s11, s11, exec_lo
	v_mov_b32_e32 v31, v4
	s_or_b32 s90, s90, s11
	s_and_not1_b32 s11, s92, exec_lo
	s_and_b32 s92, s98, exec_lo
	s_and_not1_b32 s91, s91, exec_lo
	s_and_b32 s94, s97, exec_lo
	s_or_b32 s92, s11, s92
	s_or_b32 s91, s91, s94
	s_and_b32 s95, s95, exec_lo
.LBB101_230:                            ;   in Loop: Header=BB101_6 Depth=1
	s_or_b32 exec_lo, exec_lo, s93
	s_delay_alu instid0(SALU_CYCLE_1)
	s_and_b32 s93, s90, exec_lo
	s_and_b32 s92, s92, exec_lo
	;; [unrolled: 1-line block ×3, first 2 shown]
	s_or_not1_b32 s11, s95, exec_lo
.LBB101_231:                            ;   in Loop: Header=BB101_6 Depth=1
	s_or_b32 exec_lo, exec_lo, s89
	s_delay_alu instid0(SALU_CYCLE_1)
	s_and_not1_b32 s85, s85, exec_lo
	s_and_b32 s89, s93, exec_lo
	v_mov_b32_e32 v4, v31
	s_or_b32 s85, s85, s89
	s_and_not1_b32 s87, s87, exec_lo
	s_and_b32 s89, s92, exec_lo
	s_and_not1_b32 s86, s86, exec_lo
	s_and_b32 s90, s90, exec_lo
	s_or_b32 s87, s87, s89
	s_or_b32 s86, s86, s90
	s_and_b32 s90, s11, exec_lo
.LBB101_232:                            ;   in Loop: Header=BB101_6 Depth=1
	s_or_b32 exec_lo, exec_lo, s88
	s_delay_alu instid0(SALU_CYCLE_1)
	s_and_b32 s88, s85, exec_lo
	s_and_b32 s87, s87, exec_lo
	;; [unrolled: 1-line block ×3, first 2 shown]
	s_or_not1_b32 s11, s90, exec_lo
.LBB101_233:                            ;   in Loop: Header=BB101_6 Depth=1
	s_or_b32 exec_lo, exec_lo, s20
	s_mov_b32 s20, 0
	s_mov_b32 s86, 0
	s_and_saveexec_b32 s89, s11
	s_delay_alu instid0(SALU_CYCLE_1)
	s_xor_b32 s89, exec_lo, s89
; %bb.234:                              ;   in Loop: Header=BB101_6 Depth=1
	v_cmp_ne_u32_e32 vcc_lo, 8, v8
	v_cmp_eq_u32_e64 s11, 8, v8
	s_and_not1_b32 s88, s88, exec_lo
	s_and_not1_b32 s87, s87, exec_lo
	s_and_not1_b32 s85, s85, exec_lo
	s_and_b32 s86, vcc_lo, exec_lo
	s_and_b32 s20, s11, exec_lo
; %bb.235:                              ;   in Loop: Header=BB101_6 Depth=1
	s_or_b32 exec_lo, exec_lo, s89
	s_delay_alu instid0(SALU_CYCLE_1)
	s_and_not1_b32 s11, s15, exec_lo
	s_and_b32 s15, s88, exec_lo
	s_and_not1_b32 s21, s21, exec_lo
	s_or_b32 s15, s11, s15
	s_and_not1_b32 s11, s22, exec_lo
	s_and_b32 s22, s87, exec_lo
	s_and_b32 s85, s85, exec_lo
	s_or_b32 s22, s11, s22
	s_or_b32 s21, s21, s85
	s_and_b32 s11, s86, exec_lo
	s_and_b32 s20, s20, exec_lo
.LBB101_236:                            ;   in Loop: Header=BB101_6 Depth=1
	s_or_b32 exec_lo, exec_lo, s84
	s_delay_alu instid0(SALU_CYCLE_1)
	s_and_b32 vcc_lo, exec_lo, s23
	s_cbranch_vccz .LBB101_83
.LBB101_237:                            ;   in Loop: Header=BB101_6 Depth=1
	s_cmp_eq_u32 s19, 1
                                        ; implicit-def: $sgpr23
                                        ; implicit-def: $sgpr84
	s_cselect_b32 s15, -1, 0
	s_delay_alu instid0(SALU_CYCLE_1)
	s_and_b32 s22, s15, s10
	s_mov_b32 s10, -1
                                        ; implicit-def: $sgpr15
	s_and_saveexec_b32 s21, s22
	s_cbranch_execz .LBB101_263
; %bb.238:                              ;   in Loop: Header=BB101_6 Depth=1
	ds_load_b32 v1, v9 offset:4096
	s_waitcnt lgkmcnt(0)
	s_barrier
	buffer_gl0_inv
	v_readfirstlane_b32 s15, v1
	s_and_saveexec_b32 s10, s6
	s_cbranch_execz .LBB101_240
; %bb.239:                              ;   in Loop: Header=BB101_6 Depth=1
	ds_store_b16 v20, v9
.LBB101_240:                            ;   in Loop: Header=BB101_6 Depth=1
	s_or_b32 exec_lo, exec_lo, s10
	v_or_b32_e32 v28, s13, v28
	v_or_b32_e32 v27, s13, v27
	s_cmp_eq_u32 s15, 0
	s_waitcnt lgkmcnt(0)
	s_barrier
	buffer_gl0_inv
	s_cbranch_scc1 .LBB101_249
; %bb.241:                              ;   in Loop: Header=BB101_6 Depth=1
	s_add_i32 s10, s15, s59
                                        ; implicit-def: $vgpr29
	s_delay_alu instid0(SALU_CYCLE_1) | instskip(NEXT) | instid1(SALU_CYCLE_1)
	s_mul_hi_u32 s23, s10, s66
	s_mul_i32 s23, s23, s35
	s_delay_alu instid0(SALU_CYCLE_1) | instskip(NEXT) | instid1(SALU_CYCLE_1)
	s_sub_i32 s23, s10, s23
	s_sub_i32 s84, s23, s35
	s_cmp_ge_u32 s23, s35
	s_cselect_b32 s23, s84, s23
	s_delay_alu instid0(SALU_CYCLE_1) | instskip(SKIP_2) | instid1(SALU_CYCLE_1)
	s_sub_i32 s84, s23, s35
	s_cmp_ge_u32 s23, s35
	s_cselect_b32 s23, s84, s23
	s_sub_i32 s84, s10, s23
	s_mov_b32 s10, 0
	s_mov_b32 s23, exec_lo
	v_cmpx_gt_u32_e64 s84, v0
	s_cbranch_execz .LBB101_251
; %bb.242:                              ;   in Loop: Header=BB101_6 Depth=1
	v_dual_mov_b32 v1, v19 :: v_dual_mov_b32 v2, v0
	s_mov_b32 s85, 0
                                        ; implicit-def: $sgpr86
	s_set_inst_prefetch_distance 0x1
	s_branch .LBB101_244
	.p2align	6
.LBB101_243:                            ;   in Loop: Header=BB101_244 Depth=2
	s_or_b32 exec_lo, exec_lo, s10
	s_waitcnt lgkmcnt(0)
	s_barrier
	buffer_gl0_inv
	ds_load_b32 v3, v9 offset:3072
	v_add_nc_u32_e32 v2, s35, v2
	v_add_nc_u32_e32 v1, s70, v1
	s_waitcnt lgkmcnt(0)
	s_barrier
	buffer_gl0_inv
	v_cmp_le_u32_e32 vcc_lo, s84, v2
	v_cmp_neq_f16_e64 s10, 0, v3
	s_delay_alu instid0(VALU_DEP_1) | instskip(NEXT) | instid1(SALU_CYCLE_1)
	s_or_b32 s87, vcc_lo, s10
	s_and_b32 s87, exec_lo, s87
	s_delay_alu instid0(SALU_CYCLE_1) | instskip(SKIP_2) | instid1(SALU_CYCLE_1)
	s_or_b32 s85, s87, s85
	s_and_not1_b32 s86, s86, exec_lo
	s_and_b32 s10, s10, exec_lo
	s_or_b32 s86, s86, s10
	s_and_not1_b32 exec_lo, exec_lo, s85
	s_cbranch_execz .LBB101_250
.LBB101_244:                            ;   Parent Loop BB101_6 Depth=1
                                        ; =>  This Inner Loop Header: Depth=2
	s_delay_alu instid0(VALU_DEP_1)
	v_cmp_gt_u32_e32 vcc_lo, s15, v2
	v_mov_b32_e32 v3, 0
	s_and_saveexec_b32 s10, vcc_lo
	s_cbranch_execz .LBB101_246
; %bb.245:                              ;   in Loop: Header=BB101_244 Depth=2
	ds_load_u16 v3, v1
.LBB101_246:                            ;   in Loop: Header=BB101_244 Depth=2
	s_or_b32 exec_lo, exec_lo, s10
	s_and_saveexec_b32 s10, vcc_lo
	s_cbranch_execz .LBB101_243
; %bb.247:                              ;   in Loop: Header=BB101_244 Depth=2
	s_waitcnt lgkmcnt(0)
	v_cmp_lt_i16_e32 vcc_lo, -1, v3
	v_and_b32_e32 v4, 0xffff, v3
	v_cndmask_b32_e32 v8, 0xffff, v26, vcc_lo
	v_cmp_o_f16_e32 vcc_lo, v3, v3
	s_delay_alu instid0(VALU_DEP_2) | instskip(NEXT) | instid1(VALU_DEP_1)
	v_xor_b32_e32 v4, v8, v4
	v_cndmask_b32_e32 v4, 0xffff, v4, vcc_lo
	s_delay_alu instid0(VALU_DEP_1) | instskip(NEXT) | instid1(VALU_DEP_1)
	v_and_b32_e32 v4, v4, v27
	v_cmp_eq_u32_e32 vcc_lo, v4, v28
	s_and_b32 exec_lo, exec_lo, vcc_lo
	s_cbranch_execz .LBB101_243
; %bb.248:                              ;   in Loop: Header=BB101_244 Depth=2
	v_perm_b32 v3, v3, s72, 0x5040100
	ds_store_b32 v9, v3 offset:3072
	s_branch .LBB101_243
.LBB101_249:                            ;   in Loop: Header=BB101_6 Depth=1
	s_mov_b32 s23, -1
	s_mov_b32 s10, 0
                                        ; implicit-def: $sgpr84
                                        ; implicit-def: $vgpr29
	s_mov_b32 s15, s23
	s_cbranch_execnz .LBB101_252
	s_branch .LBB101_262
.LBB101_250:                            ;   in Loop: Header=BB101_6 Depth=1
	s_set_inst_prefetch_distance 0x2
	s_or_b32 exec_lo, exec_lo, s85
	v_lshrrev_b32_e32 v29, 16, v3
	s_and_b32 s10, s86, exec_lo
.LBB101_251:                            ;   in Loop: Header=BB101_6 Depth=1
	s_or_b32 exec_lo, exec_lo, s23
	s_mov_b32 s23, 0
	s_mov_b32 s84, -1
	s_mov_b32 s15, s23
	s_branch .LBB101_262
.LBB101_252:                            ;   in Loop: Header=BB101_6 Depth=1
	s_mov_b32 s10, 0
                                        ; implicit-def: $vgpr29
	s_and_saveexec_b32 s15, s9
	s_cbranch_execz .LBB101_261
; %bb.253:                              ;   in Loop: Header=BB101_6 Depth=1
	v_dual_mov_b32 v8, v7 :: v_dual_mov_b32 v1, v0
	s_mov_b32 s23, 0
                                        ; implicit-def: $sgpr84
	s_branch .LBB101_255
.LBB101_254:                            ;   in Loop: Header=BB101_255 Depth=2
	s_or_b32 exec_lo, exec_lo, s10
	s_waitcnt vmcnt(0) lgkmcnt(0)
	s_barrier
	buffer_gl0_inv
	ds_load_b32 v2, v9 offset:3072
	v_add_nc_u32_e32 v1, s35, v1
	v_add_nc_u32_e32 v8, s39, v8
	s_waitcnt lgkmcnt(0)
	s_barrier
	buffer_gl0_inv
	v_cmp_le_u32_e32 vcc_lo, s67, v1
	v_cmp_neq_f16_e64 s10, 0, v2
	s_delay_alu instid0(VALU_DEP_1) | instskip(NEXT) | instid1(SALU_CYCLE_1)
	s_or_b32 s85, vcc_lo, s10
	s_and_b32 s85, exec_lo, s85
	s_delay_alu instid0(SALU_CYCLE_1) | instskip(SKIP_2) | instid1(SALU_CYCLE_1)
	s_or_b32 s23, s85, s23
	s_and_not1_b32 s84, s84, exec_lo
	s_and_b32 s10, s10, exec_lo
	s_or_b32 s84, s84, s10
	s_and_not1_b32 exec_lo, exec_lo, s23
	s_cbranch_execz .LBB101_260
.LBB101_255:                            ;   Parent Loop BB101_6 Depth=1
                                        ; =>  This Inner Loop Header: Depth=2
	s_delay_alu instid0(VALU_DEP_1)
	v_cmp_gt_u32_e32 vcc_lo, s24, v1
	v_mov_b32_e32 v2, 0
	s_and_saveexec_b32 s85, vcc_lo
	s_cbranch_execz .LBB101_257
; %bb.256:                              ;   in Loop: Header=BB101_255 Depth=2
	v_lshlrev_b64 v[2:3], 1, v[8:9]
	s_delay_alu instid0(VALU_DEP_1) | instskip(NEXT) | instid1(VALU_DEP_1)
	v_add_co_u32 v2, s10, s31, v2
	v_add_co_ci_u32_e64 v3, s10, s33, v3, s10
	global_load_u16 v2, v[2:3], off
.LBB101_257:                            ;   in Loop: Header=BB101_255 Depth=2
	s_or_b32 exec_lo, exec_lo, s85
	s_and_saveexec_b32 s10, vcc_lo
	s_cbranch_execz .LBB101_254
; %bb.258:                              ;   in Loop: Header=BB101_255 Depth=2
	s_waitcnt vmcnt(0)
	v_cmp_lt_i16_e32 vcc_lo, -1, v2
	v_and_b32_e32 v3, 0xffff, v2
	v_cndmask_b32_e32 v4, 0xffff, v26, vcc_lo
	v_cmp_o_f16_e32 vcc_lo, v2, v2
	s_delay_alu instid0(VALU_DEP_2) | instskip(NEXT) | instid1(VALU_DEP_1)
	v_xor_b32_e32 v3, v4, v3
	v_cndmask_b32_e32 v3, 0xffff, v3, vcc_lo
	s_delay_alu instid0(VALU_DEP_1) | instskip(NEXT) | instid1(VALU_DEP_1)
	v_and_b32_e32 v3, v3, v27
	v_cmp_eq_u32_e32 vcc_lo, v3, v28
	s_and_b32 exec_lo, exec_lo, vcc_lo
	s_cbranch_execz .LBB101_254
; %bb.259:                              ;   in Loop: Header=BB101_255 Depth=2
	v_perm_b32 v2, v2, s72, 0x5040100
	ds_store_b32 v9, v2 offset:3072
	s_branch .LBB101_254
.LBB101_260:                            ;   in Loop: Header=BB101_6 Depth=1
	s_or_b32 exec_lo, exec_lo, s23
	v_lshrrev_b32_e32 v29, 16, v2
	s_and_b32 s10, s84, exec_lo
.LBB101_261:                            ;   in Loop: Header=BB101_6 Depth=1
	s_or_b32 exec_lo, exec_lo, s15
	s_mov_b32 s84, 0
	s_mov_b32 s23, -1
	s_mov_b32 s15, 0
.LBB101_262:                            ;   in Loop: Header=BB101_6 Depth=1
	s_or_not1_b32 s10, s10, exec_lo
.LBB101_263:                            ;   in Loop: Header=BB101_6 Depth=1
	s_or_b32 exec_lo, exec_lo, s21
                                        ; implicit-def: $vgpr8
                                        ; implicit-def: $vgpr4
                                        ; implicit-def: $vgpr1
                                        ; implicit-def: $vgpr2
                                        ; implicit-def: $vgpr3
	s_and_saveexec_b32 s21, s10
	s_cbranch_execz .LBB101_398
; %bb.264:                              ;   in Loop: Header=BB101_6 Depth=1
	v_mov_b32_e32 v4, 1
	v_mov_b32_e32 v8, 1
	s_xor_b32 s22, s22, -1
	s_mov_b32 s88, 0
	s_and_saveexec_b32 s10, s22
	s_cbranch_execz .LBB101_274
; %bb.265:                              ;   in Loop: Header=BB101_6 Depth=1
	s_mov_b32 s85, exec_lo
                                        ; implicit-def: $sgpr86
                                        ; implicit-def: $sgpr22
	v_cmpx_ge_u32_e64 s19, v30
	s_xor_b32 s85, exec_lo, s85
	s_cbranch_execz .LBB101_271
; %bb.266:                              ;   in Loop: Header=BB101_6 Depth=1
	ds_load_b32 v1, v9 offset:4096
	s_waitcnt lgkmcnt(0)
	v_cmp_ne_u32_e32 vcc_lo, 0, v1
	s_cbranch_vccnz .LBB101_270
; %bb.267:                              ;   in Loop: Header=BB101_6 Depth=1
	s_and_saveexec_b32 s22, s5
	s_cbranch_execz .LBB101_269
; %bb.268:                              ;   in Loop: Header=BB101_6 Depth=1
	v_mov_b32_e32 v1, s19
	ds_store_b32 v9, v1 offset:4100
.LBB101_269:                            ;   in Loop: Header=BB101_6 Depth=1
	s_or_b32 exec_lo, exec_lo, s22
	s_waitcnt lgkmcnt(0)
	s_barrier
	buffer_gl0_inv
.LBB101_270:                            ;   in Loop: Header=BB101_6 Depth=1
	v_or_b32_e32 v28, s13, v28
	v_or_b32_e32 v27, s13, v27
	s_mov_b32 s22, 0
	s_mov_b32 s86, 5
.LBB101_271:                            ;   in Loop: Header=BB101_6 Depth=1
	s_or_saveexec_b32 s85, s85
	v_mov_b32_e32 v8, s86
	s_xor_b32 exec_lo, exec_lo, s85
; %bb.272:                              ;   in Loop: Header=BB101_6 Depth=1
	v_subrev_nc_u32_e32 v30, s19, v30
	v_mov_b32_e32 v8, 0
	s_or_b32 s22, s22, exec_lo
; %bb.273:                              ;   in Loop: Header=BB101_6 Depth=1
	s_or_b32 exec_lo, exec_lo, s85
	s_delay_alu instid0(VALU_DEP_2)
	v_mov_b32_e32 v4, v30
	s_and_b32 s88, s22, exec_lo
.LBB101_274:                            ;   in Loop: Header=BB101_6 Depth=1
	s_or_b32 exec_lo, exec_lo, s10
	s_mov_b32 s86, -1
                                        ; implicit-def: $sgpr22
                                        ; implicit-def: $sgpr85
                                        ; implicit-def: $sgpr87
	s_and_saveexec_b32 s10, s88
	s_delay_alu instid0(SALU_CYCLE_1)
	s_xor_b32 s19, exec_lo, s10
	s_cbranch_execz .LBB101_395
; %bb.275:                              ;   in Loop: Header=BB101_6 Depth=1
	v_cmp_eq_u32_e32 vcc_lo, 1, v4
	s_cmp_eq_u32 s18, 1
                                        ; implicit-def: $sgpr22
                                        ; implicit-def: $sgpr85
                                        ; implicit-def: $sgpr86
	s_cselect_b32 s10, -1, 0
	s_delay_alu instid0(SALU_CYCLE_1)
	s_and_b32 s88, s10, vcc_lo
	s_mov_b32 s10, -1
	s_and_saveexec_b32 s87, s88
	s_cbranch_execz .LBB101_301
; %bb.276:                              ;   in Loop: Header=BB101_6 Depth=1
	ds_load_b32 v1, v9 offset:4096
	s_waitcnt lgkmcnt(0)
	s_barrier
	buffer_gl0_inv
	v_readfirstlane_b32 s22, v1
	s_and_saveexec_b32 s10, s6
	s_cbranch_execz .LBB101_278
; %bb.277:                              ;   in Loop: Header=BB101_6 Depth=1
	ds_store_b16 v20, v9
.LBB101_278:                            ;   in Loop: Header=BB101_6 Depth=1
	s_or_b32 exec_lo, exec_lo, s10
	s_lshl_b32 s10, 2, s17
	v_or_b32_e32 v27, s13, v27
	v_and_or_b32 v28, v28, s14, s10
	s_cmp_eq_u32 s22, 0
	s_waitcnt lgkmcnt(0)
	s_barrier
	buffer_gl0_inv
	s_cbranch_scc1 .LBB101_287
; %bb.279:                              ;   in Loop: Header=BB101_6 Depth=1
	s_add_i32 s10, s22, s59
                                        ; implicit-def: $vgpr29
	s_delay_alu instid0(SALU_CYCLE_1) | instskip(NEXT) | instid1(SALU_CYCLE_1)
	s_mul_hi_u32 s85, s10, s66
	s_mul_i32 s85, s85, s35
	s_delay_alu instid0(SALU_CYCLE_1) | instskip(NEXT) | instid1(SALU_CYCLE_1)
	s_sub_i32 s85, s10, s85
	s_sub_i32 s86, s85, s35
	s_cmp_ge_u32 s85, s35
	s_cselect_b32 s85, s86, s85
	s_delay_alu instid0(SALU_CYCLE_1) | instskip(SKIP_2) | instid1(SALU_CYCLE_1)
	s_sub_i32 s86, s85, s35
	s_cmp_ge_u32 s85, s35
	s_cselect_b32 s85, s86, s85
	s_sub_i32 s86, s10, s85
	s_mov_b32 s10, 0
	s_mov_b32 s85, exec_lo
	v_cmpx_gt_u32_e64 s86, v0
	s_cbranch_execz .LBB101_289
; %bb.280:                              ;   in Loop: Header=BB101_6 Depth=1
	v_dual_mov_b32 v1, v19 :: v_dual_mov_b32 v2, v0
	s_mov_b32 s89, 0
                                        ; implicit-def: $sgpr90
	s_set_inst_prefetch_distance 0x1
	s_branch .LBB101_282
	.p2align	6
.LBB101_281:                            ;   in Loop: Header=BB101_282 Depth=2
	s_or_b32 exec_lo, exec_lo, s10
	s_waitcnt lgkmcnt(0)
	s_barrier
	buffer_gl0_inv
	ds_load_b32 v3, v9 offset:3072
	v_add_nc_u32_e32 v2, s35, v2
	v_add_nc_u32_e32 v1, s70, v1
	s_waitcnt lgkmcnt(0)
	s_barrier
	buffer_gl0_inv
	v_cmp_le_u32_e32 vcc_lo, s86, v2
	v_cmp_neq_f16_e64 s10, 0, v3
	s_delay_alu instid0(VALU_DEP_1) | instskip(NEXT) | instid1(SALU_CYCLE_1)
	s_or_b32 s91, vcc_lo, s10
	s_and_b32 s91, exec_lo, s91
	s_delay_alu instid0(SALU_CYCLE_1) | instskip(SKIP_2) | instid1(SALU_CYCLE_1)
	s_or_b32 s89, s91, s89
	s_and_not1_b32 s90, s90, exec_lo
	s_and_b32 s10, s10, exec_lo
	s_or_b32 s90, s90, s10
	s_and_not1_b32 exec_lo, exec_lo, s89
	s_cbranch_execz .LBB101_288
.LBB101_282:                            ;   Parent Loop BB101_6 Depth=1
                                        ; =>  This Inner Loop Header: Depth=2
	s_delay_alu instid0(VALU_DEP_1)
	v_cmp_gt_u32_e32 vcc_lo, s22, v2
	v_mov_b32_e32 v3, 0
	s_and_saveexec_b32 s10, vcc_lo
	s_cbranch_execz .LBB101_284
; %bb.283:                              ;   in Loop: Header=BB101_282 Depth=2
	ds_load_u16 v3, v1
.LBB101_284:                            ;   in Loop: Header=BB101_282 Depth=2
	s_or_b32 exec_lo, exec_lo, s10
	s_and_saveexec_b32 s10, vcc_lo
	s_cbranch_execz .LBB101_281
; %bb.285:                              ;   in Loop: Header=BB101_282 Depth=2
	s_waitcnt lgkmcnt(0)
	v_cmp_lt_i16_e32 vcc_lo, -1, v3
	v_dual_cndmask_b32 v29, 0xffff, v26 :: v_dual_and_b32 v8, 0xffff, v3
	v_cmp_o_f16_e32 vcc_lo, v3, v3
	s_delay_alu instid0(VALU_DEP_2) | instskip(NEXT) | instid1(VALU_DEP_1)
	v_xor_b32_e32 v8, v29, v8
	v_cndmask_b32_e32 v8, 0xffff, v8, vcc_lo
	s_delay_alu instid0(VALU_DEP_1) | instskip(NEXT) | instid1(VALU_DEP_1)
	v_and_b32_e32 v8, v8, v27
	v_cmp_eq_u32_e32 vcc_lo, v8, v28
	s_and_b32 exec_lo, exec_lo, vcc_lo
	s_cbranch_execz .LBB101_281
; %bb.286:                              ;   in Loop: Header=BB101_282 Depth=2
	v_perm_b32 v3, v3, s72, 0x5040100
	ds_store_b32 v9, v3 offset:3072
	s_branch .LBB101_281
.LBB101_287:                            ;   in Loop: Header=BB101_6 Depth=1
	s_mov_b32 s22, -1
	s_mov_b32 s10, 0
                                        ; implicit-def: $sgpr85
                                        ; implicit-def: $vgpr29
	s_mov_b32 s86, s22
	s_cbranch_execnz .LBB101_290
	s_branch .LBB101_300
.LBB101_288:                            ;   in Loop: Header=BB101_6 Depth=1
	s_set_inst_prefetch_distance 0x2
	s_or_b32 exec_lo, exec_lo, s89
	v_lshrrev_b32_e32 v29, 16, v3
	s_and_b32 s10, s90, exec_lo
.LBB101_289:                            ;   in Loop: Header=BB101_6 Depth=1
	s_or_b32 exec_lo, exec_lo, s85
	s_mov_b32 s22, 0
	s_mov_b32 s85, -1
	s_mov_b32 s86, s22
	s_branch .LBB101_300
.LBB101_290:                            ;   in Loop: Header=BB101_6 Depth=1
	s_mov_b32 s10, 0
                                        ; implicit-def: $vgpr29
	s_and_saveexec_b32 s22, s9
	s_cbranch_execz .LBB101_299
; %bb.291:                              ;   in Loop: Header=BB101_6 Depth=1
	v_dual_mov_b32 v8, v7 :: v_dual_mov_b32 v1, v0
	s_mov_b32 s85, 0
                                        ; implicit-def: $sgpr86
	s_branch .LBB101_293
.LBB101_292:                            ;   in Loop: Header=BB101_293 Depth=2
	s_or_b32 exec_lo, exec_lo, s10
	s_waitcnt vmcnt(0) lgkmcnt(0)
	s_barrier
	buffer_gl0_inv
	ds_load_b32 v2, v9 offset:3072
	v_add_nc_u32_e32 v1, s35, v1
	v_add_nc_u32_e32 v8, s39, v8
	s_waitcnt lgkmcnt(0)
	s_barrier
	buffer_gl0_inv
	v_cmp_le_u32_e32 vcc_lo, s67, v1
	v_cmp_neq_f16_e64 s10, 0, v2
	s_delay_alu instid0(VALU_DEP_1) | instskip(NEXT) | instid1(SALU_CYCLE_1)
	s_or_b32 s89, vcc_lo, s10
	s_and_b32 s89, exec_lo, s89
	s_delay_alu instid0(SALU_CYCLE_1) | instskip(SKIP_2) | instid1(SALU_CYCLE_1)
	s_or_b32 s85, s89, s85
	s_and_not1_b32 s86, s86, exec_lo
	s_and_b32 s10, s10, exec_lo
	s_or_b32 s86, s86, s10
	s_and_not1_b32 exec_lo, exec_lo, s85
	s_cbranch_execz .LBB101_298
.LBB101_293:                            ;   Parent Loop BB101_6 Depth=1
                                        ; =>  This Inner Loop Header: Depth=2
	s_delay_alu instid0(VALU_DEP_1)
	v_cmp_gt_u32_e32 vcc_lo, s24, v1
	v_mov_b32_e32 v2, 0
	s_and_saveexec_b32 s89, vcc_lo
	s_cbranch_execz .LBB101_295
; %bb.294:                              ;   in Loop: Header=BB101_293 Depth=2
	v_lshlrev_b64 v[2:3], 1, v[8:9]
	s_delay_alu instid0(VALU_DEP_1) | instskip(NEXT) | instid1(VALU_DEP_1)
	v_add_co_u32 v2, s10, s31, v2
	v_add_co_ci_u32_e64 v3, s10, s33, v3, s10
	global_load_u16 v2, v[2:3], off
.LBB101_295:                            ;   in Loop: Header=BB101_293 Depth=2
	s_or_b32 exec_lo, exec_lo, s89
	s_and_saveexec_b32 s10, vcc_lo
	s_cbranch_execz .LBB101_292
; %bb.296:                              ;   in Loop: Header=BB101_293 Depth=2
	s_waitcnt vmcnt(0)
	v_cmp_lt_i16_e32 vcc_lo, -1, v2
	v_and_b32_e32 v3, 0xffff, v2
	v_cndmask_b32_e32 v29, 0xffff, v26, vcc_lo
	v_cmp_o_f16_e32 vcc_lo, v2, v2
	s_delay_alu instid0(VALU_DEP_2) | instskip(NEXT) | instid1(VALU_DEP_1)
	v_xor_b32_e32 v3, v29, v3
	v_cndmask_b32_e32 v3, 0xffff, v3, vcc_lo
	s_delay_alu instid0(VALU_DEP_1) | instskip(NEXT) | instid1(VALU_DEP_1)
	v_and_b32_e32 v3, v3, v27
	v_cmp_eq_u32_e32 vcc_lo, v3, v28
	s_and_b32 exec_lo, exec_lo, vcc_lo
	s_cbranch_execz .LBB101_292
; %bb.297:                              ;   in Loop: Header=BB101_293 Depth=2
	v_perm_b32 v2, v2, s72, 0x5040100
	ds_store_b32 v9, v2 offset:3072
	s_branch .LBB101_292
.LBB101_298:                            ;   in Loop: Header=BB101_6 Depth=1
	s_or_b32 exec_lo, exec_lo, s85
	v_lshrrev_b32_e32 v29, 16, v2
	s_and_b32 s10, s86, exec_lo
.LBB101_299:                            ;   in Loop: Header=BB101_6 Depth=1
	s_or_b32 exec_lo, exec_lo, s22
	s_mov_b32 s85, 0
	s_mov_b32 s22, -1
	s_mov_b32 s86, 0
.LBB101_300:                            ;   in Loop: Header=BB101_6 Depth=1
	s_or_not1_b32 s10, s10, exec_lo
.LBB101_301:                            ;   in Loop: Header=BB101_6 Depth=1
	s_or_b32 exec_lo, exec_lo, s87
	s_mov_b32 s89, 0
                                        ; implicit-def: $vgpr8
	s_and_saveexec_b32 s87, s10
	s_cbranch_execz .LBB101_394
; %bb.302:                              ;   in Loop: Header=BB101_6 Depth=1
	v_dual_mov_b32 v1, 1 :: v_dual_mov_b32 v8, 1
	s_xor_b32 s88, s88, -1
	s_mov_b32 s90, 0
	s_and_saveexec_b32 s10, s88
	s_cbranch_execz .LBB101_312
; %bb.303:                              ;   in Loop: Header=BB101_6 Depth=1
	s_mov_b32 s89, exec_lo
                                        ; implicit-def: $sgpr90
                                        ; implicit-def: $sgpr88
	v_cmpx_ge_u32_e64 s18, v4
	s_xor_b32 s89, exec_lo, s89
	s_cbranch_execz .LBB101_309
; %bb.304:                              ;   in Loop: Header=BB101_6 Depth=1
	ds_load_b32 v1, v9 offset:4096
	s_waitcnt lgkmcnt(0)
	v_cmp_ne_u32_e32 vcc_lo, 0, v1
	s_cbranch_vccnz .LBB101_308
; %bb.305:                              ;   in Loop: Header=BB101_6 Depth=1
	s_and_saveexec_b32 s88, s5
	s_cbranch_execz .LBB101_307
; %bb.306:                              ;   in Loop: Header=BB101_6 Depth=1
	v_mov_b32_e32 v1, s18
	ds_store_b32 v9, v1 offset:4100
.LBB101_307:                            ;   in Loop: Header=BB101_6 Depth=1
	s_or_b32 exec_lo, exec_lo, s88
	s_waitcnt lgkmcnt(0)
	s_barrier
	buffer_gl0_inv
.LBB101_308:                            ;   in Loop: Header=BB101_6 Depth=1
	s_lshl_b32 s88, 2, s17
	v_or_b32_e32 v27, s13, v27
	v_and_or_b32 v28, v28, s14, s88
	s_mov_b32 s88, 0
	s_mov_b32 s90, 5
.LBB101_309:                            ;   in Loop: Header=BB101_6 Depth=1
	s_or_saveexec_b32 s89, s89
	v_mov_b32_e32 v8, s90
	s_xor_b32 exec_lo, exec_lo, s89
; %bb.310:                              ;   in Loop: Header=BB101_6 Depth=1
	v_subrev_nc_u32_e32 v4, s18, v4
	v_mov_b32_e32 v8, 0
	s_or_b32 s88, s88, exec_lo
; %bb.311:                              ;   in Loop: Header=BB101_6 Depth=1
	s_or_b32 exec_lo, exec_lo, s89
	s_delay_alu instid0(VALU_DEP_2)
	v_mov_b32_e32 v1, v4
	s_and_b32 s90, s88, exec_lo
.LBB101_312:                            ;   in Loop: Header=BB101_6 Depth=1
	s_or_b32 exec_lo, exec_lo, s10
	s_mov_b32 s10, -1
                                        ; implicit-def: $sgpr88
                                        ; implicit-def: $sgpr89
                                        ; implicit-def: $sgpr91
	s_and_saveexec_b32 s18, s90
	s_cbranch_execz .LBB101_393
; %bb.313:                              ;   in Loop: Header=BB101_6 Depth=1
	v_cmp_eq_u32_e32 vcc_lo, 1, v1
	s_cmp_eq_u32 s16, 1
                                        ; implicit-def: $sgpr88
                                        ; implicit-def: $sgpr89
                                        ; implicit-def: $sgpr90
	s_cselect_b32 s10, -1, 0
	s_delay_alu instid0(SALU_CYCLE_1)
	s_and_b32 s92, s10, vcc_lo
	s_mov_b32 s10, -1
	s_and_saveexec_b32 s91, s92
	s_cbranch_execz .LBB101_339
; %bb.314:                              ;   in Loop: Header=BB101_6 Depth=1
	ds_load_b32 v2, v9 offset:4096
	s_waitcnt lgkmcnt(0)
	s_barrier
	buffer_gl0_inv
	v_readfirstlane_b32 s88, v2
	s_and_saveexec_b32 s10, s6
	s_cbranch_execz .LBB101_316
; %bb.315:                              ;   in Loop: Header=BB101_6 Depth=1
	ds_store_b16 v20, v9
.LBB101_316:                            ;   in Loop: Header=BB101_6 Depth=1
	s_or_b32 exec_lo, exec_lo, s10
	s_lshl_b32 s10, 1, s17
	v_or_b32_e32 v27, s13, v27
	v_and_or_b32 v28, v28, s14, s10
	s_cmp_eq_u32 s88, 0
	s_waitcnt lgkmcnt(0)
	s_barrier
	buffer_gl0_inv
	s_cbranch_scc1 .LBB101_325
; %bb.317:                              ;   in Loop: Header=BB101_6 Depth=1
	s_add_i32 s10, s88, s59
                                        ; implicit-def: $vgpr29
	s_delay_alu instid0(SALU_CYCLE_1) | instskip(NEXT) | instid1(SALU_CYCLE_1)
	s_mul_hi_u32 s89, s10, s66
	s_mul_i32 s89, s89, s35
	s_delay_alu instid0(SALU_CYCLE_1) | instskip(NEXT) | instid1(SALU_CYCLE_1)
	s_sub_i32 s89, s10, s89
	s_sub_i32 s90, s89, s35
	s_cmp_ge_u32 s89, s35
	s_cselect_b32 s89, s90, s89
	s_delay_alu instid0(SALU_CYCLE_1) | instskip(SKIP_2) | instid1(SALU_CYCLE_1)
	s_sub_i32 s90, s89, s35
	s_cmp_ge_u32 s89, s35
	s_cselect_b32 s89, s90, s89
	s_sub_i32 s90, s10, s89
	s_mov_b32 s10, 0
	s_mov_b32 s89, exec_lo
	v_cmpx_gt_u32_e64 s90, v0
	s_cbranch_execz .LBB101_327
; %bb.318:                              ;   in Loop: Header=BB101_6 Depth=1
	v_dual_mov_b32 v2, v19 :: v_dual_mov_b32 v3, v0
	s_mov_b32 s93, 0
                                        ; implicit-def: $sgpr94
	s_set_inst_prefetch_distance 0x1
	s_branch .LBB101_320
	.p2align	6
.LBB101_319:                            ;   in Loop: Header=BB101_320 Depth=2
	s_or_b32 exec_lo, exec_lo, s10
	s_waitcnt lgkmcnt(0)
	s_barrier
	buffer_gl0_inv
	ds_load_b32 v4, v9 offset:3072
	v_add_nc_u32_e32 v3, s35, v3
	v_add_nc_u32_e32 v2, s70, v2
	s_waitcnt lgkmcnt(0)
	s_barrier
	buffer_gl0_inv
	v_cmp_le_u32_e32 vcc_lo, s90, v3
	v_cmp_neq_f16_e64 s10, 0, v4
	s_delay_alu instid0(VALU_DEP_1) | instskip(NEXT) | instid1(SALU_CYCLE_1)
	s_or_b32 s95, vcc_lo, s10
	s_and_b32 s95, exec_lo, s95
	s_delay_alu instid0(SALU_CYCLE_1) | instskip(SKIP_2) | instid1(SALU_CYCLE_1)
	s_or_b32 s93, s95, s93
	s_and_not1_b32 s94, s94, exec_lo
	s_and_b32 s10, s10, exec_lo
	s_or_b32 s94, s94, s10
	s_and_not1_b32 exec_lo, exec_lo, s93
	s_cbranch_execz .LBB101_326
.LBB101_320:                            ;   Parent Loop BB101_6 Depth=1
                                        ; =>  This Inner Loop Header: Depth=2
	s_delay_alu instid0(VALU_DEP_1)
	v_cmp_gt_u32_e32 vcc_lo, s88, v3
	v_mov_b32_e32 v4, 0
	s_and_saveexec_b32 s10, vcc_lo
	s_cbranch_execz .LBB101_322
; %bb.321:                              ;   in Loop: Header=BB101_320 Depth=2
	ds_load_u16 v4, v2
.LBB101_322:                            ;   in Loop: Header=BB101_320 Depth=2
	s_or_b32 exec_lo, exec_lo, s10
	s_and_saveexec_b32 s10, vcc_lo
	s_cbranch_execz .LBB101_319
; %bb.323:                              ;   in Loop: Header=BB101_320 Depth=2
	s_waitcnt lgkmcnt(0)
	v_cmp_lt_i16_e32 vcc_lo, -1, v4
	v_dual_cndmask_b32 v29, 0xffff, v26 :: v_dual_and_b32 v8, 0xffff, v4
	v_cmp_o_f16_e32 vcc_lo, v4, v4
	s_delay_alu instid0(VALU_DEP_2) | instskip(NEXT) | instid1(VALU_DEP_1)
	v_xor_b32_e32 v8, v29, v8
	v_cndmask_b32_e32 v8, 0xffff, v8, vcc_lo
	s_delay_alu instid0(VALU_DEP_1) | instskip(NEXT) | instid1(VALU_DEP_1)
	v_and_b32_e32 v8, v8, v27
	v_cmp_eq_u32_e32 vcc_lo, v8, v28
	s_and_b32 exec_lo, exec_lo, vcc_lo
	s_cbranch_execz .LBB101_319
; %bb.324:                              ;   in Loop: Header=BB101_320 Depth=2
	v_perm_b32 v4, v4, s72, 0x5040100
	ds_store_b32 v9, v4 offset:3072
	s_branch .LBB101_319
.LBB101_325:                            ;   in Loop: Header=BB101_6 Depth=1
	s_mov_b32 s88, -1
	s_mov_b32 s10, 0
                                        ; implicit-def: $sgpr89
                                        ; implicit-def: $vgpr29
	s_mov_b32 s90, s88
	s_cbranch_execnz .LBB101_328
	s_branch .LBB101_338
.LBB101_326:                            ;   in Loop: Header=BB101_6 Depth=1
	s_set_inst_prefetch_distance 0x2
	s_or_b32 exec_lo, exec_lo, s93
	v_lshrrev_b32_e32 v29, 16, v4
	s_and_b32 s10, s94, exec_lo
.LBB101_327:                            ;   in Loop: Header=BB101_6 Depth=1
	s_or_b32 exec_lo, exec_lo, s89
	s_mov_b32 s88, 0
	s_mov_b32 s89, -1
	s_mov_b32 s90, s88
	s_branch .LBB101_338
.LBB101_328:                            ;   in Loop: Header=BB101_6 Depth=1
	s_mov_b32 s10, 0
                                        ; implicit-def: $vgpr29
	s_and_saveexec_b32 s88, s9
	s_cbranch_execz .LBB101_337
; %bb.329:                              ;   in Loop: Header=BB101_6 Depth=1
	v_mov_b32_e32 v8, v7
	v_mov_b32_e32 v2, v0
	s_mov_b32 s89, 0
                                        ; implicit-def: $sgpr90
	s_branch .LBB101_331
.LBB101_330:                            ;   in Loop: Header=BB101_331 Depth=2
	s_or_b32 exec_lo, exec_lo, s10
	s_waitcnt vmcnt(0) lgkmcnt(0)
	s_barrier
	buffer_gl0_inv
	ds_load_b32 v3, v9 offset:3072
	v_add_nc_u32_e32 v2, s35, v2
	v_add_nc_u32_e32 v8, s39, v8
	s_waitcnt lgkmcnt(0)
	s_barrier
	buffer_gl0_inv
	v_cmp_le_u32_e32 vcc_lo, s67, v2
	v_cmp_neq_f16_e64 s10, 0, v3
	s_delay_alu instid0(VALU_DEP_1) | instskip(NEXT) | instid1(SALU_CYCLE_1)
	s_or_b32 s93, vcc_lo, s10
	s_and_b32 s93, exec_lo, s93
	s_delay_alu instid0(SALU_CYCLE_1) | instskip(SKIP_2) | instid1(SALU_CYCLE_1)
	s_or_b32 s89, s93, s89
	s_and_not1_b32 s90, s90, exec_lo
	s_and_b32 s10, s10, exec_lo
	s_or_b32 s90, s90, s10
	s_and_not1_b32 exec_lo, exec_lo, s89
	s_cbranch_execz .LBB101_336
.LBB101_331:                            ;   Parent Loop BB101_6 Depth=1
                                        ; =>  This Inner Loop Header: Depth=2
	s_delay_alu instid0(VALU_DEP_1)
	v_cmp_gt_u32_e32 vcc_lo, s24, v2
	v_mov_b32_e32 v3, 0
	s_and_saveexec_b32 s93, vcc_lo
	s_cbranch_execz .LBB101_333
; %bb.332:                              ;   in Loop: Header=BB101_331 Depth=2
	v_lshlrev_b64 v[3:4], 1, v[8:9]
	s_delay_alu instid0(VALU_DEP_1) | instskip(NEXT) | instid1(VALU_DEP_1)
	v_add_co_u32 v3, s10, s31, v3
	v_add_co_ci_u32_e64 v4, s10, s33, v4, s10
	global_load_u16 v3, v[3:4], off
.LBB101_333:                            ;   in Loop: Header=BB101_331 Depth=2
	s_or_b32 exec_lo, exec_lo, s93
	s_and_saveexec_b32 s10, vcc_lo
	s_cbranch_execz .LBB101_330
; %bb.334:                              ;   in Loop: Header=BB101_331 Depth=2
	s_waitcnt vmcnt(0)
	v_cmp_lt_i16_e32 vcc_lo, -1, v3
	v_dual_cndmask_b32 v29, 0xffff, v26 :: v_dual_and_b32 v4, 0xffff, v3
	v_cmp_o_f16_e32 vcc_lo, v3, v3
	s_delay_alu instid0(VALU_DEP_2) | instskip(NEXT) | instid1(VALU_DEP_1)
	v_xor_b32_e32 v4, v29, v4
	v_cndmask_b32_e32 v4, 0xffff, v4, vcc_lo
	s_delay_alu instid0(VALU_DEP_1) | instskip(NEXT) | instid1(VALU_DEP_1)
	v_and_b32_e32 v4, v4, v27
	v_cmp_eq_u32_e32 vcc_lo, v4, v28
	s_and_b32 exec_lo, exec_lo, vcc_lo
	s_cbranch_execz .LBB101_330
; %bb.335:                              ;   in Loop: Header=BB101_331 Depth=2
	v_perm_b32 v3, v3, s72, 0x5040100
	ds_store_b32 v9, v3 offset:3072
	s_branch .LBB101_330
.LBB101_336:                            ;   in Loop: Header=BB101_6 Depth=1
	s_or_b32 exec_lo, exec_lo, s89
	v_lshrrev_b32_e32 v29, 16, v3
	s_and_b32 s10, s90, exec_lo
.LBB101_337:                            ;   in Loop: Header=BB101_6 Depth=1
	s_or_b32 exec_lo, exec_lo, s88
	s_mov_b32 s89, 0
	s_mov_b32 s88, -1
	s_mov_b32 s90, 0
.LBB101_338:                            ;   in Loop: Header=BB101_6 Depth=1
	s_or_not1_b32 s10, s10, exec_lo
.LBB101_339:                            ;   in Loop: Header=BB101_6 Depth=1
	s_or_b32 exec_lo, exec_lo, s91
	s_mov_b32 s93, 0
                                        ; implicit-def: $vgpr8
	s_and_saveexec_b32 s91, s10
	s_cbranch_execz .LBB101_392
; %bb.340:                              ;   in Loop: Header=BB101_6 Depth=1
	v_mov_b32_e32 v2, 1
	v_mov_b32_e32 v8, 1
	s_xor_b32 s93, s92, -1
	s_mov_b32 s92, 0
	s_and_saveexec_b32 s10, s93
	s_cbranch_execz .LBB101_350
; %bb.341:                              ;   in Loop: Header=BB101_6 Depth=1
	s_mov_b32 s93, exec_lo
                                        ; implicit-def: $sgpr94
                                        ; implicit-def: $sgpr92
	v_cmpx_ge_u32_e64 s16, v1
	s_xor_b32 s93, exec_lo, s93
	s_cbranch_execz .LBB101_347
; %bb.342:                              ;   in Loop: Header=BB101_6 Depth=1
	ds_load_b32 v2, v9 offset:4096
	s_waitcnt lgkmcnt(0)
	v_cmp_ne_u32_e32 vcc_lo, 0, v2
	s_cbranch_vccnz .LBB101_346
; %bb.343:                              ;   in Loop: Header=BB101_6 Depth=1
	s_and_saveexec_b32 s92, s5
	s_cbranch_execz .LBB101_345
; %bb.344:                              ;   in Loop: Header=BB101_6 Depth=1
	v_mov_b32_e32 v2, s16
	ds_store_b32 v9, v2 offset:4100
.LBB101_345:                            ;   in Loop: Header=BB101_6 Depth=1
	s_or_b32 exec_lo, exec_lo, s92
	s_waitcnt lgkmcnt(0)
	s_barrier
	buffer_gl0_inv
.LBB101_346:                            ;   in Loop: Header=BB101_6 Depth=1
	s_lshl_b32 s17, 1, s17
	v_or_b32_e32 v27, s13, v27
	v_and_or_b32 v28, v28, s14, s17
	s_mov_b32 s92, 0
	s_mov_b32 s94, 5
.LBB101_347:                            ;   in Loop: Header=BB101_6 Depth=1
	s_or_saveexec_b32 s17, s93
	v_mov_b32_e32 v8, s94
	s_xor_b32 exec_lo, exec_lo, s17
; %bb.348:                              ;   in Loop: Header=BB101_6 Depth=1
	v_subrev_nc_u32_e32 v1, s16, v1
	v_mov_b32_e32 v8, 0
	s_or_b32 s92, s92, exec_lo
; %bb.349:                              ;   in Loop: Header=BB101_6 Depth=1
	s_or_b32 exec_lo, exec_lo, s17
	s_delay_alu instid0(VALU_DEP_2)
	v_mov_b32_e32 v2, v1
	s_and_b32 s92, s92, exec_lo
.LBB101_350:                            ;   in Loop: Header=BB101_6 Depth=1
	s_or_b32 exec_lo, exec_lo, s10
	s_mov_b32 s17, -1
                                        ; implicit-def: $sgpr10
                                        ; implicit-def: $sgpr93
                                        ; implicit-def: $sgpr94
	s_and_saveexec_b32 s16, s92
	s_cbranch_execz .LBB101_391
; %bb.351:                              ;   in Loop: Header=BB101_6 Depth=1
	v_cmp_eq_u32_e32 vcc_lo, 1, v2
	s_cmp_eq_u32 s12, 1
	s_mov_b32 s95, -1
	s_cselect_b32 s10, -1, 0
                                        ; implicit-def: $sgpr93
                                        ; implicit-def: $sgpr94
	s_delay_alu instid0(SALU_CYCLE_1) | instskip(NEXT) | instid1(SALU_CYCLE_1)
	s_and_b32 s17, s10, vcc_lo
                                        ; implicit-def: $sgpr10
	s_and_saveexec_b32 s92, s17
	s_cbranch_execz .LBB101_378
; %bb.352:                              ;   in Loop: Header=BB101_6 Depth=1
	ds_load_b32 v1, v9 offset:4096
	s_waitcnt lgkmcnt(0)
	s_barrier
	buffer_gl0_inv
	v_readfirstlane_b32 s93, v1
	s_and_saveexec_b32 s10, s6
	s_cbranch_execz .LBB101_354
; %bb.353:                              ;   in Loop: Header=BB101_6 Depth=1
	ds_store_b16 v20, v9
.LBB101_354:                            ;   in Loop: Header=BB101_6 Depth=1
	s_or_b32 exec_lo, exec_lo, s10
	v_and_b32_e32 v28, s14, v28
	v_or_b32_e32 v27, s13, v27
	s_cmp_eq_u32 s93, 0
	s_waitcnt lgkmcnt(0)
	s_barrier
	buffer_gl0_inv
	s_cbranch_scc1 .LBB101_363
; %bb.355:                              ;   in Loop: Header=BB101_6 Depth=1
	s_add_i32 s10, s93, s59
                                        ; implicit-def: $vgpr29
	s_delay_alu instid0(SALU_CYCLE_1) | instskip(NEXT) | instid1(SALU_CYCLE_1)
	s_mul_hi_u32 s94, s10, s66
	s_mul_i32 s94, s94, s35
	s_delay_alu instid0(SALU_CYCLE_1) | instskip(NEXT) | instid1(SALU_CYCLE_1)
	s_sub_i32 s94, s10, s94
	s_sub_i32 s95, s94, s35
	s_cmp_ge_u32 s94, s35
	s_cselect_b32 s94, s95, s94
	s_delay_alu instid0(SALU_CYCLE_1)
	s_sub_i32 s95, s94, s35
	s_cmp_ge_u32 s94, s35
	s_cselect_b32 s94, s95, s94
	s_mov_b32 s95, 0
	s_sub_i32 s96, s10, s94
	s_mov_b32 s94, exec_lo
	v_cmpx_gt_u32_e64 s96, v0
	s_cbranch_execz .LBB101_365
; %bb.356:                              ;   in Loop: Header=BB101_6 Depth=1
	v_mov_b32_e32 v1, v19
	v_mov_b32_e32 v3, v0
                                        ; implicit-def: $sgpr97
	s_set_inst_prefetch_distance 0x1
	s_branch .LBB101_358
	.p2align	6
.LBB101_357:                            ;   in Loop: Header=BB101_358 Depth=2
	s_or_b32 exec_lo, exec_lo, s10
	s_waitcnt lgkmcnt(0)
	s_barrier
	buffer_gl0_inv
	ds_load_b32 v4, v9 offset:3072
	v_add_nc_u32_e32 v3, s35, v3
	v_add_nc_u32_e32 v1, s70, v1
	s_waitcnt lgkmcnt(0)
	s_barrier
	buffer_gl0_inv
	v_cmp_le_u32_e32 vcc_lo, s96, v3
	v_cmp_neq_f16_e64 s10, 0, v4
	s_delay_alu instid0(VALU_DEP_1) | instskip(NEXT) | instid1(SALU_CYCLE_1)
	s_or_b32 s98, vcc_lo, s10
	s_and_b32 s98, exec_lo, s98
	s_delay_alu instid0(SALU_CYCLE_1) | instskip(SKIP_2) | instid1(SALU_CYCLE_1)
	s_or_b32 s95, s98, s95
	s_and_not1_b32 s97, s97, exec_lo
	s_and_b32 s10, s10, exec_lo
	s_or_b32 s97, s97, s10
	s_and_not1_b32 exec_lo, exec_lo, s95
	s_cbranch_execz .LBB101_364
.LBB101_358:                            ;   Parent Loop BB101_6 Depth=1
                                        ; =>  This Inner Loop Header: Depth=2
	s_delay_alu instid0(VALU_DEP_1)
	v_cmp_gt_u32_e32 vcc_lo, s93, v3
	v_mov_b32_e32 v4, 0
	s_and_saveexec_b32 s10, vcc_lo
	s_cbranch_execz .LBB101_360
; %bb.359:                              ;   in Loop: Header=BB101_358 Depth=2
	ds_load_u16 v4, v1
.LBB101_360:                            ;   in Loop: Header=BB101_358 Depth=2
	s_or_b32 exec_lo, exec_lo, s10
	s_and_saveexec_b32 s10, vcc_lo
	s_cbranch_execz .LBB101_357
; %bb.361:                              ;   in Loop: Header=BB101_358 Depth=2
	s_waitcnt lgkmcnt(0)
	v_cmp_lt_i16_e32 vcc_lo, -1, v4
	v_dual_cndmask_b32 v29, 0xffff, v26 :: v_dual_and_b32 v8, 0xffff, v4
	v_cmp_o_f16_e32 vcc_lo, v4, v4
	s_delay_alu instid0(VALU_DEP_2) | instskip(NEXT) | instid1(VALU_DEP_1)
	v_xor_b32_e32 v8, v29, v8
	v_cndmask_b32_e32 v8, 0xffff, v8, vcc_lo
	s_delay_alu instid0(VALU_DEP_1) | instskip(NEXT) | instid1(VALU_DEP_1)
	v_and_b32_e32 v8, v8, v27
	v_cmp_eq_u32_e32 vcc_lo, v8, v28
	s_and_b32 exec_lo, exec_lo, vcc_lo
	s_cbranch_execz .LBB101_357
; %bb.362:                              ;   in Loop: Header=BB101_358 Depth=2
	v_perm_b32 v4, v4, s72, 0x5040100
	ds_store_b32 v9, v4 offset:3072
	s_branch .LBB101_357
.LBB101_363:                            ;   in Loop: Header=BB101_6 Depth=1
	s_mov_b32 s10, -1
	s_mov_b32 s95, 0
                                        ; implicit-def: $sgpr93
                                        ; implicit-def: $vgpr29
	s_branch .LBB101_366
.LBB101_364:                            ;   in Loop: Header=BB101_6 Depth=1
	s_set_inst_prefetch_distance 0x2
	s_or_b32 exec_lo, exec_lo, s95
	v_lshrrev_b32_e32 v29, 16, v4
	s_and_b32 s95, s97, exec_lo
.LBB101_365:                            ;   in Loop: Header=BB101_6 Depth=1
	s_or_b32 exec_lo, exec_lo, s94
	s_mov_b32 s10, 0
	s_mov_b32 s93, -1
.LBB101_366:                            ;   in Loop: Header=BB101_6 Depth=1
	s_and_b32 vcc_lo, exec_lo, s10
	s_mov_b32 s94, s10
	s_cbranch_vccz .LBB101_377
; %bb.367:                              ;   in Loop: Header=BB101_6 Depth=1
	s_mov_b32 s95, 0
                                        ; implicit-def: $vgpr29
	s_and_saveexec_b32 s93, s9
	s_cbranch_execz .LBB101_376
; %bb.368:                              ;   in Loop: Header=BB101_6 Depth=1
	v_dual_mov_b32 v8, v7 :: v_dual_mov_b32 v1, v0
	s_mov_b32 s94, 0
                                        ; implicit-def: $sgpr95
	s_branch .LBB101_370
.LBB101_369:                            ;   in Loop: Header=BB101_370 Depth=2
	s_or_b32 exec_lo, exec_lo, s10
	s_waitcnt vmcnt(0) lgkmcnt(0)
	s_barrier
	buffer_gl0_inv
	ds_load_b32 v3, v9 offset:3072
	v_add_nc_u32_e32 v1, s35, v1
	v_add_nc_u32_e32 v8, s39, v8
	s_waitcnt lgkmcnt(0)
	s_barrier
	buffer_gl0_inv
	v_cmp_le_u32_e32 vcc_lo, s67, v1
	v_cmp_neq_f16_e64 s10, 0, v3
	s_delay_alu instid0(VALU_DEP_1) | instskip(NEXT) | instid1(SALU_CYCLE_1)
	s_or_b32 s96, vcc_lo, s10
	s_and_b32 s96, exec_lo, s96
	s_delay_alu instid0(SALU_CYCLE_1) | instskip(SKIP_2) | instid1(SALU_CYCLE_1)
	s_or_b32 s94, s96, s94
	s_and_not1_b32 s95, s95, exec_lo
	s_and_b32 s10, s10, exec_lo
	s_or_b32 s95, s95, s10
	s_and_not1_b32 exec_lo, exec_lo, s94
	s_cbranch_execz .LBB101_375
.LBB101_370:                            ;   Parent Loop BB101_6 Depth=1
                                        ; =>  This Inner Loop Header: Depth=2
	s_delay_alu instid0(VALU_DEP_1)
	v_cmp_gt_u32_e32 vcc_lo, s24, v1
	v_mov_b32_e32 v3, 0
	s_and_saveexec_b32 s96, vcc_lo
	s_cbranch_execz .LBB101_372
; %bb.371:                              ;   in Loop: Header=BB101_370 Depth=2
	v_lshlrev_b64 v[3:4], 1, v[8:9]
	s_delay_alu instid0(VALU_DEP_1) | instskip(NEXT) | instid1(VALU_DEP_1)
	v_add_co_u32 v3, s10, s31, v3
	v_add_co_ci_u32_e64 v4, s10, s33, v4, s10
	global_load_u16 v3, v[3:4], off
.LBB101_372:                            ;   in Loop: Header=BB101_370 Depth=2
	s_or_b32 exec_lo, exec_lo, s96
	s_and_saveexec_b32 s10, vcc_lo
	s_cbranch_execz .LBB101_369
; %bb.373:                              ;   in Loop: Header=BB101_370 Depth=2
	s_waitcnt vmcnt(0)
	v_cmp_lt_i16_e32 vcc_lo, -1, v3
	v_dual_cndmask_b32 v29, 0xffff, v26 :: v_dual_and_b32 v4, 0xffff, v3
	v_cmp_o_f16_e32 vcc_lo, v3, v3
	s_delay_alu instid0(VALU_DEP_2) | instskip(NEXT) | instid1(VALU_DEP_1)
	v_xor_b32_e32 v4, v29, v4
	v_cndmask_b32_e32 v4, 0xffff, v4, vcc_lo
	s_delay_alu instid0(VALU_DEP_1) | instskip(NEXT) | instid1(VALU_DEP_1)
	v_and_b32_e32 v4, v4, v27
	v_cmp_eq_u32_e32 vcc_lo, v4, v28
	s_and_b32 exec_lo, exec_lo, vcc_lo
	s_cbranch_execz .LBB101_369
; %bb.374:                              ;   in Loop: Header=BB101_370 Depth=2
	v_perm_b32 v3, v3, s72, 0x5040100
	ds_store_b32 v9, v3 offset:3072
	s_branch .LBB101_369
.LBB101_375:                            ;   in Loop: Header=BB101_6 Depth=1
	s_or_b32 exec_lo, exec_lo, s94
	v_lshrrev_b32_e32 v29, 16, v3
	s_and_b32 s95, s95, exec_lo
.LBB101_376:                            ;   in Loop: Header=BB101_6 Depth=1
	s_or_b32 exec_lo, exec_lo, s93
	s_mov_b32 s93, 0
	s_mov_b32 s10, -1
	s_mov_b32 s94, 0
.LBB101_377:                            ;   in Loop: Header=BB101_6 Depth=1
	s_or_not1_b32 s95, s95, exec_lo
.LBB101_378:                            ;   in Loop: Header=BB101_6 Depth=1
	s_or_b32 exec_lo, exec_lo, s92
	s_mov_b32 s96, 0
                                        ; implicit-def: $vgpr8
                                        ; implicit-def: $vgpr1
	s_and_saveexec_b32 s92, s95
	s_cbranch_execz .LBB101_390
; %bb.379:                              ;   in Loop: Header=BB101_6 Depth=1
	v_dual_mov_b32 v8, 1 :: v_dual_mov_b32 v1, 1
	s_xor_b32 s95, s17, -1
	s_delay_alu instid0(SALU_CYCLE_1)
	s_and_saveexec_b32 s17, s95
	s_cbranch_execz .LBB101_389
; %bb.380:                              ;   in Loop: Header=BB101_6 Depth=1
	s_mov_b32 s95, exec_lo
                                        ; implicit-def: $sgpr96
	v_cmpx_ge_u32_e64 s12, v2
	s_xor_b32 s95, exec_lo, s95
	s_cbranch_execz .LBB101_386
; %bb.381:                              ;   in Loop: Header=BB101_6 Depth=1
	ds_load_b32 v1, v9 offset:4096
	s_waitcnt lgkmcnt(0)
	v_cmp_ne_u32_e32 vcc_lo, 0, v1
	s_cbranch_vccnz .LBB101_385
; %bb.382:                              ;   in Loop: Header=BB101_6 Depth=1
	s_and_saveexec_b32 s96, s5
	s_cbranch_execz .LBB101_384
; %bb.383:                              ;   in Loop: Header=BB101_6 Depth=1
	v_mov_b32_e32 v1, s12
	ds_store_b32 v9, v1 offset:4100
.LBB101_384:                            ;   in Loop: Header=BB101_6 Depth=1
	s_or_b32 exec_lo, exec_lo, s96
	s_waitcnt lgkmcnt(0)
	s_barrier
	buffer_gl0_inv
.LBB101_385:                            ;   in Loop: Header=BB101_6 Depth=1
	v_and_b32_e32 v28, s14, v28
	v_or_b32_e32 v27, s13, v27
	s_mov_b32 s96, 5
.LBB101_386:                            ;   in Loop: Header=BB101_6 Depth=1
	s_or_saveexec_b32 s13, s95
	v_mov_b32_e32 v8, s96
	s_xor_b32 exec_lo, exec_lo, s13
; %bb.387:                              ;   in Loop: Header=BB101_6 Depth=1
	v_subrev_nc_u32_e32 v2, s12, v2
	v_mov_b32_e32 v8, 5
; %bb.388:                              ;   in Loop: Header=BB101_6 Depth=1
	s_or_b32 exec_lo, exec_lo, s13
	s_delay_alu instid0(VALU_DEP_2)
	v_mov_b32_e32 v1, v2
.LBB101_389:                            ;   in Loop: Header=BB101_6 Depth=1
	s_or_b32 exec_lo, exec_lo, s17
	s_delay_alu instid0(SALU_CYCLE_1)
	s_mov_b32 s96, exec_lo
.LBB101_390:                            ;   in Loop: Header=BB101_6 Depth=1
	s_or_b32 exec_lo, exec_lo, s92
	s_delay_alu instid0(VALU_DEP_1)
	v_mov_b32_e32 v2, v1
	s_or_not1_b32 s17, s96, exec_lo
.LBB101_391:                            ;   in Loop: Header=BB101_6 Depth=1
	s_or_b32 exec_lo, exec_lo, s16
	s_delay_alu instid0(SALU_CYCLE_1)
	s_and_not1_b32 s12, s88, exec_lo
	s_and_b32 s10, s10, exec_lo
	s_and_not1_b32 s13, s90, exec_lo
	s_or_b32 s88, s12, s10
	s_and_not1_b32 s10, s89, exec_lo
	s_and_b32 s12, s93, exec_lo
	s_and_b32 s14, s94, exec_lo
	v_mov_b32_e32 v1, v2
	s_or_b32 s89, s10, s12
	s_or_b32 s90, s13, s14
	s_and_b32 s93, s17, exec_lo
.LBB101_392:                            ;   in Loop: Header=BB101_6 Depth=1
	s_or_b32 exec_lo, exec_lo, s91
	s_delay_alu instid0(SALU_CYCLE_1)
	s_and_b32 s91, s88, exec_lo
	s_and_b32 s89, s89, exec_lo
	s_and_b32 s88, s90, exec_lo
	s_or_not1_b32 s10, s93, exec_lo
.LBB101_393:                            ;   in Loop: Header=BB101_6 Depth=1
	s_or_b32 exec_lo, exec_lo, s18
	s_delay_alu instid0(SALU_CYCLE_1)
	s_and_not1_b32 s12, s22, exec_lo
	s_and_b32 s13, s91, exec_lo
	s_and_not1_b32 s14, s86, exec_lo
	s_or_b32 s22, s12, s13
	s_and_not1_b32 s12, s85, exec_lo
	s_and_b32 s13, s89, exec_lo
	s_and_b32 s16, s88, exec_lo
	v_mov_b32_e32 v4, v1
	s_or_b32 s85, s12, s13
	s_or_b32 s86, s14, s16
	s_and_b32 s89, s10, exec_lo
.LBB101_394:                            ;   in Loop: Header=BB101_6 Depth=1
	s_or_b32 exec_lo, exec_lo, s87
	s_delay_alu instid0(SALU_CYCLE_1)
	s_and_b32 s87, s22, exec_lo
	s_and_b32 s85, s85, exec_lo
	s_and_b32 s22, s86, exec_lo
	s_or_not1_b32 s86, s89, exec_lo
.LBB101_395:                            ;   in Loop: Header=BB101_6 Depth=1
	s_or_b32 exec_lo, exec_lo, s19
	s_mov_b32 s10, s20
	s_mov_b32 s12, s11
	s_and_saveexec_b32 s13, s86
; %bb.396:                              ;   in Loop: Header=BB101_6 Depth=1
	v_cmp_eq_u32_e32 vcc_lo, 5, v8
	v_cmp_ne_u32_e64 s10, 5, v8
	s_and_not1_b32 s12, s11, exec_lo
	s_and_not1_b32 s14, s20, exec_lo
	;; [unrolled: 1-line block ×3, first 2 shown]
	s_and_b32 s16, vcc_lo, exec_lo
	s_and_b32 s10, s10, exec_lo
	s_and_not1_b32 s85, s85, exec_lo
	s_and_not1_b32 s22, s22, exec_lo
	s_or_b32 s12, s12, s10
	s_or_b32 s10, s14, s16
; %bb.397:                              ;   in Loop: Header=BB101_6 Depth=1
	s_or_b32 exec_lo, exec_lo, s13
	s_delay_alu instid0(SALU_CYCLE_1)
	s_and_not1_b32 s13, s23, exec_lo
	s_and_b32 s14, s87, exec_lo
	v_dual_mov_b32 v1, v28 :: v_dual_mov_b32 v2, v27
	s_or_b32 s23, s13, s14
	s_and_not1_b32 s13, s84, exec_lo
	s_and_b32 s14, s85, exec_lo
	v_mov_b32_e32 v3, v29
	s_and_not1_b32 s15, s15, exec_lo
	s_and_b32 s16, s22, exec_lo
	s_or_b32 s84, s13, s14
	s_and_not1_b32 s11, s11, exec_lo
	s_and_b32 s12, s12, exec_lo
	s_and_not1_b32 s13, s20, exec_lo
	s_and_b32 s10, s10, exec_lo
	s_or_b32 s15, s15, s16
	s_or_b32 s11, s11, s12
	;; [unrolled: 1-line block ×3, first 2 shown]
.LBB101_398:                            ;   in Loop: Header=BB101_6 Depth=1
	s_or_b32 exec_lo, exec_lo, s21
	s_mov_b32 s22, s15
	s_mov_b32 s21, s15
	s_and_saveexec_b32 s10, s20
.LBB101_399:                            ;   in Loop: Header=BB101_6 Depth=1
	v_mov_b32_e32 v8, 0
	s_and_not1_b32 s15, s15, exec_lo
	s_and_not1_b32 s23, s23, exec_lo
	;; [unrolled: 1-line block ×5, first 2 shown]
	s_or_b32 s11, s11, exec_lo
.LBB101_400:                            ;   in Loop: Header=BB101_6 Depth=1
	s_or_b32 exec_lo, exec_lo, s10
	s_delay_alu instid0(SALU_CYCLE_1)
	s_and_not1_b32 s10, s83, exec_lo
	s_and_b32 s13, s15, exec_lo
	s_and_not1_b32 s14, s80, exec_lo
	s_or_b32 s83, s10, s13
	s_and_not1_b32 s10, s82, exec_lo
	s_and_b32 s13, s23, exec_lo
	s_and_b32 s15, s84, exec_lo
	s_or_b32 s82, s10, s13
	s_or_b32 s80, s14, s15
	s_and_not1_b32 s10, s81, exec_lo
	s_and_b32 s13, s22, exec_lo
	s_and_not1_b32 s14, s79, exec_lo
	s_and_b32 s15, s21, exec_lo
	s_mov_b32 s12, -1
	s_or_b32 s81, s10, s13
	s_or_b32 s79, s14, s15
                                        ; implicit-def: $vgpr27
                                        ; implicit-def: $vgpr28
                                        ; implicit-def: $vgpr30
                                        ; implicit-def: $vgpr29
	s_and_saveexec_b32 s10, s11
	s_delay_alu instid0(SALU_CYCLE_1)
	s_xor_b32 s10, exec_lo, s10
	s_cbranch_execz .LBB101_5
; %bb.401:                              ;   in Loop: Header=BB101_6 Depth=1
	s_mov_b32 s11, -1
	s_mov_b32 s13, exec_lo
	v_cmpx_eq_u32_e32 0, v8
	s_cbranch_execz .LBB101_4
; %bb.402:                              ;   in Loop: Header=BB101_6 Depth=1
	s_xor_b32 s73, s73, 1
	s_add_i32 s14, s77, -2
	s_cmp_eq_u32 s77, 0
	s_mov_b32 s77, s14
	s_cselect_b32 s11, -1, 0
	s_xor_b32 s12, exec_lo, -1
	s_or_not1_b32 s11, s11, exec_lo
	s_branch .LBB101_4
.LBB101_403:
	s_or_b32 exec_lo, exec_lo, s49
	s_xor_b32 s7, s78, -1
	s_xor_b32 s12, s75, -1
	;; [unrolled: 1-line block ×5, first 2 shown]
	s_mov_b32 s9, 0
	s_and_saveexec_b32 s10, s8
	s_delay_alu instid0(SALU_CYCLE_1)
	s_xor_b32 s8, exec_lo, s10
	s_cbranch_execz .LBB101_462
; %bb.404:
	s_mov_b32 s10, 0
	s_and_saveexec_b32 s9, s11
	s_delay_alu instid0(SALU_CYCLE_1)
	s_xor_b32 s9, exec_lo, s9
	s_cbranch_execz .LBB101_460
; %bb.405:
	;; [unrolled: 6-line block ×4, first 2 shown]
	s_and_saveexec_b32 s7, s6
	s_delay_alu instid0(SALU_CYCLE_1)
	s_xor_b32 s6, exec_lo, s7
; %bb.408:
	v_and_b32_e32 v2, 0x8000, v1
	v_mov_b32_e32 v3, 0xffff
	s_delay_alu instid0(VALU_DEP_2) | instskip(NEXT) | instid1(VALU_DEP_2)
	v_cmp_eq_u32_e32 vcc_lo, 0, v2
	v_cndmask_b32_e32 v2, 0x8000, v3, vcc_lo
	s_delay_alu instid0(VALU_DEP_1)
	v_xor_b32_e32 v3, v2, v1
; %bb.409:
	s_or_b32 exec_lo, exec_lo, s6
	s_and_saveexec_b32 s6, s5
	s_cbranch_execz .LBB101_411
; %bb.410:
	v_mov_b32_e32 v1, 0
	ds_store_b32 v1, v1 offset:4108
.LBB101_411:
	s_or_b32 exec_lo, exec_lo, s6
	v_mov_b32_e32 v9, 0
	s_waitcnt lgkmcnt(0)
	s_barrier
	buffer_gl0_inv
	s_and_saveexec_b32 s5, s4
	s_cbranch_execz .LBB101_413
; %bb.412:
	global_load_u16 v9, v[5:6], off
.LBB101_413:
	s_or_b32 exec_lo, exec_lo, s5
	s_mul_i32 s7, s54, s46
	s_add_i32 s5, s24, 31
	s_mul_i32 s6, s52, s47
	s_sub_i32 s7, s52, s7
	s_and_not1_b32 s5, s5, 31
	s_sub_i32 s6, s50, s6
	s_add_i32 s12, s54, 1
	s_sub_i32 s13, s7, s46
	s_cmp_ge_u32 s7, s46
	s_mul_i32 s6, s6, s38
	s_cselect_b32 s12, s12, s54
	s_cselect_b32 s7, s13, s7
	s_add_i32 s13, s12, 1
	s_cmp_ge_u32 s7, s46
	v_mov_b32_e32 v8, 0x8000
	s_cselect_b32 s7, s13, s12
	s_add_i32 s13, s53, 1
	s_mul_i32 s12, s7, s46
	s_mul_i32 s7, s7, s36
	s_sub_i32 s12, s52, s12
	v_cmp_lt_i16_e32 vcc_lo, -1, v3
	s_mul_i32 s12, s12, s37
	v_and_b32_e32 v1, 0xffff, v3
	s_add_i32 s6, s12, s6
	s_mul_i32 s12, s53, s44
	v_cndmask_b32_e32 v2, 0xffff, v8, vcc_lo
	s_add_i32 s6, s6, s7
	s_mul_i32 s7, s51, s45
	s_sub_i32 s12, s51, s12
	s_sub_i32 s7, s50, s7
	;; [unrolled: 1-line block ×3, first 2 shown]
	s_cmp_ge_u32 s12, s44
	s_mul_i32 s7, s7, s30
	s_cselect_b32 s13, s13, s53
	s_cselect_b32 s12, s14, s12
	s_add_i32 s14, s13, 1
	s_cmp_ge_u32 s12, s44
	v_xor_b32_e32 v1, v2, v1
	s_cselect_b32 s14, s14, s13
	s_clause 0x1
	s_load_b32 s12, s[0:1], 0x1c8
	s_load_b32 s13, s[0:1], 0x2a8
	s_mul_i32 s15, s14, s44
	v_cmp_o_f16_e32 vcc_lo, v3, v3
	s_sub_i32 s0, s51, s15
	s_mul_i32 s14, s14, s28
	s_mul_i32 s0, s0, s29
	s_mov_b32 s18, -1
	s_add_i32 s15, s0, s7
	s_mov_b32 s7, 0
	s_add_i32 s16, s15, s14
	s_lshl_b64 s[0:1], s[6:7], 1
	s_mov_b32 s17, s7
	s_add_u32 s6, s42, s0
	v_cndmask_b32_e32 v7, 0xffff, v1, vcc_lo
	s_addc_u32 s14, s43, s1
	s_lshl_b64 s[0:1], s[16:17], 3
	v_cmp_gt_u32_e32 vcc_lo, s5, v0
	s_add_u32 s15, s40, s0
	s_addc_u32 s16, s41, s1
	s_mov_b32 s1, 0
	s_and_saveexec_b32 s17, vcc_lo
	s_cbranch_execz .LBB101_431
; %bb.414:
	v_dual_mov_b32 v2, 0 :: v_dual_add_nc_u32 v1, s35, v0
	v_mov_b32_e32 v3, v0
	s_mov_b32 s18, 0
                                        ; implicit-def: $sgpr19
                                        ; implicit-def: $vgpr11
	s_delay_alu instid0(VALU_DEP_2)
	v_mul_lo_u32 v1, s34, v1
	s_branch .LBB101_416
.LBB101_415:                            ;   in Loop: Header=BB101_416 Depth=1
	s_or_b32 exec_lo, exec_lo, s20
	s_xor_b32 s0, s22, -1
	s_and_b32 s1, exec_lo, s1
	v_mov_b32_e32 v3, v10
	s_or_b32 s18, s1, s18
	s_waitcnt vmcnt(0)
	v_mov_b32_e32 v9, v12
	s_and_not1_b32 s1, s19, exec_lo
	s_and_b32 s0, s0, exec_lo
	s_delay_alu instid0(SALU_CYCLE_1)
	s_or_b32 s19, s1, s0
	s_and_not1_b32 exec_lo, exec_lo, s18
	s_cbranch_execz .LBB101_430
.LBB101_416:                            ; =>This Inner Loop Header: Depth=1
	s_delay_alu instid0(VALU_DEP_2) | instskip(SKIP_2) | instid1(VALU_DEP_2)
	v_add_nc_u32_e32 v10, s35, v3
	v_mov_b32_e32 v12, 0
	s_mov_b32 s1, exec_lo
	v_cmpx_gt_u32_e64 s24, v10
	s_cbranch_execz .LBB101_418
; %bb.417:                              ;   in Loop: Header=BB101_416 Depth=1
	s_delay_alu instid0(VALU_DEP_4) | instskip(NEXT) | instid1(VALU_DEP_1)
	v_lshlrev_b64 v[12:13], 1, v[1:2]
	v_add_co_u32 v12, s0, s31, v12
	s_delay_alu instid0(VALU_DEP_1)
	v_add_co_ci_u32_e64 v13, s0, s33, v13, s0
	global_load_u16 v12, v[12:13], off
.LBB101_418:                            ;   in Loop: Header=BB101_416 Depth=1
	s_or_b32 exec_lo, exec_lo, s1
	s_mov_b32 s20, 0
	s_mov_b32 s1, exec_lo
	v_cmpx_gt_u32_e64 s24, v3
	s_cbranch_execz .LBB101_420
; %bb.419:                              ;   in Loop: Header=BB101_416 Depth=1
	s_waitcnt vmcnt(0)
	v_cmp_lt_i16_e64 s0, -1, v9
	v_and_b32_e32 v4, 0xffff, v9
	s_delay_alu instid0(VALU_DEP_2) | instskip(SKIP_1) | instid1(VALU_DEP_2)
	v_cndmask_b32_e64 v13, 0xffff, v8, s0
	v_cmp_o_f16_e64 s0, v9, v9
	v_xor_b32_e32 v4, v13, v4
	s_delay_alu instid0(VALU_DEP_1) | instskip(NEXT) | instid1(VALU_DEP_1)
	v_cndmask_b32_e64 v4, 0xffff, v4, s0
	v_cmp_gt_u32_e64 s0, v4, v7
	s_delay_alu instid0(VALU_DEP_1) | instskip(SKIP_1) | instid1(VALU_DEP_1)
	v_cndmask_b32_e64 v13, 0, 1, s0
	v_cmp_lt_u32_e64 s0, v4, v7
	v_cndmask_b32_e64 v4, 0, 1, s0
	s_delay_alu instid0(VALU_DEP_1) | instskip(NEXT) | instid1(VALU_DEP_1)
	v_cndmask_b32_e64 v4, v4, v13, s3
	v_and_b32_e32 v4, 1, v4
	s_delay_alu instid0(VALU_DEP_1) | instskip(NEXT) | instid1(VALU_DEP_1)
	v_cmp_eq_u32_e64 s0, 1, v4
	s_and_b32 s20, s0, exec_lo
.LBB101_420:                            ;   in Loop: Header=BB101_416 Depth=1
	s_or_b32 exec_lo, exec_lo, s1
	v_cndmask_b32_e64 v4, 0, 1, s20
	s_delay_alu instid0(VALU_DEP_1) | instskip(NEXT) | instid1(VALU_DEP_1)
	v_cmp_ne_u32_e64 s0, 0, v4
	s_cmp_lg_u32 s0, 0
	s_cselect_b32 s1, -1, 0
	s_delay_alu instid0(SALU_CYCLE_1) | instskip(NEXT) | instid1(SALU_CYCLE_1)
	s_and_b32 s1, s2, s1
	s_and_saveexec_b32 s21, s1
	s_cbranch_execz .LBB101_424
; %bb.421:                              ;   in Loop: Header=BB101_416 Depth=1
	s_mov_b32 s26, exec_lo
	s_bcnt1_i32_b32 s22, s0
	v_mbcnt_lo_u32_b32 v4, s26, 0
	s_mov_b32 s23, exec_lo
                                        ; implicit-def: $vgpr11
	s_delay_alu instid0(VALU_DEP_1)
	v_cmpx_eq_u32_e32 0, v4
	s_cbranch_execz .LBB101_423
; %bb.422:                              ;   in Loop: Header=BB101_416 Depth=1
	s_bcnt1_i32_b32 s1, s26
	s_delay_alu instid0(SALU_CYCLE_1)
	s_mul_i32 s1, s22, s1
	s_waitcnt lgkmcnt(0)
	v_mov_b32_e32 v11, s1
	ds_add_rtn_u32 v11, v2, v11 offset:4108
.LBB101_423:                            ;   in Loop: Header=BB101_416 Depth=1
	s_or_b32 exec_lo, exec_lo, s23
	s_waitcnt lgkmcnt(0)
	v_readfirstlane_b32 s1, v11
	s_delay_alu instid0(VALU_DEP_1)
	v_mad_u32_u24 v11, s22, v4, s1
.LBB101_424:                            ;   in Loop: Header=BB101_416 Depth=1
	s_or_b32 exec_lo, exec_lo, s21
	s_waitcnt lgkmcnt(0)
	ds_bpermute_b32 v11, v2, v11
	s_mov_b32 s1, -1
	s_mov_b32 s23, -1
                                        ; implicit-def: $sgpr22
	s_and_saveexec_b32 s21, s20
	s_cbranch_execz .LBB101_428
; %bb.425:                              ;   in Loop: Header=BB101_416 Depth=1
	v_and_b32_e32 v4, s0, v14
	s_mov_b32 s20, 0
	s_mov_b32 s22, exec_lo
	s_waitcnt lgkmcnt(0)
	s_delay_alu instid0(VALU_DEP_1) | instskip(NEXT) | instid1(VALU_DEP_1)
	v_bcnt_u32_b32 v4, v4, v11
	v_cmpx_gt_u32_e64 s25, v4
	s_cbranch_execz .LBB101_427
; %bb.426:                              ;   in Loop: Header=BB101_416 Depth=1
	v_mul_lo_u32 v15, v4, s12
	v_mov_b32_e32 v16, v2
	v_mul_lo_u32 v17, v4, s13
	v_mov_b32_e32 v18, v2
	v_mov_b32_e32 v4, v2
	s_mov_b32 s20, exec_lo
	v_lshlrev_b64 v[15:16], 1, v[15:16]
	s_delay_alu instid0(VALU_DEP_3) | instskip(NEXT) | instid1(VALU_DEP_2)
	v_lshlrev_b64 v[17:18], 3, v[17:18]
	v_add_co_u32 v15, s0, s6, v15
	s_delay_alu instid0(VALU_DEP_1) | instskip(NEXT) | instid1(VALU_DEP_3)
	v_add_co_ci_u32_e64 v16, s0, s14, v16, s0
	v_add_co_u32 v17, s0, s15, v17
	s_delay_alu instid0(VALU_DEP_1)
	v_add_co_ci_u32_e64 v18, s0, s16, v18, s0
	s_waitcnt vmcnt(0)
	global_store_b16 v[15:16], v9, off
	global_store_b64 v[17:18], v[3:4], off
.LBB101_427:                            ;   in Loop: Header=BB101_416 Depth=1
	s_or_b32 exec_lo, exec_lo, s22
	s_mov_b32 s22, -1
	s_or_not1_b32 s23, s20, exec_lo
.LBB101_428:                            ;   in Loop: Header=BB101_416 Depth=1
	s_or_b32 exec_lo, exec_lo, s21
	s_and_saveexec_b32 s20, s23
	s_cbranch_execz .LBB101_415
; %bb.429:                              ;   in Loop: Header=BB101_416 Depth=1
	v_cmp_le_u32_e64 s0, s5, v10
	v_add_nc_u32_e32 v1, s39, v1
	s_and_not1_b32 s22, s22, exec_lo
	s_delay_alu instid0(VALU_DEP_2)
	s_or_not1_b32 s1, s0, exec_lo
	s_branch .LBB101_415
.LBB101_430:
	s_or_b32 exec_lo, exec_lo, s18
	s_delay_alu instid0(SALU_CYCLE_1)
	s_mov_b32 s1, exec_lo
	s_or_not1_b32 s18, s19, exec_lo
.LBB101_431:
	s_or_b32 exec_lo, exec_lo, s17
	s_and_saveexec_b32 s3, s18
	s_cbranch_execz .LBB101_454
; %bb.432:
	v_mov_b32_e32 v8, 0
	s_waitcnt vmcnt(0) lgkmcnt(0)
	s_waitcnt_vscnt null, 0x0
	s_barrier
	buffer_gl0_inv
	s_and_saveexec_b32 s0, s4
	s_cbranch_execz .LBB101_434
; %bb.433:
	global_load_u16 v8, v[5:6], off
.LBB101_434:
	s_or_b32 exec_lo, exec_lo, s0
	s_mov_b32 s0, 0
	s_and_saveexec_b32 s4, vcc_lo
	s_cbranch_execz .LBB101_453
; %bb.435:
	v_dual_mov_b32 v4, 0x8000 :: v_dual_add_nc_u32 v1, s35, v0
	v_mov_b32_e32 v3, 0
	s_mov_b32 s17, 0
                                        ; implicit-def: $sgpr7
                                        ; implicit-def: $vgpr5
	s_delay_alu instid0(VALU_DEP_2)
	v_mul_lo_u32 v2, s34, v1
	s_branch .LBB101_438
.LBB101_436:                            ;   in Loop: Header=BB101_438 Depth=1
	s_or_b32 exec_lo, exec_lo, s19
	v_mov_b32_e32 v8, v9
	v_mov_b32_e32 v0, v6
	s_or_not1_b32 s20, s20, exec_lo
	s_or_not1_b32 s18, s18, exec_lo
.LBB101_437:                            ;   in Loop: Header=BB101_438 Depth=1
	s_or_b32 exec_lo, exec_lo, s0
	s_xor_b32 s0, s20, -1
	s_and_b32 s18, exec_lo, s18
	s_delay_alu instid0(SALU_CYCLE_1) | instskip(SKIP_2) | instid1(SALU_CYCLE_1)
	s_or_b32 s17, s18, s17
	s_and_not1_b32 s7, s7, exec_lo
	s_and_b32 s0, s0, exec_lo
	s_or_b32 s7, s7, s0
	s_and_not1_b32 exec_lo, exec_lo, s17
	s_cbranch_execz .LBB101_451
.LBB101_438:                            ; =>This Inner Loop Header: Depth=1
	v_dual_mov_b32 v9, 0 :: v_dual_add_nc_u32 v6, s35, v0
	s_mov_b32 s0, exec_lo
	s_delay_alu instid0(VALU_DEP_1)
	v_cmpx_gt_u32_e64 s24, v6
	s_cbranch_execz .LBB101_440
; %bb.439:                              ;   in Loop: Header=BB101_438 Depth=1
	s_delay_alu instid0(VALU_DEP_3) | instskip(NEXT) | instid1(VALU_DEP_1)
	v_lshlrev_b64 v[9:10], 1, v[2:3]
	v_add_co_u32 v9, vcc_lo, s31, v9
	s_delay_alu instid0(VALU_DEP_2)
	v_add_co_ci_u32_e32 v10, vcc_lo, s33, v10, vcc_lo
	global_load_u16 v9, v[9:10], off
.LBB101_440:                            ;   in Loop: Header=BB101_438 Depth=1
	s_or_b32 exec_lo, exec_lo, s0
	s_waitcnt vmcnt(0)
	v_cmp_lt_i16_e32 vcc_lo, -1, v8
	v_and_b32_e32 v1, 0xffff, v8
	v_cndmask_b32_e32 v10, 0xffff, v4, vcc_lo
	v_cmp_o_f16_e32 vcc_lo, v8, v8
	s_delay_alu instid0(VALU_DEP_2) | instskip(NEXT) | instid1(VALU_DEP_1)
	v_xor_b32_e32 v1, v10, v1
	v_cndmask_b32_e32 v1, 0xffff, v1, vcc_lo
	v_cmp_gt_u32_e32 vcc_lo, s24, v0
	s_delay_alu instid0(VALU_DEP_2) | instskip(NEXT) | instid1(VALU_DEP_1)
	v_cmp_eq_u32_e64 s0, v1, v7
	s_and_b32 s19, vcc_lo, s0
	s_delay_alu instid0(SALU_CYCLE_1) | instskip(NEXT) | instid1(VALU_DEP_1)
	v_cndmask_b32_e64 v1, 0, 1, s19
	v_cmp_ne_u32_e32 vcc_lo, 0, v1
	s_cmp_lg_u32 vcc_lo, 0
	s_cselect_b32 s0, -1, 0
	s_delay_alu instid0(SALU_CYCLE_1) | instskip(NEXT) | instid1(SALU_CYCLE_1)
	s_and_b32 s0, s2, s0
	s_and_saveexec_b32 s18, s0
	s_cbranch_execz .LBB101_444
; %bb.441:                              ;   in Loop: Header=BB101_438 Depth=1
	s_mov_b32 s22, exec_lo
	s_bcnt1_i32_b32 s20, vcc_lo
	v_mbcnt_lo_u32_b32 v1, s22, 0
	s_mov_b32 s21, exec_lo
                                        ; implicit-def: $vgpr5
	s_delay_alu instid0(VALU_DEP_1)
	v_cmpx_eq_u32_e32 0, v1
	s_cbranch_execz .LBB101_443
; %bb.442:                              ;   in Loop: Header=BB101_438 Depth=1
	s_bcnt1_i32_b32 s0, s22
	s_delay_alu instid0(SALU_CYCLE_1) | instskip(NEXT) | instid1(SALU_CYCLE_1)
	s_mul_i32 s0, s20, s0
	v_mov_b32_e32 v5, s0
	ds_add_rtn_u32 v5, v3, v5 offset:4108
.LBB101_443:                            ;   in Loop: Header=BB101_438 Depth=1
	s_or_b32 exec_lo, exec_lo, s21
	s_waitcnt lgkmcnt(0)
	v_readfirstlane_b32 s0, v5
	s_delay_alu instid0(VALU_DEP_1)
	v_mad_u32_u24 v5, s20, v1, s0
.LBB101_444:                            ;   in Loop: Header=BB101_438 Depth=1
	s_or_b32 exec_lo, exec_lo, s18
	ds_bpermute_b32 v5, v3, v5
	s_cmp_eq_u32 vcc_lo, 0
	s_mov_b32 s18, -1
	s_cselect_b32 s20, -1, 0
	s_waitcnt lgkmcnt(0)
	v_cmp_gt_u32_e64 s0, s25, v5
	s_delay_alu instid0(VALU_DEP_1)
	s_or_b32 s21, s20, s0
	s_mov_b32 s20, -1
	s_and_saveexec_b32 s0, s21
	s_cbranch_execz .LBB101_437
; %bb.445:                              ;   in Loop: Header=BB101_438 Depth=1
	v_and_b32_e32 v1, vcc_lo, v14
	v_sub_nc_u32_e32 v10, s25, v5
	s_mov_b32 s21, -1
	s_delay_alu instid0(VALU_DEP_2) | instskip(NEXT) | instid1(VALU_DEP_1)
	v_bcnt_u32_b32 v1, v1, 0
	v_bcnt_u32_b32 v1, 0, v1
	s_delay_alu instid0(VALU_DEP_1) | instskip(SKIP_1) | instid1(SALU_CYCLE_1)
	v_cmp_gt_u32_e32 vcc_lo, v10, v1
	s_and_b32 s22, s19, vcc_lo
	s_and_saveexec_b32 s19, s22
	s_cbranch_execz .LBB101_449
; %bb.446:                              ;   in Loop: Header=BB101_438 Depth=1
	v_add_nc_u32_e32 v1, v5, v1
	s_mov_b32 s21, 0
	s_mov_b32 s20, exec_lo
	s_delay_alu instid0(VALU_DEP_1)
	v_cmpx_gt_u32_e64 s25, v1
	s_cbranch_execz .LBB101_448
; %bb.447:                              ;   in Loop: Header=BB101_438 Depth=1
	v_mul_lo_u32 v10, v1, s12
	v_mov_b32_e32 v11, v3
	v_mul_lo_u32 v12, v1, s13
	v_mov_b32_e32 v13, v3
	v_mov_b32_e32 v1, v3
	s_mov_b32 s21, exec_lo
	v_lshlrev_b64 v[10:11], 1, v[10:11]
	s_delay_alu instid0(VALU_DEP_3) | instskip(NEXT) | instid1(VALU_DEP_2)
	v_lshlrev_b64 v[12:13], 3, v[12:13]
	v_add_co_u32 v10, vcc_lo, s6, v10
	s_delay_alu instid0(VALU_DEP_3) | instskip(NEXT) | instid1(VALU_DEP_3)
	v_add_co_ci_u32_e32 v11, vcc_lo, s14, v11, vcc_lo
	v_add_co_u32 v12, vcc_lo, s15, v12
	s_delay_alu instid0(VALU_DEP_4)
	v_add_co_ci_u32_e32 v13, vcc_lo, s16, v13, vcc_lo
	global_store_b16 v[10:11], v8, off
	global_store_b64 v[12:13], v[0:1], off
.LBB101_448:                            ;   in Loop: Header=BB101_438 Depth=1
	s_or_b32 exec_lo, exec_lo, s20
	s_delay_alu instid0(SALU_CYCLE_1)
	s_xor_b32 s20, exec_lo, -1
	s_or_not1_b32 s21, s21, exec_lo
.LBB101_449:                            ;   in Loop: Header=BB101_438 Depth=1
	s_or_b32 exec_lo, exec_lo, s19
	s_and_saveexec_b32 s19, s21
	s_cbranch_execz .LBB101_436
; %bb.450:                              ;   in Loop: Header=BB101_438 Depth=1
	v_cmp_le_u32_e32 vcc_lo, s5, v6
	v_add_nc_u32_e32 v2, s39, v2
	s_or_b32 s20, s20, exec_lo
	s_or_not1_b32 s18, vcc_lo, exec_lo
	s_branch .LBB101_436
.LBB101_451:
	s_or_b32 exec_lo, exec_lo, s17
	s_mov_b32 s0, 0
	s_and_saveexec_b32 s2, s7
	s_delay_alu instid0(SALU_CYCLE_1)
	s_xor_b32 s2, exec_lo, s2
	s_cbranch_execnz .LBB101_486
.LBB101_452:
	s_or_b32 exec_lo, exec_lo, s2
	s_delay_alu instid0(SALU_CYCLE_1)
	s_and_b32 s0, s0, exec_lo
.LBB101_453:
	s_or_b32 exec_lo, exec_lo, s4
	s_delay_alu instid0(SALU_CYCLE_1)
	s_and_b32 s7, s0, exec_lo
	s_and_not1_b32 s1, s1, exec_lo
.LBB101_454:
	s_or_b32 exec_lo, exec_lo, s3
	s_and_saveexec_b32 s0, s1
	s_delay_alu instid0(SALU_CYCLE_1)
	s_xor_b32 s0, exec_lo, s0
	s_cbranch_execnz .LBB101_480
.LBB101_455:
	s_or_b32 exec_lo, exec_lo, s0
	s_waitcnt lgkmcnt(0)
	s_and_b32 s12, s7, exec_lo
.LBB101_456:
	s_and_not1_saveexec_b32 s0, s11
	s_cbranch_execnz .LBB101_476
.LBB101_457:
	s_or_b32 exec_lo, exec_lo, s0
	s_delay_alu instid0(SALU_CYCLE_1)
	s_and_b32 s11, s12, exec_lo
.LBB101_458:
	s_and_not1_saveexec_b32 s0, s10
	s_cbranch_execnz .LBB101_472
.LBB101_459:
	s_or_b32 exec_lo, exec_lo, s0
	s_delay_alu instid0(SALU_CYCLE_1)
	s_and_b32 s10, s11, exec_lo
.LBB101_460:
	s_and_not1_saveexec_b32 s0, s9
	s_cbranch_execnz .LBB101_468
.LBB101_461:
	s_or_b32 exec_lo, exec_lo, s0
	s_delay_alu instid0(SALU_CYCLE_1)
	s_and_b32 s9, s10, exec_lo
.LBB101_462:
	s_and_not1_saveexec_b32 s0, s8
	s_cbranch_execnz .LBB101_466
; %bb.463:
	s_or_b32 exec_lo, exec_lo, s0
	s_and_saveexec_b32 s0, s9
.LBB101_464:
	; divergent unreachable
.LBB101_465:
	s_nop 0
	s_sendmsg sendmsg(MSG_DEALLOC_VGPRS)
	s_endpgm
.LBB101_466:
	s_cbranch_execnz .LBB101_470
; %bb.467:
	s_or_b32 s9, s9, exec_lo
	s_or_b32 exec_lo, exec_lo, s0
	s_and_saveexec_b32 s0, s9
	s_cbranch_execnz .LBB101_464
	s_branch .LBB101_465
.LBB101_468:
	s_cbranch_execnz .LBB101_474
; %bb.469:
	s_or_b32 s10, s10, exec_lo
	s_branch .LBB101_461
.LBB101_470:
	s_trap 2
	s_sendmsg_rtn_b32 s0, sendmsg(MSG_RTN_GET_DOORBELL)
	s_mov_b32 ttmp2, m0
	s_waitcnt lgkmcnt(0)
	s_and_b32 s0, s0, 0x3ff
	s_delay_alu instid0(SALU_CYCLE_1) | instskip(NEXT) | instid1(SALU_CYCLE_1)
	s_bitset1_b32 s0, 10
	s_mov_b32 m0, s0
	s_sendmsg sendmsg(MSG_INTERRUPT)
	s_mov_b32 m0, ttmp2
.LBB101_471:                            ; =>This Inner Loop Header: Depth=1
	s_sethalt 5
	s_branch .LBB101_471
.LBB101_472:
	s_cbranch_execnz .LBB101_478
; %bb.473:
	s_or_b32 s11, s11, exec_lo
	s_branch .LBB101_459
.LBB101_474:
	s_trap 2
	s_sendmsg_rtn_b32 s0, sendmsg(MSG_RTN_GET_DOORBELL)
	s_mov_b32 ttmp2, m0
	s_waitcnt lgkmcnt(0)
	s_and_b32 s0, s0, 0x3ff
	s_delay_alu instid0(SALU_CYCLE_1) | instskip(NEXT) | instid1(SALU_CYCLE_1)
	s_bitset1_b32 s0, 10
	s_mov_b32 m0, s0
	s_sendmsg sendmsg(MSG_INTERRUPT)
	s_mov_b32 m0, ttmp2
.LBB101_475:                            ; =>This Inner Loop Header: Depth=1
	s_sethalt 5
	s_branch .LBB101_475
.LBB101_476:
	s_cbranch_execnz .LBB101_482
; %bb.477:
	s_or_b32 s12, s12, exec_lo
	s_branch .LBB101_457
.LBB101_478:
	s_trap 2
	s_sendmsg_rtn_b32 s0, sendmsg(MSG_RTN_GET_DOORBELL)
	s_mov_b32 ttmp2, m0
	s_waitcnt lgkmcnt(0)
	s_and_b32 s0, s0, 0x3ff
	s_delay_alu instid0(SALU_CYCLE_1) | instskip(NEXT) | instid1(SALU_CYCLE_1)
	s_bitset1_b32 s0, 10
	s_mov_b32 m0, s0
	s_sendmsg sendmsg(MSG_INTERRUPT)
	s_mov_b32 m0, ttmp2
.LBB101_479:                            ; =>This Inner Loop Header: Depth=1
	s_sethalt 5
	s_branch .LBB101_479
.LBB101_480:
	s_cbranch_execnz .LBB101_484
; %bb.481:
	s_or_b32 s7, s7, exec_lo
	s_branch .LBB101_455
.LBB101_482:
	s_trap 2
	s_sendmsg_rtn_b32 s0, sendmsg(MSG_RTN_GET_DOORBELL)
	s_mov_b32 ttmp2, m0
	s_waitcnt lgkmcnt(0)
	s_and_b32 s0, s0, 0x3ff
	s_delay_alu instid0(SALU_CYCLE_1) | instskip(NEXT) | instid1(SALU_CYCLE_1)
	s_bitset1_b32 s0, 10
	s_mov_b32 m0, s0
	s_sendmsg sendmsg(MSG_INTERRUPT)
	s_mov_b32 m0, ttmp2
.LBB101_483:                            ; =>This Inner Loop Header: Depth=1
	s_sethalt 5
	s_branch .LBB101_483
.LBB101_484:
	s_trap 2
	s_sendmsg_rtn_b32 s0, sendmsg(MSG_RTN_GET_DOORBELL)
	s_mov_b32 ttmp2, m0
	s_waitcnt lgkmcnt(0)
	s_and_b32 s0, s0, 0x3ff
	s_delay_alu instid0(SALU_CYCLE_1) | instskip(NEXT) | instid1(SALU_CYCLE_1)
	s_bitset1_b32 s0, 10
	s_mov_b32 m0, s0
	s_sendmsg sendmsg(MSG_INTERRUPT)
	s_mov_b32 m0, ttmp2
.LBB101_485:                            ; =>This Inner Loop Header: Depth=1
	s_sethalt 5
	s_branch .LBB101_485
.LBB101_486:
	s_cbranch_execnz .LBB101_488
; %bb.487:
	s_mov_b32 s0, exec_lo
	s_branch .LBB101_452
.LBB101_488:
	s_trap 2
	s_sendmsg_rtn_b32 s0, sendmsg(MSG_RTN_GET_DOORBELL)
	s_mov_b32 ttmp2, m0
	s_waitcnt lgkmcnt(0)
	s_and_b32 s0, s0, 0x3ff
	s_delay_alu instid0(SALU_CYCLE_1) | instskip(NEXT) | instid1(SALU_CYCLE_1)
	s_bitset1_b32 s0, 10
	s_mov_b32 m0, s0
	s_sendmsg sendmsg(MSG_INTERRUPT)
	s_mov_b32 m0, ttmp2
.LBB101_489:                            ; =>This Inner Loop Header: Depth=1
	s_sethalt 5
	s_branch .LBB101_489
	.section	.rodata,"a",@progbits
	.p2align	6, 0x0
	.amdhsa_kernel _ZN2at6native6sbtopk10gatherTopKIN3c104HalfEjLi3ELb0EEEvNS_4cuda6detail10TensorInfoIKT_T0_EESA_SA_bSA_SA_NS7_IS8_SA_EESA_NS7_IlSA_EESA_PS8_
		.amdhsa_group_segment_fixed_size 4112
		.amdhsa_private_segment_fixed_size 0
		.amdhsa_kernarg_size 952
		.amdhsa_user_sgpr_count 13
		.amdhsa_user_sgpr_dispatch_ptr 0
		.amdhsa_user_sgpr_queue_ptr 0
		.amdhsa_user_sgpr_kernarg_segment_ptr 1
		.amdhsa_user_sgpr_dispatch_id 0
		.amdhsa_user_sgpr_private_segment_size 0
		.amdhsa_wavefront_size32 1
		.amdhsa_uses_dynamic_stack 0
		.amdhsa_enable_private_segment 0
		.amdhsa_system_sgpr_workgroup_id_x 1
		.amdhsa_system_sgpr_workgroup_id_y 1
		.amdhsa_system_sgpr_workgroup_id_z 1
		.amdhsa_system_sgpr_workgroup_info 0
		.amdhsa_system_vgpr_workitem_id 0
		.amdhsa_next_free_vgpr 37
		.amdhsa_next_free_sgpr 103
		.amdhsa_reserve_vcc 1
		.amdhsa_float_round_mode_32 0
		.amdhsa_float_round_mode_16_64 0
		.amdhsa_float_denorm_mode_32 3
		.amdhsa_float_denorm_mode_16_64 3
		.amdhsa_dx10_clamp 1
		.amdhsa_ieee_mode 1
		.amdhsa_fp16_overflow 0
		.amdhsa_workgroup_processor_mode 1
		.amdhsa_memory_ordered 1
		.amdhsa_forward_progress 0
		.amdhsa_shared_vgpr_count 0
		.amdhsa_exception_fp_ieee_invalid_op 0
		.amdhsa_exception_fp_denorm_src 0
		.amdhsa_exception_fp_ieee_div_zero 0
		.amdhsa_exception_fp_ieee_overflow 0
		.amdhsa_exception_fp_ieee_underflow 0
		.amdhsa_exception_fp_ieee_inexact 0
		.amdhsa_exception_int_div_zero 0
	.end_amdhsa_kernel
	.section	.text._ZN2at6native6sbtopk10gatherTopKIN3c104HalfEjLi3ELb0EEEvNS_4cuda6detail10TensorInfoIKT_T0_EESA_SA_bSA_SA_NS7_IS8_SA_EESA_NS7_IlSA_EESA_PS8_,"axG",@progbits,_ZN2at6native6sbtopk10gatherTopKIN3c104HalfEjLi3ELb0EEEvNS_4cuda6detail10TensorInfoIKT_T0_EESA_SA_bSA_SA_NS7_IS8_SA_EESA_NS7_IlSA_EESA_PS8_,comdat
.Lfunc_end101:
	.size	_ZN2at6native6sbtopk10gatherTopKIN3c104HalfEjLi3ELb0EEEvNS_4cuda6detail10TensorInfoIKT_T0_EESA_SA_bSA_SA_NS7_IS8_SA_EESA_NS7_IlSA_EESA_PS8_, .Lfunc_end101-_ZN2at6native6sbtopk10gatherTopKIN3c104HalfEjLi3ELb0EEEvNS_4cuda6detail10TensorInfoIKT_T0_EESA_SA_bSA_SA_NS7_IS8_SA_EESA_NS7_IlSA_EESA_PS8_
                                        ; -- End function
	.section	.AMDGPU.csdata,"",@progbits
; Kernel info:
; codeLenInByte = 17092
; NumSgprs: 105
; NumVgprs: 37
; ScratchSize: 0
; MemoryBound: 0
; FloatMode: 240
; IeeeMode: 1
; LDSByteSize: 4112 bytes/workgroup (compile time only)
; SGPRBlocks: 13
; VGPRBlocks: 4
; NumSGPRsForWavesPerEU: 105
; NumVGPRsForWavesPerEU: 37
; Occupancy: 16
; WaveLimiterHint : 1
; COMPUTE_PGM_RSRC2:SCRATCH_EN: 0
; COMPUTE_PGM_RSRC2:USER_SGPR: 13
; COMPUTE_PGM_RSRC2:TRAP_HANDLER: 0
; COMPUTE_PGM_RSRC2:TGID_X_EN: 1
; COMPUTE_PGM_RSRC2:TGID_Y_EN: 1
; COMPUTE_PGM_RSRC2:TGID_Z_EN: 1
; COMPUTE_PGM_RSRC2:TIDIG_COMP_CNT: 0
	.section	.text._ZN2at6native6mbtopk23computeBlockDigitCountsIN3c104HalfEjjLin1EEEvNS_4cuda6detail10TensorInfoIKT_T0_EEjPjjSA_iijT1_PSD_Ps,"axG",@progbits,_ZN2at6native6mbtopk23computeBlockDigitCountsIN3c104HalfEjjLin1EEEvNS_4cuda6detail10TensorInfoIKT_T0_EEjPjjSA_iijT1_PSD_Ps,comdat
	.protected	_ZN2at6native6mbtopk23computeBlockDigitCountsIN3c104HalfEjjLin1EEEvNS_4cuda6detail10TensorInfoIKT_T0_EEjPjjSA_iijT1_PSD_Ps ; -- Begin function _ZN2at6native6mbtopk23computeBlockDigitCountsIN3c104HalfEjjLin1EEEvNS_4cuda6detail10TensorInfoIKT_T0_EEjPjjSA_iijT1_PSD_Ps
	.globl	_ZN2at6native6mbtopk23computeBlockDigitCountsIN3c104HalfEjjLin1EEEvNS_4cuda6detail10TensorInfoIKT_T0_EEjPjjSA_iijT1_PSD_Ps
	.p2align	8
	.type	_ZN2at6native6mbtopk23computeBlockDigitCountsIN3c104HalfEjjLin1EEEvNS_4cuda6detail10TensorInfoIKT_T0_EEjPjjSA_iijT1_PSD_Ps,@function
_ZN2at6native6mbtopk23computeBlockDigitCountsIN3c104HalfEjjLin1EEEvNS_4cuda6detail10TensorInfoIKT_T0_EEjPjjSA_iijT1_PSD_Ps: ; @_ZN2at6native6mbtopk23computeBlockDigitCountsIN3c104HalfEjjLin1EEEvNS_4cuda6detail10TensorInfoIKT_T0_EEjPjjSA_iijT1_PSD_Ps
; %bb.0:
	s_clause 0x2
	s_load_b64 s[2:3], s[0:1], 0xf8
	s_load_b128 s[8:11], s[0:1], 0xe8
	s_load_b64 s[4:5], s[0:1], 0x110
	s_waitcnt lgkmcnt(0)
	v_cvt_f32_u32_e32 v1, s2
	s_sub_i32 s7, 0, s2
	s_mul_i32 s5, s5, s15
	s_delay_alu instid0(SALU_CYCLE_1) | instskip(NEXT) | instid1(VALU_DEP_1)
	s_add_i32 s5, s5, s14
	v_rcp_iflag_f32_e32 v1, v1
	s_mul_i32 s16, s5, s4
	s_delay_alu instid0(SALU_CYCLE_1) | instskip(SKIP_3) | instid1(VALU_DEP_1)
	s_add_i32 s16, s16, s13
	s_mov_b32 s13, 0
	s_waitcnt_depctr 0xfff
	v_mul_f32_e32 v1, 0x4f7ffffe, v1
	v_cvt_u32_f32_e32 v1, v1
	s_delay_alu instid0(VALU_DEP_1) | instskip(NEXT) | instid1(VALU_DEP_1)
	v_readfirstlane_b32 s6, v1
	s_mul_i32 s7, s7, s6
	s_delay_alu instid0(SALU_CYCLE_1) | instskip(NEXT) | instid1(SALU_CYCLE_1)
	s_mul_hi_u32 s4, s6, s7
	s_add_i32 s6, s6, s4
	s_delay_alu instid0(SALU_CYCLE_1) | instskip(NEXT) | instid1(SALU_CYCLE_1)
	s_mul_hi_u32 s4, s16, s6
	s_mul_i32 s5, s4, s2
	s_add_i32 s6, s4, 1
	s_sub_i32 s5, s16, s5
	s_delay_alu instid0(SALU_CYCLE_1)
	s_sub_i32 s7, s5, s2
	s_cmp_ge_u32 s5, s2
	s_cselect_b32 s4, s6, s4
	s_cselect_b32 s5, s7, s5
	s_add_i32 s6, s4, 1
	s_cmp_ge_u32 s5, s2
	s_cselect_b32 s12, s6, s4
	s_delay_alu instid0(SALU_CYCLE_1)
	s_cmp_ge_u32 s12, s8
	s_cbranch_scc1 .LBB102_32
; %bb.1:
	s_clause 0x1
	s_load_b128 s[4:7], s[0:1], 0x100
	s_load_b32 s8, s[0:1], 0xd0
	s_lshl_b64 s[14:15], s[12:13], 2
	s_mov_b32 s17, s12
	s_waitcnt lgkmcnt(0)
	s_add_u32 s4, s4, s14
	s_addc_u32 s5, s5, s15
	s_cmp_lt_i32 s8, 2
	s_cbranch_scc1 .LBB102_4
; %bb.2:
	s_add_i32 s18, s8, -1
	s_mov_b32 s19, 0
	s_add_i32 s8, s8, 1
	s_lshl_b64 s[14:15], s[18:19], 2
	s_mov_b32 s17, s12
	s_add_u32 s13, s14, s0
	s_addc_u32 s15, s15, s1
	s_add_u32 s14, s13, 8
	s_addc_u32 s15, s15, 0
	s_mov_b32 s13, s19
	s_set_inst_prefetch_distance 0x1
	.p2align	6
.LBB102_3:                              ; =>This Inner Loop Header: Depth=1
	s_clause 0x1
	s_load_b32 s18, s[14:15], 0x0
	s_load_b32 s19, s[14:15], 0x64
	s_mov_b32 s22, s17
	s_waitcnt lgkmcnt(0)
	v_cvt_f32_u32_e32 v1, s18
	s_sub_i32 s21, 0, s18
	s_waitcnt_depctr 0xfff
	v_rcp_iflag_f32_e32 v1, v1
	s_waitcnt_depctr 0xfff
	v_mul_f32_e32 v1, 0x4f7ffffe, v1
	s_delay_alu instid0(VALU_DEP_1) | instskip(NEXT) | instid1(VALU_DEP_1)
	v_cvt_u32_f32_e32 v1, v1
	v_readfirstlane_b32 s20, v1
	s_delay_alu instid0(VALU_DEP_1) | instskip(NEXT) | instid1(SALU_CYCLE_1)
	s_mul_i32 s21, s21, s20
	s_mul_hi_u32 s21, s20, s21
	s_delay_alu instid0(SALU_CYCLE_1) | instskip(NEXT) | instid1(SALU_CYCLE_1)
	s_add_i32 s20, s20, s21
	s_mul_hi_u32 s17, s17, s20
	s_delay_alu instid0(SALU_CYCLE_1) | instskip(SKIP_2) | instid1(SALU_CYCLE_1)
	s_mul_i32 s20, s17, s18
	s_add_i32 s21, s17, 1
	s_sub_i32 s20, s22, s20
	s_sub_i32 s23, s20, s18
	s_cmp_ge_u32 s20, s18
	s_cselect_b32 s17, s21, s17
	s_cselect_b32 s20, s23, s20
	s_add_i32 s21, s17, 1
	s_cmp_ge_u32 s20, s18
	s_cselect_b32 s17, s21, s17
	s_add_i32 s8, s8, -1
	s_mul_i32 s18, s17, s18
	s_delay_alu instid0(SALU_CYCLE_1) | instskip(NEXT) | instid1(SALU_CYCLE_1)
	s_sub_i32 s18, s22, s18
	s_mul_i32 s18, s19, s18
	s_delay_alu instid0(SALU_CYCLE_1)
	s_add_i32 s13, s18, s13
	s_add_u32 s14, s14, -4
	s_addc_u32 s15, s15, -1
	s_cmp_gt_u32 s8, 2
	s_cbranch_scc1 .LBB102_3
.LBB102_4:
	s_set_inst_prefetch_distance 0x2
	s_load_b32 s8, s[4:5], 0x0
	v_cmp_gt_u32_e32 vcc_lo, 0x100, v0
	v_lshlrev_b32_e32 v3, 2, v0
	s_and_saveexec_b32 s4, vcc_lo
	s_cbranch_execz .LBB102_6
; %bb.5:
	v_mov_b32_e32 v1, 0
	ds_store_b32 v3, v1
.LBB102_6:
	s_or_b32 exec_lo, exec_lo, s4
	s_load_b32 s14, s[0:1], 0xd8
	s_mul_i32 s4, s12, s2
	s_waitcnt lgkmcnt(0)
	s_sub_i32 s4, s16, s4
	s_barrier
	s_mul_i32 s5, s11, s4
	s_add_i32 s4, s4, 1
	s_lshl_b32 s12, s5, 8
	buffer_gl0_inv
	s_sub_i32 s5, s14, s12
	s_delay_alu instid0(SALU_CYCLE_1) | instskip(SKIP_3) | instid1(VALU_DEP_1)
	s_add_u32 s5, s5, 0xff
	s_addc_u32 s15, 0, 0
	s_cmp_lt_u32 s4, s2
	v_alignbit_b32 v1, s15, s5, 8
	v_readfirstlane_b32 s5, v1
	s_delay_alu instid0(VALU_DEP_1)
	s_cselect_b32 s11, s11, s5
	s_mov_b32 s5, 0
	s_cmp_lt_i32 s11, 1
	s_cbranch_scc1 .LBB102_28
; %bb.7:
	s_clause 0x1
	s_load_b32 s2, s[0:1], 0x6c
	s_load_b64 s[18:19], s[0:1], 0x0
	s_waitcnt lgkmcnt(0)
	s_mul_i32 s0, s2, s17
	s_delay_alu instid0(SALU_CYCLE_1) | instskip(NEXT) | instid1(SALU_CYCLE_1)
	s_add_i32 s4, s0, s13
	s_lshl_b64 s[20:21], s[4:5], 1
	s_delay_alu instid0(SALU_CYCLE_1)
	s_add_u32 s1, s18, s20
	s_addc_u32 s2, s19, s21
	s_and_b32 s4, s10, 0xff
	s_cmp_lt_u32 s11, 4
	s_cbranch_scc1 .LBB102_22
; %bb.8:
	v_dual_mov_b32 v10, 0x8000 :: v_dual_add_nc_u32 v1, s12, v0
	s_and_b32 s5, s11, 0x7ffffffc
	s_lshl_b32 s10, s9, 10
	s_mov_b32 s13, 0
	s_delay_alu instid0(VALU_DEP_1) | instskip(SKIP_2) | instid1(VALU_DEP_2)
	v_add_nc_u32_e32 v2, 0x200, v1
	s_mov_b32 s15, 0
	v_mov_b32_e32 v9, 1
	v_mul_lo_u32 v6, s9, v2
	v_mov_b32_e32 v2, 0
	v_add_nc_u32_e32 v4, 0x300, v1
	v_add_nc_u32_e32 v7, 0x100, v1
	v_mul_lo_u32 v8, s9, v1
	s_delay_alu instid0(VALU_DEP_3) | instskip(NEXT) | instid1(VALU_DEP_3)
	v_mul_lo_u32 v5, s9, v4
	v_mul_lo_u32 v7, s9, v7
	s_branch .LBB102_10
.LBB102_9:                              ;   in Loop: Header=BB102_10 Depth=1
	s_or_b32 exec_lo, exec_lo, s17
	v_add_nc_u32_e32 v4, 0x400, v4
	s_add_i32 s15, s15, 4
	s_add_i32 s13, s13, s10
	s_cmp_eq_u32 s5, s15
	s_cbranch_scc1 .LBB102_22
.LBB102_10:                             ; =>This Inner Loop Header: Depth=1
	v_add_nc_u32_e32 v1, 0xfffffd00, v4
	s_mov_b32 s17, exec_lo
	s_delay_alu instid0(VALU_DEP_1)
	v_cmpx_gt_u32_e64 s14, v1
	s_cbranch_execz .LBB102_13
; %bb.11:                               ;   in Loop: Header=BB102_10 Depth=1
	v_add_nc_u32_e32 v1, s13, v8
	s_delay_alu instid0(VALU_DEP_1) | instskip(NEXT) | instid1(VALU_DEP_1)
	v_lshlrev_b64 v[11:12], 1, v[1:2]
	v_add_co_u32 v11, s0, s1, v11
	s_delay_alu instid0(VALU_DEP_1) | instskip(SKIP_4) | instid1(VALU_DEP_2)
	v_add_co_ci_u32_e64 v12, s0, s2, v12, s0
	global_load_u16 v1, v[11:12], off
	s_waitcnt vmcnt(0)
	v_cmp_lt_i16_e64 s0, -1, v1
	v_and_b32_e32 v11, 0xffff, v1
	v_cndmask_b32_e64 v12, 0xffff, v10, s0
	v_cmp_o_f16_e64 s0, v1, v1
	s_delay_alu instid0(VALU_DEP_2) | instskip(NEXT) | instid1(VALU_DEP_1)
	v_xor_b32_e32 v11, v12, v11
	v_cndmask_b32_e64 v1, 0xffff, v11, s0
	s_delay_alu instid0(VALU_DEP_1) | instskip(NEXT) | instid1(VALU_DEP_1)
	v_xor_b32_e32 v11, s8, v1
	v_and_b32_e32 v11, s3, v11
	s_delay_alu instid0(VALU_DEP_1) | instskip(NEXT) | instid1(VALU_DEP_1)
	v_cmp_eq_u32_e64 s0, 0, v11
	s_and_b32 exec_lo, exec_lo, s0
	s_cbranch_execz .LBB102_13
; %bb.12:                               ;   in Loop: Header=BB102_10 Depth=1
	v_bfe_u32 v1, v1, s4, 8
	s_delay_alu instid0(VALU_DEP_1)
	v_lshlrev_b32_e32 v1, 2, v1
	ds_add_u32 v1, v9
.LBB102_13:                             ;   in Loop: Header=BB102_10 Depth=1
	s_or_b32 exec_lo, exec_lo, s17
	v_add_nc_u32_e32 v1, 0xfffffe00, v4
	s_mov_b32 s17, exec_lo
	s_delay_alu instid0(VALU_DEP_1)
	v_cmpx_gt_u32_e64 s14, v1
	s_cbranch_execz .LBB102_16
; %bb.14:                               ;   in Loop: Header=BB102_10 Depth=1
	v_add_nc_u32_e32 v1, s13, v7
	s_delay_alu instid0(VALU_DEP_1) | instskip(NEXT) | instid1(VALU_DEP_1)
	v_lshlrev_b64 v[11:12], 1, v[1:2]
	v_add_co_u32 v11, s0, s1, v11
	s_delay_alu instid0(VALU_DEP_1) | instskip(SKIP_4) | instid1(VALU_DEP_2)
	v_add_co_ci_u32_e64 v12, s0, s2, v12, s0
	global_load_u16 v1, v[11:12], off
	s_waitcnt vmcnt(0)
	v_cmp_lt_i16_e64 s0, -1, v1
	v_and_b32_e32 v11, 0xffff, v1
	v_cndmask_b32_e64 v12, 0xffff, v10, s0
	v_cmp_o_f16_e64 s0, v1, v1
	s_delay_alu instid0(VALU_DEP_2) | instskip(NEXT) | instid1(VALU_DEP_1)
	v_xor_b32_e32 v11, v12, v11
	v_cndmask_b32_e64 v1, 0xffff, v11, s0
	s_delay_alu instid0(VALU_DEP_1) | instskip(NEXT) | instid1(VALU_DEP_1)
	v_xor_b32_e32 v11, s8, v1
	v_and_b32_e32 v11, s3, v11
	s_delay_alu instid0(VALU_DEP_1) | instskip(NEXT) | instid1(VALU_DEP_1)
	v_cmp_eq_u32_e64 s0, 0, v11
	s_and_b32 exec_lo, exec_lo, s0
	s_cbranch_execz .LBB102_16
; %bb.15:                               ;   in Loop: Header=BB102_10 Depth=1
	v_bfe_u32 v1, v1, s4, 8
	s_delay_alu instid0(VALU_DEP_1)
	v_lshlrev_b32_e32 v1, 2, v1
	ds_add_u32 v1, v9
.LBB102_16:                             ;   in Loop: Header=BB102_10 Depth=1
	s_or_b32 exec_lo, exec_lo, s17
	;; [unrolled: 35-line block ×3, first 2 shown]
	s_delay_alu instid0(SALU_CYCLE_1)
	s_mov_b32 s17, exec_lo
	v_cmpx_gt_u32_e64 s14, v4
	s_cbranch_execz .LBB102_9
; %bb.20:                               ;   in Loop: Header=BB102_10 Depth=1
	v_add_nc_u32_e32 v1, s13, v5
	s_delay_alu instid0(VALU_DEP_1) | instskip(NEXT) | instid1(VALU_DEP_1)
	v_lshlrev_b64 v[11:12], 1, v[1:2]
	v_add_co_u32 v11, s0, s1, v11
	s_delay_alu instid0(VALU_DEP_1) | instskip(SKIP_4) | instid1(VALU_DEP_2)
	v_add_co_ci_u32_e64 v12, s0, s2, v12, s0
	global_load_u16 v1, v[11:12], off
	s_waitcnt vmcnt(0)
	v_cmp_lt_i16_e64 s0, -1, v1
	v_and_b32_e32 v11, 0xffff, v1
	v_cndmask_b32_e64 v12, 0xffff, v10, s0
	v_cmp_o_f16_e64 s0, v1, v1
	s_delay_alu instid0(VALU_DEP_2) | instskip(NEXT) | instid1(VALU_DEP_1)
	v_xor_b32_e32 v11, v12, v11
	v_cndmask_b32_e64 v1, 0xffff, v11, s0
	s_delay_alu instid0(VALU_DEP_1) | instskip(NEXT) | instid1(VALU_DEP_1)
	v_xor_b32_e32 v11, s8, v1
	v_and_b32_e32 v11, s3, v11
	s_delay_alu instid0(VALU_DEP_1) | instskip(NEXT) | instid1(VALU_DEP_1)
	v_cmp_eq_u32_e64 s0, 0, v11
	s_and_b32 exec_lo, exec_lo, s0
	s_cbranch_execz .LBB102_9
; %bb.21:                               ;   in Loop: Header=BB102_10 Depth=1
	v_bfe_u32 v1, v1, s4, 8
	s_delay_alu instid0(VALU_DEP_1)
	v_lshlrev_b32_e32 v1, 2, v1
	ds_add_u32 v1, v9
	s_branch .LBB102_9
.LBB102_22:
	s_and_b32 s10, s11, 3
	s_delay_alu instid0(SALU_CYCLE_1)
	s_cmp_eq_u32 s10, 0
	s_cbranch_scc1 .LBB102_28
; %bb.23:
	s_lshl_b32 s0, s5, 8
	v_dual_mov_b32 v2, 0 :: v_dual_mov_b32 v5, 1
	v_add3_u32 v4, s0, s12, v0
	v_mov_b32_e32 v6, 0x8000
	s_lshl_b32 s5, s9, 8
	s_delay_alu instid0(VALU_DEP_2)
	v_mul_lo_u32 v1, s9, v4
	s_set_inst_prefetch_distance 0x1
	s_branch .LBB102_25
	.p2align	6
.LBB102_24:                             ;   in Loop: Header=BB102_25 Depth=1
	s_or_b32 exec_lo, exec_lo, s9
	s_delay_alu instid0(VALU_DEP_2) | instskip(SKIP_2) | instid1(SALU_CYCLE_1)
	v_add_nc_u32_e32 v1, s5, v1
	v_add_nc_u32_e32 v4, 0x100, v4
	s_add_i32 s10, s10, -1
	s_cmp_lg_u32 s10, 0
	s_cbranch_scc0 .LBB102_28
.LBB102_25:                             ; =>This Inner Loop Header: Depth=1
	s_mov_b32 s9, exec_lo
	v_cmpx_gt_u32_e64 s14, v4
	s_cbranch_execz .LBB102_24
; %bb.26:                               ;   in Loop: Header=BB102_25 Depth=1
	s_delay_alu instid0(VALU_DEP_2) | instskip(NEXT) | instid1(VALU_DEP_1)
	v_lshlrev_b64 v[7:8], 1, v[1:2]
	v_add_co_u32 v7, s0, s1, v7
	s_delay_alu instid0(VALU_DEP_1) | instskip(SKIP_4) | instid1(VALU_DEP_2)
	v_add_co_ci_u32_e64 v8, s0, s2, v8, s0
	global_load_u16 v7, v[7:8], off
	s_waitcnt vmcnt(0)
	v_cmp_lt_i16_e64 s0, -1, v7
	v_and_b32_e32 v8, 0xffff, v7
	v_cndmask_b32_e64 v9, 0xffff, v6, s0
	v_cmp_o_f16_e64 s0, v7, v7
	s_delay_alu instid0(VALU_DEP_2) | instskip(NEXT) | instid1(VALU_DEP_1)
	v_xor_b32_e32 v8, v9, v8
	v_cndmask_b32_e64 v7, 0xffff, v8, s0
	s_delay_alu instid0(VALU_DEP_1) | instskip(NEXT) | instid1(VALU_DEP_1)
	v_xor_b32_e32 v8, s8, v7
	v_and_b32_e32 v8, s3, v8
	s_delay_alu instid0(VALU_DEP_1) | instskip(NEXT) | instid1(VALU_DEP_1)
	v_cmp_eq_u32_e64 s0, 0, v8
	s_and_b32 exec_lo, exec_lo, s0
	s_cbranch_execz .LBB102_24
; %bb.27:                               ;   in Loop: Header=BB102_25 Depth=1
	v_bfe_u32 v7, v7, s4, 8
	s_delay_alu instid0(VALU_DEP_1)
	v_lshlrev_b32_e32 v7, 2, v7
	ds_add_u32 v7, v5
	s_branch .LBB102_24
.LBB102_28:
	s_set_inst_prefetch_distance 0x2
	v_mov_b32_e32 v1, 0
	s_waitcnt lgkmcnt(0)
	s_barrier
	buffer_gl0_inv
	s_and_saveexec_b32 s0, vcc_lo
	s_cbranch_execz .LBB102_30
; %bb.29:
	ds_load_b32 v1, v3
.LBB102_30:
	s_or_b32 exec_lo, exec_lo, s0
	s_and_saveexec_b32 s0, vcc_lo
	s_cbranch_execz .LBB102_32
; %bb.31:
	v_lshl_or_b32 v2, s16, 8, v0
	v_mov_b32_e32 v3, 0
	s_delay_alu instid0(VALU_DEP_1) | instskip(NEXT) | instid1(VALU_DEP_1)
	v_lshlrev_b64 v[2:3], 1, v[2:3]
	v_add_co_u32 v2, vcc_lo, s6, v2
	s_delay_alu instid0(VALU_DEP_2)
	v_add_co_ci_u32_e32 v3, vcc_lo, s7, v3, vcc_lo
	s_waitcnt lgkmcnt(0)
	global_store_b16 v[2:3], v1, off
.LBB102_32:
	s_nop 0
	s_sendmsg sendmsg(MSG_DEALLOC_VGPRS)
	s_endpgm
	.section	.rodata,"a",@progbits
	.p2align	6, 0x0
	.amdhsa_kernel _ZN2at6native6mbtopk23computeBlockDigitCountsIN3c104HalfEjjLin1EEEvNS_4cuda6detail10TensorInfoIKT_T0_EEjPjjSA_iijT1_PSD_Ps
		.amdhsa_group_segment_fixed_size 1024
		.amdhsa_private_segment_fixed_size 0
		.amdhsa_kernarg_size 528
		.amdhsa_user_sgpr_count 13
		.amdhsa_user_sgpr_dispatch_ptr 0
		.amdhsa_user_sgpr_queue_ptr 0
		.amdhsa_user_sgpr_kernarg_segment_ptr 1
		.amdhsa_user_sgpr_dispatch_id 0
		.amdhsa_user_sgpr_private_segment_size 0
		.amdhsa_wavefront_size32 1
		.amdhsa_uses_dynamic_stack 0
		.amdhsa_enable_private_segment 0
		.amdhsa_system_sgpr_workgroup_id_x 1
		.amdhsa_system_sgpr_workgroup_id_y 1
		.amdhsa_system_sgpr_workgroup_id_z 1
		.amdhsa_system_sgpr_workgroup_info 0
		.amdhsa_system_vgpr_workitem_id 0
		.amdhsa_next_free_vgpr 13
		.amdhsa_next_free_sgpr 24
		.amdhsa_reserve_vcc 1
		.amdhsa_float_round_mode_32 0
		.amdhsa_float_round_mode_16_64 0
		.amdhsa_float_denorm_mode_32 3
		.amdhsa_float_denorm_mode_16_64 3
		.amdhsa_dx10_clamp 1
		.amdhsa_ieee_mode 1
		.amdhsa_fp16_overflow 0
		.amdhsa_workgroup_processor_mode 1
		.amdhsa_memory_ordered 1
		.amdhsa_forward_progress 0
		.amdhsa_shared_vgpr_count 0
		.amdhsa_exception_fp_ieee_invalid_op 0
		.amdhsa_exception_fp_denorm_src 0
		.amdhsa_exception_fp_ieee_div_zero 0
		.amdhsa_exception_fp_ieee_overflow 0
		.amdhsa_exception_fp_ieee_underflow 0
		.amdhsa_exception_fp_ieee_inexact 0
		.amdhsa_exception_int_div_zero 0
	.end_amdhsa_kernel
	.section	.text._ZN2at6native6mbtopk23computeBlockDigitCountsIN3c104HalfEjjLin1EEEvNS_4cuda6detail10TensorInfoIKT_T0_EEjPjjSA_iijT1_PSD_Ps,"axG",@progbits,_ZN2at6native6mbtopk23computeBlockDigitCountsIN3c104HalfEjjLin1EEEvNS_4cuda6detail10TensorInfoIKT_T0_EEjPjjSA_iijT1_PSD_Ps,comdat
.Lfunc_end102:
	.size	_ZN2at6native6mbtopk23computeBlockDigitCountsIN3c104HalfEjjLin1EEEvNS_4cuda6detail10TensorInfoIKT_T0_EEjPjjSA_iijT1_PSD_Ps, .Lfunc_end102-_ZN2at6native6mbtopk23computeBlockDigitCountsIN3c104HalfEjjLin1EEEvNS_4cuda6detail10TensorInfoIKT_T0_EEjPjjSA_iijT1_PSD_Ps
                                        ; -- End function
	.section	.AMDGPU.csdata,"",@progbits
; Kernel info:
; codeLenInByte = 1952
; NumSgprs: 26
; NumVgprs: 13
; ScratchSize: 0
; MemoryBound: 0
; FloatMode: 240
; IeeeMode: 1
; LDSByteSize: 1024 bytes/workgroup (compile time only)
; SGPRBlocks: 3
; VGPRBlocks: 1
; NumSGPRsForWavesPerEU: 26
; NumVGPRsForWavesPerEU: 13
; Occupancy: 16
; WaveLimiterHint : 1
; COMPUTE_PGM_RSRC2:SCRATCH_EN: 0
; COMPUTE_PGM_RSRC2:USER_SGPR: 13
; COMPUTE_PGM_RSRC2:TRAP_HANDLER: 0
; COMPUTE_PGM_RSRC2:TGID_X_EN: 1
; COMPUTE_PGM_RSRC2:TGID_Y_EN: 1
; COMPUTE_PGM_RSRC2:TGID_Z_EN: 1
; COMPUTE_PGM_RSRC2:TIDIG_COMP_CNT: 0
	.section	.text._ZN2at6native6mbtopk10gatherTopKIN3c104HalfEjLin1EEEvNS_4cuda6detail10TensorInfoIKT_T0_EESA_SA_bjSA_NS7_IS8_SA_EESA_NS7_IlSA_EESA_jjPS8_PjSF_j,"axG",@progbits,_ZN2at6native6mbtopk10gatherTopKIN3c104HalfEjLin1EEEvNS_4cuda6detail10TensorInfoIKT_T0_EESA_SA_bjSA_NS7_IS8_SA_EESA_NS7_IlSA_EESA_jjPS8_PjSF_j,comdat
	.protected	_ZN2at6native6mbtopk10gatherTopKIN3c104HalfEjLin1EEEvNS_4cuda6detail10TensorInfoIKT_T0_EESA_SA_bjSA_NS7_IS8_SA_EESA_NS7_IlSA_EESA_jjPS8_PjSF_j ; -- Begin function _ZN2at6native6mbtopk10gatherTopKIN3c104HalfEjLin1EEEvNS_4cuda6detail10TensorInfoIKT_T0_EESA_SA_bjSA_NS7_IS8_SA_EESA_NS7_IlSA_EESA_jjPS8_PjSF_j
	.globl	_ZN2at6native6mbtopk10gatherTopKIN3c104HalfEjLin1EEEvNS_4cuda6detail10TensorInfoIKT_T0_EESA_SA_bjSA_NS7_IS8_SA_EESA_NS7_IlSA_EESA_jjPS8_PjSF_j
	.p2align	8
	.type	_ZN2at6native6mbtopk10gatherTopKIN3c104HalfEjLin1EEEvNS_4cuda6detail10TensorInfoIKT_T0_EESA_SA_bjSA_NS7_IS8_SA_EESA_NS7_IlSA_EESA_jjPS8_PjSF_j,@function
_ZN2at6native6mbtopk10gatherTopKIN3c104HalfEjLin1EEEvNS_4cuda6detail10TensorInfoIKT_T0_EESA_SA_bjSA_NS7_IS8_SA_EESA_NS7_IlSA_EESA_jjPS8_PjSF_j: ; @_ZN2at6native6mbtopk10gatherTopKIN3c104HalfEjLin1EEEvNS_4cuda6detail10TensorInfoIKT_T0_EESA_SA_bjSA_NS7_IS8_SA_EESA_NS7_IlSA_EESA_jjPS8_PjSF_j
; %bb.0:
	s_clause 0x1
	s_load_b64 s[2:3], s[0:1], 0x2d8
	s_load_b32 s4, s[0:1], 0x2d0
	s_waitcnt lgkmcnt(0)
	s_mul_i32 s3, s3, s15
	s_delay_alu instid0(SALU_CYCLE_1) | instskip(NEXT) | instid1(SALU_CYCLE_1)
	s_add_i32 s3, s3, s14
	s_mul_i32 s2, s3, s2
	s_delay_alu instid0(SALU_CYCLE_1) | instskip(NEXT) | instid1(SALU_CYCLE_1)
	s_add_i32 s13, s2, s13
	s_cmp_ge_u32 s13, s4
	s_cbranch_scc1 .LBB103_49
; %bb.1:
	s_clause 0x1
	s_load_b128 s[4:7], s[0:1], 0x2a8
	s_load_b32 s2, s[0:1], 0xd0
	s_mov_b32 s17, 0
	s_waitcnt lgkmcnt(0)
	v_cvt_f32_u32_e32 v1, s6
	s_sub_i32 s7, 0, s6
	s_delay_alu instid0(VALU_DEP_1) | instskip(SKIP_2) | instid1(VALU_DEP_1)
	v_rcp_iflag_f32_e32 v1, v1
	s_waitcnt_depctr 0xfff
	v_mul_f32_e32 v1, 0x4f7ffffe, v1
	v_cvt_u32_f32_e32 v1, v1
	s_delay_alu instid0(VALU_DEP_1) | instskip(NEXT) | instid1(VALU_DEP_1)
	v_readfirstlane_b32 s3, v1
	s_mul_i32 s7, s7, s3
	s_delay_alu instid0(SALU_CYCLE_1) | instskip(NEXT) | instid1(SALU_CYCLE_1)
	s_mul_hi_u32 s7, s3, s7
	s_add_i32 s3, s3, s7
	s_delay_alu instid0(SALU_CYCLE_1) | instskip(NEXT) | instid1(SALU_CYCLE_1)
	s_mul_hi_u32 s3, s13, s3
	s_mul_i32 s7, s3, s6
	s_add_i32 s8, s3, 1
	s_sub_i32 s7, s13, s7
	s_delay_alu instid0(SALU_CYCLE_1)
	s_sub_i32 s9, s7, s6
	s_cmp_ge_u32 s7, s6
	s_cselect_b32 s3, s8, s3
	s_cselect_b32 s7, s9, s7
	s_add_i32 s8, s3, 1
	s_cmp_ge_u32 s7, s6
	s_cselect_b32 s18, s8, s3
	s_cmp_lt_i32 s2, 2
	s_mov_b32 s16, s18
	s_cbranch_scc1 .LBB103_4
; %bb.2:
	s_add_i32 s16, s2, -1
	s_add_i32 s7, s2, 1
	s_lshl_b64 s[8:9], s[16:17], 2
	s_mov_b32 s16, s18
	s_add_u32 s2, s8, s0
	s_addc_u32 s3, s9, s1
	s_add_u32 s2, s2, 8
	s_addc_u32 s3, s3, 0
	s_set_inst_prefetch_distance 0x1
	.p2align	6
.LBB103_3:                              ; =>This Inner Loop Header: Depth=1
	s_clause 0x1
	s_load_b32 s8, s[2:3], 0x0
	s_load_b32 s9, s[2:3], 0x64
	s_mov_b32 s12, s16
	s_waitcnt lgkmcnt(0)
	v_cvt_f32_u32_e32 v1, s8
	s_sub_i32 s11, 0, s8
	s_waitcnt_depctr 0xfff
	v_rcp_iflag_f32_e32 v1, v1
	s_waitcnt_depctr 0xfff
	v_mul_f32_e32 v1, 0x4f7ffffe, v1
	s_delay_alu instid0(VALU_DEP_1) | instskip(NEXT) | instid1(VALU_DEP_1)
	v_cvt_u32_f32_e32 v1, v1
	v_readfirstlane_b32 s10, v1
	s_delay_alu instid0(VALU_DEP_1) | instskip(NEXT) | instid1(SALU_CYCLE_1)
	s_mul_i32 s11, s11, s10
	s_mul_hi_u32 s11, s10, s11
	s_delay_alu instid0(SALU_CYCLE_1) | instskip(NEXT) | instid1(SALU_CYCLE_1)
	s_add_i32 s10, s10, s11
	s_mul_hi_u32 s10, s16, s10
	s_delay_alu instid0(SALU_CYCLE_1) | instskip(SKIP_2) | instid1(SALU_CYCLE_1)
	s_mul_i32 s11, s10, s8
	s_add_i32 s14, s10, 1
	s_sub_i32 s11, s16, s11
	s_sub_i32 s15, s11, s8
	s_cmp_ge_u32 s11, s8
	s_cselect_b32 s10, s14, s10
	s_cselect_b32 s11, s15, s11
	s_add_i32 s14, s10, 1
	s_cmp_ge_u32 s11, s8
	s_cselect_b32 s16, s14, s10
	s_add_i32 s7, s7, -1
	s_mul_i32 s8, s16, s8
	s_delay_alu instid0(SALU_CYCLE_1) | instskip(NEXT) | instid1(SALU_CYCLE_1)
	s_sub_i32 s8, s12, s8
	s_mul_i32 s8, s9, s8
	s_delay_alu instid0(SALU_CYCLE_1)
	s_add_i32 s17, s8, s17
	s_add_u32 s2, s2, -4
	s_addc_u32 s3, s3, -1
	s_cmp_gt_u32 s7, 2
	s_cbranch_scc1 .LBB103_3
.LBB103_4:
	s_set_inst_prefetch_distance 0x2
	s_load_b32 s7, s[0:1], 0x1c0
	s_add_u32 s2, s0, 0xf0
	s_addc_u32 s3, s1, 0
	s_mov_b32 s21, 0
	s_mov_b32 s20, s18
	s_waitcnt lgkmcnt(0)
	s_cmp_lt_i32 s7, 2
	s_cbranch_scc1 .LBB103_7
; %bb.5:
	s_add_i32 s20, s7, -1
	s_add_i32 s7, s7, 1
	s_lshl_b64 s[8:9], s[20:21], 2
	s_mov_b32 s20, s18
	s_add_u32 s8, s8, s2
	s_addc_u32 s9, s9, s3
	s_add_u32 s8, s8, 8
	s_addc_u32 s9, s9, 0
	s_set_inst_prefetch_distance 0x1
	.p2align	6
.LBB103_6:                              ; =>This Inner Loop Header: Depth=1
	s_clause 0x1
	s_load_b32 s10, s[8:9], 0x0
	s_load_b32 s11, s[8:9], 0x64
	s_mov_b32 s15, s20
	s_waitcnt lgkmcnt(0)
	v_cvt_f32_u32_e32 v1, s10
	s_sub_i32 s14, 0, s10
	s_waitcnt_depctr 0xfff
	v_rcp_iflag_f32_e32 v1, v1
	s_waitcnt_depctr 0xfff
	v_mul_f32_e32 v1, 0x4f7ffffe, v1
	s_delay_alu instid0(VALU_DEP_1) | instskip(NEXT) | instid1(VALU_DEP_1)
	v_cvt_u32_f32_e32 v1, v1
	v_readfirstlane_b32 s12, v1
	s_delay_alu instid0(VALU_DEP_1) | instskip(NEXT) | instid1(SALU_CYCLE_1)
	s_mul_i32 s14, s14, s12
	s_mul_hi_u32 s14, s12, s14
	s_delay_alu instid0(SALU_CYCLE_1) | instskip(NEXT) | instid1(SALU_CYCLE_1)
	s_add_i32 s12, s12, s14
	s_mul_hi_u32 s12, s20, s12
	s_delay_alu instid0(SALU_CYCLE_1) | instskip(SKIP_2) | instid1(SALU_CYCLE_1)
	s_mul_i32 s14, s12, s10
	s_add_i32 s19, s12, 1
	s_sub_i32 s14, s20, s14
	s_sub_i32 s20, s14, s10
	s_cmp_ge_u32 s14, s10
	s_cselect_b32 s12, s19, s12
	s_cselect_b32 s14, s20, s14
	s_add_i32 s19, s12, 1
	s_cmp_ge_u32 s14, s10
	s_cselect_b32 s20, s19, s12
	s_add_i32 s7, s7, -1
	s_mul_i32 s10, s20, s10
	s_delay_alu instid0(SALU_CYCLE_1) | instskip(NEXT) | instid1(SALU_CYCLE_1)
	s_sub_i32 s10, s15, s10
	s_mul_i32 s10, s11, s10
	s_delay_alu instid0(SALU_CYCLE_1)
	s_add_i32 s21, s10, s21
	s_add_u32 s8, s8, -4
	s_addc_u32 s9, s9, -1
	s_cmp_gt_u32 s7, 2
	s_cbranch_scc1 .LBB103_6
.LBB103_7:
	s_set_inst_prefetch_distance 0x2
	s_clause 0x1
	s_load_b32 s33, s[0:1], 0x6c
	s_load_b32 s7, s[0:1], 0x2a0
	s_add_u32 s8, s0, 0x1d0
	s_addc_u32 s9, s1, 0
	s_mov_b32 s23, 0
	s_mov_b32 s22, s18
	s_waitcnt lgkmcnt(0)
	s_cmp_lt_i32 s7, 2
	s_cbranch_scc1 .LBB103_10
; %bb.8:
	s_add_i32 s22, s7, -1
	s_add_i32 s7, s7, 1
	s_lshl_b64 s[10:11], s[22:23], 2
	s_mov_b32 s22, s18
	s_add_u32 s8, s10, s8
	s_addc_u32 s9, s11, s9
	s_add_u32 s8, s8, 8
	s_addc_u32 s9, s9, 0
	s_set_inst_prefetch_distance 0x1
	.p2align	6
.LBB103_9:                              ; =>This Inner Loop Header: Depth=1
	s_clause 0x1
	s_load_b32 s10, s[8:9], 0x0
	s_load_b32 s11, s[8:9], 0x64
	s_mov_b32 s15, s22
	s_waitcnt lgkmcnt(0)
	v_cvt_f32_u32_e32 v1, s10
	s_sub_i32 s14, 0, s10
	s_waitcnt_depctr 0xfff
	v_rcp_iflag_f32_e32 v1, v1
	s_waitcnt_depctr 0xfff
	v_mul_f32_e32 v1, 0x4f7ffffe, v1
	s_delay_alu instid0(VALU_DEP_1) | instskip(NEXT) | instid1(VALU_DEP_1)
	v_cvt_u32_f32_e32 v1, v1
	v_readfirstlane_b32 s12, v1
	s_delay_alu instid0(VALU_DEP_1) | instskip(NEXT) | instid1(SALU_CYCLE_1)
	s_mul_i32 s14, s14, s12
	s_mul_hi_u32 s14, s12, s14
	s_delay_alu instid0(SALU_CYCLE_1) | instskip(NEXT) | instid1(SALU_CYCLE_1)
	s_add_i32 s12, s12, s14
	s_mul_hi_u32 s12, s22, s12
	s_delay_alu instid0(SALU_CYCLE_1) | instskip(SKIP_2) | instid1(SALU_CYCLE_1)
	s_mul_i32 s14, s12, s10
	s_add_i32 s19, s12, 1
	s_sub_i32 s14, s22, s14
	s_sub_i32 s22, s14, s10
	s_cmp_ge_u32 s14, s10
	s_cselect_b32 s12, s19, s12
	s_cselect_b32 s14, s22, s14
	s_add_i32 s19, s12, 1
	s_cmp_ge_u32 s14, s10
	s_cselect_b32 s22, s19, s12
	s_add_i32 s7, s7, -1
	s_mul_i32 s10, s22, s10
	s_delay_alu instid0(SALU_CYCLE_1) | instskip(NEXT) | instid1(SALU_CYCLE_1)
	s_sub_i32 s10, s15, s10
	s_mul_i32 s10, s11, s10
	s_delay_alu instid0(SALU_CYCLE_1)
	s_add_i32 s23, s10, s23
	s_add_u32 s8, s8, -4
	s_addc_u32 s9, s9, -1
	s_cmp_gt_u32 s7, 2
	s_cbranch_scc1 .LBB103_9
.LBB103_10:
	s_set_inst_prefetch_distance 0x2
	s_clause 0x1
	s_load_b32 s36, s[2:3], 0x6c
	s_load_b128 s[8:11], s[0:1], 0x2b8
	s_mov_b32 s19, 0
	s_mul_i32 s12, s18, s6
	v_mov_b32_e32 v1, 0
	s_lshl_b64 s[2:3], s[18:19], 1
	s_sub_i32 s7, s13, s12
	s_waitcnt lgkmcnt(0)
	s_add_u32 s2, s8, s2
	s_addc_u32 s3, s9, s3
	global_load_u16 v1, v1, s[2:3]
	s_clause 0x2
	s_load_b64 s[28:29], s[0:1], 0x0
	s_load_b64 s[26:27], s[0:1], 0xf0
	s_load_b64 s[24:25], s[0:1], 0x1d0
	v_cmp_ne_u32_e64 s2, 0, v0
	v_cmp_eq_u32_e64 s3, 0, v0
	s_waitcnt vmcnt(0)
	v_readfirstlane_b32 s18, v1
	s_delay_alu instid0(VALU_DEP_2)
	s_and_saveexec_b32 s37, s3
	s_cbranch_execz .LBB103_26
; %bb.11:
	s_load_b64 s[8:9], s[0:1], 0x2c8
	s_mov_b32 s13, s19
	s_mov_b32 s38, 0
	s_lshl_b64 s[30:31], s[12:13], 2
	s_mov_b32 s39, 0
	s_add_u32 s12, s10, s30
	s_addc_u32 s13, s11, s31
	s_waitcnt lgkmcnt(0)
	s_add_u32 s14, s8, s30
	s_addc_u32 s15, s9, s31
	s_cmp_lt_u32 s6, 4
	s_cbranch_scc1 .LBB103_23
; %bb.12:
	s_mov_b32 s40, 0
.LBB103_13:                             ; =>This Inner Loop Header: Depth=1
	s_add_u32 s12, s10, s30
	s_addc_u32 s13, s11, s31
	s_add_u32 s34, s8, s30
	s_load_b128 s[12:15], s[12:13], 0x0
	s_addc_u32 s35, s9, s31
	s_cmp_ge_u32 s40, s7
	s_cbranch_scc0 .LBB103_20
; %bb.14:                               ;   in Loop: Header=BB103_13 Depth=1
	s_add_i32 s41, s40, 1
	s_delay_alu instid0(SALU_CYCLE_1)
	s_cmp_ge_u32 s41, s7
	s_cbranch_scc0 .LBB103_21
.LBB103_15:                             ;   in Loop: Header=BB103_13 Depth=1
	s_add_i32 s41, s41, 1
	s_delay_alu instid0(SALU_CYCLE_1)
	s_cmp_ge_u32 s41, s7
	s_cbranch_scc0 .LBB103_22
.LBB103_16:                             ;   in Loop: Header=BB103_13 Depth=1
	s_add_i32 s41, s41, 1
	s_delay_alu instid0(SALU_CYCLE_1)
	s_cmp_ge_u32 s41, s7
	s_cbranch_scc1 .LBB103_18
.LBB103_17:                             ;   in Loop: Header=BB103_13 Depth=1
	s_load_b32 s34, s[34:35], 0xc
	s_waitcnt lgkmcnt(0)
	s_add_i32 s19, s19, s15
	s_add_i32 s38, s34, s38
.LBB103_18:                             ;   in Loop: Header=BB103_13 Depth=1
	s_waitcnt lgkmcnt(0)
	s_add_i32 s12, s12, s39
	s_delay_alu instid0(SALU_CYCLE_1) | instskip(NEXT) | instid1(SALU_CYCLE_1)
	s_add_i32 s12, s12, s13
	s_add_i32 s12, s12, s14
	s_delay_alu instid0(SALU_CYCLE_1)
	s_add_i32 s39, s12, s15
	s_add_u32 s10, s10, 16
	s_addc_u32 s11, s11, 0
	s_add_u32 s8, s8, 16
	s_addc_u32 s9, s9, 0
	s_add_i32 s35, s41, 4
	s_add_u32 s14, s8, s30
	s_addc_u32 s15, s9, s31
	s_add_u32 s12, s10, s30
	s_addc_u32 s13, s11, s31
	s_add_i32 s34, s41, 1
	s_cmp_ge_u32 s35, s6
	s_cbranch_scc1 .LBB103_24
; %bb.19:                               ;   in Loop: Header=BB103_13 Depth=1
	s_mov_b32 s40, s34
	s_branch .LBB103_13
.LBB103_20:                             ;   in Loop: Header=BB103_13 Depth=1
	s_load_b32 s41, s[34:35], 0x0
	s_waitcnt lgkmcnt(0)
	s_add_i32 s19, s12, s19
	s_add_i32 s38, s41, s38
	;; [unrolled: 1-line block ×3, first 2 shown]
	s_delay_alu instid0(SALU_CYCLE_1)
	s_cmp_ge_u32 s41, s7
	s_cbranch_scc1 .LBB103_15
.LBB103_21:                             ;   in Loop: Header=BB103_13 Depth=1
	s_load_b32 s42, s[34:35], 0x4
	s_waitcnt lgkmcnt(0)
	s_add_i32 s19, s19, s13
	s_add_i32 s38, s42, s38
	;; [unrolled: 1-line block ×3, first 2 shown]
	s_delay_alu instid0(SALU_CYCLE_1)
	s_cmp_ge_u32 s41, s7
	s_cbranch_scc1 .LBB103_16
.LBB103_22:                             ;   in Loop: Header=BB103_13 Depth=1
	s_load_b32 s42, s[34:35], 0x8
	s_waitcnt lgkmcnt(0)
	s_add_i32 s19, s19, s14
	s_add_i32 s38, s42, s38
	;; [unrolled: 1-line block ×3, first 2 shown]
	s_delay_alu instid0(SALU_CYCLE_1)
	s_cmp_ge_u32 s41, s7
	s_cbranch_scc0 .LBB103_17
	s_branch .LBB103_18
.LBB103_23:
	s_mov_b32 s8, 0
	s_delay_alu instid0(SALU_CYCLE_1)
	s_cmp_ge_u32 s8, s6
	s_cbranch_scc0 .LBB103_47
	s_branch .LBB103_25
.LBB103_24:
	s_add_i32 s8, s40, 4
	s_delay_alu instid0(SALU_CYCLE_1)
	s_cmp_ge_u32 s8, s6
	s_cbranch_scc0 .LBB103_47
.LBB103_25:
	v_dual_mov_b32 v1, s38 :: v_dual_mov_b32 v2, s39
	v_dual_mov_b32 v3, s19 :: v_dual_mov_b32 v4, 0
	ds_store_b96 v4, v[1:3] offset:1056
.LBB103_26:
	s_or_b32 exec_lo, exec_lo, s37
	s_clause 0x1
	s_load_b32 s12, s[0:1], 0x23c
	s_load_b128 s[8:11], s[0:1], 0xd8
	s_waitcnt lgkmcnt(0)
	s_mul_i32 s11, s5, s7
	s_add_i32 s7, s7, 1
	s_lshl_b32 s19, s11, 8
	s_barrier
	buffer_gl0_inv
	s_sub_i32 s11, s8, s19
	s_delay_alu instid0(SALU_CYCLE_1) | instskip(SKIP_4) | instid1(VALU_DEP_1)
	s_add_u32 s11, s11, 0xff
	s_addc_u32 s13, 0, 0
	s_cmp_lt_u32 s7, s6
	v_alignbit_b32 v1, s13, s11, 8
	s_mov_b32 s7, 0
	v_readfirstlane_b32 s11, v1
	s_delay_alu instid0(VALU_DEP_1) | instskip(NEXT) | instid1(SALU_CYCLE_1)
	s_cselect_b32 s5, s5, s11
	s_cmp_eq_u32 s5, 0
	s_cbranch_scc1 .LBB103_49
; %bb.27:
	s_mul_i32 s6, s36, s20
	s_mul_i32 s11, s33, s16
	s_add_i32 s14, s6, s21
	s_add_i32 s6, s11, s17
	s_mul_i32 s11, s12, s22
	v_mov_b32_e32 v5, 0
	s_lshl_b64 s[12:13], s[6:7], 1
	s_add_i32 s16, s11, s23
	s_mov_b32 s15, s7
	s_add_u32 s6, s28, s12
	s_addc_u32 s11, s29, s13
	s_lshl_b64 s[12:13], s[14:15], 1
	s_mov_b32 s17, s7
	ds_load_b96 v[1:3], v5 offset:1056
	s_add_u32 s12, s26, s12
	s_addc_u32 s13, s27, s13
	s_lshl_b64 s[14:15], s[16:17], 3
	v_cmp_o_f16_e64 s17, s18, s18
	s_add_u32 s7, s24, s14
	s_addc_u32 s14, s25, s15
	s_sext_i32_i16 s15, s18
	s_and_b32 s16, 0xffff, s18
	s_load_b32 s18, s[0:1], 0xe8
	s_cmp_gt_i32 s15, -1
	s_mov_b32 s15, 0x8000
	v_lshrrev_b32_e32 v4, 5, v0
	s_cselect_b32 s15, s15, 0xffff
	v_add_nc_u32_e32 v9, -1, v0
	s_xor_b32 s15, s15, s16
	s_and_b32 s16, s17, exec_lo
	s_cselect_b32 s15, s15, 0xffff
	s_bitcmp1_b32 s10, 0
	s_load_b32 s10, s[0:1], 0x1c8
	s_waitcnt lgkmcnt(0)
	v_add_nc_u32_e32 v6, v1, v2
	v_add_lshl_u32 v7, v4, v0, 2
	v_dual_mov_b32 v13, 0x8000 :: v_dual_lshlrev_b32 v2, 3, v0
	v_lshrrev_b32_e32 v4, 2, v0
	v_add_nc_u32_e32 v1, s19, v0
	v_lshrrev_b32_e32 v10, 5, v9
	v_mbcnt_lo_u32_b32 v8, -1, 0
	v_cmp_gt_u32_e64 s0, 32, v0
	v_add_lshl_u32 v0, v4, v2, 2
	v_mul_lo_u32 v4, s18, v1
	v_add_lshl_u32 v9, v10, v9, 2
	v_and_b32_e32 v10, 15, v8
	v_bfe_i32 v11, v8, 4, 1
	v_add_nc_u32_e32 v12, -1, v8
	s_cselect_b32 s1, -1, 0
	s_lshl_b32 s16, s18, 8
                                        ; implicit-def: $vgpr14
	s_branch .LBB103_30
.LBB103_28:                             ;   in Loop: Header=BB103_30 Depth=1
	s_or_b32 exec_lo, exec_lo, s17
	v_add_nc_u32_e32 v6, v17, v6
.LBB103_29:                             ;   in Loop: Header=BB103_30 Depth=1
	v_add_nc_u32_e32 v3, v16, v3
	v_add_nc_u32_e32 v4, s16, v4
	;; [unrolled: 1-line block ×3, first 2 shown]
	s_add_i32 s5, s5, -1
	s_delay_alu instid0(SALU_CYCLE_1)
	s_cmp_lg_u32 s5, 0
	s_cbranch_scc0 .LBB103_49
.LBB103_30:                             ; =>This Inner Loop Header: Depth=1
	v_dual_mov_b32 v2, 0 :: v_dual_mov_b32 v15, 0
	s_mov_b32 s17, exec_lo
	v_cmpx_gt_u32_e64 s8, v1
	s_cbranch_execz .LBB103_32
; %bb.31:                               ;   in Loop: Header=BB103_30 Depth=1
	v_lshlrev_b64 v[14:15], 1, v[4:5]
	s_delay_alu instid0(VALU_DEP_1) | instskip(NEXT) | instid1(VALU_DEP_2)
	v_add_co_u32 v14, vcc_lo, s6, v14
	v_add_co_ci_u32_e32 v15, vcc_lo, s11, v15, vcc_lo
	global_load_u16 v14, v[14:15], off
	s_waitcnt vmcnt(0)
	v_cmp_lt_i16_e32 vcc_lo, -1, v14
	v_dual_cndmask_b32 v15, 0xffff, v13 :: v_dual_and_b32 v2, 0xffff, v14
	v_cmp_o_f16_e32 vcc_lo, v14, v14
	s_delay_alu instid0(VALU_DEP_2) | instskip(NEXT) | instid1(VALU_DEP_1)
	v_xor_b32_e32 v2, v15, v2
	v_cndmask_b32_e32 v15, 0xffff, v2, vcc_lo
	s_delay_alu instid0(VALU_DEP_1) | instskip(SKIP_4) | instid1(VALU_DEP_2)
	v_cmp_lt_u32_e32 vcc_lo, s15, v15
	v_cndmask_b32_e64 v2, 0, 1, vcc_lo
	v_cmp_gt_u32_e32 vcc_lo, s15, v15
	v_cndmask_b32_e64 v16, 0, 1, vcc_lo
	v_cmp_eq_u32_e32 vcc_lo, s15, v15
	v_cndmask_b32_e64 v2, v16, v2, s1
	v_cndmask_b32_e64 v15, 0, 1, vcc_lo
	s_delay_alu instid0(VALU_DEP_2)
	v_and_b32_e32 v2, 1, v2
.LBB103_32:                             ;   in Loop: Header=BB103_30 Depth=1
	s_or_b32 exec_lo, exec_lo, s17
	ds_store_b32 v7, v2
	s_waitcnt lgkmcnt(0)
	s_waitcnt_vscnt null, 0x0
	s_barrier
	buffer_gl0_inv
	s_and_saveexec_b32 s17, s0
	s_cbranch_execz .LBB103_34
; %bb.33:                               ;   in Loop: Header=BB103_30 Depth=1
	ds_load_2addr_b32 v[16:17], v0 offset1:1
	ds_load_2addr_b32 v[18:19], v0 offset0:2 offset1:3
	ds_load_2addr_b32 v[20:21], v0 offset0:4 offset1:5
	;; [unrolled: 1-line block ×3, first 2 shown]
	v_cmp_ne_u32_e32 vcc_lo, 0, v10
	; wave barrier
	s_waitcnt lgkmcnt(3)
	v_add_nc_u32_e32 v17, v17, v16
	s_waitcnt lgkmcnt(2)
	s_delay_alu instid0(VALU_DEP_1) | instskip(SKIP_1) | instid1(VALU_DEP_1)
	v_add3_u32 v17, v17, v18, v19
	s_waitcnt lgkmcnt(1)
	v_add3_u32 v17, v17, v20, v21
	s_waitcnt lgkmcnt(0)
	s_delay_alu instid0(VALU_DEP_1) | instskip(NEXT) | instid1(VALU_DEP_1)
	v_add3_u32 v17, v17, v22, v23
	v_mov_b32_dpp v18, v17 row_shr:1 row_mask:0xf bank_mask:0xf
	s_delay_alu instid0(VALU_DEP_1) | instskip(SKIP_1) | instid1(VALU_DEP_2)
	v_cndmask_b32_e32 v18, 0, v18, vcc_lo
	v_cmp_lt_u32_e32 vcc_lo, 1, v10
	v_add_nc_u32_e32 v17, v18, v17
	s_delay_alu instid0(VALU_DEP_1) | instskip(NEXT) | instid1(VALU_DEP_1)
	v_mov_b32_dpp v18, v17 row_shr:2 row_mask:0xf bank_mask:0xf
	v_cndmask_b32_e32 v18, 0, v18, vcc_lo
	v_cmp_lt_u32_e32 vcc_lo, 3, v10
	s_delay_alu instid0(VALU_DEP_2) | instskip(NEXT) | instid1(VALU_DEP_1)
	v_add_nc_u32_e32 v17, v17, v18
	v_mov_b32_dpp v18, v17 row_shr:4 row_mask:0xf bank_mask:0xf
	s_delay_alu instid0(VALU_DEP_1) | instskip(SKIP_1) | instid1(VALU_DEP_2)
	v_cndmask_b32_e32 v18, 0, v18, vcc_lo
	v_cmp_lt_u32_e32 vcc_lo, 7, v10
	v_add_nc_u32_e32 v17, v17, v18
	s_delay_alu instid0(VALU_DEP_1) | instskip(NEXT) | instid1(VALU_DEP_1)
	v_mov_b32_dpp v18, v17 row_shr:8 row_mask:0xf bank_mask:0xf
	v_cndmask_b32_e32 v18, 0, v18, vcc_lo
	v_cmp_gt_i32_e32 vcc_lo, 0, v12
	v_cndmask_b32_e32 v19, v12, v8, vcc_lo
	s_delay_alu instid0(VALU_DEP_1) | instskip(NEXT) | instid1(VALU_DEP_4)
	v_lshlrev_b32_e32 v19, 2, v19
	v_add_nc_u32_e32 v17, v17, v18
	ds_swizzle_b32 v18, v17 offset:swizzle(BROADCAST,32,15)
	s_waitcnt lgkmcnt(0)
	v_and_b32_e32 v18, v11, v18
	s_delay_alu instid0(VALU_DEP_1) | instskip(SKIP_3) | instid1(VALU_DEP_1)
	v_add_nc_u32_e32 v17, v17, v18
	ds_bpermute_b32 v17, v19, v17
	s_waitcnt lgkmcnt(0)
	v_add_nc_u32_e32 v16, v17, v16
	v_cndmask_b32_e64 v22, v16, v2, s3
	ds_store_b32 v0, v22
	; wave barrier
	ds_load_2addr_b32 v[16:17], v0 offset0:1 offset1:2
	ds_load_2addr_b32 v[18:19], v0 offset0:3 offset1:4
	;; [unrolled: 1-line block ×3, first 2 shown]
	ds_load_b32 v23, v0 offset:28
	s_waitcnt lgkmcnt(3)
	v_add_nc_u32_e32 v16, v16, v22
	s_delay_alu instid0(VALU_DEP_1) | instskip(SKIP_1) | instid1(VALU_DEP_1)
	v_add_nc_u32_e32 v17, v17, v16
	s_waitcnt lgkmcnt(2)
	v_add_nc_u32_e32 v18, v18, v17
	s_delay_alu instid0(VALU_DEP_1) | instskip(SKIP_1) | instid1(VALU_DEP_1)
	v_add_nc_u32_e32 v19, v19, v18
	;; [unrolled: 4-line block ×3, first 2 shown]
	s_waitcnt lgkmcnt(0)
	v_add_nc_u32_e32 v22, v23, v21
	ds_store_2addr_b32 v0, v16, v17 offset0:1 offset1:2
	ds_store_2addr_b32 v0, v18, v19 offset0:3 offset1:4
	;; [unrolled: 1-line block ×3, first 2 shown]
	ds_store_b32 v0, v22 offset:28
.LBB103_34:                             ;   in Loop: Header=BB103_30 Depth=1
	s_or_b32 exec_lo, exec_lo, s17
	v_mov_b32_e32 v17, 0
	s_waitcnt lgkmcnt(0)
	s_barrier
	buffer_gl0_inv
	s_and_saveexec_b32 s17, s2
	s_cbranch_execz .LBB103_36
; %bb.35:                               ;   in Loop: Header=BB103_30 Depth=1
	ds_load_b32 v17, v9
.LBB103_36:                             ;   in Loop: Header=BB103_30 Depth=1
	s_or_b32 exec_lo, exec_lo, s17
	ds_load_b32 v16, v5 offset:1048
	s_mov_b32 s17, exec_lo
	s_waitcnt lgkmcnt(0)
	s_barrier
	buffer_gl0_inv
	v_cmpx_ne_u32_e32 0, v2
	s_cbranch_execz .LBB103_38
; %bb.37:                               ;   in Loop: Header=BB103_30 Depth=1
	v_add_nc_u32_e32 v2, v17, v3
	v_mov_b32_e32 v18, v5
	v_mov_b32_e32 v20, v5
	s_delay_alu instid0(VALU_DEP_3) | instskip(SKIP_2) | instid1(VALU_DEP_3)
	v_mul_lo_u32 v17, v2, s10
	v_mul_lo_u32 v19, v2, s4
	v_mov_b32_e32 v2, v5
	v_lshlrev_b64 v[17:18], 1, v[17:18]
	s_delay_alu instid0(VALU_DEP_3) | instskip(NEXT) | instid1(VALU_DEP_2)
	v_lshlrev_b64 v[19:20], 3, v[19:20]
	v_add_co_u32 v17, vcc_lo, s12, v17
	s_delay_alu instid0(VALU_DEP_3) | instskip(NEXT) | instid1(VALU_DEP_3)
	v_add_co_ci_u32_e32 v18, vcc_lo, s13, v18, vcc_lo
	v_add_co_u32 v19, vcc_lo, s7, v19
	s_delay_alu instid0(VALU_DEP_4)
	v_add_co_ci_u32_e32 v20, vcc_lo, s14, v20, vcc_lo
	global_store_b16 v[17:18], v14, off
	global_store_b64 v[19:20], v[1:2], off
.LBB103_38:                             ;   in Loop: Header=BB103_30 Depth=1
	s_or_b32 exec_lo, exec_lo, s17
	v_cmp_le_u32_e32 vcc_lo, s9, v6
	s_cbranch_vccnz .LBB103_29
; %bb.39:                               ;   in Loop: Header=BB103_30 Depth=1
	ds_store_b32 v7, v15
	s_waitcnt lgkmcnt(0)
	s_waitcnt_vscnt null, 0x0
	s_barrier
	buffer_gl0_inv
	s_and_saveexec_b32 s17, s0
	s_cbranch_execz .LBB103_41
; %bb.40:                               ;   in Loop: Header=BB103_30 Depth=1
	ds_load_2addr_b32 v[17:18], v0 offset1:1
	ds_load_2addr_b32 v[19:20], v0 offset0:2 offset1:3
	ds_load_2addr_b32 v[21:22], v0 offset0:4 offset1:5
	;; [unrolled: 1-line block ×3, first 2 shown]
	v_cmp_ne_u32_e32 vcc_lo, 0, v10
	; wave barrier
	s_waitcnt lgkmcnt(3)
	v_add_nc_u32_e32 v2, v18, v17
	s_waitcnt lgkmcnt(2)
	s_delay_alu instid0(VALU_DEP_1) | instskip(SKIP_1) | instid1(VALU_DEP_1)
	v_add3_u32 v2, v2, v19, v20
	s_waitcnt lgkmcnt(1)
	v_add3_u32 v2, v2, v21, v22
	s_waitcnt lgkmcnt(0)
	s_delay_alu instid0(VALU_DEP_1) | instskip(NEXT) | instid1(VALU_DEP_1)
	v_add3_u32 v2, v2, v23, v24
	v_mov_b32_dpp v18, v2 row_shr:1 row_mask:0xf bank_mask:0xf
	s_delay_alu instid0(VALU_DEP_1) | instskip(SKIP_1) | instid1(VALU_DEP_2)
	v_cndmask_b32_e32 v18, 0, v18, vcc_lo
	v_cmp_lt_u32_e32 vcc_lo, 1, v10
	v_add_nc_u32_e32 v2, v18, v2
	s_delay_alu instid0(VALU_DEP_1) | instskip(NEXT) | instid1(VALU_DEP_1)
	v_mov_b32_dpp v18, v2 row_shr:2 row_mask:0xf bank_mask:0xf
	v_cndmask_b32_e32 v18, 0, v18, vcc_lo
	v_cmp_lt_u32_e32 vcc_lo, 3, v10
	s_delay_alu instid0(VALU_DEP_2) | instskip(NEXT) | instid1(VALU_DEP_1)
	v_add_nc_u32_e32 v2, v2, v18
	v_mov_b32_dpp v18, v2 row_shr:4 row_mask:0xf bank_mask:0xf
	s_delay_alu instid0(VALU_DEP_1) | instskip(SKIP_1) | instid1(VALU_DEP_2)
	v_cndmask_b32_e32 v18, 0, v18, vcc_lo
	v_cmp_lt_u32_e32 vcc_lo, 7, v10
	v_add_nc_u32_e32 v2, v2, v18
	s_delay_alu instid0(VALU_DEP_1) | instskip(NEXT) | instid1(VALU_DEP_1)
	v_mov_b32_dpp v18, v2 row_shr:8 row_mask:0xf bank_mask:0xf
	v_cndmask_b32_e32 v18, 0, v18, vcc_lo
	v_cmp_gt_i32_e32 vcc_lo, 0, v12
	s_delay_alu instid0(VALU_DEP_2) | instskip(SKIP_4) | instid1(VALU_DEP_1)
	v_dual_cndmask_b32 v19, v12, v8 :: v_dual_add_nc_u32 v2, v2, v18
	ds_swizzle_b32 v18, v2 offset:swizzle(BROADCAST,32,15)
	v_lshlrev_b32_e32 v19, 2, v19
	s_waitcnt lgkmcnt(0)
	v_and_b32_e32 v18, v11, v18
	v_add_nc_u32_e32 v2, v2, v18
	ds_bpermute_b32 v2, v19, v2
	s_waitcnt lgkmcnt(0)
	v_add_nc_u32_e32 v2, v2, v17
	s_delay_alu instid0(VALU_DEP_1)
	v_cndmask_b32_e64 v2, v2, v15, s3
	ds_store_b32 v0, v2
	; wave barrier
	ds_load_2addr_b32 v[17:18], v0 offset0:1 offset1:2
	ds_load_2addr_b32 v[19:20], v0 offset0:3 offset1:4
	;; [unrolled: 1-line block ×3, first 2 shown]
	ds_load_b32 v23, v0 offset:28
	s_waitcnt lgkmcnt(3)
	v_add_nc_u32_e32 v2, v17, v2
	s_delay_alu instid0(VALU_DEP_1) | instskip(SKIP_1) | instid1(VALU_DEP_1)
	v_add_nc_u32_e32 v17, v18, v2
	s_waitcnt lgkmcnt(2)
	v_add_nc_u32_e32 v18, v19, v17
	s_delay_alu instid0(VALU_DEP_1) | instskip(SKIP_1) | instid1(VALU_DEP_1)
	v_add_nc_u32_e32 v19, v20, v18
	;; [unrolled: 4-line block ×3, first 2 shown]
	s_waitcnt lgkmcnt(0)
	v_add_nc_u32_e32 v22, v23, v21
	ds_store_2addr_b32 v0, v2, v17 offset0:1 offset1:2
	ds_store_2addr_b32 v0, v18, v19 offset0:3 offset1:4
	;; [unrolled: 1-line block ×3, first 2 shown]
	ds_store_b32 v0, v22 offset:28
.LBB103_41:                             ;   in Loop: Header=BB103_30 Depth=1
	s_or_b32 exec_lo, exec_lo, s17
	v_mov_b32_e32 v2, 0
	s_waitcnt lgkmcnt(0)
	s_barrier
	buffer_gl0_inv
	s_and_saveexec_b32 s17, s2
	s_cbranch_execz .LBB103_43
; %bb.42:                               ;   in Loop: Header=BB103_30 Depth=1
	ds_load_b32 v2, v9
.LBB103_43:                             ;   in Loop: Header=BB103_30 Depth=1
	s_or_b32 exec_lo, exec_lo, s17
	ds_load_b32 v17, v5 offset:1048
	s_mov_b32 s17, exec_lo
	s_waitcnt lgkmcnt(0)
	s_barrier
	buffer_gl0_inv
	v_cmpx_ne_u32_e32 0, v15
	s_cbranch_execz .LBB103_28
; %bb.44:                               ;   in Loop: Header=BB103_30 Depth=1
	v_add_nc_u32_e32 v2, v2, v6
	s_delay_alu instid0(VALU_DEP_1)
	v_cmp_gt_u32_e32 vcc_lo, s9, v2
	s_and_b32 exec_lo, exec_lo, vcc_lo
	s_cbranch_execz .LBB103_28
; %bb.45:                               ;   in Loop: Header=BB103_30 Depth=1
	v_mul_lo_u32 v18, v2, s10
	v_mov_b32_e32 v19, v5
	v_mul_lo_u32 v20, v2, s4
	v_mov_b32_e32 v21, v5
	v_mov_b32_e32 v2, v5
	s_delay_alu instid0(VALU_DEP_4) | instskip(NEXT) | instid1(VALU_DEP_3)
	v_lshlrev_b64 v[18:19], 1, v[18:19]
	v_lshlrev_b64 v[20:21], 3, v[20:21]
	s_delay_alu instid0(VALU_DEP_2) | instskip(NEXT) | instid1(VALU_DEP_3)
	v_add_co_u32 v18, vcc_lo, s12, v18
	v_add_co_ci_u32_e32 v19, vcc_lo, s13, v19, vcc_lo
	s_delay_alu instid0(VALU_DEP_3) | instskip(NEXT) | instid1(VALU_DEP_4)
	v_add_co_u32 v20, vcc_lo, s7, v20
	v_add_co_ci_u32_e32 v21, vcc_lo, s14, v21, vcc_lo
	global_store_b16 v[18:19], v14, off
	global_store_b64 v[20:21], v[1:2], off
	s_branch .LBB103_28
	.p2align	6
.LBB103_46:                             ;   in Loop: Header=BB103_47 Depth=1
	s_add_u32 s12, s12, 4
	s_addc_u32 s13, s13, 0
	s_waitcnt lgkmcnt(0)
	s_add_i32 s39, s9, s39
	s_add_u32 s14, s14, 4
	s_addc_u32 s15, s15, 0
	s_add_i32 s8, s8, 1
	s_delay_alu instid0(SALU_CYCLE_1)
	s_cmp_lt_u32 s8, s6
	s_cbranch_scc0 .LBB103_25
.LBB103_47:                             ; =>This Inner Loop Header: Depth=1
	s_load_b32 s9, s[12:13], 0x0
	s_cmp_ge_u32 s8, s7
	s_cbranch_scc1 .LBB103_46
; %bb.48:                               ;   in Loop: Header=BB103_47 Depth=1
	s_load_b32 s10, s[14:15], 0x0
	s_waitcnt lgkmcnt(0)
	s_add_i32 s19, s9, s19
	s_add_i32 s38, s10, s38
	s_branch .LBB103_46
.LBB103_49:
	s_nop 0
	s_sendmsg sendmsg(MSG_DEALLOC_VGPRS)
	s_endpgm
	.section	.rodata,"a",@progbits
	.p2align	6, 0x0
	.amdhsa_kernel _ZN2at6native6mbtopk10gatherTopKIN3c104HalfEjLin1EEEvNS_4cuda6detail10TensorInfoIKT_T0_EESA_SA_bjSA_NS7_IS8_SA_EESA_NS7_IlSA_EESA_jjPS8_PjSF_j
		.amdhsa_group_segment_fixed_size 1068
		.amdhsa_private_segment_fixed_size 0
		.amdhsa_kernarg_size 984
		.amdhsa_user_sgpr_count 13
		.amdhsa_user_sgpr_dispatch_ptr 0
		.amdhsa_user_sgpr_queue_ptr 0
		.amdhsa_user_sgpr_kernarg_segment_ptr 1
		.amdhsa_user_sgpr_dispatch_id 0
		.amdhsa_user_sgpr_private_segment_size 0
		.amdhsa_wavefront_size32 1
		.amdhsa_uses_dynamic_stack 0
		.amdhsa_enable_private_segment 0
		.amdhsa_system_sgpr_workgroup_id_x 1
		.amdhsa_system_sgpr_workgroup_id_y 1
		.amdhsa_system_sgpr_workgroup_id_z 1
		.amdhsa_system_sgpr_workgroup_info 0
		.amdhsa_system_vgpr_workitem_id 0
		.amdhsa_next_free_vgpr 25
		.amdhsa_next_free_sgpr 43
		.amdhsa_reserve_vcc 1
		.amdhsa_float_round_mode_32 0
		.amdhsa_float_round_mode_16_64 0
		.amdhsa_float_denorm_mode_32 3
		.amdhsa_float_denorm_mode_16_64 3
		.amdhsa_dx10_clamp 1
		.amdhsa_ieee_mode 1
		.amdhsa_fp16_overflow 0
		.amdhsa_workgroup_processor_mode 1
		.amdhsa_memory_ordered 1
		.amdhsa_forward_progress 0
		.amdhsa_shared_vgpr_count 0
		.amdhsa_exception_fp_ieee_invalid_op 0
		.amdhsa_exception_fp_denorm_src 0
		.amdhsa_exception_fp_ieee_div_zero 0
		.amdhsa_exception_fp_ieee_overflow 0
		.amdhsa_exception_fp_ieee_underflow 0
		.amdhsa_exception_fp_ieee_inexact 0
		.amdhsa_exception_int_div_zero 0
	.end_amdhsa_kernel
	.section	.text._ZN2at6native6mbtopk10gatherTopKIN3c104HalfEjLin1EEEvNS_4cuda6detail10TensorInfoIKT_T0_EESA_SA_bjSA_NS7_IS8_SA_EESA_NS7_IlSA_EESA_jjPS8_PjSF_j,"axG",@progbits,_ZN2at6native6mbtopk10gatherTopKIN3c104HalfEjLin1EEEvNS_4cuda6detail10TensorInfoIKT_T0_EESA_SA_bjSA_NS7_IS8_SA_EESA_NS7_IlSA_EESA_jjPS8_PjSF_j,comdat
.Lfunc_end103:
	.size	_ZN2at6native6mbtopk10gatherTopKIN3c104HalfEjLin1EEEvNS_4cuda6detail10TensorInfoIKT_T0_EESA_SA_bjSA_NS7_IS8_SA_EESA_NS7_IlSA_EESA_jjPS8_PjSF_j, .Lfunc_end103-_ZN2at6native6mbtopk10gatherTopKIN3c104HalfEjLin1EEEvNS_4cuda6detail10TensorInfoIKT_T0_EESA_SA_bjSA_NS7_IS8_SA_EESA_NS7_IlSA_EESA_jjPS8_PjSF_j
                                        ; -- End function
	.section	.AMDGPU.csdata,"",@progbits
; Kernel info:
; codeLenInByte = 3380
; NumSgprs: 45
; NumVgprs: 25
; ScratchSize: 0
; MemoryBound: 0
; FloatMode: 240
; IeeeMode: 1
; LDSByteSize: 1068 bytes/workgroup (compile time only)
; SGPRBlocks: 5
; VGPRBlocks: 3
; NumSGPRsForWavesPerEU: 45
; NumVGPRsForWavesPerEU: 25
; Occupancy: 16
; WaveLimiterHint : 1
; COMPUTE_PGM_RSRC2:SCRATCH_EN: 0
; COMPUTE_PGM_RSRC2:USER_SGPR: 13
; COMPUTE_PGM_RSRC2:TRAP_HANDLER: 0
; COMPUTE_PGM_RSRC2:TGID_X_EN: 1
; COMPUTE_PGM_RSRC2:TGID_Y_EN: 1
; COMPUTE_PGM_RSRC2:TGID_Z_EN: 1
; COMPUTE_PGM_RSRC2:TIDIG_COMP_CNT: 0
	.section	.text._ZN2at6native6sbtopk10gatherTopKIN3c104HalfEjLin1ELb0EEEvNS_4cuda6detail10TensorInfoIKT_T0_EESA_SA_bSA_SA_NS7_IS8_SA_EESA_NS7_IlSA_EESA_PS8_,"axG",@progbits,_ZN2at6native6sbtopk10gatherTopKIN3c104HalfEjLin1ELb0EEEvNS_4cuda6detail10TensorInfoIKT_T0_EESA_SA_bSA_SA_NS7_IS8_SA_EESA_NS7_IlSA_EESA_PS8_,comdat
	.protected	_ZN2at6native6sbtopk10gatherTopKIN3c104HalfEjLin1ELb0EEEvNS_4cuda6detail10TensorInfoIKT_T0_EESA_SA_bSA_SA_NS7_IS8_SA_EESA_NS7_IlSA_EESA_PS8_ ; -- Begin function _ZN2at6native6sbtopk10gatherTopKIN3c104HalfEjLin1ELb0EEEvNS_4cuda6detail10TensorInfoIKT_T0_EESA_SA_bSA_SA_NS7_IS8_SA_EESA_NS7_IlSA_EESA_PS8_
	.globl	_ZN2at6native6sbtopk10gatherTopKIN3c104HalfEjLin1ELb0EEEvNS_4cuda6detail10TensorInfoIKT_T0_EESA_SA_bSA_SA_NS7_IS8_SA_EESA_NS7_IlSA_EESA_PS8_
	.p2align	8
	.type	_ZN2at6native6sbtopk10gatherTopKIN3c104HalfEjLin1ELb0EEEvNS_4cuda6detail10TensorInfoIKT_T0_EESA_SA_bSA_SA_NS7_IS8_SA_EESA_NS7_IlSA_EESA_PS8_,@function
_ZN2at6native6sbtopk10gatherTopKIN3c104HalfEjLin1ELb0EEEvNS_4cuda6detail10TensorInfoIKT_T0_EESA_SA_bSA_SA_NS7_IS8_SA_EESA_NS7_IlSA_EESA_PS8_: ; @_ZN2at6native6sbtopk10gatherTopKIN3c104HalfEjLin1ELb0EEEvNS_4cuda6detail10TensorInfoIKT_T0_EESA_SA_bSA_SA_NS7_IS8_SA_EESA_NS7_IlSA_EESA_PS8_
; %bb.0:
	s_clause 0x1
	s_load_b64 s[4:5], s[0:1], 0x2b8
	s_load_b128 s[24:27], s[0:1], 0xd8
	s_add_u32 s6, s0, 0x2b8
	s_addc_u32 s7, s1, 0
	s_waitcnt lgkmcnt(0)
	s_mul_i32 s2, s5, s15
	s_delay_alu instid0(SALU_CYCLE_1) | instskip(NEXT) | instid1(SALU_CYCLE_1)
	s_add_i32 s2, s2, s14
	s_mul_i32 s2, s2, s4
	s_delay_alu instid0(SALU_CYCLE_1) | instskip(NEXT) | instid1(SALU_CYCLE_1)
	s_add_i32 s42, s2, s13
	s_cmp_ge_u32 s42, s27
	s_cbranch_scc1 .LBB104_474
; %bb.1:
	s_clause 0x1
	s_load_b32 s5, s[0:1], 0xd0
	s_load_b32 s28, s[0:1], 0xe8
	s_mov_b32 s3, 0
	s_mov_b32 s2, s42
	s_waitcnt lgkmcnt(0)
	s_cmp_lt_i32 s5, 2
	s_cbranch_scc1 .LBB104_4
; %bb.2:
	s_add_i32 s2, s5, -1
	s_add_i32 s5, s5, 1
	s_lshl_b64 s[8:9], s[2:3], 2
	s_delay_alu instid0(SALU_CYCLE_1)
	s_add_u32 s2, s8, s0
	s_addc_u32 s9, s9, s1
	s_add_u32 s8, s2, 8
	s_addc_u32 s9, s9, 0
	s_mov_b32 s2, s42
	s_set_inst_prefetch_distance 0x1
	.p2align	6
.LBB104_3:                              ; =>This Inner Loop Header: Depth=1
	s_clause 0x1
	s_load_b32 s10, s[8:9], 0x0
	s_load_b32 s11, s[8:9], 0x64
	s_mov_b32 s15, s2
	s_waitcnt lgkmcnt(0)
	v_cvt_f32_u32_e32 v1, s10
	s_sub_i32 s14, 0, s10
	s_waitcnt_depctr 0xfff
	v_rcp_iflag_f32_e32 v1, v1
	s_waitcnt_depctr 0xfff
	v_mul_f32_e32 v1, 0x4f7ffffe, v1
	s_delay_alu instid0(VALU_DEP_1) | instskip(NEXT) | instid1(VALU_DEP_1)
	v_cvt_u32_f32_e32 v1, v1
	v_readfirstlane_b32 s12, v1
	s_delay_alu instid0(VALU_DEP_1) | instskip(NEXT) | instid1(SALU_CYCLE_1)
	s_mul_i32 s14, s14, s12
	s_mul_hi_u32 s14, s12, s14
	s_delay_alu instid0(SALU_CYCLE_1) | instskip(NEXT) | instid1(SALU_CYCLE_1)
	s_add_i32 s12, s12, s14
	s_mul_hi_u32 s2, s2, s12
	s_delay_alu instid0(SALU_CYCLE_1) | instskip(SKIP_2) | instid1(SALU_CYCLE_1)
	s_mul_i32 s12, s2, s10
	s_add_i32 s14, s2, 1
	s_sub_i32 s12, s15, s12
	s_sub_i32 s16, s12, s10
	s_cmp_ge_u32 s12, s10
	s_cselect_b32 s2, s14, s2
	s_cselect_b32 s12, s16, s12
	s_add_i32 s14, s2, 1
	s_cmp_ge_u32 s12, s10
	s_cselect_b32 s2, s14, s2
	s_add_i32 s5, s5, -1
	s_mul_i32 s10, s2, s10
	s_delay_alu instid0(SALU_CYCLE_1) | instskip(NEXT) | instid1(SALU_CYCLE_1)
	s_sub_i32 s10, s15, s10
	s_mul_i32 s10, s11, s10
	s_delay_alu instid0(SALU_CYCLE_1)
	s_add_i32 s3, s10, s3
	s_add_u32 s8, s8, -4
	s_addc_u32 s9, s9, -1
	s_cmp_gt_u32 s5, 2
	s_cbranch_scc1 .LBB104_3
.LBB104_4:
	s_set_inst_prefetch_distance 0x2
	s_load_b32 s5, s[0:1], 0x1c0
	s_add_u32 s8, s0, 0xf0
	s_addc_u32 s9, s1, 0
	s_mov_b32 s31, 0
	s_mov_b32 s43, s42
	s_waitcnt lgkmcnt(0)
	s_cmp_lt_i32 s5, 2
	s_cbranch_scc1 .LBB104_7
; %bb.5:
	s_add_i32 s30, s5, -1
	s_add_i32 s5, s5, 1
	s_lshl_b64 s[10:11], s[30:31], 2
	s_mov_b32 s43, s42
	s_add_u32 s10, s10, s8
	s_addc_u32 s11, s11, s9
	s_add_u32 s10, s10, 8
	s_addc_u32 s11, s11, 0
	s_set_inst_prefetch_distance 0x1
	.p2align	6
.LBB104_6:                              ; =>This Inner Loop Header: Depth=1
	s_clause 0x1
	s_load_b32 s12, s[10:11], 0x0
	s_load_b32 s14, s[10:11], 0x64
	s_mov_b32 s17, s43
	s_waitcnt lgkmcnt(0)
	v_cvt_f32_u32_e32 v1, s12
	s_sub_i32 s16, 0, s12
	s_waitcnt_depctr 0xfff
	v_rcp_iflag_f32_e32 v1, v1
	s_waitcnt_depctr 0xfff
	v_mul_f32_e32 v1, 0x4f7ffffe, v1
	s_delay_alu instid0(VALU_DEP_1) | instskip(NEXT) | instid1(VALU_DEP_1)
	v_cvt_u32_f32_e32 v1, v1
	v_readfirstlane_b32 s15, v1
	s_delay_alu instid0(VALU_DEP_1) | instskip(NEXT) | instid1(SALU_CYCLE_1)
	s_mul_i32 s16, s16, s15
	s_mul_hi_u32 s16, s15, s16
	s_delay_alu instid0(SALU_CYCLE_1) | instskip(NEXT) | instid1(SALU_CYCLE_1)
	s_add_i32 s15, s15, s16
	s_mul_hi_u32 s15, s43, s15
	s_delay_alu instid0(SALU_CYCLE_1) | instskip(SKIP_2) | instid1(SALU_CYCLE_1)
	s_mul_i32 s16, s15, s12
	s_add_i32 s18, s15, 1
	s_sub_i32 s16, s43, s16
	s_sub_i32 s19, s16, s12
	s_cmp_ge_u32 s16, s12
	s_cselect_b32 s15, s18, s15
	s_cselect_b32 s16, s19, s16
	s_add_i32 s18, s15, 1
	s_cmp_ge_u32 s16, s12
	s_cselect_b32 s43, s18, s15
	s_add_i32 s5, s5, -1
	s_mul_i32 s12, s43, s12
	s_delay_alu instid0(SALU_CYCLE_1) | instskip(NEXT) | instid1(SALU_CYCLE_1)
	s_sub_i32 s12, s17, s12
	s_mul_i32 s12, s14, s12
	s_delay_alu instid0(SALU_CYCLE_1)
	s_add_i32 s31, s12, s31
	s_add_u32 s10, s10, -4
	s_addc_u32 s11, s11, -1
	s_cmp_gt_u32 s5, 2
	s_cbranch_scc1 .LBB104_6
.LBB104_7:
	s_set_inst_prefetch_distance 0x2
	s_clause 0x1
	s_load_b32 s12, s[0:1], 0x6c
	s_load_b32 s5, s[0:1], 0x2a0
	s_add_u32 s10, s0, 0x1d0
	s_addc_u32 s11, s1, 0
	s_mov_b32 s35, 0
	s_waitcnt lgkmcnt(0)
	s_cmp_lt_i32 s5, 2
	s_cbranch_scc1 .LBB104_10
; %bb.8:
	s_add_i32 s34, s5, -1
	s_add_i32 s5, s5, 1
	s_lshl_b64 s[14:15], s[34:35], 2
	s_delay_alu instid0(SALU_CYCLE_1)
	s_add_u32 s10, s14, s10
	s_addc_u32 s11, s15, s11
	s_add_u32 s10, s10, 8
	s_addc_u32 s11, s11, 0
	s_set_inst_prefetch_distance 0x1
	.p2align	6
.LBB104_9:                              ; =>This Inner Loop Header: Depth=1
	s_clause 0x1
	s_load_b32 s14, s[10:11], 0x0
	s_load_b32 s15, s[10:11], 0x64
	s_mov_b32 s18, s42
	s_waitcnt lgkmcnt(0)
	v_cvt_f32_u32_e32 v1, s14
	s_sub_i32 s17, 0, s14
	s_waitcnt_depctr 0xfff
	v_rcp_iflag_f32_e32 v1, v1
	s_waitcnt_depctr 0xfff
	v_mul_f32_e32 v1, 0x4f7ffffe, v1
	s_delay_alu instid0(VALU_DEP_1) | instskip(NEXT) | instid1(VALU_DEP_1)
	v_cvt_u32_f32_e32 v1, v1
	v_readfirstlane_b32 s16, v1
	s_delay_alu instid0(VALU_DEP_1) | instskip(NEXT) | instid1(SALU_CYCLE_1)
	s_mul_i32 s17, s17, s16
	s_mul_hi_u32 s17, s16, s17
	s_delay_alu instid0(SALU_CYCLE_1) | instskip(NEXT) | instid1(SALU_CYCLE_1)
	s_add_i32 s16, s16, s17
	s_mul_hi_u32 s16, s42, s16
	s_delay_alu instid0(SALU_CYCLE_1) | instskip(SKIP_2) | instid1(SALU_CYCLE_1)
	s_mul_i32 s17, s16, s14
	s_add_i32 s19, s16, 1
	s_sub_i32 s17, s42, s17
	s_sub_i32 s20, s17, s14
	s_cmp_ge_u32 s17, s14
	s_cselect_b32 s16, s19, s16
	s_cselect_b32 s17, s20, s17
	s_add_i32 s19, s16, 1
	s_cmp_ge_u32 s17, s14
	s_cselect_b32 s42, s19, s16
	s_add_i32 s5, s5, -1
	s_mul_i32 s14, s42, s14
	s_delay_alu instid0(SALU_CYCLE_1) | instskip(NEXT) | instid1(SALU_CYCLE_1)
	s_sub_i32 s14, s18, s14
	s_mul_i32 s14, s15, s14
	s_delay_alu instid0(SALU_CYCLE_1)
	s_add_i32 s35, s14, s35
	s_add_u32 s10, s10, -4
	s_addc_u32 s11, s11, -1
	s_cmp_gt_u32 s5, 2
	s_cbranch_scc1 .LBB104_9
.LBB104_10:
	s_set_inst_prefetch_distance 0x2
	s_clause 0x3
	s_load_b32 s44, s[8:9], 0x6c
	s_load_b64 s[8:9], s[0:1], 0x0
	s_load_b64 s[38:39], s[0:1], 0xf0
	;; [unrolled: 1-line block ×3, first 2 shown]
	v_cmp_eq_u32_e64 s5, 0, v0
	s_mov_b32 s41, 0
	s_delay_alu instid0(VALU_DEP_1)
	s_and_saveexec_b32 s10, s5
	s_cbranch_execz .LBB104_12
; %bb.11:
	v_dual_mov_b32 v1, 0 :: v_dual_mov_b32 v2, s24
	s_delay_alu instid0(VALU_DEP_1)
	v_mov_b32_e32 v3, v1
	ds_store_b96 v1, v[1:3] offset:4096
.LBB104_12:
	s_or_b32 exec_lo, exec_lo, s10
	s_waitcnt lgkmcnt(0)
	s_barrier
	buffer_gl0_inv
	s_load_b32 s14, s[6:7], 0xc
	s_mul_i32 s2, s12, s2
	v_mbcnt_lo_u32_b32 v15, -1, 0
	s_add_i32 s40, s2, s3
	v_cmp_gt_u32_e32 vcc_lo, 32, v0
	s_lshl_b64 s[10:11], s[40:41], 1
	v_mul_lo_u32 v7, v0, s28
	s_add_u32 s29, s8, s10
	s_addc_u32 s30, s9, s11
	s_bitcmp1_b32 s26, 0
	v_cmp_gt_i32_e64 s2, 4, v15
	s_cselect_b32 s3, -1, 0
	s_load_b32 s40, s[0:1], 0x23c
	s_xor_b32 s46, s3, -1
	v_lshlrev_b32_e32 v22, 2, v7
	s_and_b32 s45, vcc_lo, s2
	v_lshlrev_b32_e32 v24, 3, v0
	v_lshl_or_b32 v25, v15, 2, 0xc00
	v_mov_b32_e32 v26, 0x8000
	v_mov_b32_e32 v28, 0
	s_waitcnt lgkmcnt(0)
	s_and_b32 s33, s14, 0xffff
	s_bfe_u32 s2, s14, 0xb0005
	s_lshl_b32 s47, s33, 2
	s_cmpk_gt_u32 s24, 0x600
	v_cvt_f32_u32_e32 v1, s47
	s_cselect_b32 s48, -1, 0
	s_cmp_gt_u32 s33, 31
	v_cvt_f32_u32_e32 v2, s33
	s_cselect_b32 s49, -1, 0
	v_rcp_iflag_f32_e32 v1, v1
	s_add_i32 s50, s33, -1
	v_lshlrev_b32_e32 v16, 2, v0
	s_add_i32 s9, s50, s24
	s_cmp_lt_u32 s13, s4
	v_rcp_iflag_f32_e32 v2, v2
	s_cselect_b32 s4, 12, 18
	v_mov_b32_e32 v9, 0
	s_add_u32 s26, s6, s4
	s_addc_u32 s27, s7, 0
	s_waitcnt_depctr 0xfff
	v_mul_f32_e32 v1, 0x4f7ffffe, v1
	s_add_i32 s4, s2, -1
	s_bfe_u32 s51, s33, 0x30005
	s_cmp_gt_u32 s4, 6
	v_mad_u64_u32 v[12:13], null, s28, v16, s[28:29]
	v_mul_f32_e32 v2, 0x4f7ffffe, v2
	v_cvt_u32_f32_e32 v1, v1
	s_cselect_b32 s52, -1, 0
	s_and_b32 s53, s2, 0x7f8
	s_cmp_lg_u32 s51, 0
	v_cvt_u32_f32_e32 v2, v2
	v_readfirstlane_b32 s2, v1
	s_cselect_b32 s54, -1, 0
	s_sub_i32 s6, 0, s47
	v_lshrrev_b32_e32 v1, 3, v0
	v_dual_mov_b32 v8, v9 :: v_dual_lshlrev_b32 v17, 1, v0
	s_mul_i32 s6, s6, s2
	v_cmp_gt_u32_e64 s4, s24, v0
	s_mul_hi_u32 s7, s2, s6
	v_dual_mov_b32 v29, 0 :: v_dual_and_b32 v18, 0x7c, v1
	s_add_i32 s55, s2, s7
	v_cmp_gt_u32_e64 s6, 2, v0
	s_mul_hi_u32 s2, s24, s55
	v_dual_mov_b32 v30, s25 :: v_dual_add_nc_u32 v19, 0xc00, v17
	s_mul_i32 s7, s2, s47
	v_cmp_eq_u32_e64 s2, 0, v15
	s_sub_i32 s7, s24, s7
	s_mul_i32 s34, s28, s33
	s_sub_i32 s8, s7, s47
	s_cmp_ge_u32 s7, s47
	s_mov_b32 s68, 14
	s_cselect_b32 s7, s8, s7
	v_readfirstlane_b32 s8, v2
	s_sub_i32 s10, s7, s47
	s_cmp_ge_u32 s7, s47
	v_lshlrev_b64 v[1:2], v15, -1
	s_cselect_b32 s10, s10, s7
	v_lshlrev_b64 v[2:3], 1, v[7:8]
	s_sub_i32 s56, s24, s10
	s_delay_alu instid0(SALU_CYCLE_1)
	v_dual_mov_b32 v27, 0 :: v_dual_add_nc_u32 v20, s56, v0
	s_sub_i32 s7, 0, s33
	v_not_b32_e32 v14, v1
	s_mul_i32 s7, s7, s8
	v_add_co_u32 v5, vcc_lo, s29, v2
	v_mul_lo_u32 v8, v20, s28
	s_mul_hi_u32 s7, s8, s7
	v_add_co_ci_u32_e32 v6, vcc_lo, s30, v3, vcc_lo
	s_add_i32 s57, s8, s7
	v_or_b32_e32 v3, 3, v16
	s_mul_hi_u32 s7, s9, s57
	s_movk_i32 s63, 0x3c00
	s_delay_alu instid0(VALU_DEP_3)
	v_lshlrev_b64 v[1:2], 1, v[8:9]
	s_mul_i32 s7, s7, s33
	v_mul_lo_u32 v21, s28, v3
	s_sub_i32 s7, s9, s7
	s_mov_b32 s64, 0
	s_sub_i32 s8, s7, s33
	v_add_co_u32 v10, vcc_lo, s29, v1
	v_add3_u32 v1, s33, s24, v0
	s_cmp_ge_u32 s7, s33
	v_add_co_ci_u32_e32 v11, vcc_lo, s30, v2, vcc_lo
	s_cselect_b32 s8, s8, s7
	v_or_b32_e32 v2, 2, v16
	v_subrev_nc_u32_e32 v1, s10, v1
	s_sub_i32 s11, s8, s33
	s_cmp_ge_u32 s8, s33
	v_cmp_gt_u32_e64 s7, s56, v16
	s_cselect_b32 s11, s11, s8
	v_mul_lo_u32 v13, s28, v2
	v_mul_lo_u32 v23, s28, v1
	s_sub_i32 s58, s9, s11
	v_cmp_gt_u32_e64 s8, s24, v20
	v_cmp_gt_u32_e64 s9, s58, v0
	s_lshl_b32 s59, s34, 2
	s_lshl_b32 s60, s33, 3
	;; [unrolled: 1-line block ×3, first 2 shown]
                                        ; implicit-def: $sgpr62
                                        ; implicit-def: $sgpr67
                                        ; implicit-def: $sgpr66
                                        ; implicit-def: $sgpr69
                                        ; implicit-def: $sgpr65
                                        ; implicit-def: $sgpr70
                                        ; implicit-def: $sgpr72
                                        ; implicit-def: $sgpr71
                                        ; implicit-def: $sgpr73
                                        ; implicit-def: $sgpr74
	s_branch .LBB104_15
.LBB104_13:                             ;   in Loop: Header=BB104_15 Depth=1
	s_or_b32 exec_lo, exec_lo, s13
	v_dual_mov_b32 v27, v2 :: v_dual_mov_b32 v28, v1
	v_dual_mov_b32 v30, v4 :: v_dual_mov_b32 v29, v3
	s_and_not1_b32 s13, s74, exec_lo
	s_and_b32 s12, s12, exec_lo
	s_and_not1_b32 s73, s73, exec_lo
	s_or_b32 s74, s13, s12
	s_and_not1_b32 s71, s71, exec_lo
	s_and_not1_b32 s72, s72, exec_lo
	;; [unrolled: 1-line block ×3, first 2 shown]
	s_or_not1_b32 s12, s11, exec_lo
.LBB104_14:                             ;   in Loop: Header=BB104_15 Depth=1
	s_or_b32 exec_lo, exec_lo, s10
	s_delay_alu instid0(SALU_CYCLE_1) | instskip(NEXT) | instid1(SALU_CYCLE_1)
	s_and_b32 s10, exec_lo, s12
	s_or_b32 s41, s10, s41
	s_and_not1_b32 s10, s65, exec_lo
	s_and_b32 s11, s74, exec_lo
	s_and_not1_b32 s12, s69, exec_lo
	s_or_b32 s65, s10, s11
	s_and_b32 s10, s73, exec_lo
	s_and_not1_b32 s11, s66, exec_lo
	s_and_b32 s13, s71, exec_lo
	s_or_b32 s69, s12, s10
	s_or_b32 s66, s11, s13
	s_and_not1_b32 s10, s67, exec_lo
	s_and_b32 s11, s72, exec_lo
	s_and_not1_b32 s12, s62, exec_lo
	s_and_b32 s13, s70, exec_lo
	s_or_b32 s67, s10, s11
	s_or_b32 s62, s12, s13
	s_and_not1_b32 exec_lo, exec_lo, s41
	s_cbranch_execz .LBB104_412
.LBB104_15:                             ; =>This Loop Header: Depth=1
                                        ;     Child Loop BB104_20 Depth 2
                                        ;     Child Loop BB104_35 Depth 2
	;; [unrolled: 1-line block ×24, first 2 shown]
	ds_load_b64 v[1:2], v9 offset:4096
	s_waitcnt lgkmcnt(0)
	v_readfirstlane_b32 s75, v1
	s_delay_alu instid0(VALU_DEP_1)
	s_cmp_lg_u32 s75, 0
	s_cbranch_scc1 .LBB104_42
; %bb.16:                               ;   in Loop: Header=BB104_15 Depth=1
	s_and_b32 vcc_lo, exec_lo, s48
	s_cbranch_vccz .LBB104_28
; %bb.17:                               ;   in Loop: Header=BB104_15 Depth=1
	v_cmp_gt_u32_e32 vcc_lo, 0x601, v2
	s_mov_b32 s75, 0
	s_mov_b32 s10, 0
	s_cbranch_vccz .LBB104_29
; %bb.18:                               ;   in Loop: Header=BB104_15 Depth=1
	global_load_u16 v1, v9, s[26:27]
	global_load_u16 v4, v[5:6], off
	v_mov_b32_e32 v3, v0
	s_mov_b32 s12, 0
	s_waitcnt vmcnt(1)
	v_add_nc_u32_e32 v2, v0, v1
	s_delay_alu instid0(VALU_DEP_1)
	v_mul_lo_u32 v8, s28, v2
	v_mul_lo_u32 v2, s28, v1
	s_branch .LBB104_20
.LBB104_19:                             ;   in Loop: Header=BB104_20 Depth=2
	s_or_b32 exec_lo, exec_lo, s11
	v_add_nc_u32_e32 v8, v8, v2
	v_mov_b32_e32 v4, v31
	s_and_not1_b32 exec_lo, exec_lo, s12
	s_cbranch_execz .LBB104_93
.LBB104_20:                             ;   Parent Loop BB104_15 Depth=1
                                        ; =>  This Inner Loop Header: Depth=2
	s_waitcnt lgkmcnt(0)
	v_dual_mov_b32 v32, 0 :: v_dual_add_nc_u32 v3, v3, v1
	v_mov_b32_e32 v31, 0
	s_mov_b32 s11, exec_lo
	s_delay_alu instid0(VALU_DEP_2)
	v_cmp_le_u32_e32 vcc_lo, s24, v3
	v_cmpx_gt_u32_e64 s24, v3
	s_cbranch_execz .LBB104_22
; %bb.21:                               ;   in Loop: Header=BB104_20 Depth=2
	v_lshlrev_b64 v[33:34], 1, v[8:9]
	s_delay_alu instid0(VALU_DEP_1) | instskip(NEXT) | instid1(VALU_DEP_1)
	v_add_co_u32 v33, s10, s29, v33
	v_add_co_ci_u32_e64 v34, s10, s30, v34, s10
	global_load_u16 v31, v[33:34], off
.LBB104_22:                             ;   in Loop: Header=BB104_20 Depth=2
	s_or_b32 exec_lo, exec_lo, s11
	s_waitcnt vmcnt(0)
	v_cmp_lt_i16_e64 s10, -1, v4
	v_and_b32_e32 v33, 0xffff, v4
	s_delay_alu instid0(VALU_DEP_2) | instskip(SKIP_1) | instid1(VALU_DEP_2)
	v_cndmask_b32_e64 v34, 0xffff, v26, s10
	v_cmp_o_f16_e64 s10, v4, v4
	v_xor_b32_e32 v33, v34, v33
	s_delay_alu instid0(VALU_DEP_1) | instskip(NEXT) | instid1(VALU_DEP_1)
	v_cndmask_b32_e64 v33, 0xffff, v33, s10
	v_and_b32_e32 v33, v33, v27
	s_delay_alu instid0(VALU_DEP_1) | instskip(NEXT) | instid1(VALU_DEP_1)
	v_cmp_eq_u32_e64 s10, v33, v28
	s_cmp_lg_u32 s10, 0
	s_cselect_b32 s11, -1, 0
	s_delay_alu instid0(SALU_CYCLE_1) | instskip(NEXT) | instid1(SALU_CYCLE_1)
	s_and_b32 s11, s2, s11
	s_and_saveexec_b32 s13, s11
	s_cbranch_execz .LBB104_26
; %bb.23:                               ;   in Loop: Header=BB104_20 Depth=2
	s_mov_b32 s16, exec_lo
	s_bcnt1_i32_b32 s14, s10
	v_mbcnt_lo_u32_b32 v32, s16, 0
	s_mov_b32 s15, exec_lo
                                        ; implicit-def: $vgpr33
	s_delay_alu instid0(VALU_DEP_1)
	v_cmpx_eq_u32_e32 0, v32
	s_cbranch_execz .LBB104_25
; %bb.24:                               ;   in Loop: Header=BB104_20 Depth=2
	s_bcnt1_i32_b32 s11, s16
	s_delay_alu instid0(SALU_CYCLE_1) | instskip(NEXT) | instid1(SALU_CYCLE_1)
	s_mul_i32 s11, s14, s11
	v_mov_b32_e32 v33, s11
	ds_add_rtn_u32 v33, v9, v33 offset:4104
.LBB104_25:                             ;   in Loop: Header=BB104_20 Depth=2
	s_or_b32 exec_lo, exec_lo, s15
	s_waitcnt lgkmcnt(0)
	v_readfirstlane_b32 s11, v33
	s_delay_alu instid0(VALU_DEP_1)
	v_mad_u32_u24 v32, s14, v32, s11
.LBB104_26:                             ;   in Loop: Header=BB104_20 Depth=2
	s_or_b32 exec_lo, exec_lo, s13
	ds_bpermute_b32 v32, v9, v32
	s_and_b32 s11, exec_lo, vcc_lo
	s_delay_alu instid0(SALU_CYCLE_1)
	s_or_b32 s12, s11, s12
	s_and_saveexec_b32 s11, s10
	s_cbranch_execz .LBB104_19
; %bb.27:                               ;   in Loop: Header=BB104_20 Depth=2
	v_and_b32_e32 v33, s10, v14
	s_delay_alu instid0(VALU_DEP_1) | instskip(NEXT) | instid1(VALU_DEP_1)
	v_bcnt_u32_b32 v33, v33, 0
	v_lshlrev_b32_e32 v33, 1, v33
	s_waitcnt lgkmcnt(0)
	s_delay_alu instid0(VALU_DEP_1)
	v_lshl_add_u32 v32, v32, 1, v33
	ds_store_b16 v32, v4
	s_branch .LBB104_19
.LBB104_28:                             ;   in Loop: Header=BB104_15 Depth=1
	s_mov_b32 s75, -1
	s_mov_b32 s10, 0
.LBB104_29:                             ;   in Loop: Header=BB104_15 Depth=1
	s_and_b32 vcc_lo, exec_lo, s75
	s_cbranch_vccz .LBB104_40
.LBB104_30:                             ;   in Loop: Header=BB104_15 Depth=1
	v_mov_b32_e32 v1, 0
	s_and_saveexec_b32 s10, s4
	s_cbranch_execz .LBB104_32
; %bb.31:                               ;   in Loop: Header=BB104_15 Depth=1
	global_load_u16 v1, v[5:6], off
.LBB104_32:                             ;   in Loop: Header=BB104_15 Depth=1
	s_or_b32 exec_lo, exec_lo, s10
	s_and_saveexec_b32 s11, s4
	s_cbranch_execz .LBB104_37
; %bb.33:                               ;   in Loop: Header=BB104_15 Depth=1
	global_load_u16 v2, v9, s[26:27]
	v_mov_b32_e32 v32, v0
	s_mov_b32 s12, 0
	v_mov_b32_e32 v31, v17
	s_waitcnt vmcnt(0)
	v_add_nc_u32_e32 v3, v0, v2
	v_lshlrev_b32_e32 v4, 1, v2
	s_delay_alu instid0(VALU_DEP_2)
	v_mul_lo_u32 v8, s28, v3
	v_mul_lo_u32 v3, s28, v2
	s_set_inst_prefetch_distance 0x1
	s_branch .LBB104_35
	.p2align	6
.LBB104_34:                             ;   in Loop: Header=BB104_35 Depth=2
	s_or_b32 exec_lo, exec_lo, s13
	ds_store_b16 v31, v1
	v_add_nc_u32_e32 v31, v31, v4
	s_waitcnt vmcnt(0)
	v_dual_mov_b32 v1, v33 :: v_dual_add_nc_u32 v8, v8, v3
	s_and_b32 s10, exec_lo, vcc_lo
	s_delay_alu instid0(SALU_CYCLE_1) | instskip(NEXT) | instid1(SALU_CYCLE_1)
	s_or_b32 s12, s10, s12
	s_and_not1_b32 exec_lo, exec_lo, s12
	s_cbranch_execz .LBB104_37
.LBB104_35:                             ;   Parent Loop BB104_15 Depth=1
                                        ; =>  This Inner Loop Header: Depth=2
	v_dual_mov_b32 v33, 0 :: v_dual_add_nc_u32 v32, v32, v2
	s_mov_b32 s13, exec_lo
	s_delay_alu instid0(VALU_DEP_1)
	v_cmp_le_u32_e32 vcc_lo, s24, v32
	v_cmpx_gt_u32_e64 s24, v32
	s_cbranch_execz .LBB104_34
; %bb.36:                               ;   in Loop: Header=BB104_35 Depth=2
	v_lshlrev_b64 v[33:34], 1, v[8:9]
	s_delay_alu instid0(VALU_DEP_1) | instskip(NEXT) | instid1(VALU_DEP_1)
	v_add_co_u32 v33, s10, s29, v33
	v_add_co_ci_u32_e64 v34, s10, s30, v34, s10
	global_load_u16 v33, v[33:34], off
	s_branch .LBB104_34
.LBB104_37:                             ;   in Loop: Header=BB104_15 Depth=1
	s_set_inst_prefetch_distance 0x2
	s_or_b32 exec_lo, exec_lo, s11
	s_waitcnt vmcnt(0) lgkmcnt(0)
	s_barrier
	buffer_gl0_inv
	s_and_saveexec_b32 s10, s5
	s_cbranch_execz .LBB104_39
; %bb.38:                               ;   in Loop: Header=BB104_15 Depth=1
	v_mov_b32_e32 v1, s24
	ds_store_b32 v9, v1 offset:4096
.LBB104_39:                             ;   in Loop: Header=BB104_15 Depth=1
	s_or_b32 exec_lo, exec_lo, s10
	s_mov_b32 s10, -1
	s_waitcnt lgkmcnt(0)
	s_barrier
                                        ; implicit-def: $sgpr75
.LBB104_40:                             ;   in Loop: Header=BB104_15 Depth=1
	s_and_b32 vcc_lo, exec_lo, s10
	s_cbranch_vccz .LBB104_42
; %bb.41:                               ;   in Loop: Header=BB104_15 Depth=1
	buffer_gl0_inv
	ds_load_b32 v1, v9 offset:4096
	s_waitcnt lgkmcnt(0)
	v_readfirstlane_b32 s75, v1
.LBB104_42:                             ;   in Loop: Header=BB104_15 Depth=1
	s_delay_alu instid0(VALU_DEP_1)
	s_cmp_lt_i32 s75, 1
	s_cbranch_scc0 .LBB104_46
; %bb.43:                               ;   in Loop: Header=BB104_15 Depth=1
	v_dual_mov_b32 v1, 0 :: v_dual_mov_b32 v2, 0
	v_dual_mov_b32 v3, 0 :: v_dual_mov_b32 v4, 0
	s_mov_b32 s22, 0
	s_and_saveexec_b32 s21, s7
	s_cbranch_execnz .LBB104_47
; %bb.44:                               ;   in Loop: Header=BB104_15 Depth=1
	s_or_b32 exec_lo, exec_lo, s21
	v_mov_b32_e32 v32, 0
	s_and_saveexec_b32 s10, s8
	s_cbranch_execnz .LBB104_50
.LBB104_45:                             ;   in Loop: Header=BB104_15 Depth=1
	s_or_b32 exec_lo, exec_lo, s10
	s_and_saveexec_b32 s14, s8
	s_cbranch_execnz .LBB104_51
	s_branch .LBB104_56
.LBB104_46:                             ;   in Loop: Header=BB104_15 Depth=1
                                        ; implicit-def: $vgpr4
	s_cbranch_execnz .LBB104_57
	s_branch .LBB104_66
.LBB104_47:                             ;   in Loop: Header=BB104_15 Depth=1
	v_mov_b32_e32 v31, v16
	s_and_b32 s23, s68, 0xfe
	s_mov_b32 s76, 0
	s_mov_b32 s77, 0
	s_mov_b32 s78, 0
	s_mov_b32 s79, 0
	s_mov_b32 s80, 0
.LBB104_48:                             ;   Parent Loop BB104_15 Depth=1
                                        ; =>  This Inner Loop Header: Depth=2
	v_add_nc_u32_e32 v8, s76, v22
	s_delay_alu instid0(VALU_DEP_1) | instskip(SKIP_1) | instid1(VALU_DEP_1)
	v_lshlrev_b64 v[1:2], 1, v[8:9]
	v_add_nc_u32_e32 v8, s76, v12
	v_lshlrev_b64 v[3:4], 1, v[8:9]
	s_delay_alu instid0(VALU_DEP_3) | instskip(SKIP_2) | instid1(VALU_DEP_4)
	v_add_co_u32 v1, vcc_lo, s29, v1
	v_add_nc_u32_e32 v8, s76, v13
	v_add_co_ci_u32_e32 v2, vcc_lo, s30, v2, vcc_lo
	v_add_co_u32 v3, vcc_lo, s29, v3
	s_delay_alu instid0(VALU_DEP_3)
	v_lshlrev_b64 v[32:33], 1, v[8:9]
	v_add_nc_u32_e32 v8, s76, v21
	v_add_co_ci_u32_e32 v4, vcc_lo, s30, v4, vcc_lo
	global_load_u16 v34, v[1:2], off
	s_add_i32 s76, s76, s59
	v_lshlrev_b64 v[1:2], 1, v[8:9]
	global_load_u16 v8, v[3:4], off
	v_add_co_u32 v3, vcc_lo, s29, v32
	v_add_co_ci_u32_e32 v4, vcc_lo, s30, v33, vcc_lo
	v_add_co_u32 v1, vcc_lo, s29, v1
	v_add_co_ci_u32_e32 v2, vcc_lo, s30, v2, vcc_lo
	s_clause 0x1
	global_load_u16 v3, v[3:4], off
	global_load_u16 v1, v[1:2], off
	s_waitcnt vmcnt(3)
	v_cmp_lt_i16_e64 s10, -1, v34
	v_and_b32_e32 v2, 0xffff, v34
	s_waitcnt vmcnt(2)
	v_and_b32_e32 v32, 0xffff, v8
	s_delay_alu instid0(VALU_DEP_3) | instskip(SKIP_1) | instid1(VALU_DEP_2)
	v_cndmask_b32_e64 v4, 0xffff, v26, s10
	v_cmp_lt_i16_e64 s10, -1, v8
	v_xor_b32_e32 v2, v4, v2
	s_delay_alu instid0(VALU_DEP_2)
	v_cndmask_b32_e64 v33, 0xffff, v26, s10
	v_cmp_o_f16_e64 s10, v34, v34
	s_waitcnt vmcnt(1)
	v_cmp_lt_i16_e64 s11, -1, v3
	s_waitcnt vmcnt(0)
	v_cmp_o_f16_e64 s15, v1, v1
	v_xor_b32_e32 v4, v33, v32
	v_cndmask_b32_e64 v2, 0xffff, v2, s10
	v_cmp_o_f16_e64 s10, v8, v8
	v_and_b32_e32 v32, 0xffff, v3
	v_cndmask_b32_e64 v33, 0xffff, v26, s11
	s_delay_alu instid0(VALU_DEP_4) | instskip(NEXT) | instid1(VALU_DEP_4)
	v_and_b32_e32 v34, v2, v27
	v_cndmask_b32_e64 v4, 0xffff, v4, s10
	v_cmp_lt_i16_e64 s10, -1, v1
	s_delay_alu instid0(VALU_DEP_4) | instskip(SKIP_2) | instid1(VALU_DEP_4)
	v_xor_b32_e32 v8, v33, v32
	v_bfe_u32 v2, v2, s23, 2
	v_and_b32_e32 v32, 0xffff, v1
	v_cndmask_b32_e64 v33, 0xffff, v26, s10
	v_cmp_o_f16_e64 s10, v3, v3
	s_delay_alu instid0(VALU_DEP_4)
	v_cmp_eq_u32_e64 s11, 0, v2
	v_cmp_eq_u32_e64 s12, 1, v2
	;; [unrolled: 1-line block ×4, first 2 shown]
	v_cndmask_b32_e64 v3, 0xffff, v8, s10
	v_cmp_eq_u32_e64 s10, v34, v28
	v_xor_b32_e32 v8, v33, v32
	v_and_b32_e32 v32, v4, v27
	v_bfe_u32 v4, v4, s23, 2
	v_and_b32_e32 v2, v3, v27
	v_bfe_u32 v3, v3, s23, 2
	s_and_b32 s11, s10, s11
	v_cndmask_b32_e64 v1, 0xffff, v8, s15
	v_cmp_eq_u32_e64 s15, v32, v28
	v_cmp_eq_u32_e64 s16, 0, v4
	v_cndmask_b32_e64 v8, 0, 1, s11
	v_cmp_eq_u32_e64 s11, 1, v4
	s_and_b32 s12, s10, s12
	s_and_b32 s13, s10, s13
	;; [unrolled: 1-line block ×3, first 2 shown]
	v_cndmask_b32_e64 v32, 0, 1, s12
	v_cmp_eq_u32_e64 s12, 2, v4
	v_cndmask_b32_e64 v33, 0, 1, s13
	v_cmp_eq_u32_e64 s13, 3, v4
	;; [unrolled: 2-line block ×3, first 2 shown]
	v_cmp_eq_u32_e64 s14, 0, v3
	v_and_b32_e32 v2, v1, v27
	v_bfe_u32 v1, v1, s23, 2
	s_and_b32 s16, s15, s16
	s_and_b32 s11, s15, s11
	v_cmp_ne_u32_e64 s17, 0, v8
	v_cndmask_b32_e64 v8, 0, 1, s16
	v_cmp_eq_u32_e64 s16, 1, v3
	v_cmp_ne_u32_e64 s18, 0, v32
	v_cndmask_b32_e64 v32, 0, 1, s11
	v_cmp_eq_u32_e64 s11, 2, v3
	s_and_b32 s12, s15, s12
	s_and_b32 s13, s15, s13
	;; [unrolled: 1-line block ×3, first 2 shown]
	v_cmp_ne_u32_e64 s19, 0, v33
	v_cndmask_b32_e64 v33, 0, 1, s12
	v_cmp_eq_u32_e64 s12, 3, v3
	v_cndmask_b32_e64 v3, 0, 1, s13
	v_cmp_eq_u32_e64 s13, v2, v28
	;; [unrolled: 2-line block ×3, first 2 shown]
	v_cmp_ne_u32_e64 s20, 0, v4
	v_cmp_eq_u32_e64 s15, 0, v1
	s_and_b32 s16, s10, s16
	s_and_b32 s11, s10, s11
	s_bcnt1_i32_b32 s81, s17
	v_cmp_ne_u32_e64 s17, 0, v8
	v_cndmask_b32_e64 v4, 0, 1, s16
	v_cmp_eq_u32_e64 s16, 2, v1
	v_cndmask_b32_e64 v8, 0, 1, s11
	v_cmp_eq_u32_e64 s11, 3, v1
	s_and_b32 s10, s10, s12
	s_and_b32 s14, s13, s14
	s_bcnt1_i32_b32 s84, s20
	v_cmp_ne_u32_e64 s20, 0, v3
	v_cndmask_b32_e64 v1, 0, 1, s10
	v_cndmask_b32_e64 v3, 0, 1, s14
	s_bcnt1_i32_b32 s82, s18
	v_cmp_ne_u32_e64 s18, 0, v32
	s_and_b32 s12, s13, s15
	v_cmp_ne_u32_e64 s10, 0, v2
	v_cndmask_b32_e64 v2, 0, 1, s12
	v_cmp_ne_u32_e64 s12, 0, v4
	s_and_b32 s15, s13, s16
	s_and_b32 s11, s13, s11
	v_cndmask_b32_e64 v4, 0, 1, s15
	v_cmp_ne_u32_e64 s15, 0, v1
	v_cndmask_b32_e64 v1, 0, 1, s11
	v_cmp_ne_u32_e64 s11, 0, v3
	s_bcnt1_i32_b32 s83, s19
	v_cmp_ne_u32_e64 s19, 0, v33
	s_add_i32 s79, s82, s79
	s_add_i32 s77, s84, s77
	s_bcnt1_i32_b32 s18, s18
	s_bcnt1_i32_b32 s16, s20
	v_cmp_ne_u32_e64 s14, 0, v8
	s_add_i32 s18, s79, s18
	s_add_i32 s16, s77, s16
	s_bcnt1_i32_b32 s77, s12
	s_bcnt1_i32_b32 s20, s10
	v_cmp_ne_u32_e64 s10, 0, v2
	v_cmp_ne_u32_e64 s12, 0, v4
	;; [unrolled: 1-line block ×3, first 2 shown]
	s_add_i32 s18, s18, s77
	s_bcnt1_i32_b32 s11, s11
	s_add_i32 s80, s81, s80
	s_add_i32 s78, s83, s78
	s_bcnt1_i32_b32 s17, s17
	s_bcnt1_i32_b32 s19, s19
	s_add_i32 s79, s18, s11
	s_delay_alu instid0(SALU_CYCLE_1)
	v_dual_mov_b32 v2, s79 :: v_dual_add_nc_u32 v31, s47, v31
	s_add_i32 s17, s80, s17
	s_add_i32 s19, s78, s19
	s_bcnt1_i32_b32 s14, s14
	s_bcnt1_i32_b32 s15, s15
	s_add_i32 s17, s17, s20
	s_add_i32 s14, s19, s14
	;; [unrolled: 1-line block ×3, first 2 shown]
	s_bcnt1_i32_b32 s10, s10
	s_bcnt1_i32_b32 s12, s12
	;; [unrolled: 1-line block ×3, first 2 shown]
	v_cmp_le_u32_e32 vcc_lo, s56, v31
	s_add_i32 s80, s17, s10
	s_add_i32 s78, s14, s12
	;; [unrolled: 1-line block ×3, first 2 shown]
	v_mov_b32_e32 v1, s80
	v_dual_mov_b32 v3, s78 :: v_dual_mov_b32 v4, s77
	s_or_b32 s22, vcc_lo, s22
	s_delay_alu instid0(SALU_CYCLE_1)
	s_and_not1_b32 exec_lo, exec_lo, s22
	s_cbranch_execnz .LBB104_48
; %bb.49:                               ;   in Loop: Header=BB104_15 Depth=1
	s_or_b32 exec_lo, exec_lo, s22
	s_delay_alu instid0(SALU_CYCLE_1)
	s_or_b32 exec_lo, exec_lo, s21
	v_mov_b32_e32 v32, 0
	s_and_saveexec_b32 s10, s8
	s_cbranch_execz .LBB104_45
.LBB104_50:                             ;   in Loop: Header=BB104_15 Depth=1
	global_load_u16 v32, v[10:11], off
	s_or_b32 exec_lo, exec_lo, s10
	s_and_saveexec_b32 s14, s8
	s_cbranch_execz .LBB104_56
.LBB104_51:                             ;   in Loop: Header=BB104_15 Depth=1
	v_dual_mov_b32 v8, v23 :: v_dual_mov_b32 v31, v20
	s_and_b32 s16, s68, 0xfe
	s_mov_b32 s15, 0
	s_branch .LBB104_53
.LBB104_52:                             ;   in Loop: Header=BB104_53 Depth=2
	s_or_b32 exec_lo, exec_lo, s11
	s_waitcnt vmcnt(0)
	v_cmp_lt_i16_e64 s10, -1, v32
	v_and_b32_e32 v34, 0xffff, v32
	s_and_b32 s11, exec_lo, vcc_lo
	v_add_nc_u32_e32 v8, s34, v8
	s_or_b32 s15, s11, s15
	v_cndmask_b32_e64 v35, 0xffff, v26, s10
	v_cmp_o_f16_e64 s10, v32, v32
	s_delay_alu instid0(VALU_DEP_2) | instskip(NEXT) | instid1(VALU_DEP_1)
	v_xor_b32_e32 v34, v35, v34
	v_cndmask_b32_e64 v32, 0xffff, v34, s10
	s_delay_alu instid0(VALU_DEP_1) | instskip(SKIP_1) | instid1(VALU_DEP_2)
	v_and_b32_e32 v34, v32, v27
	v_bfe_u32 v32, v32, s16, 2
	v_cmp_eq_u32_e32 vcc_lo, v34, v28
	s_delay_alu instid0(VALU_DEP_2) | instskip(SKIP_3) | instid1(VALU_DEP_4)
	v_cmp_eq_u32_e64 s10, 0, v32
	v_cmp_eq_u32_e64 s11, 1, v32
	v_cmp_eq_u32_e64 s12, 2, v32
	v_cmp_eq_u32_e64 s13, 3, v32
	s_and_b32 s10, vcc_lo, s10
	s_delay_alu instid0(SALU_CYCLE_1) | instskip(SKIP_1) | instid1(SALU_CYCLE_1)
	v_cndmask_b32_e64 v32, 0, 1, s10
	s_and_b32 s10, vcc_lo, s11
	v_cndmask_b32_e64 v34, 0, 1, s10
	s_and_b32 s10, vcc_lo, s12
	s_delay_alu instid0(SALU_CYCLE_1)
	v_cndmask_b32_e64 v35, 0, 1, s10
	s_and_b32 s10, vcc_lo, s13
	v_cmp_ne_u32_e32 vcc_lo, 0, v32
	v_cndmask_b32_e64 v36, 0, 1, s10
	v_cmp_ne_u32_e64 s10, 0, v34
	v_cmp_ne_u32_e64 s11, 0, v35
	v_mov_b32_e32 v32, v33
	s_bcnt1_i32_b32 s13, vcc_lo
	v_cmp_ne_u32_e64 s12, 0, v36
	s_bcnt1_i32_b32 s10, s10
	s_bcnt1_i32_b32 s11, s11
	v_add_nc_u32_e32 v1, s13, v1
	v_add_nc_u32_e32 v2, s10, v2
	s_bcnt1_i32_b32 s12, s12
	v_add_nc_u32_e32 v3, s11, v3
	v_add_nc_u32_e32 v4, s12, v4
	s_and_not1_b32 exec_lo, exec_lo, s15
	s_cbranch_execz .LBB104_55
.LBB104_53:                             ;   Parent Loop BB104_15 Depth=1
                                        ; =>  This Inner Loop Header: Depth=2
	s_delay_alu instid0(VALU_DEP_1) | instskip(SKIP_2) | instid1(VALU_DEP_2)
	v_add_nc_u32_e32 v31, s33, v31
	v_mov_b32_e32 v33, 0
	s_mov_b32 s11, exec_lo
	v_cmp_le_u32_e32 vcc_lo, s24, v31
	v_cmpx_gt_u32_e64 s24, v31
	s_cbranch_execz .LBB104_52
; %bb.54:                               ;   in Loop: Header=BB104_53 Depth=2
	v_lshlrev_b64 v[33:34], 1, v[8:9]
	s_delay_alu instid0(VALU_DEP_1) | instskip(NEXT) | instid1(VALU_DEP_1)
	v_add_co_u32 v33, s10, s29, v33
	v_add_co_ci_u32_e64 v34, s10, s30, v34, s10
	global_load_u16 v33, v[33:34], off
	s_branch .LBB104_52
.LBB104_55:                             ;   in Loop: Header=BB104_15 Depth=1
	s_or_b32 exec_lo, exec_lo, s15
.LBB104_56:                             ;   in Loop: Header=BB104_15 Depth=1
	s_delay_alu instid0(SALU_CYCLE_1)
	s_or_b32 exec_lo, exec_lo, s14
	s_branch .LBB104_66
.LBB104_57:                             ;   in Loop: Header=BB104_15 Depth=1
	s_mul_hi_u32 s10, s75, s55
	v_dual_mov_b32 v1, 0 :: v_dual_mov_b32 v2, 0
	s_mul_i32 s10, s10, s47
	v_dual_mov_b32 v3, 0 :: v_dual_mov_b32 v4, 0
	s_sub_i32 s10, s75, s10
	s_mov_b32 s78, 0
	s_sub_i32 s11, s10, s47
	s_cmp_ge_u32 s10, s47
	s_mov_b32 s77, exec_lo
	s_cselect_b32 s10, s11, s10
	s_delay_alu instid0(SALU_CYCLE_1) | instskip(SKIP_2) | instid1(SALU_CYCLE_1)
	s_sub_i32 s11, s10, s47
	s_cmp_ge_u32 s10, s47
	s_cselect_b32 s10, s11, s10
	s_sub_i32 s76, s75, s10
	s_delay_alu instid0(SALU_CYCLE_1)
	v_cmpx_gt_u32_e64 s76, v16
	s_cbranch_execz .LBB104_61
; %bb.58:                               ;   in Loop: Header=BB104_15 Depth=1
	v_mov_b32_e32 v8, v24
	v_mov_b32_e32 v31, v16
	s_and_b32 s79, s68, 0xfe
	s_mov_b32 s80, 0
	s_mov_b32 s81, 0
	;; [unrolled: 1-line block ×4, first 2 shown]
.LBB104_59:                             ;   Parent Loop BB104_15 Depth=1
                                        ; =>  This Inner Loop Header: Depth=2
	ds_load_b64 v[1:2], v8
	s_waitcnt lgkmcnt(0)
	v_cmp_lt_i16_e64 s10, -1, v1
	v_lshrrev_b32_e32 v3, 16, v1
	v_lshrrev_b32_e32 v35, 16, v2
	v_and_b32_e32 v4, 0xffff, v1
	v_and_b32_e32 v33, 0xffff, v2
	s_waitcnt vmcnt(0)
	v_cndmask_b32_e64 v32, 0xffff, v26, s10
	v_cmp_lt_i16_e64 s10, -1, v2
	v_cmp_lt_i16_e64 s11, -1, v35
	s_delay_alu instid0(VALU_DEP_3) | instskip(NEXT) | instid1(VALU_DEP_3)
	v_xor_b32_e32 v4, v32, v4
	v_cndmask_b32_e64 v34, 0xffff, v26, s10
	v_cmp_lt_i16_e64 s10, -1, v3
	s_delay_alu instid0(VALU_DEP_2) | instskip(NEXT) | instid1(VALU_DEP_2)
	v_xor_b32_e32 v33, v34, v33
	v_cndmask_b32_e64 v32, 0xffff, v26, s10
	v_cmp_o_f16_e64 s10, v2, v2
	v_cndmask_b32_e64 v2, 0xffff, v26, s11
	v_cmp_o_f16_e64 s11, v1, v1
	s_delay_alu instid0(VALU_DEP_2) | instskip(NEXT) | instid1(VALU_DEP_2)
	v_xor_b32_e32 v2, v2, v35
	v_cndmask_b32_e64 v1, 0xffff, v4, s11
	v_xor_b32_e32 v4, v32, v3
	v_cmp_o_f16_e64 s11, v3, v3
	v_cndmask_b32_e64 v32, 0xffff, v33, s10
	v_cmp_o_f16_e64 s10, v35, v35
	s_delay_alu instid0(VALU_DEP_3)
	v_cndmask_b32_e64 v3, 0xffff, v4, s11
	v_and_b32_e32 v4, v1, v27
	v_bfe_u32 v1, v1, s79, 2
	v_and_b32_e32 v33, v32, v27
	v_bfe_u32 v32, v32, s79, 2
	v_cndmask_b32_e64 v2, 0xffff, v2, s10
	v_cmp_eq_u32_e64 s10, v4, v28
	v_cmp_eq_u32_e64 s12, 0, v1
	v_cmp_eq_u32_e64 s11, v33, v28
	v_cmp_eq_u32_e64 s13, 0, v32
	v_and_b32_e32 v4, v3, v27
	v_and_b32_e32 v33, v2, v27
	v_bfe_u32 v3, v3, s79, 2
	v_bfe_u32 v2, v2, s79, 2
	v_cmp_eq_u32_e64 s14, 1, v1
	v_cmp_eq_u32_e64 s16, 2, v1
	s_and_b32 s12, s10, s12
	v_cmp_eq_u32_e64 s15, 1, v32
	v_cmp_eq_u32_e64 s17, 2, v32
	;; [unrolled: 1-line block ×3, first 2 shown]
	v_cndmask_b32_e64 v1, 0, 1, s12
	s_and_b32 s12, s11, s13
	v_cmp_eq_u32_e64 s19, 3, v32
	v_cmp_eq_u32_e64 s20, v4, v28
	;; [unrolled: 1-line block ×5, first 2 shown]
	v_cndmask_b32_e64 v4, 0, 1, s12
	v_cmp_eq_u32_e64 s12, 1, v3
	s_and_b32 s14, s10, s14
	s_and_b32 s16, s10, s16
	v_cndmask_b32_e64 v32, 0, 1, s14
	s_and_b32 s14, s11, s15
	v_cndmask_b32_e64 v34, 0, 1, s16
	s_and_b32 s16, s11, s17
	s_and_b32 s10, s10, s18
	v_cmp_eq_u32_e64 s13, 1, v2
	v_cndmask_b32_e64 v33, 0, 1, s14
	v_cmp_eq_u32_e64 s14, 2, v3
	v_cmp_eq_u32_e64 s15, 2, v2
	v_cndmask_b32_e64 v35, 0, 1, s16
	v_cmp_eq_u32_e64 s16, 3, v3
	v_cmp_eq_u32_e64 s17, 3, v2
	v_cndmask_b32_e64 v2, 0, 1, s10
	s_and_b32 s10, s11, s19
	s_and_b32 s11, s20, s22
	;; [unrolled: 1-line block ×4, first 2 shown]
	v_cndmask_b32_e64 v3, 0, 1, s10
	v_cmp_ne_u32_e64 s10, 0, v1
	v_cndmask_b32_e64 v1, 0, 1, s11
	v_cmp_ne_u32_e64 s11, 0, v4
	;; [unrolled: 2-line block ×3, first 2 shown]
	v_cndmask_b32_e64 v32, 0, 1, s12
	s_and_b32 s13, s21, s13
	s_and_b32 s14, s20, s14
	;; [unrolled: 1-line block ×5, first 2 shown]
	v_cmp_ne_u32_e64 s12, 0, v33
	v_cndmask_b32_e64 v33, 0, 1, s13
	v_cmp_ne_u32_e64 s13, 0, v34
	v_cndmask_b32_e64 v34, 0, 1, s14
	;; [unrolled: 2-line block ×5, first 2 shown]
	v_cmp_ne_u32_e64 s17, 0, v32
	s_bcnt1_i32_b32 s18, s18
	s_bcnt1_i32_b32 s21, s12
	v_cmp_ne_u32_e64 s12, 0, v33
	s_bcnt1_i32_b32 s19, s10
	v_cmp_ne_u32_e64 s10, 0, v1
	;; [unrolled: 2-line block ×4, first 2 shown]
	s_add_i32 s18, s18, s82
	s_bcnt1_i32_b32 s17, s17
	s_bcnt1_i32_b32 s20, s11
	s_add_i32 s17, s18, s17
	v_cmp_ne_u32_e64 s11, 0, v4
	s_bcnt1_i32_b32 s23, s14
	v_cmp_ne_u32_e64 s14, 0, v35
	s_bcnt1_i32_b32 s85, s16
	;; [unrolled: 2-line block ×3, first 2 shown]
	s_add_i32 s17, s17, s21
	s_add_i32 s19, s19, s83
	;; [unrolled: 1-line block ×4, first 2 shown]
	s_bcnt1_i32_b32 s10, s10
	s_bcnt1_i32_b32 s13, s13
	;; [unrolled: 1-line block ×3, first 2 shown]
	s_add_i32 s82, s17, s12
	s_delay_alu instid0(SALU_CYCLE_1)
	v_dual_mov_b32 v2, s82 :: v_dual_add_nc_u32 v31, s47, v31
	s_add_i32 s10, s19, s10
	s_add_i32 s13, s22, s13
	;; [unrolled: 1-line block ×3, first 2 shown]
	s_bcnt1_i32_b32 s11, s11
	s_bcnt1_i32_b32 s14, s14
	;; [unrolled: 1-line block ×3, first 2 shown]
	s_add_i32 s10, s10, s20
	s_add_i32 s13, s13, s23
	;; [unrolled: 1-line block ×3, first 2 shown]
	v_cmp_le_u32_e32 vcc_lo, s76, v31
	s_add_i32 s83, s10, s11
	s_add_i32 s81, s13, s14
	;; [unrolled: 1-line block ×3, first 2 shown]
	v_dual_mov_b32 v1, s83 :: v_dual_add_nc_u32 v8, s60, v8
	v_dual_mov_b32 v3, s81 :: v_dual_mov_b32 v4, s80
	s_or_b32 s78, vcc_lo, s78
	s_delay_alu instid0(SALU_CYCLE_1)
	s_and_not1_b32 exec_lo, exec_lo, s78
	s_cbranch_execnz .LBB104_59
; %bb.60:                               ;   in Loop: Header=BB104_15 Depth=1
	s_or_b32 exec_lo, exec_lo, s78
.LBB104_61:                             ;   in Loop: Header=BB104_15 Depth=1
	s_delay_alu instid0(SALU_CYCLE_1) | instskip(SKIP_2) | instid1(VALU_DEP_1)
	s_or_b32 exec_lo, exec_lo, s77
	v_add_nc_u32_e32 v8, s76, v0
	s_mov_b32 s15, exec_lo
	v_cmpx_gt_u32_e64 s75, v8
	s_cbranch_execz .LBB104_65
; %bb.62:                               ;   in Loop: Header=BB104_15 Depth=1
	v_lshlrev_b32_e32 v31, 1, v8
	s_and_b32 s17, s68, 0xfe
	s_mov_b32 s16, 0
.LBB104_63:                             ;   Parent Loop BB104_15 Depth=1
                                        ; =>  This Inner Loop Header: Depth=2
	s_waitcnt vmcnt(0)
	ds_load_u16 v32, v31
	v_add_nc_u32_e32 v8, s33, v8
	v_add_nc_u32_e32 v31, s61, v31
	s_delay_alu instid0(VALU_DEP_2) | instskip(SKIP_3) | instid1(VALU_DEP_2)
	v_cmp_le_u32_e32 vcc_lo, s75, v8
	s_waitcnt lgkmcnt(0)
	v_cmp_lt_i16_e64 s10, -1, v32
	v_and_b32_e32 v33, 0xffff, v32
	v_cndmask_b32_e64 v34, 0xffff, v26, s10
	v_cmp_o_f16_e64 s10, v32, v32
	s_delay_alu instid0(VALU_DEP_2) | instskip(NEXT) | instid1(VALU_DEP_1)
	v_xor_b32_e32 v33, v34, v33
	v_cndmask_b32_e64 v32, 0xffff, v33, s10
	s_delay_alu instid0(VALU_DEP_1) | instskip(SKIP_1) | instid1(VALU_DEP_2)
	v_and_b32_e32 v33, v32, v27
	v_bfe_u32 v32, v32, s17, 2
	v_cmp_eq_u32_e64 s10, v33, v28
	s_delay_alu instid0(VALU_DEP_2) | instskip(SKIP_3) | instid1(VALU_DEP_4)
	v_cmp_eq_u32_e64 s11, 0, v32
	v_cmp_eq_u32_e64 s12, 1, v32
	;; [unrolled: 1-line block ×4, first 2 shown]
	s_and_b32 s11, s10, s11
	s_delay_alu instid0(SALU_CYCLE_1) | instskip(SKIP_1) | instid1(SALU_CYCLE_1)
	v_cndmask_b32_e64 v32, 0, 1, s11
	s_and_b32 s11, s10, s12
	v_cndmask_b32_e64 v33, 0, 1, s11
	s_and_b32 s11, s10, s13
	s_and_b32 s10, s10, s14
	v_cndmask_b32_e64 v34, 0, 1, s11
	v_cndmask_b32_e64 v35, 0, 1, s10
	v_cmp_ne_u32_e64 s10, 0, v32
	v_cmp_ne_u32_e64 s11, 0, v33
	s_delay_alu instid0(VALU_DEP_4) | instskip(NEXT) | instid1(VALU_DEP_4)
	v_cmp_ne_u32_e64 s12, 0, v34
	v_cmp_ne_u32_e64 s13, 0, v35
	s_delay_alu instid0(VALU_DEP_4) | instskip(NEXT) | instid1(VALU_DEP_3)
	s_bcnt1_i32_b32 s10, s10
	s_bcnt1_i32_b32 s11, s11
	v_add_nc_u32_e32 v1, s10, v1
	s_bcnt1_i32_b32 s12, s12
	s_bcnt1_i32_b32 s13, s13
	v_add_nc_u32_e32 v2, s11, v2
	v_add_nc_u32_e32 v3, s12, v3
	;; [unrolled: 1-line block ×3, first 2 shown]
	s_or_b32 s16, vcc_lo, s16
	s_delay_alu instid0(SALU_CYCLE_1)
	s_and_not1_b32 exec_lo, exec_lo, s16
	s_cbranch_execnz .LBB104_63
; %bb.64:                               ;   in Loop: Header=BB104_15 Depth=1
	s_or_b32 exec_lo, exec_lo, s16
.LBB104_65:                             ;   in Loop: Header=BB104_15 Depth=1
	s_delay_alu instid0(SALU_CYCLE_1)
	s_or_b32 exec_lo, exec_lo, s15
.LBB104_66:                             ;   in Loop: Header=BB104_15 Depth=1
	s_lshl_b32 s10, s64, 7
	s_and_saveexec_b32 s11, s2
	s_cbranch_execz .LBB104_68
; %bb.67:                               ;   in Loop: Header=BB104_15 Depth=1
	v_or_b32_e32 v8, s10, v18
	s_delay_alu instid0(VALU_DEP_1)
	v_lshlrev_b32_e32 v8, 2, v8
	ds_store_b128 v8, v[1:4] offset:3072
.LBB104_68:                             ;   in Loop: Header=BB104_15 Depth=1
	s_or_b32 exec_lo, exec_lo, s11
	s_waitcnt vmcnt(0) lgkmcnt(0)
	s_barrier
	buffer_gl0_inv
	s_and_saveexec_b32 s11, s45
	s_cbranch_execz .LBB104_78
; %bb.69:                               ;   in Loop: Header=BB104_15 Depth=1
	v_mov_b32_e32 v1, 0
	s_and_not1_b32 vcc_lo, exec_lo, s49
	s_cbranch_vccnz .LBB104_77
; %bb.70:                               ;   in Loop: Header=BB104_15 Depth=1
	v_mov_b32_e32 v1, 0
	s_and_not1_b32 vcc_lo, exec_lo, s52
	s_mov_b32 s12, 0
	s_cbranch_vccnz .LBB104_74
; %bb.71:                               ;   in Loop: Header=BB104_15 Depth=1
	v_lshl_add_u32 v2, s64, 9, v25
	v_mov_b32_e32 v1, 0
	.p2align	6
.LBB104_72:                             ;   Parent Loop BB104_15 Depth=1
                                        ; =>  This Inner Loop Header: Depth=2
	ds_load_2addr_b32 v[3:4], v2 offset1:4
	ds_load_2addr_b32 v[31:32], v2 offset0:8 offset1:12
	ds_load_2addr_b32 v[33:34], v2 offset0:16 offset1:20
	ds_load_2addr_b32 v[35:36], v2 offset0:24 offset1:28
	v_add_nc_u32_e32 v2, 0x80, v2
	s_add_i32 s12, s12, 8
	s_delay_alu instid0(SALU_CYCLE_1) | instskip(SKIP_3) | instid1(VALU_DEP_1)
	s_cmp_eq_u32 s53, s12
	s_waitcnt lgkmcnt(3)
	v_add3_u32 v1, v3, v1, v4
	s_waitcnt lgkmcnt(2)
	v_add3_u32 v1, v31, v1, v32
	s_waitcnt lgkmcnt(1)
	s_delay_alu instid0(VALU_DEP_1) | instskip(SKIP_1) | instid1(VALU_DEP_1)
	v_add3_u32 v1, v33, v1, v34
	s_waitcnt lgkmcnt(0)
	v_add3_u32 v1, v35, v1, v36
	s_cbranch_scc0 .LBB104_72
; %bb.73:                               ;   in Loop: Header=BB104_15 Depth=1
	s_mov_b32 s12, s53
.LBB104_74:                             ;   in Loop: Header=BB104_15 Depth=1
	s_and_not1_b32 vcc_lo, exec_lo, s54
	s_cbranch_vccnz .LBB104_77
; %bb.75:                               ;   in Loop: Header=BB104_15 Depth=1
	s_lshl_b32 s13, s64, 9
	s_lshl_b32 s12, s12, 4
	s_delay_alu instid0(SALU_CYCLE_1)
	v_add3_u32 v2, s13, s12, v25
	s_mov_b32 s12, s51
.LBB104_76:                             ;   Parent Loop BB104_15 Depth=1
                                        ; =>  This Inner Loop Header: Depth=2
	ds_load_b32 v3, v2
	v_add_nc_u32_e32 v2, 16, v2
	s_add_i32 s12, s12, -1
	s_delay_alu instid0(SALU_CYCLE_1)
	s_cmp_lg_u32 s12, 0
	s_waitcnt lgkmcnt(0)
	v_add_nc_u32_e32 v1, v3, v1
	s_cbranch_scc1 .LBB104_76
.LBB104_77:                             ;   in Loop: Header=BB104_15 Depth=1
	v_add_lshl_u32 v2, s10, v15, 2
	ds_store_b32 v2, v1 offset:3072
.LBB104_78:                             ;   in Loop: Header=BB104_15 Depth=1
	s_or_b32 exec_lo, exec_lo, s11
	s_lshl_b32 s10, s10, 2
	s_waitcnt lgkmcnt(0)
	v_mov_b32_e32 v1, s10
	s_barrier
	buffer_gl0_inv
	s_and_b32 s17, s68, 0xfe
	v_cmp_eq_u32_e64 s10, 1, v30
	ds_load_b128 v[1:4], v1 offset:3072
	s_lshl_b32 s13, 3, s17
	s_and_not1_b32 vcc_lo, exec_lo, s46
	s_not_b32 s14, s13
	s_waitcnt lgkmcnt(0)
	v_readfirstlane_b32 s12, v1
	v_readfirstlane_b32 s16, v2
	;; [unrolled: 1-line block ×4, first 2 shown]
	s_cbranch_vccnz .LBB104_91
; %bb.79:                               ;   in Loop: Header=BB104_15 Depth=1
	s_cmp_eq_u32 s12, 1
	v_dual_mov_b32 v1, v28 :: v_dual_mov_b32 v2, v27
	v_mov_b32_e32 v3, v29
	s_cselect_b32 s11, -1, 0
	s_mov_b32 s77, -1
	s_and_b32 s76, s11, s10
                                        ; implicit-def: $sgpr15
                                        ; implicit-def: $sgpr22
                                        ; implicit-def: $sgpr21
	s_delay_alu instid0(SALU_CYCLE_1)
	s_and_saveexec_b32 s20, s76
	s_cbranch_execz .LBB104_110
; %bb.80:                               ;   in Loop: Header=BB104_15 Depth=1
	ds_load_b32 v1, v9 offset:4096
	s_waitcnt lgkmcnt(0)
	s_barrier
	buffer_gl0_inv
	v_readfirstlane_b32 s15, v1
	s_and_saveexec_b32 s11, s6
	s_cbranch_execz .LBB104_82
; %bb.81:                               ;   in Loop: Header=BB104_15 Depth=1
	ds_store_b16 v19, v9
.LBB104_82:                             ;   in Loop: Header=BB104_15 Depth=1
	s_or_b32 exec_lo, exec_lo, s11
	v_and_b32_e32 v1, s14, v28
	v_or_b32_e32 v2, s13, v27
	s_cmp_eq_u32 s15, 0
	s_waitcnt lgkmcnt(0)
	s_barrier
	buffer_gl0_inv
	s_cbranch_scc1 .LBB104_96
; %bb.83:                               ;   in Loop: Header=BB104_15 Depth=1
	s_add_i32 s11, s15, s50
                                        ; implicit-def: $vgpr3
	s_delay_alu instid0(SALU_CYCLE_1) | instskip(NEXT) | instid1(SALU_CYCLE_1)
	s_mul_hi_u32 s21, s11, s57
	s_mul_i32 s21, s21, s33
	s_delay_alu instid0(SALU_CYCLE_1) | instskip(NEXT) | instid1(SALU_CYCLE_1)
	s_sub_i32 s21, s11, s21
	s_sub_i32 s22, s21, s33
	s_cmp_ge_u32 s21, s33
	s_cselect_b32 s21, s22, s21
	s_delay_alu instid0(SALU_CYCLE_1) | instskip(SKIP_2) | instid1(SALU_CYCLE_1)
	s_sub_i32 s22, s21, s33
	s_cmp_ge_u32 s21, s33
	s_cselect_b32 s21, s22, s21
	s_sub_i32 s22, s11, s21
	s_mov_b32 s11, 0
	s_mov_b32 s21, exec_lo
	v_cmpx_gt_u32_e64 s22, v0
	s_cbranch_execz .LBB104_98
; %bb.84:                               ;   in Loop: Header=BB104_15 Depth=1
	v_dual_mov_b32 v3, v17 :: v_dual_mov_b32 v4, v0
	s_mov_b32 s23, 0
                                        ; implicit-def: $sgpr75
	s_set_inst_prefetch_distance 0x1
	s_branch .LBB104_86
	.p2align	6
.LBB104_85:                             ;   in Loop: Header=BB104_86 Depth=2
	s_or_b32 exec_lo, exec_lo, s11
	s_waitcnt lgkmcnt(0)
	s_barrier
	buffer_gl0_inv
	ds_load_b32 v8, v9 offset:3072
	v_add_nc_u32_e32 v4, s33, v4
	v_add_nc_u32_e32 v3, s61, v3
	s_waitcnt lgkmcnt(0)
	s_barrier
	buffer_gl0_inv
	v_cmp_le_u32_e32 vcc_lo, s22, v4
	v_cmp_neq_f16_e64 s11, 0, v8
	s_delay_alu instid0(VALU_DEP_1) | instskip(NEXT) | instid1(SALU_CYCLE_1)
	s_or_b32 s77, vcc_lo, s11
	s_and_b32 s77, exec_lo, s77
	s_delay_alu instid0(SALU_CYCLE_1) | instskip(SKIP_2) | instid1(SALU_CYCLE_1)
	s_or_b32 s23, s77, s23
	s_and_not1_b32 s75, s75, exec_lo
	s_and_b32 s11, s11, exec_lo
	s_or_b32 s75, s75, s11
	s_and_not1_b32 exec_lo, exec_lo, s23
	s_cbranch_execz .LBB104_97
.LBB104_86:                             ;   Parent Loop BB104_15 Depth=1
                                        ; =>  This Inner Loop Header: Depth=2
	s_delay_alu instid0(VALU_DEP_1)
	v_cmp_gt_u32_e32 vcc_lo, s15, v4
	v_mov_b32_e32 v8, 0
	s_and_saveexec_b32 s11, vcc_lo
	s_cbranch_execz .LBB104_88
; %bb.87:                               ;   in Loop: Header=BB104_86 Depth=2
	ds_load_u16 v8, v3
.LBB104_88:                             ;   in Loop: Header=BB104_86 Depth=2
	s_or_b32 exec_lo, exec_lo, s11
	s_and_saveexec_b32 s11, vcc_lo
	s_cbranch_execz .LBB104_85
; %bb.89:                               ;   in Loop: Header=BB104_86 Depth=2
	s_waitcnt lgkmcnt(0)
	v_cmp_lt_i16_e32 vcc_lo, -1, v8
	v_dual_cndmask_b32 v32, 0xffff, v26 :: v_dual_and_b32 v31, 0xffff, v8
	v_cmp_o_f16_e32 vcc_lo, v8, v8
	s_delay_alu instid0(VALU_DEP_2) | instskip(NEXT) | instid1(VALU_DEP_1)
	v_xor_b32_e32 v31, v32, v31
	v_cndmask_b32_e32 v31, 0xffff, v31, vcc_lo
	s_delay_alu instid0(VALU_DEP_1) | instskip(NEXT) | instid1(VALU_DEP_1)
	v_and_b32_e32 v31, v31, v2
	v_cmp_eq_u32_e32 vcc_lo, v31, v1
	s_and_b32 exec_lo, exec_lo, vcc_lo
	s_cbranch_execz .LBB104_85
; %bb.90:                               ;   in Loop: Header=BB104_86 Depth=2
	v_perm_b32 v8, v8, s63, 0x5040100
	ds_store_b32 v9, v8 offset:3072
	s_branch .LBB104_85
.LBB104_91:                             ;   in Loop: Header=BB104_15 Depth=1
	s_mov_b32 s20, 0
	s_mov_b32 s11, 0
                                        ; implicit-def: $sgpr21
                                        ; implicit-def: $sgpr22
                                        ; implicit-def: $sgpr15
                                        ; implicit-def: $vgpr8
                                        ; implicit-def: $vgpr4
                                        ; implicit-def: $vgpr1
                                        ; implicit-def: $vgpr2
                                        ; implicit-def: $vgpr3
	s_cbranch_execnz .LBB104_246
.LBB104_92:                             ;   in Loop: Header=BB104_15 Depth=1
	s_mov_b32 s23, s15
	s_mov_b32 s75, s15
	s_and_saveexec_b32 s10, s20
	s_cbranch_execnz .LBB104_408
	s_branch .LBB104_409
.LBB104_93:                             ;   in Loop: Header=BB104_15 Depth=1
	s_or_b32 exec_lo, exec_lo, s12
	s_waitcnt lgkmcnt(0)
	s_barrier
	buffer_gl0_inv
	s_and_saveexec_b32 s10, s5
	s_cbranch_execz .LBB104_95
; %bb.94:                               ;   in Loop: Header=BB104_15 Depth=1
	ds_load_b32 v1, v9 offset:4104
	s_waitcnt lgkmcnt(0)
	ds_store_b32 v9, v1 offset:4096
.LBB104_95:                             ;   in Loop: Header=BB104_15 Depth=1
	s_or_b32 exec_lo, exec_lo, s10
	s_waitcnt lgkmcnt(0)
	s_mov_b32 s10, -1
	s_barrier
	s_and_b32 vcc_lo, exec_lo, s75
	s_cbranch_vccnz .LBB104_30
	s_branch .LBB104_40
.LBB104_96:                             ;   in Loop: Header=BB104_15 Depth=1
	s_mov_b32 s15, -1
	s_mov_b32 s11, 0
                                        ; implicit-def: $sgpr21
                                        ; implicit-def: $vgpr3
	s_mov_b32 s22, s15
	s_cbranch_execnz .LBB104_99
	s_branch .LBB104_109
.LBB104_97:                             ;   in Loop: Header=BB104_15 Depth=1
	s_set_inst_prefetch_distance 0x2
	s_or_b32 exec_lo, exec_lo, s23
	v_lshrrev_b32_e32 v3, 16, v8
	s_and_b32 s11, s75, exec_lo
.LBB104_98:                             ;   in Loop: Header=BB104_15 Depth=1
	s_or_b32 exec_lo, exec_lo, s21
	s_mov_b32 s21, -1
	s_mov_b32 s15, 0
	s_delay_alu instid0(SALU_CYCLE_1)
	s_mov_b32 s22, s15
	s_branch .LBB104_109
.LBB104_99:                             ;   in Loop: Header=BB104_15 Depth=1
	s_mov_b32 s11, 0
                                        ; implicit-def: $vgpr3
	s_and_saveexec_b32 s15, s9
	s_cbranch_execz .LBB104_108
; %bb.100:                              ;   in Loop: Header=BB104_15 Depth=1
	v_dual_mov_b32 v8, v7 :: v_dual_mov_b32 v3, v0
	s_mov_b32 s21, 0
                                        ; implicit-def: $sgpr22
	s_branch .LBB104_102
.LBB104_101:                            ;   in Loop: Header=BB104_102 Depth=2
	s_or_b32 exec_lo, exec_lo, s11
	s_waitcnt vmcnt(0) lgkmcnt(0)
	s_barrier
	buffer_gl0_inv
	ds_load_b32 v4, v9 offset:3072
	v_add_nc_u32_e32 v3, s33, v3
	v_add_nc_u32_e32 v8, s34, v8
	s_waitcnt lgkmcnt(0)
	s_barrier
	buffer_gl0_inv
	v_cmp_le_u32_e32 vcc_lo, s58, v3
	v_cmp_neq_f16_e64 s11, 0, v4
	s_delay_alu instid0(VALU_DEP_1) | instskip(NEXT) | instid1(SALU_CYCLE_1)
	s_or_b32 s23, vcc_lo, s11
	s_and_b32 s23, exec_lo, s23
	s_delay_alu instid0(SALU_CYCLE_1) | instskip(SKIP_2) | instid1(SALU_CYCLE_1)
	s_or_b32 s21, s23, s21
	s_and_not1_b32 s22, s22, exec_lo
	s_and_b32 s11, s11, exec_lo
	s_or_b32 s22, s22, s11
	s_and_not1_b32 exec_lo, exec_lo, s21
	s_cbranch_execz .LBB104_107
.LBB104_102:                            ;   Parent Loop BB104_15 Depth=1
                                        ; =>  This Inner Loop Header: Depth=2
	s_delay_alu instid0(VALU_DEP_1)
	v_cmp_gt_u32_e32 vcc_lo, s24, v3
	v_mov_b32_e32 v4, 0
	s_and_saveexec_b32 s23, vcc_lo
	s_cbranch_execz .LBB104_104
; %bb.103:                              ;   in Loop: Header=BB104_102 Depth=2
	v_lshlrev_b64 v[31:32], 1, v[8:9]
	s_delay_alu instid0(VALU_DEP_1) | instskip(NEXT) | instid1(VALU_DEP_1)
	v_add_co_u32 v31, s11, s29, v31
	v_add_co_ci_u32_e64 v32, s11, s30, v32, s11
	global_load_u16 v4, v[31:32], off
.LBB104_104:                            ;   in Loop: Header=BB104_102 Depth=2
	s_or_b32 exec_lo, exec_lo, s23
	s_and_saveexec_b32 s11, vcc_lo
	s_cbranch_execz .LBB104_101
; %bb.105:                              ;   in Loop: Header=BB104_102 Depth=2
	s_waitcnt vmcnt(0)
	v_cmp_lt_i16_e32 vcc_lo, -1, v4
	v_dual_cndmask_b32 v32, 0xffff, v26 :: v_dual_and_b32 v31, 0xffff, v4
	v_cmp_o_f16_e32 vcc_lo, v4, v4
	s_delay_alu instid0(VALU_DEP_2) | instskip(NEXT) | instid1(VALU_DEP_1)
	v_xor_b32_e32 v31, v32, v31
	v_cndmask_b32_e32 v31, 0xffff, v31, vcc_lo
	s_delay_alu instid0(VALU_DEP_1) | instskip(NEXT) | instid1(VALU_DEP_1)
	v_and_b32_e32 v31, v31, v2
	v_cmp_eq_u32_e32 vcc_lo, v31, v1
	s_and_b32 exec_lo, exec_lo, vcc_lo
	s_cbranch_execz .LBB104_101
; %bb.106:                              ;   in Loop: Header=BB104_102 Depth=2
	v_perm_b32 v4, v4, s63, 0x5040100
	ds_store_b32 v9, v4 offset:3072
	s_branch .LBB104_101
.LBB104_107:                            ;   in Loop: Header=BB104_15 Depth=1
	s_or_b32 exec_lo, exec_lo, s21
	v_lshrrev_b32_e32 v3, 16, v4
	s_and_b32 s11, s22, exec_lo
.LBB104_108:                            ;   in Loop: Header=BB104_15 Depth=1
	s_or_b32 exec_lo, exec_lo, s15
	s_mov_b32 s22, -1
	s_mov_b32 s15, 0
	s_mov_b32 s21, 0
.LBB104_109:                            ;   in Loop: Header=BB104_15 Depth=1
	s_or_not1_b32 s77, s11, exec_lo
.LBB104_110:                            ;   in Loop: Header=BB104_15 Depth=1
	s_or_b32 exec_lo, exec_lo, s20
	s_mov_b32 s23, 0
	s_mov_b32 s20, 0
	s_mov_b32 s11, 0
                                        ; implicit-def: $vgpr8
                                        ; implicit-def: $vgpr4
	s_and_saveexec_b32 s75, s77
	s_cbranch_execz .LBB104_245
; %bb.111:                              ;   in Loop: Header=BB104_15 Depth=1
	v_mov_b32_e32 v4, 1
	v_mov_b32_e32 v8, 1
	s_xor_b32 s76, s76, -1
	s_delay_alu instid0(SALU_CYCLE_1)
	s_and_saveexec_b32 s11, s76
	s_cbranch_execz .LBB104_121
; %bb.112:                              ;   in Loop: Header=BB104_15 Depth=1
	s_mov_b32 s76, exec_lo
                                        ; implicit-def: $sgpr77
                                        ; implicit-def: $sgpr20
	v_cmpx_ge_u32_e64 s12, v30
	s_xor_b32 s76, exec_lo, s76
	s_cbranch_execz .LBB104_118
; %bb.113:                              ;   in Loop: Header=BB104_15 Depth=1
	ds_load_b32 v4, v9 offset:4096
	s_waitcnt lgkmcnt(0)
	v_cmp_ne_u32_e32 vcc_lo, 0, v4
	s_cbranch_vccnz .LBB104_117
; %bb.114:                              ;   in Loop: Header=BB104_15 Depth=1
	s_and_saveexec_b32 s20, s5
	s_cbranch_execz .LBB104_116
; %bb.115:                              ;   in Loop: Header=BB104_15 Depth=1
	v_mov_b32_e32 v4, s12
	ds_store_b32 v9, v4 offset:4100
.LBB104_116:                            ;   in Loop: Header=BB104_15 Depth=1
	s_or_b32 exec_lo, exec_lo, s20
	s_waitcnt lgkmcnt(0)
	s_barrier
	buffer_gl0_inv
.LBB104_117:                            ;   in Loop: Header=BB104_15 Depth=1
	v_and_b32_e32 v1, s14, v1
	v_or_b32_e32 v2, s13, v2
	s_mov_b32 s20, 0
	s_mov_b32 s77, 8
.LBB104_118:                            ;   in Loop: Header=BB104_15 Depth=1
	s_or_saveexec_b32 s76, s76
	v_mov_b32_e32 v8, s77
	v_mov_b32_e32 v4, v30
	s_xor_b32 exec_lo, exec_lo, s76
; %bb.119:                              ;   in Loop: Header=BB104_15 Depth=1
	v_subrev_nc_u32_e32 v4, s12, v30
	v_mov_b32_e32 v8, 0
	s_or_b32 s20, s20, exec_lo
; %bb.120:                              ;   in Loop: Header=BB104_15 Depth=1
	s_or_b32 exec_lo, exec_lo, s76
	s_delay_alu instid0(SALU_CYCLE_1)
	s_and_b32 s20, s20, exec_lo
.LBB104_121:                            ;   in Loop: Header=BB104_15 Depth=1
	s_or_b32 exec_lo, exec_lo, s11
	s_mov_b32 s11, -1
                                        ; implicit-def: $sgpr76
                                        ; implicit-def: $sgpr78
                                        ; implicit-def: $sgpr79
	s_and_saveexec_b32 s77, s20
	s_delay_alu instid0(SALU_CYCLE_1)
	s_xor_b32 s20, exec_lo, s77
	s_cbranch_execz .LBB104_242
; %bb.122:                              ;   in Loop: Header=BB104_15 Depth=1
	v_cmp_eq_u32_e32 vcc_lo, 1, v4
	s_cmp_eq_u32 s16, 1
                                        ; implicit-def: $sgpr76
                                        ; implicit-def: $sgpr78
                                        ; implicit-def: $sgpr77
	s_cselect_b32 s11, -1, 0
	s_delay_alu instid0(SALU_CYCLE_1)
	s_and_b32 s80, s11, vcc_lo
	s_mov_b32 s11, -1
	s_and_saveexec_b32 s79, s80
	s_cbranch_execz .LBB104_148
; %bb.123:                              ;   in Loop: Header=BB104_15 Depth=1
	ds_load_b32 v3, v9 offset:4096
	s_waitcnt lgkmcnt(0)
	s_barrier
	buffer_gl0_inv
	v_readfirstlane_b32 s76, v3
	s_and_saveexec_b32 s11, s6
	s_cbranch_execz .LBB104_125
; %bb.124:                              ;   in Loop: Header=BB104_15 Depth=1
	ds_store_b16 v19, v9
.LBB104_125:                            ;   in Loop: Header=BB104_15 Depth=1
	s_or_b32 exec_lo, exec_lo, s11
	s_lshl_b32 s11, 1, s17
	v_or_b32_e32 v2, s13, v2
	v_and_or_b32 v1, v1, s14, s11
	s_cmp_eq_u32 s76, 0
	s_waitcnt lgkmcnt(0)
	s_barrier
	buffer_gl0_inv
	s_cbranch_scc1 .LBB104_134
; %bb.126:                              ;   in Loop: Header=BB104_15 Depth=1
	s_add_i32 s11, s76, s50
                                        ; implicit-def: $vgpr3
	s_delay_alu instid0(SALU_CYCLE_1) | instskip(NEXT) | instid1(SALU_CYCLE_1)
	s_mul_hi_u32 s77, s11, s57
	s_mul_i32 s77, s77, s33
	s_delay_alu instid0(SALU_CYCLE_1) | instskip(NEXT) | instid1(SALU_CYCLE_1)
	s_sub_i32 s77, s11, s77
	s_sub_i32 s78, s77, s33
	s_cmp_ge_u32 s77, s33
	s_cselect_b32 s77, s78, s77
	s_delay_alu instid0(SALU_CYCLE_1) | instskip(SKIP_2) | instid1(SALU_CYCLE_1)
	s_sub_i32 s78, s77, s33
	s_cmp_ge_u32 s77, s33
	s_cselect_b32 s77, s78, s77
	s_sub_i32 s78, s11, s77
	s_mov_b32 s11, 0
	s_mov_b32 s77, exec_lo
	v_cmpx_gt_u32_e64 s78, v0
	s_cbranch_execz .LBB104_136
; %bb.127:                              ;   in Loop: Header=BB104_15 Depth=1
	v_dual_mov_b32 v3, v17 :: v_dual_mov_b32 v8, v0
	s_mov_b32 s81, 0
                                        ; implicit-def: $sgpr82
	s_set_inst_prefetch_distance 0x1
	s_branch .LBB104_129
	.p2align	6
.LBB104_128:                            ;   in Loop: Header=BB104_129 Depth=2
	s_or_b32 exec_lo, exec_lo, s11
	s_waitcnt lgkmcnt(0)
	s_barrier
	buffer_gl0_inv
	ds_load_b32 v31, v9 offset:3072
	v_add_nc_u32_e32 v8, s33, v8
	v_add_nc_u32_e32 v3, s61, v3
	s_waitcnt lgkmcnt(0)
	s_barrier
	buffer_gl0_inv
	v_cmp_le_u32_e32 vcc_lo, s78, v8
	v_cmp_neq_f16_e64 s11, 0, v31
	s_delay_alu instid0(VALU_DEP_1) | instskip(NEXT) | instid1(SALU_CYCLE_1)
	s_or_b32 s83, vcc_lo, s11
	s_and_b32 s83, exec_lo, s83
	s_delay_alu instid0(SALU_CYCLE_1) | instskip(SKIP_2) | instid1(SALU_CYCLE_1)
	s_or_b32 s81, s83, s81
	s_and_not1_b32 s82, s82, exec_lo
	s_and_b32 s11, s11, exec_lo
	s_or_b32 s82, s82, s11
	s_and_not1_b32 exec_lo, exec_lo, s81
	s_cbranch_execz .LBB104_135
.LBB104_129:                            ;   Parent Loop BB104_15 Depth=1
                                        ; =>  This Inner Loop Header: Depth=2
	s_delay_alu instid0(VALU_DEP_1)
	v_cmp_gt_u32_e32 vcc_lo, s76, v8
	v_mov_b32_e32 v31, 0
	s_and_saveexec_b32 s11, vcc_lo
	s_cbranch_execz .LBB104_131
; %bb.130:                              ;   in Loop: Header=BB104_129 Depth=2
	ds_load_u16 v31, v3
.LBB104_131:                            ;   in Loop: Header=BB104_129 Depth=2
	s_or_b32 exec_lo, exec_lo, s11
	s_and_saveexec_b32 s11, vcc_lo
	s_cbranch_execz .LBB104_128
; %bb.132:                              ;   in Loop: Header=BB104_129 Depth=2
	s_waitcnt lgkmcnt(0)
	v_cmp_lt_i16_e32 vcc_lo, -1, v31
	v_dual_cndmask_b32 v33, 0xffff, v26 :: v_dual_and_b32 v32, 0xffff, v31
	v_cmp_o_f16_e32 vcc_lo, v31, v31
	s_delay_alu instid0(VALU_DEP_2) | instskip(NEXT) | instid1(VALU_DEP_1)
	v_xor_b32_e32 v32, v33, v32
	v_cndmask_b32_e32 v32, 0xffff, v32, vcc_lo
	s_delay_alu instid0(VALU_DEP_1) | instskip(NEXT) | instid1(VALU_DEP_1)
	v_and_b32_e32 v32, v32, v2
	v_cmp_eq_u32_e32 vcc_lo, v32, v1
	s_and_b32 exec_lo, exec_lo, vcc_lo
	s_cbranch_execz .LBB104_128
; %bb.133:                              ;   in Loop: Header=BB104_129 Depth=2
	v_perm_b32 v31, v31, s63, 0x5040100
	ds_store_b32 v9, v31 offset:3072
	s_branch .LBB104_128
.LBB104_134:                            ;   in Loop: Header=BB104_15 Depth=1
	s_mov_b32 s76, -1
	s_mov_b32 s11, 0
                                        ; implicit-def: $sgpr77
                                        ; implicit-def: $vgpr3
	s_mov_b32 s78, s76
	s_cbranch_execnz .LBB104_137
	s_branch .LBB104_147
.LBB104_135:                            ;   in Loop: Header=BB104_15 Depth=1
	s_set_inst_prefetch_distance 0x2
	s_or_b32 exec_lo, exec_lo, s81
	v_lshrrev_b32_e32 v3, 16, v31
	s_and_b32 s11, s82, exec_lo
.LBB104_136:                            ;   in Loop: Header=BB104_15 Depth=1
	s_or_b32 exec_lo, exec_lo, s77
	s_mov_b32 s77, -1
	s_mov_b32 s76, 0
	s_delay_alu instid0(SALU_CYCLE_1)
	s_mov_b32 s78, s76
	s_branch .LBB104_147
.LBB104_137:                            ;   in Loop: Header=BB104_15 Depth=1
	s_mov_b32 s11, 0
                                        ; implicit-def: $vgpr3
	s_and_saveexec_b32 s76, s9
	s_cbranch_execz .LBB104_146
; %bb.138:                              ;   in Loop: Header=BB104_15 Depth=1
	v_dual_mov_b32 v8, v7 :: v_dual_mov_b32 v3, v0
	s_mov_b32 s77, 0
                                        ; implicit-def: $sgpr78
	s_branch .LBB104_140
.LBB104_139:                            ;   in Loop: Header=BB104_140 Depth=2
	s_or_b32 exec_lo, exec_lo, s11
	s_waitcnt vmcnt(0) lgkmcnt(0)
	s_barrier
	buffer_gl0_inv
	ds_load_b32 v31, v9 offset:3072
	v_add_nc_u32_e32 v3, s33, v3
	v_add_nc_u32_e32 v8, s34, v8
	s_waitcnt lgkmcnt(0)
	s_barrier
	buffer_gl0_inv
	v_cmp_le_u32_e32 vcc_lo, s58, v3
	v_cmp_neq_f16_e64 s11, 0, v31
	s_delay_alu instid0(VALU_DEP_1) | instskip(NEXT) | instid1(SALU_CYCLE_1)
	s_or_b32 s81, vcc_lo, s11
	s_and_b32 s81, exec_lo, s81
	s_delay_alu instid0(SALU_CYCLE_1) | instskip(SKIP_2) | instid1(SALU_CYCLE_1)
	s_or_b32 s77, s81, s77
	s_and_not1_b32 s78, s78, exec_lo
	s_and_b32 s11, s11, exec_lo
	s_or_b32 s78, s78, s11
	s_and_not1_b32 exec_lo, exec_lo, s77
	s_cbranch_execz .LBB104_145
.LBB104_140:                            ;   Parent Loop BB104_15 Depth=1
                                        ; =>  This Inner Loop Header: Depth=2
	s_delay_alu instid0(VALU_DEP_1)
	v_cmp_gt_u32_e32 vcc_lo, s24, v3
	v_mov_b32_e32 v31, 0
	s_and_saveexec_b32 s81, vcc_lo
	s_cbranch_execz .LBB104_142
; %bb.141:                              ;   in Loop: Header=BB104_140 Depth=2
	v_lshlrev_b64 v[31:32], 1, v[8:9]
	s_delay_alu instid0(VALU_DEP_1) | instskip(NEXT) | instid1(VALU_DEP_1)
	v_add_co_u32 v31, s11, s29, v31
	v_add_co_ci_u32_e64 v32, s11, s30, v32, s11
	global_load_u16 v31, v[31:32], off
.LBB104_142:                            ;   in Loop: Header=BB104_140 Depth=2
	s_or_b32 exec_lo, exec_lo, s81
	s_and_saveexec_b32 s11, vcc_lo
	s_cbranch_execz .LBB104_139
; %bb.143:                              ;   in Loop: Header=BB104_140 Depth=2
	s_waitcnt vmcnt(0)
	v_cmp_lt_i16_e32 vcc_lo, -1, v31
	v_dual_cndmask_b32 v33, 0xffff, v26 :: v_dual_and_b32 v32, 0xffff, v31
	v_cmp_o_f16_e32 vcc_lo, v31, v31
	s_delay_alu instid0(VALU_DEP_2) | instskip(NEXT) | instid1(VALU_DEP_1)
	v_xor_b32_e32 v32, v33, v32
	v_cndmask_b32_e32 v32, 0xffff, v32, vcc_lo
	s_delay_alu instid0(VALU_DEP_1) | instskip(NEXT) | instid1(VALU_DEP_1)
	v_and_b32_e32 v32, v32, v2
	v_cmp_eq_u32_e32 vcc_lo, v32, v1
	s_and_b32 exec_lo, exec_lo, vcc_lo
	s_cbranch_execz .LBB104_139
; %bb.144:                              ;   in Loop: Header=BB104_140 Depth=2
	v_perm_b32 v31, v31, s63, 0x5040100
	ds_store_b32 v9, v31 offset:3072
	s_branch .LBB104_139
.LBB104_145:                            ;   in Loop: Header=BB104_15 Depth=1
	s_or_b32 exec_lo, exec_lo, s77
	v_lshrrev_b32_e32 v3, 16, v31
	s_and_b32 s11, s78, exec_lo
.LBB104_146:                            ;   in Loop: Header=BB104_15 Depth=1
	s_or_b32 exec_lo, exec_lo, s76
	s_mov_b32 s78, -1
	s_mov_b32 s76, 0
	s_mov_b32 s77, 0
.LBB104_147:                            ;   in Loop: Header=BB104_15 Depth=1
	s_or_not1_b32 s11, s11, exec_lo
.LBB104_148:                            ;   in Loop: Header=BB104_15 Depth=1
	s_or_b32 exec_lo, exec_lo, s79
	s_mov_b32 s81, 0
                                        ; implicit-def: $vgpr8
	s_and_saveexec_b32 s79, s11
	s_cbranch_execz .LBB104_241
; %bb.149:                              ;   in Loop: Header=BB104_15 Depth=1
	v_dual_mov_b32 v31, 1 :: v_dual_mov_b32 v8, 1
	s_xor_b32 s80, s80, -1
	s_mov_b32 s82, 0
	s_and_saveexec_b32 s11, s80
	s_cbranch_execz .LBB104_159
; %bb.150:                              ;   in Loop: Header=BB104_15 Depth=1
	s_mov_b32 s81, exec_lo
                                        ; implicit-def: $sgpr82
                                        ; implicit-def: $sgpr80
	v_cmpx_ge_u32_e64 s16, v4
	s_xor_b32 s81, exec_lo, s81
	s_cbranch_execz .LBB104_156
; %bb.151:                              ;   in Loop: Header=BB104_15 Depth=1
	ds_load_b32 v8, v9 offset:4096
	s_waitcnt lgkmcnt(0)
	v_cmp_ne_u32_e32 vcc_lo, 0, v8
	s_cbranch_vccnz .LBB104_155
; %bb.152:                              ;   in Loop: Header=BB104_15 Depth=1
	s_and_saveexec_b32 s80, s5
	s_cbranch_execz .LBB104_154
; %bb.153:                              ;   in Loop: Header=BB104_15 Depth=1
	v_mov_b32_e32 v8, s16
	ds_store_b32 v9, v8 offset:4100
.LBB104_154:                            ;   in Loop: Header=BB104_15 Depth=1
	s_or_b32 exec_lo, exec_lo, s80
	s_waitcnt lgkmcnt(0)
	s_barrier
	buffer_gl0_inv
.LBB104_155:                            ;   in Loop: Header=BB104_15 Depth=1
	s_lshl_b32 s80, 1, s17
	v_or_b32_e32 v2, s13, v2
	v_and_or_b32 v1, v1, s14, s80
	s_mov_b32 s80, 0
	s_mov_b32 s82, 8
.LBB104_156:                            ;   in Loop: Header=BB104_15 Depth=1
	s_or_saveexec_b32 s81, s81
	v_mov_b32_e32 v8, s82
	s_xor_b32 exec_lo, exec_lo, s81
; %bb.157:                              ;   in Loop: Header=BB104_15 Depth=1
	v_subrev_nc_u32_e32 v4, s16, v4
	v_mov_b32_e32 v8, 0
	s_or_b32 s80, s80, exec_lo
; %bb.158:                              ;   in Loop: Header=BB104_15 Depth=1
	s_or_b32 exec_lo, exec_lo, s81
	s_delay_alu instid0(VALU_DEP_2)
	v_mov_b32_e32 v31, v4
	s_and_b32 s82, s80, exec_lo
.LBB104_159:                            ;   in Loop: Header=BB104_15 Depth=1
	s_or_b32 exec_lo, exec_lo, s11
	s_mov_b32 s11, -1
                                        ; implicit-def: $sgpr81
                                        ; implicit-def: $sgpr83
                                        ; implicit-def: $sgpr84
	s_and_saveexec_b32 s80, s82
	s_cbranch_execz .LBB104_240
; %bb.160:                              ;   in Loop: Header=BB104_15 Depth=1
	v_cmp_eq_u32_e32 vcc_lo, 1, v31
	s_cmp_eq_u32 s18, 1
                                        ; implicit-def: $sgpr81
                                        ; implicit-def: $sgpr83
                                        ; implicit-def: $sgpr82
	s_cselect_b32 s11, -1, 0
	s_delay_alu instid0(SALU_CYCLE_1)
	s_and_b32 s85, s11, vcc_lo
	s_mov_b32 s11, -1
	s_and_saveexec_b32 s84, s85
	s_cbranch_execz .LBB104_186
; %bb.161:                              ;   in Loop: Header=BB104_15 Depth=1
	ds_load_b32 v3, v9 offset:4096
	s_waitcnt lgkmcnt(0)
	s_barrier
	buffer_gl0_inv
	v_readfirstlane_b32 s81, v3
	s_and_saveexec_b32 s11, s6
	s_cbranch_execz .LBB104_163
; %bb.162:                              ;   in Loop: Header=BB104_15 Depth=1
	ds_store_b16 v19, v9
.LBB104_163:                            ;   in Loop: Header=BB104_15 Depth=1
	s_or_b32 exec_lo, exec_lo, s11
	s_lshl_b32 s11, 2, s17
	v_or_b32_e32 v2, s13, v2
	v_and_or_b32 v1, v1, s14, s11
	s_cmp_eq_u32 s81, 0
	s_waitcnt lgkmcnt(0)
	s_barrier
	buffer_gl0_inv
	s_cbranch_scc1 .LBB104_172
; %bb.164:                              ;   in Loop: Header=BB104_15 Depth=1
	s_add_i32 s11, s81, s50
                                        ; implicit-def: $vgpr3
	s_delay_alu instid0(SALU_CYCLE_1) | instskip(NEXT) | instid1(SALU_CYCLE_1)
	s_mul_hi_u32 s82, s11, s57
	s_mul_i32 s82, s82, s33
	s_delay_alu instid0(SALU_CYCLE_1) | instskip(NEXT) | instid1(SALU_CYCLE_1)
	s_sub_i32 s82, s11, s82
	s_sub_i32 s83, s82, s33
	s_cmp_ge_u32 s82, s33
	s_cselect_b32 s82, s83, s82
	s_delay_alu instid0(SALU_CYCLE_1) | instskip(SKIP_2) | instid1(SALU_CYCLE_1)
	s_sub_i32 s83, s82, s33
	s_cmp_ge_u32 s82, s33
	s_cselect_b32 s82, s83, s82
	s_sub_i32 s83, s11, s82
	s_mov_b32 s11, 0
	s_mov_b32 s82, exec_lo
	v_cmpx_gt_u32_e64 s83, v0
	s_cbranch_execz .LBB104_174
; %bb.165:                              ;   in Loop: Header=BB104_15 Depth=1
	v_dual_mov_b32 v3, v17 :: v_dual_mov_b32 v4, v0
	s_mov_b32 s86, 0
                                        ; implicit-def: $sgpr87
	s_set_inst_prefetch_distance 0x1
	s_branch .LBB104_167
	.p2align	6
.LBB104_166:                            ;   in Loop: Header=BB104_167 Depth=2
	s_or_b32 exec_lo, exec_lo, s11
	s_waitcnt lgkmcnt(0)
	s_barrier
	buffer_gl0_inv
	ds_load_b32 v8, v9 offset:3072
	v_add_nc_u32_e32 v4, s33, v4
	v_add_nc_u32_e32 v3, s61, v3
	s_waitcnt lgkmcnt(0)
	s_barrier
	buffer_gl0_inv
	v_cmp_le_u32_e32 vcc_lo, s83, v4
	v_cmp_neq_f16_e64 s11, 0, v8
	s_delay_alu instid0(VALU_DEP_1) | instskip(NEXT) | instid1(SALU_CYCLE_1)
	s_or_b32 s88, vcc_lo, s11
	s_and_b32 s88, exec_lo, s88
	s_delay_alu instid0(SALU_CYCLE_1) | instskip(SKIP_2) | instid1(SALU_CYCLE_1)
	s_or_b32 s86, s88, s86
	s_and_not1_b32 s87, s87, exec_lo
	s_and_b32 s11, s11, exec_lo
	s_or_b32 s87, s87, s11
	s_and_not1_b32 exec_lo, exec_lo, s86
	s_cbranch_execz .LBB104_173
.LBB104_167:                            ;   Parent Loop BB104_15 Depth=1
                                        ; =>  This Inner Loop Header: Depth=2
	s_delay_alu instid0(VALU_DEP_1)
	v_cmp_gt_u32_e32 vcc_lo, s81, v4
	v_mov_b32_e32 v8, 0
	s_and_saveexec_b32 s11, vcc_lo
	s_cbranch_execz .LBB104_169
; %bb.168:                              ;   in Loop: Header=BB104_167 Depth=2
	ds_load_u16 v8, v3
.LBB104_169:                            ;   in Loop: Header=BB104_167 Depth=2
	s_or_b32 exec_lo, exec_lo, s11
	s_and_saveexec_b32 s11, vcc_lo
	s_cbranch_execz .LBB104_166
; %bb.170:                              ;   in Loop: Header=BB104_167 Depth=2
	s_waitcnt lgkmcnt(0)
	v_cmp_lt_i16_e32 vcc_lo, -1, v8
	v_dual_cndmask_b32 v33, 0xffff, v26 :: v_dual_and_b32 v32, 0xffff, v8
	v_cmp_o_f16_e32 vcc_lo, v8, v8
	s_delay_alu instid0(VALU_DEP_2) | instskip(NEXT) | instid1(VALU_DEP_1)
	v_xor_b32_e32 v32, v33, v32
	v_cndmask_b32_e32 v32, 0xffff, v32, vcc_lo
	s_delay_alu instid0(VALU_DEP_1) | instskip(NEXT) | instid1(VALU_DEP_1)
	v_and_b32_e32 v32, v32, v2
	v_cmp_eq_u32_e32 vcc_lo, v32, v1
	s_and_b32 exec_lo, exec_lo, vcc_lo
	s_cbranch_execz .LBB104_166
; %bb.171:                              ;   in Loop: Header=BB104_167 Depth=2
	v_perm_b32 v8, v8, s63, 0x5040100
	ds_store_b32 v9, v8 offset:3072
	s_branch .LBB104_166
.LBB104_172:                            ;   in Loop: Header=BB104_15 Depth=1
	s_mov_b32 s81, -1
	s_mov_b32 s11, 0
                                        ; implicit-def: $sgpr82
                                        ; implicit-def: $vgpr3
	s_mov_b32 s83, s81
	s_cbranch_execnz .LBB104_175
	s_branch .LBB104_185
.LBB104_173:                            ;   in Loop: Header=BB104_15 Depth=1
	s_set_inst_prefetch_distance 0x2
	s_or_b32 exec_lo, exec_lo, s86
	v_lshrrev_b32_e32 v3, 16, v8
	s_and_b32 s11, s87, exec_lo
.LBB104_174:                            ;   in Loop: Header=BB104_15 Depth=1
	s_or_b32 exec_lo, exec_lo, s82
	s_mov_b32 s82, -1
	s_mov_b32 s81, 0
	s_delay_alu instid0(SALU_CYCLE_1)
	s_mov_b32 s83, s81
	s_branch .LBB104_185
.LBB104_175:                            ;   in Loop: Header=BB104_15 Depth=1
	s_mov_b32 s11, 0
                                        ; implicit-def: $vgpr3
	s_and_saveexec_b32 s81, s9
	s_cbranch_execz .LBB104_184
; %bb.176:                              ;   in Loop: Header=BB104_15 Depth=1
	v_dual_mov_b32 v8, v7 :: v_dual_mov_b32 v3, v0
	s_mov_b32 s82, 0
                                        ; implicit-def: $sgpr83
	s_branch .LBB104_178
.LBB104_177:                            ;   in Loop: Header=BB104_178 Depth=2
	s_or_b32 exec_lo, exec_lo, s11
	s_waitcnt vmcnt(0) lgkmcnt(0)
	s_barrier
	buffer_gl0_inv
	ds_load_b32 v4, v9 offset:3072
	v_add_nc_u32_e32 v3, s33, v3
	v_add_nc_u32_e32 v8, s34, v8
	s_waitcnt lgkmcnt(0)
	s_barrier
	buffer_gl0_inv
	v_cmp_le_u32_e32 vcc_lo, s58, v3
	v_cmp_neq_f16_e64 s11, 0, v4
	s_delay_alu instid0(VALU_DEP_1) | instskip(NEXT) | instid1(SALU_CYCLE_1)
	s_or_b32 s86, vcc_lo, s11
	s_and_b32 s86, exec_lo, s86
	s_delay_alu instid0(SALU_CYCLE_1) | instskip(SKIP_2) | instid1(SALU_CYCLE_1)
	s_or_b32 s82, s86, s82
	s_and_not1_b32 s83, s83, exec_lo
	s_and_b32 s11, s11, exec_lo
	s_or_b32 s83, s83, s11
	s_and_not1_b32 exec_lo, exec_lo, s82
	s_cbranch_execz .LBB104_183
.LBB104_178:                            ;   Parent Loop BB104_15 Depth=1
                                        ; =>  This Inner Loop Header: Depth=2
	s_delay_alu instid0(VALU_DEP_1)
	v_cmp_gt_u32_e32 vcc_lo, s24, v3
	v_mov_b32_e32 v4, 0
	s_and_saveexec_b32 s86, vcc_lo
	s_cbranch_execz .LBB104_180
; %bb.179:                              ;   in Loop: Header=BB104_178 Depth=2
	v_lshlrev_b64 v[32:33], 1, v[8:9]
	s_delay_alu instid0(VALU_DEP_1) | instskip(NEXT) | instid1(VALU_DEP_1)
	v_add_co_u32 v32, s11, s29, v32
	v_add_co_ci_u32_e64 v33, s11, s30, v33, s11
	global_load_u16 v4, v[32:33], off
.LBB104_180:                            ;   in Loop: Header=BB104_178 Depth=2
	s_or_b32 exec_lo, exec_lo, s86
	s_and_saveexec_b32 s11, vcc_lo
	s_cbranch_execz .LBB104_177
; %bb.181:                              ;   in Loop: Header=BB104_178 Depth=2
	s_waitcnt vmcnt(0)
	v_cmp_lt_i16_e32 vcc_lo, -1, v4
	v_dual_cndmask_b32 v33, 0xffff, v26 :: v_dual_and_b32 v32, 0xffff, v4
	v_cmp_o_f16_e32 vcc_lo, v4, v4
	s_delay_alu instid0(VALU_DEP_2) | instskip(NEXT) | instid1(VALU_DEP_1)
	v_xor_b32_e32 v32, v33, v32
	v_cndmask_b32_e32 v32, 0xffff, v32, vcc_lo
	s_delay_alu instid0(VALU_DEP_1) | instskip(NEXT) | instid1(VALU_DEP_1)
	v_and_b32_e32 v32, v32, v2
	v_cmp_eq_u32_e32 vcc_lo, v32, v1
	s_and_b32 exec_lo, exec_lo, vcc_lo
	s_cbranch_execz .LBB104_177
; %bb.182:                              ;   in Loop: Header=BB104_178 Depth=2
	v_perm_b32 v4, v4, s63, 0x5040100
	ds_store_b32 v9, v4 offset:3072
	s_branch .LBB104_177
.LBB104_183:                            ;   in Loop: Header=BB104_15 Depth=1
	s_or_b32 exec_lo, exec_lo, s82
	v_lshrrev_b32_e32 v3, 16, v4
	s_and_b32 s11, s83, exec_lo
.LBB104_184:                            ;   in Loop: Header=BB104_15 Depth=1
	s_or_b32 exec_lo, exec_lo, s81
	s_mov_b32 s83, -1
	s_mov_b32 s81, 0
	s_mov_b32 s82, 0
.LBB104_185:                            ;   in Loop: Header=BB104_15 Depth=1
	s_or_not1_b32 s11, s11, exec_lo
.LBB104_186:                            ;   in Loop: Header=BB104_15 Depth=1
	s_or_b32 exec_lo, exec_lo, s84
	s_mov_b32 s86, 0
                                        ; implicit-def: $vgpr8
	s_and_saveexec_b32 s84, s11
	s_cbranch_execz .LBB104_239
; %bb.187:                              ;   in Loop: Header=BB104_15 Depth=1
	v_mov_b32_e32 v4, 1
	v_mov_b32_e32 v8, 1
	s_xor_b32 s85, s85, -1
	s_mov_b32 s87, 0
	s_and_saveexec_b32 s11, s85
	s_cbranch_execz .LBB104_197
; %bb.188:                              ;   in Loop: Header=BB104_15 Depth=1
	s_mov_b32 s86, exec_lo
                                        ; implicit-def: $sgpr87
                                        ; implicit-def: $sgpr85
	v_cmpx_ge_u32_e64 s18, v31
	s_xor_b32 s86, exec_lo, s86
	s_cbranch_execz .LBB104_194
; %bb.189:                              ;   in Loop: Header=BB104_15 Depth=1
	ds_load_b32 v4, v9 offset:4096
	s_waitcnt lgkmcnt(0)
	v_cmp_ne_u32_e32 vcc_lo, 0, v4
	s_cbranch_vccnz .LBB104_193
; %bb.190:                              ;   in Loop: Header=BB104_15 Depth=1
	s_and_saveexec_b32 s85, s5
	s_cbranch_execz .LBB104_192
; %bb.191:                              ;   in Loop: Header=BB104_15 Depth=1
	v_mov_b32_e32 v4, s18
	ds_store_b32 v9, v4 offset:4100
.LBB104_192:                            ;   in Loop: Header=BB104_15 Depth=1
	s_or_b32 exec_lo, exec_lo, s85
	s_waitcnt lgkmcnt(0)
	s_barrier
	buffer_gl0_inv
.LBB104_193:                            ;   in Loop: Header=BB104_15 Depth=1
	s_lshl_b32 s85, 2, s17
	v_or_b32_e32 v2, s13, v2
	v_and_or_b32 v1, v1, s14, s85
	s_mov_b32 s85, 0
	s_mov_b32 s87, 8
.LBB104_194:                            ;   in Loop: Header=BB104_15 Depth=1
	s_or_saveexec_b32 s86, s86
	v_mov_b32_e32 v8, s87
	s_xor_b32 exec_lo, exec_lo, s86
; %bb.195:                              ;   in Loop: Header=BB104_15 Depth=1
	v_subrev_nc_u32_e32 v31, s18, v31
	v_mov_b32_e32 v8, 0
	s_or_b32 s85, s85, exec_lo
; %bb.196:                              ;   in Loop: Header=BB104_15 Depth=1
	s_or_b32 exec_lo, exec_lo, s86
	s_delay_alu instid0(VALU_DEP_2)
	v_mov_b32_e32 v4, v31
	s_and_b32 s87, s85, exec_lo
.LBB104_197:                            ;   in Loop: Header=BB104_15 Depth=1
	s_or_b32 exec_lo, exec_lo, s11
	s_mov_b32 s86, -1
                                        ; implicit-def: $sgpr11
                                        ; implicit-def: $sgpr89
                                        ; implicit-def: $sgpr88
	s_and_saveexec_b32 s85, s87
	s_cbranch_execz .LBB104_238
; %bb.198:                              ;   in Loop: Header=BB104_15 Depth=1
	v_cmp_eq_u32_e32 vcc_lo, 1, v4
	s_cmp_eq_u32 s19, 1
	s_mov_b32 s90, -1
	s_cselect_b32 s11, -1, 0
                                        ; implicit-def: $sgpr89
                                        ; implicit-def: $sgpr88
	s_delay_alu instid0(SALU_CYCLE_1) | instskip(NEXT) | instid1(SALU_CYCLE_1)
	s_and_b32 s86, s11, vcc_lo
                                        ; implicit-def: $sgpr11
	s_and_saveexec_b32 s87, s86
	s_cbranch_execz .LBB104_225
; %bb.199:                              ;   in Loop: Header=BB104_15 Depth=1
	ds_load_b32 v3, v9 offset:4096
	s_waitcnt lgkmcnt(0)
	s_barrier
	buffer_gl0_inv
	v_readfirstlane_b32 s88, v3
	s_and_saveexec_b32 s11, s6
	s_cbranch_execz .LBB104_201
; %bb.200:                              ;   in Loop: Header=BB104_15 Depth=1
	ds_store_b16 v19, v9
.LBB104_201:                            ;   in Loop: Header=BB104_15 Depth=1
	s_or_b32 exec_lo, exec_lo, s11
	v_or_b32_e32 v1, s13, v1
	v_or_b32_e32 v2, s13, v2
	s_cmp_eq_u32 s88, 0
	s_waitcnt lgkmcnt(0)
	s_barrier
	buffer_gl0_inv
	s_cbranch_scc1 .LBB104_210
; %bb.202:                              ;   in Loop: Header=BB104_15 Depth=1
	s_add_i32 s11, s88, s50
                                        ; implicit-def: $vgpr3
	s_delay_alu instid0(SALU_CYCLE_1) | instskip(NEXT) | instid1(SALU_CYCLE_1)
	s_mul_hi_u32 s89, s11, s57
	s_mul_i32 s89, s89, s33
	s_delay_alu instid0(SALU_CYCLE_1) | instskip(NEXT) | instid1(SALU_CYCLE_1)
	s_sub_i32 s89, s11, s89
	s_sub_i32 s90, s89, s33
	s_cmp_ge_u32 s89, s33
	s_cselect_b32 s89, s90, s89
	s_delay_alu instid0(SALU_CYCLE_1)
	s_sub_i32 s90, s89, s33
	s_cmp_ge_u32 s89, s33
	s_cselect_b32 s89, s90, s89
	s_mov_b32 s90, 0
	s_sub_i32 s91, s11, s89
	s_mov_b32 s89, exec_lo
	v_cmpx_gt_u32_e64 s91, v0
	s_cbranch_execz .LBB104_212
; %bb.203:                              ;   in Loop: Header=BB104_15 Depth=1
	v_dual_mov_b32 v3, v17 :: v_dual_mov_b32 v8, v0
                                        ; implicit-def: $sgpr92
	s_set_inst_prefetch_distance 0x1
	s_branch .LBB104_205
	.p2align	6
.LBB104_204:                            ;   in Loop: Header=BB104_205 Depth=2
	s_or_b32 exec_lo, exec_lo, s11
	s_waitcnt lgkmcnt(0)
	s_barrier
	buffer_gl0_inv
	ds_load_b32 v31, v9 offset:3072
	v_add_nc_u32_e32 v8, s33, v8
	v_add_nc_u32_e32 v3, s61, v3
	s_waitcnt lgkmcnt(0)
	s_barrier
	buffer_gl0_inv
	v_cmp_le_u32_e32 vcc_lo, s91, v8
	v_cmp_neq_f16_e64 s11, 0, v31
	s_delay_alu instid0(VALU_DEP_1) | instskip(NEXT) | instid1(SALU_CYCLE_1)
	s_or_b32 s93, vcc_lo, s11
	s_and_b32 s93, exec_lo, s93
	s_delay_alu instid0(SALU_CYCLE_1) | instskip(SKIP_2) | instid1(SALU_CYCLE_1)
	s_or_b32 s90, s93, s90
	s_and_not1_b32 s92, s92, exec_lo
	s_and_b32 s11, s11, exec_lo
	s_or_b32 s92, s92, s11
	s_and_not1_b32 exec_lo, exec_lo, s90
	s_cbranch_execz .LBB104_211
.LBB104_205:                            ;   Parent Loop BB104_15 Depth=1
                                        ; =>  This Inner Loop Header: Depth=2
	s_delay_alu instid0(VALU_DEP_1)
	v_cmp_gt_u32_e32 vcc_lo, s88, v8
	v_mov_b32_e32 v31, 0
	s_and_saveexec_b32 s11, vcc_lo
	s_cbranch_execz .LBB104_207
; %bb.206:                              ;   in Loop: Header=BB104_205 Depth=2
	ds_load_u16 v31, v3
.LBB104_207:                            ;   in Loop: Header=BB104_205 Depth=2
	s_or_b32 exec_lo, exec_lo, s11
	s_and_saveexec_b32 s11, vcc_lo
	s_cbranch_execz .LBB104_204
; %bb.208:                              ;   in Loop: Header=BB104_205 Depth=2
	s_waitcnt lgkmcnt(0)
	v_cmp_lt_i16_e32 vcc_lo, -1, v31
	v_dual_cndmask_b32 v33, 0xffff, v26 :: v_dual_and_b32 v32, 0xffff, v31
	v_cmp_o_f16_e32 vcc_lo, v31, v31
	s_delay_alu instid0(VALU_DEP_2) | instskip(NEXT) | instid1(VALU_DEP_1)
	v_xor_b32_e32 v32, v33, v32
	v_cndmask_b32_e32 v32, 0xffff, v32, vcc_lo
	s_delay_alu instid0(VALU_DEP_1) | instskip(NEXT) | instid1(VALU_DEP_1)
	v_and_b32_e32 v32, v32, v2
	v_cmp_eq_u32_e32 vcc_lo, v32, v1
	s_and_b32 exec_lo, exec_lo, vcc_lo
	s_cbranch_execz .LBB104_204
; %bb.209:                              ;   in Loop: Header=BB104_205 Depth=2
	v_perm_b32 v31, v31, s63, 0x5040100
	ds_store_b32 v9, v31 offset:3072
	s_branch .LBB104_204
.LBB104_210:                            ;   in Loop: Header=BB104_15 Depth=1
	s_mov_b32 s11, -1
	s_mov_b32 s90, 0
                                        ; implicit-def: $sgpr88
                                        ; implicit-def: $vgpr3
	s_branch .LBB104_213
.LBB104_211:                            ;   in Loop: Header=BB104_15 Depth=1
	s_set_inst_prefetch_distance 0x2
	s_or_b32 exec_lo, exec_lo, s90
	v_lshrrev_b32_e32 v3, 16, v31
	s_and_b32 s90, s92, exec_lo
.LBB104_212:                            ;   in Loop: Header=BB104_15 Depth=1
	s_or_b32 exec_lo, exec_lo, s89
	s_mov_b32 s88, -1
	s_mov_b32 s11, 0
.LBB104_213:                            ;   in Loop: Header=BB104_15 Depth=1
	s_delay_alu instid0(SALU_CYCLE_1)
	s_and_b32 vcc_lo, exec_lo, s11
	s_mov_b32 s89, s11
	s_cbranch_vccz .LBB104_224
; %bb.214:                              ;   in Loop: Header=BB104_15 Depth=1
	s_mov_b32 s90, 0
                                        ; implicit-def: $vgpr3
	s_and_saveexec_b32 s88, s9
	s_cbranch_execz .LBB104_223
; %bb.215:                              ;   in Loop: Header=BB104_15 Depth=1
	v_dual_mov_b32 v8, v7 :: v_dual_mov_b32 v3, v0
	s_mov_b32 s89, 0
                                        ; implicit-def: $sgpr90
	s_branch .LBB104_217
.LBB104_216:                            ;   in Loop: Header=BB104_217 Depth=2
	s_or_b32 exec_lo, exec_lo, s11
	s_waitcnt vmcnt(0) lgkmcnt(0)
	s_barrier
	buffer_gl0_inv
	ds_load_b32 v31, v9 offset:3072
	v_add_nc_u32_e32 v3, s33, v3
	v_add_nc_u32_e32 v8, s34, v8
	s_waitcnt lgkmcnt(0)
	s_barrier
	buffer_gl0_inv
	v_cmp_le_u32_e32 vcc_lo, s58, v3
	v_cmp_neq_f16_e64 s11, 0, v31
	s_delay_alu instid0(VALU_DEP_1) | instskip(NEXT) | instid1(SALU_CYCLE_1)
	s_or_b32 s91, vcc_lo, s11
	s_and_b32 s91, exec_lo, s91
	s_delay_alu instid0(SALU_CYCLE_1) | instskip(SKIP_2) | instid1(SALU_CYCLE_1)
	s_or_b32 s89, s91, s89
	s_and_not1_b32 s90, s90, exec_lo
	s_and_b32 s11, s11, exec_lo
	s_or_b32 s90, s90, s11
	s_and_not1_b32 exec_lo, exec_lo, s89
	s_cbranch_execz .LBB104_222
.LBB104_217:                            ;   Parent Loop BB104_15 Depth=1
                                        ; =>  This Inner Loop Header: Depth=2
	s_delay_alu instid0(VALU_DEP_1)
	v_cmp_gt_u32_e32 vcc_lo, s24, v3
	v_mov_b32_e32 v31, 0
	s_and_saveexec_b32 s91, vcc_lo
	s_cbranch_execz .LBB104_219
; %bb.218:                              ;   in Loop: Header=BB104_217 Depth=2
	v_lshlrev_b64 v[31:32], 1, v[8:9]
	s_delay_alu instid0(VALU_DEP_1) | instskip(NEXT) | instid1(VALU_DEP_1)
	v_add_co_u32 v31, s11, s29, v31
	v_add_co_ci_u32_e64 v32, s11, s30, v32, s11
	global_load_u16 v31, v[31:32], off
.LBB104_219:                            ;   in Loop: Header=BB104_217 Depth=2
	s_or_b32 exec_lo, exec_lo, s91
	s_and_saveexec_b32 s11, vcc_lo
	s_cbranch_execz .LBB104_216
; %bb.220:                              ;   in Loop: Header=BB104_217 Depth=2
	s_waitcnt vmcnt(0)
	v_cmp_lt_i16_e32 vcc_lo, -1, v31
	v_dual_cndmask_b32 v33, 0xffff, v26 :: v_dual_and_b32 v32, 0xffff, v31
	v_cmp_o_f16_e32 vcc_lo, v31, v31
	s_delay_alu instid0(VALU_DEP_2) | instskip(NEXT) | instid1(VALU_DEP_1)
	v_xor_b32_e32 v32, v33, v32
	v_cndmask_b32_e32 v32, 0xffff, v32, vcc_lo
	s_delay_alu instid0(VALU_DEP_1) | instskip(NEXT) | instid1(VALU_DEP_1)
	v_and_b32_e32 v32, v32, v2
	v_cmp_eq_u32_e32 vcc_lo, v32, v1
	s_and_b32 exec_lo, exec_lo, vcc_lo
	s_cbranch_execz .LBB104_216
; %bb.221:                              ;   in Loop: Header=BB104_217 Depth=2
	v_perm_b32 v31, v31, s63, 0x5040100
	ds_store_b32 v9, v31 offset:3072
	s_branch .LBB104_216
.LBB104_222:                            ;   in Loop: Header=BB104_15 Depth=1
	s_or_b32 exec_lo, exec_lo, s89
	v_lshrrev_b32_e32 v3, 16, v31
	s_and_b32 s90, s90, exec_lo
.LBB104_223:                            ;   in Loop: Header=BB104_15 Depth=1
	s_or_b32 exec_lo, exec_lo, s88
	s_mov_b32 s89, -1
	s_mov_b32 s11, 0
	s_mov_b32 s88, 0
.LBB104_224:                            ;   in Loop: Header=BB104_15 Depth=1
	s_or_not1_b32 s90, s90, exec_lo
.LBB104_225:                            ;   in Loop: Header=BB104_15 Depth=1
	s_or_b32 exec_lo, exec_lo, s87
	s_mov_b32 s91, 0
                                        ; implicit-def: $vgpr8
                                        ; implicit-def: $vgpr31
	s_and_saveexec_b32 s87, s90
	s_cbranch_execz .LBB104_237
; %bb.226:                              ;   in Loop: Header=BB104_15 Depth=1
	v_dual_mov_b32 v8, 1 :: v_dual_mov_b32 v31, 1
	s_xor_b32 s90, s86, -1
	s_delay_alu instid0(SALU_CYCLE_1)
	s_and_saveexec_b32 s86, s90
	s_cbranch_execz .LBB104_236
; %bb.227:                              ;   in Loop: Header=BB104_15 Depth=1
	s_mov_b32 s90, exec_lo
                                        ; implicit-def: $sgpr91
	v_cmpx_ge_u32_e64 s19, v4
	s_xor_b32 s90, exec_lo, s90
	s_cbranch_execz .LBB104_233
; %bb.228:                              ;   in Loop: Header=BB104_15 Depth=1
	ds_load_b32 v8, v9 offset:4096
	s_waitcnt lgkmcnt(0)
	v_cmp_ne_u32_e32 vcc_lo, 0, v8
	s_cbranch_vccnz .LBB104_232
; %bb.229:                              ;   in Loop: Header=BB104_15 Depth=1
	s_and_saveexec_b32 s91, s5
	s_cbranch_execz .LBB104_231
; %bb.230:                              ;   in Loop: Header=BB104_15 Depth=1
	v_mov_b32_e32 v8, s19
	ds_store_b32 v9, v8 offset:4100
.LBB104_231:                            ;   in Loop: Header=BB104_15 Depth=1
	s_or_b32 exec_lo, exec_lo, s91
	s_waitcnt lgkmcnt(0)
	s_barrier
	buffer_gl0_inv
.LBB104_232:                            ;   in Loop: Header=BB104_15 Depth=1
	v_or_b32_e32 v1, s13, v1
	v_or_b32_e32 v2, s13, v2
	s_mov_b32 s91, 8
.LBB104_233:                            ;   in Loop: Header=BB104_15 Depth=1
	s_or_saveexec_b32 s90, s90
	v_mov_b32_e32 v8, s91
	s_xor_b32 exec_lo, exec_lo, s90
; %bb.234:                              ;   in Loop: Header=BB104_15 Depth=1
	v_subrev_nc_u32_e32 v4, s19, v4
	v_mov_b32_e32 v8, 8
; %bb.235:                              ;   in Loop: Header=BB104_15 Depth=1
	s_or_b32 exec_lo, exec_lo, s90
	s_delay_alu instid0(VALU_DEP_2)
	v_mov_b32_e32 v31, v4
.LBB104_236:                            ;   in Loop: Header=BB104_15 Depth=1
	s_or_b32 exec_lo, exec_lo, s86
	s_delay_alu instid0(SALU_CYCLE_1)
	s_mov_b32 s91, exec_lo
.LBB104_237:                            ;   in Loop: Header=BB104_15 Depth=1
	s_or_b32 exec_lo, exec_lo, s87
	s_delay_alu instid0(VALU_DEP_1)
	v_mov_b32_e32 v4, v31
	s_or_not1_b32 s86, s91, exec_lo
.LBB104_238:                            ;   in Loop: Header=BB104_15 Depth=1
	s_or_b32 exec_lo, exec_lo, s85
	s_delay_alu instid0(SALU_CYCLE_1)
	s_and_not1_b32 s81, s81, exec_lo
	s_and_b32 s11, s11, exec_lo
	v_mov_b32_e32 v31, v4
	s_or_b32 s81, s81, s11
	s_and_not1_b32 s11, s83, exec_lo
	s_and_b32 s83, s89, exec_lo
	s_and_not1_b32 s82, s82, exec_lo
	s_and_b32 s85, s88, exec_lo
	s_or_b32 s83, s11, s83
	s_or_b32 s82, s82, s85
	s_and_b32 s86, s86, exec_lo
.LBB104_239:                            ;   in Loop: Header=BB104_15 Depth=1
	s_or_b32 exec_lo, exec_lo, s84
	s_delay_alu instid0(SALU_CYCLE_1)
	s_and_b32 s84, s81, exec_lo
	s_and_b32 s83, s83, exec_lo
	;; [unrolled: 1-line block ×3, first 2 shown]
	s_or_not1_b32 s11, s86, exec_lo
.LBB104_240:                            ;   in Loop: Header=BB104_15 Depth=1
	s_or_b32 exec_lo, exec_lo, s80
	s_delay_alu instid0(SALU_CYCLE_1)
	s_and_not1_b32 s76, s76, exec_lo
	s_and_b32 s80, s84, exec_lo
	v_mov_b32_e32 v4, v31
	s_or_b32 s76, s76, s80
	s_and_not1_b32 s78, s78, exec_lo
	s_and_b32 s80, s83, exec_lo
	s_and_not1_b32 s77, s77, exec_lo
	s_and_b32 s81, s81, exec_lo
	s_or_b32 s78, s78, s80
	s_or_b32 s77, s77, s81
	s_and_b32 s81, s11, exec_lo
.LBB104_241:                            ;   in Loop: Header=BB104_15 Depth=1
	s_or_b32 exec_lo, exec_lo, s79
	s_delay_alu instid0(SALU_CYCLE_1)
	s_and_b32 s79, s76, exec_lo
	s_and_b32 s78, s78, exec_lo
	;; [unrolled: 1-line block ×3, first 2 shown]
	s_or_not1_b32 s11, s81, exec_lo
.LBB104_242:                            ;   in Loop: Header=BB104_15 Depth=1
	s_or_b32 exec_lo, exec_lo, s20
	s_mov_b32 s20, 0
	s_mov_b32 s77, 0
	s_and_saveexec_b32 s80, s11
	s_delay_alu instid0(SALU_CYCLE_1)
	s_xor_b32 s80, exec_lo, s80
; %bb.243:                              ;   in Loop: Header=BB104_15 Depth=1
	v_cmp_ne_u32_e32 vcc_lo, 8, v8
	v_cmp_eq_u32_e64 s11, 8, v8
	s_and_not1_b32 s79, s79, exec_lo
	s_and_not1_b32 s78, s78, exec_lo
	;; [unrolled: 1-line block ×3, first 2 shown]
	s_and_b32 s77, vcc_lo, exec_lo
	s_and_b32 s20, s11, exec_lo
; %bb.244:                              ;   in Loop: Header=BB104_15 Depth=1
	s_or_b32 exec_lo, exec_lo, s80
	s_delay_alu instid0(SALU_CYCLE_1)
	s_and_not1_b32 s11, s15, exec_lo
	s_and_b32 s15, s79, exec_lo
	s_and_not1_b32 s21, s21, exec_lo
	s_or_b32 s15, s11, s15
	s_and_not1_b32 s11, s22, exec_lo
	s_and_b32 s22, s78, exec_lo
	s_and_b32 s76, s76, exec_lo
	s_or_b32 s22, s11, s22
	s_or_b32 s21, s21, s76
	s_and_b32 s11, s77, exec_lo
	s_and_b32 s20, s20, exec_lo
.LBB104_245:                            ;   in Loop: Header=BB104_15 Depth=1
	s_or_b32 exec_lo, exec_lo, s75
	s_delay_alu instid0(SALU_CYCLE_1)
	s_and_b32 vcc_lo, exec_lo, s23
	s_cbranch_vccz .LBB104_92
.LBB104_246:                            ;   in Loop: Header=BB104_15 Depth=1
	s_cmp_eq_u32 s19, 1
                                        ; implicit-def: $sgpr23
                                        ; implicit-def: $sgpr75
	s_cselect_b32 s15, -1, 0
	s_delay_alu instid0(SALU_CYCLE_1)
	s_and_b32 s22, s15, s10
	s_mov_b32 s10, -1
                                        ; implicit-def: $sgpr15
	s_and_saveexec_b32 s21, s22
	s_cbranch_execz .LBB104_272
; %bb.247:                              ;   in Loop: Header=BB104_15 Depth=1
	ds_load_b32 v1, v9 offset:4096
	s_waitcnt lgkmcnt(0)
	s_barrier
	buffer_gl0_inv
	v_readfirstlane_b32 s15, v1
	s_and_saveexec_b32 s10, s6
	s_cbranch_execz .LBB104_249
; %bb.248:                              ;   in Loop: Header=BB104_15 Depth=1
	ds_store_b16 v19, v9
.LBB104_249:                            ;   in Loop: Header=BB104_15 Depth=1
	s_or_b32 exec_lo, exec_lo, s10
	v_or_b32_e32 v28, s13, v28
	v_or_b32_e32 v27, s13, v27
	s_cmp_eq_u32 s15, 0
	s_waitcnt lgkmcnt(0)
	s_barrier
	buffer_gl0_inv
	s_cbranch_scc1 .LBB104_258
; %bb.250:                              ;   in Loop: Header=BB104_15 Depth=1
	s_add_i32 s10, s15, s50
                                        ; implicit-def: $vgpr29
	s_delay_alu instid0(SALU_CYCLE_1) | instskip(NEXT) | instid1(SALU_CYCLE_1)
	s_mul_hi_u32 s23, s10, s57
	s_mul_i32 s23, s23, s33
	s_delay_alu instid0(SALU_CYCLE_1) | instskip(NEXT) | instid1(SALU_CYCLE_1)
	s_sub_i32 s23, s10, s23
	s_sub_i32 s75, s23, s33
	s_cmp_ge_u32 s23, s33
	s_cselect_b32 s23, s75, s23
	s_delay_alu instid0(SALU_CYCLE_1) | instskip(SKIP_2) | instid1(SALU_CYCLE_1)
	s_sub_i32 s75, s23, s33
	s_cmp_ge_u32 s23, s33
	s_cselect_b32 s23, s75, s23
	s_sub_i32 s75, s10, s23
	s_mov_b32 s10, 0
	s_mov_b32 s23, exec_lo
	v_cmpx_gt_u32_e64 s75, v0
	s_cbranch_execz .LBB104_260
; %bb.251:                              ;   in Loop: Header=BB104_15 Depth=1
	v_dual_mov_b32 v1, v17 :: v_dual_mov_b32 v2, v0
	s_mov_b32 s76, 0
                                        ; implicit-def: $sgpr77
	s_set_inst_prefetch_distance 0x1
	s_branch .LBB104_253
	.p2align	6
.LBB104_252:                            ;   in Loop: Header=BB104_253 Depth=2
	s_or_b32 exec_lo, exec_lo, s10
	s_waitcnt lgkmcnt(0)
	s_barrier
	buffer_gl0_inv
	ds_load_b32 v3, v9 offset:3072
	v_add_nc_u32_e32 v2, s33, v2
	v_add_nc_u32_e32 v1, s61, v1
	s_waitcnt lgkmcnt(0)
	s_barrier
	buffer_gl0_inv
	v_cmp_le_u32_e32 vcc_lo, s75, v2
	v_cmp_neq_f16_e64 s10, 0, v3
	s_delay_alu instid0(VALU_DEP_1) | instskip(NEXT) | instid1(SALU_CYCLE_1)
	s_or_b32 s78, vcc_lo, s10
	s_and_b32 s78, exec_lo, s78
	s_delay_alu instid0(SALU_CYCLE_1) | instskip(SKIP_2) | instid1(SALU_CYCLE_1)
	s_or_b32 s76, s78, s76
	s_and_not1_b32 s77, s77, exec_lo
	s_and_b32 s10, s10, exec_lo
	s_or_b32 s77, s77, s10
	s_and_not1_b32 exec_lo, exec_lo, s76
	s_cbranch_execz .LBB104_259
.LBB104_253:                            ;   Parent Loop BB104_15 Depth=1
                                        ; =>  This Inner Loop Header: Depth=2
	s_delay_alu instid0(VALU_DEP_1)
	v_cmp_gt_u32_e32 vcc_lo, s15, v2
	v_mov_b32_e32 v3, 0
	s_and_saveexec_b32 s10, vcc_lo
	s_cbranch_execz .LBB104_255
; %bb.254:                              ;   in Loop: Header=BB104_253 Depth=2
	ds_load_u16 v3, v1
.LBB104_255:                            ;   in Loop: Header=BB104_253 Depth=2
	s_or_b32 exec_lo, exec_lo, s10
	s_and_saveexec_b32 s10, vcc_lo
	s_cbranch_execz .LBB104_252
; %bb.256:                              ;   in Loop: Header=BB104_253 Depth=2
	s_waitcnt lgkmcnt(0)
	v_cmp_lt_i16_e32 vcc_lo, -1, v3
	v_and_b32_e32 v4, 0xffff, v3
	v_cndmask_b32_e32 v8, 0xffff, v26, vcc_lo
	v_cmp_o_f16_e32 vcc_lo, v3, v3
	s_delay_alu instid0(VALU_DEP_2) | instskip(NEXT) | instid1(VALU_DEP_1)
	v_xor_b32_e32 v4, v8, v4
	v_cndmask_b32_e32 v4, 0xffff, v4, vcc_lo
	s_delay_alu instid0(VALU_DEP_1) | instskip(NEXT) | instid1(VALU_DEP_1)
	v_and_b32_e32 v4, v4, v27
	v_cmp_eq_u32_e32 vcc_lo, v4, v28
	s_and_b32 exec_lo, exec_lo, vcc_lo
	s_cbranch_execz .LBB104_252
; %bb.257:                              ;   in Loop: Header=BB104_253 Depth=2
	v_perm_b32 v3, v3, s63, 0x5040100
	ds_store_b32 v9, v3 offset:3072
	s_branch .LBB104_252
.LBB104_258:                            ;   in Loop: Header=BB104_15 Depth=1
	s_mov_b32 s23, -1
	s_mov_b32 s10, 0
                                        ; implicit-def: $sgpr75
                                        ; implicit-def: $vgpr29
	s_mov_b32 s15, s23
	s_cbranch_execnz .LBB104_261
	s_branch .LBB104_271
.LBB104_259:                            ;   in Loop: Header=BB104_15 Depth=1
	s_set_inst_prefetch_distance 0x2
	s_or_b32 exec_lo, exec_lo, s76
	v_lshrrev_b32_e32 v29, 16, v3
	s_and_b32 s10, s77, exec_lo
.LBB104_260:                            ;   in Loop: Header=BB104_15 Depth=1
	s_or_b32 exec_lo, exec_lo, s23
	s_mov_b32 s23, 0
	s_mov_b32 s75, -1
	s_mov_b32 s15, s23
	s_branch .LBB104_271
.LBB104_261:                            ;   in Loop: Header=BB104_15 Depth=1
	s_mov_b32 s10, 0
                                        ; implicit-def: $vgpr29
	s_and_saveexec_b32 s15, s9
	s_cbranch_execz .LBB104_270
; %bb.262:                              ;   in Loop: Header=BB104_15 Depth=1
	v_dual_mov_b32 v8, v7 :: v_dual_mov_b32 v1, v0
	s_mov_b32 s23, 0
                                        ; implicit-def: $sgpr75
	s_branch .LBB104_264
.LBB104_263:                            ;   in Loop: Header=BB104_264 Depth=2
	s_or_b32 exec_lo, exec_lo, s10
	s_waitcnt vmcnt(0) lgkmcnt(0)
	s_barrier
	buffer_gl0_inv
	ds_load_b32 v2, v9 offset:3072
	v_add_nc_u32_e32 v1, s33, v1
	v_add_nc_u32_e32 v8, s34, v8
	s_waitcnt lgkmcnt(0)
	s_barrier
	buffer_gl0_inv
	v_cmp_le_u32_e32 vcc_lo, s58, v1
	v_cmp_neq_f16_e64 s10, 0, v2
	s_delay_alu instid0(VALU_DEP_1) | instskip(NEXT) | instid1(SALU_CYCLE_1)
	s_or_b32 s76, vcc_lo, s10
	s_and_b32 s76, exec_lo, s76
	s_delay_alu instid0(SALU_CYCLE_1) | instskip(SKIP_2) | instid1(SALU_CYCLE_1)
	s_or_b32 s23, s76, s23
	s_and_not1_b32 s75, s75, exec_lo
	s_and_b32 s10, s10, exec_lo
	s_or_b32 s75, s75, s10
	s_and_not1_b32 exec_lo, exec_lo, s23
	s_cbranch_execz .LBB104_269
.LBB104_264:                            ;   Parent Loop BB104_15 Depth=1
                                        ; =>  This Inner Loop Header: Depth=2
	s_delay_alu instid0(VALU_DEP_1)
	v_cmp_gt_u32_e32 vcc_lo, s24, v1
	v_mov_b32_e32 v2, 0
	s_and_saveexec_b32 s76, vcc_lo
	s_cbranch_execz .LBB104_266
; %bb.265:                              ;   in Loop: Header=BB104_264 Depth=2
	v_lshlrev_b64 v[2:3], 1, v[8:9]
	s_delay_alu instid0(VALU_DEP_1) | instskip(NEXT) | instid1(VALU_DEP_1)
	v_add_co_u32 v2, s10, s29, v2
	v_add_co_ci_u32_e64 v3, s10, s30, v3, s10
	global_load_u16 v2, v[2:3], off
.LBB104_266:                            ;   in Loop: Header=BB104_264 Depth=2
	s_or_b32 exec_lo, exec_lo, s76
	s_and_saveexec_b32 s10, vcc_lo
	s_cbranch_execz .LBB104_263
; %bb.267:                              ;   in Loop: Header=BB104_264 Depth=2
	s_waitcnt vmcnt(0)
	v_cmp_lt_i16_e32 vcc_lo, -1, v2
	v_and_b32_e32 v3, 0xffff, v2
	v_cndmask_b32_e32 v4, 0xffff, v26, vcc_lo
	v_cmp_o_f16_e32 vcc_lo, v2, v2
	s_delay_alu instid0(VALU_DEP_2) | instskip(NEXT) | instid1(VALU_DEP_1)
	v_xor_b32_e32 v3, v4, v3
	v_cndmask_b32_e32 v3, 0xffff, v3, vcc_lo
	s_delay_alu instid0(VALU_DEP_1) | instskip(NEXT) | instid1(VALU_DEP_1)
	v_and_b32_e32 v3, v3, v27
	v_cmp_eq_u32_e32 vcc_lo, v3, v28
	s_and_b32 exec_lo, exec_lo, vcc_lo
	s_cbranch_execz .LBB104_263
; %bb.268:                              ;   in Loop: Header=BB104_264 Depth=2
	v_perm_b32 v2, v2, s63, 0x5040100
	ds_store_b32 v9, v2 offset:3072
	s_branch .LBB104_263
.LBB104_269:                            ;   in Loop: Header=BB104_15 Depth=1
	s_or_b32 exec_lo, exec_lo, s23
	v_lshrrev_b32_e32 v29, 16, v2
	s_and_b32 s10, s75, exec_lo
.LBB104_270:                            ;   in Loop: Header=BB104_15 Depth=1
	s_or_b32 exec_lo, exec_lo, s15
	s_mov_b32 s75, 0
	s_mov_b32 s23, -1
	s_mov_b32 s15, 0
.LBB104_271:                            ;   in Loop: Header=BB104_15 Depth=1
	s_or_not1_b32 s10, s10, exec_lo
.LBB104_272:                            ;   in Loop: Header=BB104_15 Depth=1
	s_or_b32 exec_lo, exec_lo, s21
                                        ; implicit-def: $vgpr8
                                        ; implicit-def: $vgpr4
                                        ; implicit-def: $vgpr1
                                        ; implicit-def: $vgpr2
                                        ; implicit-def: $vgpr3
	s_and_saveexec_b32 s21, s10
	s_cbranch_execz .LBB104_407
; %bb.273:                              ;   in Loop: Header=BB104_15 Depth=1
	v_mov_b32_e32 v4, 1
	v_mov_b32_e32 v8, 1
	s_xor_b32 s22, s22, -1
	s_mov_b32 s79, 0
	s_and_saveexec_b32 s10, s22
	s_cbranch_execz .LBB104_283
; %bb.274:                              ;   in Loop: Header=BB104_15 Depth=1
	s_mov_b32 s76, exec_lo
                                        ; implicit-def: $sgpr77
                                        ; implicit-def: $sgpr22
	v_cmpx_ge_u32_e64 s19, v30
	s_xor_b32 s76, exec_lo, s76
	s_cbranch_execz .LBB104_280
; %bb.275:                              ;   in Loop: Header=BB104_15 Depth=1
	ds_load_b32 v1, v9 offset:4096
	s_waitcnt lgkmcnt(0)
	v_cmp_ne_u32_e32 vcc_lo, 0, v1
	s_cbranch_vccnz .LBB104_279
; %bb.276:                              ;   in Loop: Header=BB104_15 Depth=1
	s_and_saveexec_b32 s22, s5
	s_cbranch_execz .LBB104_278
; %bb.277:                              ;   in Loop: Header=BB104_15 Depth=1
	v_mov_b32_e32 v1, s19
	ds_store_b32 v9, v1 offset:4100
.LBB104_278:                            ;   in Loop: Header=BB104_15 Depth=1
	s_or_b32 exec_lo, exec_lo, s22
	s_waitcnt lgkmcnt(0)
	s_barrier
	buffer_gl0_inv
.LBB104_279:                            ;   in Loop: Header=BB104_15 Depth=1
	v_or_b32_e32 v28, s13, v28
	v_or_b32_e32 v27, s13, v27
	s_mov_b32 s22, 0
	s_mov_b32 s77, 5
.LBB104_280:                            ;   in Loop: Header=BB104_15 Depth=1
	s_or_saveexec_b32 s76, s76
	v_mov_b32_e32 v8, s77
	s_xor_b32 exec_lo, exec_lo, s76
; %bb.281:                              ;   in Loop: Header=BB104_15 Depth=1
	v_subrev_nc_u32_e32 v30, s19, v30
	v_mov_b32_e32 v8, 0
	s_or_b32 s22, s22, exec_lo
; %bb.282:                              ;   in Loop: Header=BB104_15 Depth=1
	s_or_b32 exec_lo, exec_lo, s76
	s_delay_alu instid0(VALU_DEP_2)
	v_mov_b32_e32 v4, v30
	s_and_b32 s79, s22, exec_lo
.LBB104_283:                            ;   in Loop: Header=BB104_15 Depth=1
	s_or_b32 exec_lo, exec_lo, s10
	s_mov_b32 s77, -1
                                        ; implicit-def: $sgpr22
                                        ; implicit-def: $sgpr76
                                        ; implicit-def: $sgpr78
	s_and_saveexec_b32 s10, s79
	s_delay_alu instid0(SALU_CYCLE_1)
	s_xor_b32 s19, exec_lo, s10
	s_cbranch_execz .LBB104_404
; %bb.284:                              ;   in Loop: Header=BB104_15 Depth=1
	v_cmp_eq_u32_e32 vcc_lo, 1, v4
	s_cmp_eq_u32 s18, 1
                                        ; implicit-def: $sgpr22
                                        ; implicit-def: $sgpr76
                                        ; implicit-def: $sgpr77
	s_cselect_b32 s10, -1, 0
	s_delay_alu instid0(SALU_CYCLE_1)
	s_and_b32 s79, s10, vcc_lo
	s_mov_b32 s10, -1
	s_and_saveexec_b32 s78, s79
	s_cbranch_execz .LBB104_310
; %bb.285:                              ;   in Loop: Header=BB104_15 Depth=1
	ds_load_b32 v1, v9 offset:4096
	s_waitcnt lgkmcnt(0)
	s_barrier
	buffer_gl0_inv
	v_readfirstlane_b32 s22, v1
	s_and_saveexec_b32 s10, s6
	s_cbranch_execz .LBB104_287
; %bb.286:                              ;   in Loop: Header=BB104_15 Depth=1
	ds_store_b16 v19, v9
.LBB104_287:                            ;   in Loop: Header=BB104_15 Depth=1
	s_or_b32 exec_lo, exec_lo, s10
	s_lshl_b32 s10, 2, s17
	v_or_b32_e32 v27, s13, v27
	v_and_or_b32 v28, v28, s14, s10
	s_cmp_eq_u32 s22, 0
	s_waitcnt lgkmcnt(0)
	s_barrier
	buffer_gl0_inv
	s_cbranch_scc1 .LBB104_296
; %bb.288:                              ;   in Loop: Header=BB104_15 Depth=1
	s_add_i32 s10, s22, s50
                                        ; implicit-def: $vgpr29
	s_delay_alu instid0(SALU_CYCLE_1) | instskip(NEXT) | instid1(SALU_CYCLE_1)
	s_mul_hi_u32 s76, s10, s57
	s_mul_i32 s76, s76, s33
	s_delay_alu instid0(SALU_CYCLE_1) | instskip(NEXT) | instid1(SALU_CYCLE_1)
	s_sub_i32 s76, s10, s76
	s_sub_i32 s77, s76, s33
	s_cmp_ge_u32 s76, s33
	s_cselect_b32 s76, s77, s76
	s_delay_alu instid0(SALU_CYCLE_1) | instskip(SKIP_2) | instid1(SALU_CYCLE_1)
	s_sub_i32 s77, s76, s33
	s_cmp_ge_u32 s76, s33
	s_cselect_b32 s76, s77, s76
	s_sub_i32 s77, s10, s76
	s_mov_b32 s10, 0
	s_mov_b32 s76, exec_lo
	v_cmpx_gt_u32_e64 s77, v0
	s_cbranch_execz .LBB104_298
; %bb.289:                              ;   in Loop: Header=BB104_15 Depth=1
	v_dual_mov_b32 v1, v17 :: v_dual_mov_b32 v2, v0
	s_mov_b32 s80, 0
                                        ; implicit-def: $sgpr81
	s_set_inst_prefetch_distance 0x1
	s_branch .LBB104_291
	.p2align	6
.LBB104_290:                            ;   in Loop: Header=BB104_291 Depth=2
	s_or_b32 exec_lo, exec_lo, s10
	s_waitcnt lgkmcnt(0)
	s_barrier
	buffer_gl0_inv
	ds_load_b32 v3, v9 offset:3072
	v_add_nc_u32_e32 v2, s33, v2
	v_add_nc_u32_e32 v1, s61, v1
	s_waitcnt lgkmcnt(0)
	s_barrier
	buffer_gl0_inv
	v_cmp_le_u32_e32 vcc_lo, s77, v2
	v_cmp_neq_f16_e64 s10, 0, v3
	s_delay_alu instid0(VALU_DEP_1) | instskip(NEXT) | instid1(SALU_CYCLE_1)
	s_or_b32 s82, vcc_lo, s10
	s_and_b32 s82, exec_lo, s82
	s_delay_alu instid0(SALU_CYCLE_1) | instskip(SKIP_2) | instid1(SALU_CYCLE_1)
	s_or_b32 s80, s82, s80
	s_and_not1_b32 s81, s81, exec_lo
	s_and_b32 s10, s10, exec_lo
	s_or_b32 s81, s81, s10
	s_and_not1_b32 exec_lo, exec_lo, s80
	s_cbranch_execz .LBB104_297
.LBB104_291:                            ;   Parent Loop BB104_15 Depth=1
                                        ; =>  This Inner Loop Header: Depth=2
	s_delay_alu instid0(VALU_DEP_1)
	v_cmp_gt_u32_e32 vcc_lo, s22, v2
	v_mov_b32_e32 v3, 0
	s_and_saveexec_b32 s10, vcc_lo
	s_cbranch_execz .LBB104_293
; %bb.292:                              ;   in Loop: Header=BB104_291 Depth=2
	ds_load_u16 v3, v1
.LBB104_293:                            ;   in Loop: Header=BB104_291 Depth=2
	s_or_b32 exec_lo, exec_lo, s10
	s_and_saveexec_b32 s10, vcc_lo
	s_cbranch_execz .LBB104_290
; %bb.294:                              ;   in Loop: Header=BB104_291 Depth=2
	s_waitcnt lgkmcnt(0)
	v_cmp_lt_i16_e32 vcc_lo, -1, v3
	v_dual_cndmask_b32 v29, 0xffff, v26 :: v_dual_and_b32 v8, 0xffff, v3
	v_cmp_o_f16_e32 vcc_lo, v3, v3
	s_delay_alu instid0(VALU_DEP_2) | instskip(NEXT) | instid1(VALU_DEP_1)
	v_xor_b32_e32 v8, v29, v8
	v_cndmask_b32_e32 v8, 0xffff, v8, vcc_lo
	s_delay_alu instid0(VALU_DEP_1) | instskip(NEXT) | instid1(VALU_DEP_1)
	v_and_b32_e32 v8, v8, v27
	v_cmp_eq_u32_e32 vcc_lo, v8, v28
	s_and_b32 exec_lo, exec_lo, vcc_lo
	s_cbranch_execz .LBB104_290
; %bb.295:                              ;   in Loop: Header=BB104_291 Depth=2
	v_perm_b32 v3, v3, s63, 0x5040100
	ds_store_b32 v9, v3 offset:3072
	s_branch .LBB104_290
.LBB104_296:                            ;   in Loop: Header=BB104_15 Depth=1
	s_mov_b32 s22, -1
	s_mov_b32 s10, 0
                                        ; implicit-def: $sgpr76
                                        ; implicit-def: $vgpr29
	s_mov_b32 s77, s22
	s_cbranch_execnz .LBB104_299
	s_branch .LBB104_309
.LBB104_297:                            ;   in Loop: Header=BB104_15 Depth=1
	s_set_inst_prefetch_distance 0x2
	s_or_b32 exec_lo, exec_lo, s80
	v_lshrrev_b32_e32 v29, 16, v3
	s_and_b32 s10, s81, exec_lo
.LBB104_298:                            ;   in Loop: Header=BB104_15 Depth=1
	s_or_b32 exec_lo, exec_lo, s76
	s_mov_b32 s22, 0
	s_mov_b32 s76, -1
	s_mov_b32 s77, s22
	s_branch .LBB104_309
.LBB104_299:                            ;   in Loop: Header=BB104_15 Depth=1
	s_mov_b32 s10, 0
                                        ; implicit-def: $vgpr29
	s_and_saveexec_b32 s22, s9
	s_cbranch_execz .LBB104_308
; %bb.300:                              ;   in Loop: Header=BB104_15 Depth=1
	v_dual_mov_b32 v8, v7 :: v_dual_mov_b32 v1, v0
	s_mov_b32 s76, 0
                                        ; implicit-def: $sgpr77
	s_branch .LBB104_302
.LBB104_301:                            ;   in Loop: Header=BB104_302 Depth=2
	s_or_b32 exec_lo, exec_lo, s10
	s_waitcnt vmcnt(0) lgkmcnt(0)
	s_barrier
	buffer_gl0_inv
	ds_load_b32 v2, v9 offset:3072
	v_add_nc_u32_e32 v1, s33, v1
	v_add_nc_u32_e32 v8, s34, v8
	s_waitcnt lgkmcnt(0)
	s_barrier
	buffer_gl0_inv
	v_cmp_le_u32_e32 vcc_lo, s58, v1
	v_cmp_neq_f16_e64 s10, 0, v2
	s_delay_alu instid0(VALU_DEP_1) | instskip(NEXT) | instid1(SALU_CYCLE_1)
	s_or_b32 s80, vcc_lo, s10
	s_and_b32 s80, exec_lo, s80
	s_delay_alu instid0(SALU_CYCLE_1) | instskip(SKIP_2) | instid1(SALU_CYCLE_1)
	s_or_b32 s76, s80, s76
	s_and_not1_b32 s77, s77, exec_lo
	s_and_b32 s10, s10, exec_lo
	s_or_b32 s77, s77, s10
	s_and_not1_b32 exec_lo, exec_lo, s76
	s_cbranch_execz .LBB104_307
.LBB104_302:                            ;   Parent Loop BB104_15 Depth=1
                                        ; =>  This Inner Loop Header: Depth=2
	s_delay_alu instid0(VALU_DEP_1)
	v_cmp_gt_u32_e32 vcc_lo, s24, v1
	v_mov_b32_e32 v2, 0
	s_and_saveexec_b32 s80, vcc_lo
	s_cbranch_execz .LBB104_304
; %bb.303:                              ;   in Loop: Header=BB104_302 Depth=2
	v_lshlrev_b64 v[2:3], 1, v[8:9]
	s_delay_alu instid0(VALU_DEP_1) | instskip(NEXT) | instid1(VALU_DEP_1)
	v_add_co_u32 v2, s10, s29, v2
	v_add_co_ci_u32_e64 v3, s10, s30, v3, s10
	global_load_u16 v2, v[2:3], off
.LBB104_304:                            ;   in Loop: Header=BB104_302 Depth=2
	s_or_b32 exec_lo, exec_lo, s80
	s_and_saveexec_b32 s10, vcc_lo
	s_cbranch_execz .LBB104_301
; %bb.305:                              ;   in Loop: Header=BB104_302 Depth=2
	s_waitcnt vmcnt(0)
	v_cmp_lt_i16_e32 vcc_lo, -1, v2
	v_and_b32_e32 v3, 0xffff, v2
	v_cndmask_b32_e32 v29, 0xffff, v26, vcc_lo
	v_cmp_o_f16_e32 vcc_lo, v2, v2
	s_delay_alu instid0(VALU_DEP_2) | instskip(NEXT) | instid1(VALU_DEP_1)
	v_xor_b32_e32 v3, v29, v3
	v_cndmask_b32_e32 v3, 0xffff, v3, vcc_lo
	s_delay_alu instid0(VALU_DEP_1) | instskip(NEXT) | instid1(VALU_DEP_1)
	v_and_b32_e32 v3, v3, v27
	v_cmp_eq_u32_e32 vcc_lo, v3, v28
	s_and_b32 exec_lo, exec_lo, vcc_lo
	s_cbranch_execz .LBB104_301
; %bb.306:                              ;   in Loop: Header=BB104_302 Depth=2
	v_perm_b32 v2, v2, s63, 0x5040100
	ds_store_b32 v9, v2 offset:3072
	s_branch .LBB104_301
.LBB104_307:                            ;   in Loop: Header=BB104_15 Depth=1
	s_or_b32 exec_lo, exec_lo, s76
	v_lshrrev_b32_e32 v29, 16, v2
	s_and_b32 s10, s77, exec_lo
.LBB104_308:                            ;   in Loop: Header=BB104_15 Depth=1
	s_or_b32 exec_lo, exec_lo, s22
	s_mov_b32 s76, 0
	s_mov_b32 s22, -1
	s_mov_b32 s77, 0
.LBB104_309:                            ;   in Loop: Header=BB104_15 Depth=1
	s_or_not1_b32 s10, s10, exec_lo
.LBB104_310:                            ;   in Loop: Header=BB104_15 Depth=1
	s_or_b32 exec_lo, exec_lo, s78
	s_mov_b32 s80, 0
                                        ; implicit-def: $vgpr8
	s_and_saveexec_b32 s78, s10
	s_cbranch_execz .LBB104_403
; %bb.311:                              ;   in Loop: Header=BB104_15 Depth=1
	v_dual_mov_b32 v1, 1 :: v_dual_mov_b32 v8, 1
	s_xor_b32 s79, s79, -1
	s_mov_b32 s81, 0
	s_and_saveexec_b32 s10, s79
	s_cbranch_execz .LBB104_321
; %bb.312:                              ;   in Loop: Header=BB104_15 Depth=1
	s_mov_b32 s80, exec_lo
                                        ; implicit-def: $sgpr81
                                        ; implicit-def: $sgpr79
	v_cmpx_ge_u32_e64 s18, v4
	s_xor_b32 s80, exec_lo, s80
	s_cbranch_execz .LBB104_318
; %bb.313:                              ;   in Loop: Header=BB104_15 Depth=1
	ds_load_b32 v1, v9 offset:4096
	s_waitcnt lgkmcnt(0)
	v_cmp_ne_u32_e32 vcc_lo, 0, v1
	s_cbranch_vccnz .LBB104_317
; %bb.314:                              ;   in Loop: Header=BB104_15 Depth=1
	s_and_saveexec_b32 s79, s5
	s_cbranch_execz .LBB104_316
; %bb.315:                              ;   in Loop: Header=BB104_15 Depth=1
	v_mov_b32_e32 v1, s18
	ds_store_b32 v9, v1 offset:4100
.LBB104_316:                            ;   in Loop: Header=BB104_15 Depth=1
	s_or_b32 exec_lo, exec_lo, s79
	s_waitcnt lgkmcnt(0)
	s_barrier
	buffer_gl0_inv
.LBB104_317:                            ;   in Loop: Header=BB104_15 Depth=1
	s_lshl_b32 s79, 2, s17
	v_or_b32_e32 v27, s13, v27
	v_and_or_b32 v28, v28, s14, s79
	s_mov_b32 s79, 0
	s_mov_b32 s81, 5
.LBB104_318:                            ;   in Loop: Header=BB104_15 Depth=1
	s_or_saveexec_b32 s80, s80
	v_mov_b32_e32 v8, s81
	s_xor_b32 exec_lo, exec_lo, s80
; %bb.319:                              ;   in Loop: Header=BB104_15 Depth=1
	v_subrev_nc_u32_e32 v4, s18, v4
	v_mov_b32_e32 v8, 0
	s_or_b32 s79, s79, exec_lo
; %bb.320:                              ;   in Loop: Header=BB104_15 Depth=1
	s_or_b32 exec_lo, exec_lo, s80
	s_delay_alu instid0(VALU_DEP_2)
	v_mov_b32_e32 v1, v4
	s_and_b32 s81, s79, exec_lo
.LBB104_321:                            ;   in Loop: Header=BB104_15 Depth=1
	s_or_b32 exec_lo, exec_lo, s10
	s_mov_b32 s10, -1
                                        ; implicit-def: $sgpr79
                                        ; implicit-def: $sgpr80
                                        ; implicit-def: $sgpr82
	s_and_saveexec_b32 s18, s81
	s_cbranch_execz .LBB104_402
; %bb.322:                              ;   in Loop: Header=BB104_15 Depth=1
	v_cmp_eq_u32_e32 vcc_lo, 1, v1
	s_cmp_eq_u32 s16, 1
                                        ; implicit-def: $sgpr79
                                        ; implicit-def: $sgpr80
                                        ; implicit-def: $sgpr81
	s_cselect_b32 s10, -1, 0
	s_delay_alu instid0(SALU_CYCLE_1)
	s_and_b32 s83, s10, vcc_lo
	s_mov_b32 s10, -1
	s_and_saveexec_b32 s82, s83
	s_cbranch_execz .LBB104_348
; %bb.323:                              ;   in Loop: Header=BB104_15 Depth=1
	ds_load_b32 v2, v9 offset:4096
	s_waitcnt lgkmcnt(0)
	s_barrier
	buffer_gl0_inv
	v_readfirstlane_b32 s79, v2
	s_and_saveexec_b32 s10, s6
	s_cbranch_execz .LBB104_325
; %bb.324:                              ;   in Loop: Header=BB104_15 Depth=1
	ds_store_b16 v19, v9
.LBB104_325:                            ;   in Loop: Header=BB104_15 Depth=1
	s_or_b32 exec_lo, exec_lo, s10
	s_lshl_b32 s10, 1, s17
	v_or_b32_e32 v27, s13, v27
	v_and_or_b32 v28, v28, s14, s10
	s_cmp_eq_u32 s79, 0
	s_waitcnt lgkmcnt(0)
	s_barrier
	buffer_gl0_inv
	s_cbranch_scc1 .LBB104_334
; %bb.326:                              ;   in Loop: Header=BB104_15 Depth=1
	s_add_i32 s10, s79, s50
                                        ; implicit-def: $vgpr29
	s_delay_alu instid0(SALU_CYCLE_1) | instskip(NEXT) | instid1(SALU_CYCLE_1)
	s_mul_hi_u32 s80, s10, s57
	s_mul_i32 s80, s80, s33
	s_delay_alu instid0(SALU_CYCLE_1) | instskip(NEXT) | instid1(SALU_CYCLE_1)
	s_sub_i32 s80, s10, s80
	s_sub_i32 s81, s80, s33
	s_cmp_ge_u32 s80, s33
	s_cselect_b32 s80, s81, s80
	s_delay_alu instid0(SALU_CYCLE_1) | instskip(SKIP_2) | instid1(SALU_CYCLE_1)
	s_sub_i32 s81, s80, s33
	s_cmp_ge_u32 s80, s33
	s_cselect_b32 s80, s81, s80
	s_sub_i32 s81, s10, s80
	s_mov_b32 s10, 0
	s_mov_b32 s80, exec_lo
	v_cmpx_gt_u32_e64 s81, v0
	s_cbranch_execz .LBB104_336
; %bb.327:                              ;   in Loop: Header=BB104_15 Depth=1
	v_dual_mov_b32 v2, v17 :: v_dual_mov_b32 v3, v0
	s_mov_b32 s84, 0
                                        ; implicit-def: $sgpr85
	s_set_inst_prefetch_distance 0x1
	s_branch .LBB104_329
	.p2align	6
.LBB104_328:                            ;   in Loop: Header=BB104_329 Depth=2
	s_or_b32 exec_lo, exec_lo, s10
	s_waitcnt lgkmcnt(0)
	s_barrier
	buffer_gl0_inv
	ds_load_b32 v4, v9 offset:3072
	v_add_nc_u32_e32 v3, s33, v3
	v_add_nc_u32_e32 v2, s61, v2
	s_waitcnt lgkmcnt(0)
	s_barrier
	buffer_gl0_inv
	v_cmp_le_u32_e32 vcc_lo, s81, v3
	v_cmp_neq_f16_e64 s10, 0, v4
	s_delay_alu instid0(VALU_DEP_1) | instskip(NEXT) | instid1(SALU_CYCLE_1)
	s_or_b32 s86, vcc_lo, s10
	s_and_b32 s86, exec_lo, s86
	s_delay_alu instid0(SALU_CYCLE_1) | instskip(SKIP_2) | instid1(SALU_CYCLE_1)
	s_or_b32 s84, s86, s84
	s_and_not1_b32 s85, s85, exec_lo
	s_and_b32 s10, s10, exec_lo
	s_or_b32 s85, s85, s10
	s_and_not1_b32 exec_lo, exec_lo, s84
	s_cbranch_execz .LBB104_335
.LBB104_329:                            ;   Parent Loop BB104_15 Depth=1
                                        ; =>  This Inner Loop Header: Depth=2
	s_delay_alu instid0(VALU_DEP_1)
	v_cmp_gt_u32_e32 vcc_lo, s79, v3
	v_mov_b32_e32 v4, 0
	s_and_saveexec_b32 s10, vcc_lo
	s_cbranch_execz .LBB104_331
; %bb.330:                              ;   in Loop: Header=BB104_329 Depth=2
	ds_load_u16 v4, v2
.LBB104_331:                            ;   in Loop: Header=BB104_329 Depth=2
	s_or_b32 exec_lo, exec_lo, s10
	s_and_saveexec_b32 s10, vcc_lo
	s_cbranch_execz .LBB104_328
; %bb.332:                              ;   in Loop: Header=BB104_329 Depth=2
	s_waitcnt lgkmcnt(0)
	v_cmp_lt_i16_e32 vcc_lo, -1, v4
	v_dual_cndmask_b32 v29, 0xffff, v26 :: v_dual_and_b32 v8, 0xffff, v4
	v_cmp_o_f16_e32 vcc_lo, v4, v4
	s_delay_alu instid0(VALU_DEP_2) | instskip(NEXT) | instid1(VALU_DEP_1)
	v_xor_b32_e32 v8, v29, v8
	v_cndmask_b32_e32 v8, 0xffff, v8, vcc_lo
	s_delay_alu instid0(VALU_DEP_1) | instskip(NEXT) | instid1(VALU_DEP_1)
	v_and_b32_e32 v8, v8, v27
	v_cmp_eq_u32_e32 vcc_lo, v8, v28
	s_and_b32 exec_lo, exec_lo, vcc_lo
	s_cbranch_execz .LBB104_328
; %bb.333:                              ;   in Loop: Header=BB104_329 Depth=2
	v_perm_b32 v4, v4, s63, 0x5040100
	ds_store_b32 v9, v4 offset:3072
	s_branch .LBB104_328
.LBB104_334:                            ;   in Loop: Header=BB104_15 Depth=1
	s_mov_b32 s79, -1
	s_mov_b32 s10, 0
                                        ; implicit-def: $sgpr80
                                        ; implicit-def: $vgpr29
	s_mov_b32 s81, s79
	s_cbranch_execnz .LBB104_337
	s_branch .LBB104_347
.LBB104_335:                            ;   in Loop: Header=BB104_15 Depth=1
	s_set_inst_prefetch_distance 0x2
	s_or_b32 exec_lo, exec_lo, s84
	v_lshrrev_b32_e32 v29, 16, v4
	s_and_b32 s10, s85, exec_lo
.LBB104_336:                            ;   in Loop: Header=BB104_15 Depth=1
	s_or_b32 exec_lo, exec_lo, s80
	s_mov_b32 s79, 0
	s_mov_b32 s80, -1
	s_mov_b32 s81, s79
	s_branch .LBB104_347
.LBB104_337:                            ;   in Loop: Header=BB104_15 Depth=1
	s_mov_b32 s10, 0
                                        ; implicit-def: $vgpr29
	s_and_saveexec_b32 s79, s9
	s_cbranch_execz .LBB104_346
; %bb.338:                              ;   in Loop: Header=BB104_15 Depth=1
	v_mov_b32_e32 v8, v7
	v_mov_b32_e32 v2, v0
	s_mov_b32 s80, 0
                                        ; implicit-def: $sgpr81
	s_branch .LBB104_340
.LBB104_339:                            ;   in Loop: Header=BB104_340 Depth=2
	s_or_b32 exec_lo, exec_lo, s10
	s_waitcnt vmcnt(0) lgkmcnt(0)
	s_barrier
	buffer_gl0_inv
	ds_load_b32 v3, v9 offset:3072
	v_add_nc_u32_e32 v2, s33, v2
	v_add_nc_u32_e32 v8, s34, v8
	s_waitcnt lgkmcnt(0)
	s_barrier
	buffer_gl0_inv
	v_cmp_le_u32_e32 vcc_lo, s58, v2
	v_cmp_neq_f16_e64 s10, 0, v3
	s_delay_alu instid0(VALU_DEP_1) | instskip(NEXT) | instid1(SALU_CYCLE_1)
	s_or_b32 s84, vcc_lo, s10
	s_and_b32 s84, exec_lo, s84
	s_delay_alu instid0(SALU_CYCLE_1) | instskip(SKIP_2) | instid1(SALU_CYCLE_1)
	s_or_b32 s80, s84, s80
	s_and_not1_b32 s81, s81, exec_lo
	s_and_b32 s10, s10, exec_lo
	s_or_b32 s81, s81, s10
	s_and_not1_b32 exec_lo, exec_lo, s80
	s_cbranch_execz .LBB104_345
.LBB104_340:                            ;   Parent Loop BB104_15 Depth=1
                                        ; =>  This Inner Loop Header: Depth=2
	s_delay_alu instid0(VALU_DEP_1)
	v_cmp_gt_u32_e32 vcc_lo, s24, v2
	v_mov_b32_e32 v3, 0
	s_and_saveexec_b32 s84, vcc_lo
	s_cbranch_execz .LBB104_342
; %bb.341:                              ;   in Loop: Header=BB104_340 Depth=2
	v_lshlrev_b64 v[3:4], 1, v[8:9]
	s_delay_alu instid0(VALU_DEP_1) | instskip(NEXT) | instid1(VALU_DEP_1)
	v_add_co_u32 v3, s10, s29, v3
	v_add_co_ci_u32_e64 v4, s10, s30, v4, s10
	global_load_u16 v3, v[3:4], off
.LBB104_342:                            ;   in Loop: Header=BB104_340 Depth=2
	s_or_b32 exec_lo, exec_lo, s84
	s_and_saveexec_b32 s10, vcc_lo
	s_cbranch_execz .LBB104_339
; %bb.343:                              ;   in Loop: Header=BB104_340 Depth=2
	s_waitcnt vmcnt(0)
	v_cmp_lt_i16_e32 vcc_lo, -1, v3
	v_dual_cndmask_b32 v29, 0xffff, v26 :: v_dual_and_b32 v4, 0xffff, v3
	v_cmp_o_f16_e32 vcc_lo, v3, v3
	s_delay_alu instid0(VALU_DEP_2) | instskip(NEXT) | instid1(VALU_DEP_1)
	v_xor_b32_e32 v4, v29, v4
	v_cndmask_b32_e32 v4, 0xffff, v4, vcc_lo
	s_delay_alu instid0(VALU_DEP_1) | instskip(NEXT) | instid1(VALU_DEP_1)
	v_and_b32_e32 v4, v4, v27
	v_cmp_eq_u32_e32 vcc_lo, v4, v28
	s_and_b32 exec_lo, exec_lo, vcc_lo
	s_cbranch_execz .LBB104_339
; %bb.344:                              ;   in Loop: Header=BB104_340 Depth=2
	v_perm_b32 v3, v3, s63, 0x5040100
	ds_store_b32 v9, v3 offset:3072
	s_branch .LBB104_339
.LBB104_345:                            ;   in Loop: Header=BB104_15 Depth=1
	s_or_b32 exec_lo, exec_lo, s80
	v_lshrrev_b32_e32 v29, 16, v3
	s_and_b32 s10, s81, exec_lo
.LBB104_346:                            ;   in Loop: Header=BB104_15 Depth=1
	s_or_b32 exec_lo, exec_lo, s79
	s_mov_b32 s80, 0
	s_mov_b32 s79, -1
	s_mov_b32 s81, 0
.LBB104_347:                            ;   in Loop: Header=BB104_15 Depth=1
	s_or_not1_b32 s10, s10, exec_lo
.LBB104_348:                            ;   in Loop: Header=BB104_15 Depth=1
	s_or_b32 exec_lo, exec_lo, s82
	s_mov_b32 s84, 0
                                        ; implicit-def: $vgpr8
	s_and_saveexec_b32 s82, s10
	s_cbranch_execz .LBB104_401
; %bb.349:                              ;   in Loop: Header=BB104_15 Depth=1
	v_mov_b32_e32 v2, 1
	v_mov_b32_e32 v8, 1
	s_xor_b32 s84, s83, -1
	s_mov_b32 s83, 0
	s_and_saveexec_b32 s10, s84
	s_cbranch_execz .LBB104_359
; %bb.350:                              ;   in Loop: Header=BB104_15 Depth=1
	s_mov_b32 s84, exec_lo
                                        ; implicit-def: $sgpr85
                                        ; implicit-def: $sgpr83
	v_cmpx_ge_u32_e64 s16, v1
	s_xor_b32 s84, exec_lo, s84
	s_cbranch_execz .LBB104_356
; %bb.351:                              ;   in Loop: Header=BB104_15 Depth=1
	ds_load_b32 v2, v9 offset:4096
	s_waitcnt lgkmcnt(0)
	v_cmp_ne_u32_e32 vcc_lo, 0, v2
	s_cbranch_vccnz .LBB104_355
; %bb.352:                              ;   in Loop: Header=BB104_15 Depth=1
	s_and_saveexec_b32 s83, s5
	s_cbranch_execz .LBB104_354
; %bb.353:                              ;   in Loop: Header=BB104_15 Depth=1
	v_mov_b32_e32 v2, s16
	ds_store_b32 v9, v2 offset:4100
.LBB104_354:                            ;   in Loop: Header=BB104_15 Depth=1
	s_or_b32 exec_lo, exec_lo, s83
	s_waitcnt lgkmcnt(0)
	s_barrier
	buffer_gl0_inv
.LBB104_355:                            ;   in Loop: Header=BB104_15 Depth=1
	s_lshl_b32 s17, 1, s17
	v_or_b32_e32 v27, s13, v27
	v_and_or_b32 v28, v28, s14, s17
	s_mov_b32 s83, 0
	s_mov_b32 s85, 5
.LBB104_356:                            ;   in Loop: Header=BB104_15 Depth=1
	s_or_saveexec_b32 s17, s84
	v_mov_b32_e32 v8, s85
	s_xor_b32 exec_lo, exec_lo, s17
; %bb.357:                              ;   in Loop: Header=BB104_15 Depth=1
	v_subrev_nc_u32_e32 v1, s16, v1
	v_mov_b32_e32 v8, 0
	s_or_b32 s83, s83, exec_lo
; %bb.358:                              ;   in Loop: Header=BB104_15 Depth=1
	s_or_b32 exec_lo, exec_lo, s17
	s_delay_alu instid0(VALU_DEP_2)
	v_mov_b32_e32 v2, v1
	s_and_b32 s83, s83, exec_lo
.LBB104_359:                            ;   in Loop: Header=BB104_15 Depth=1
	s_or_b32 exec_lo, exec_lo, s10
	s_mov_b32 s17, -1
                                        ; implicit-def: $sgpr10
                                        ; implicit-def: $sgpr84
                                        ; implicit-def: $sgpr85
	s_and_saveexec_b32 s16, s83
	s_cbranch_execz .LBB104_400
; %bb.360:                              ;   in Loop: Header=BB104_15 Depth=1
	v_cmp_eq_u32_e32 vcc_lo, 1, v2
	s_cmp_eq_u32 s12, 1
	s_mov_b32 s86, -1
	s_cselect_b32 s10, -1, 0
                                        ; implicit-def: $sgpr84
                                        ; implicit-def: $sgpr85
	s_delay_alu instid0(SALU_CYCLE_1) | instskip(NEXT) | instid1(SALU_CYCLE_1)
	s_and_b32 s17, s10, vcc_lo
                                        ; implicit-def: $sgpr10
	s_and_saveexec_b32 s83, s17
	s_cbranch_execz .LBB104_387
; %bb.361:                              ;   in Loop: Header=BB104_15 Depth=1
	ds_load_b32 v1, v9 offset:4096
	s_waitcnt lgkmcnt(0)
	s_barrier
	buffer_gl0_inv
	v_readfirstlane_b32 s84, v1
	s_and_saveexec_b32 s10, s6
	s_cbranch_execz .LBB104_363
; %bb.362:                              ;   in Loop: Header=BB104_15 Depth=1
	ds_store_b16 v19, v9
.LBB104_363:                            ;   in Loop: Header=BB104_15 Depth=1
	s_or_b32 exec_lo, exec_lo, s10
	v_and_b32_e32 v28, s14, v28
	v_or_b32_e32 v27, s13, v27
	s_cmp_eq_u32 s84, 0
	s_waitcnt lgkmcnt(0)
	s_barrier
	buffer_gl0_inv
	s_cbranch_scc1 .LBB104_372
; %bb.364:                              ;   in Loop: Header=BB104_15 Depth=1
	s_add_i32 s10, s84, s50
                                        ; implicit-def: $vgpr29
	s_delay_alu instid0(SALU_CYCLE_1) | instskip(NEXT) | instid1(SALU_CYCLE_1)
	s_mul_hi_u32 s85, s10, s57
	s_mul_i32 s85, s85, s33
	s_delay_alu instid0(SALU_CYCLE_1) | instskip(NEXT) | instid1(SALU_CYCLE_1)
	s_sub_i32 s85, s10, s85
	s_sub_i32 s86, s85, s33
	s_cmp_ge_u32 s85, s33
	s_cselect_b32 s85, s86, s85
	s_delay_alu instid0(SALU_CYCLE_1)
	s_sub_i32 s86, s85, s33
	s_cmp_ge_u32 s85, s33
	s_cselect_b32 s85, s86, s85
	s_mov_b32 s86, 0
	s_sub_i32 s87, s10, s85
	s_mov_b32 s85, exec_lo
	v_cmpx_gt_u32_e64 s87, v0
	s_cbranch_execz .LBB104_374
; %bb.365:                              ;   in Loop: Header=BB104_15 Depth=1
	v_mov_b32_e32 v1, v17
	v_mov_b32_e32 v3, v0
                                        ; implicit-def: $sgpr88
	s_set_inst_prefetch_distance 0x1
	s_branch .LBB104_367
	.p2align	6
.LBB104_366:                            ;   in Loop: Header=BB104_367 Depth=2
	s_or_b32 exec_lo, exec_lo, s10
	s_waitcnt lgkmcnt(0)
	s_barrier
	buffer_gl0_inv
	ds_load_b32 v4, v9 offset:3072
	v_add_nc_u32_e32 v3, s33, v3
	v_add_nc_u32_e32 v1, s61, v1
	s_waitcnt lgkmcnt(0)
	s_barrier
	buffer_gl0_inv
	v_cmp_le_u32_e32 vcc_lo, s87, v3
	v_cmp_neq_f16_e64 s10, 0, v4
	s_delay_alu instid0(VALU_DEP_1) | instskip(NEXT) | instid1(SALU_CYCLE_1)
	s_or_b32 s89, vcc_lo, s10
	s_and_b32 s89, exec_lo, s89
	s_delay_alu instid0(SALU_CYCLE_1) | instskip(SKIP_2) | instid1(SALU_CYCLE_1)
	s_or_b32 s86, s89, s86
	s_and_not1_b32 s88, s88, exec_lo
	s_and_b32 s10, s10, exec_lo
	s_or_b32 s88, s88, s10
	s_and_not1_b32 exec_lo, exec_lo, s86
	s_cbranch_execz .LBB104_373
.LBB104_367:                            ;   Parent Loop BB104_15 Depth=1
                                        ; =>  This Inner Loop Header: Depth=2
	s_delay_alu instid0(VALU_DEP_1)
	v_cmp_gt_u32_e32 vcc_lo, s84, v3
	v_mov_b32_e32 v4, 0
	s_and_saveexec_b32 s10, vcc_lo
	s_cbranch_execz .LBB104_369
; %bb.368:                              ;   in Loop: Header=BB104_367 Depth=2
	ds_load_u16 v4, v1
.LBB104_369:                            ;   in Loop: Header=BB104_367 Depth=2
	s_or_b32 exec_lo, exec_lo, s10
	s_and_saveexec_b32 s10, vcc_lo
	s_cbranch_execz .LBB104_366
; %bb.370:                              ;   in Loop: Header=BB104_367 Depth=2
	s_waitcnt lgkmcnt(0)
	v_cmp_lt_i16_e32 vcc_lo, -1, v4
	v_dual_cndmask_b32 v29, 0xffff, v26 :: v_dual_and_b32 v8, 0xffff, v4
	v_cmp_o_f16_e32 vcc_lo, v4, v4
	s_delay_alu instid0(VALU_DEP_2) | instskip(NEXT) | instid1(VALU_DEP_1)
	v_xor_b32_e32 v8, v29, v8
	v_cndmask_b32_e32 v8, 0xffff, v8, vcc_lo
	s_delay_alu instid0(VALU_DEP_1) | instskip(NEXT) | instid1(VALU_DEP_1)
	v_and_b32_e32 v8, v8, v27
	v_cmp_eq_u32_e32 vcc_lo, v8, v28
	s_and_b32 exec_lo, exec_lo, vcc_lo
	s_cbranch_execz .LBB104_366
; %bb.371:                              ;   in Loop: Header=BB104_367 Depth=2
	v_perm_b32 v4, v4, s63, 0x5040100
	ds_store_b32 v9, v4 offset:3072
	s_branch .LBB104_366
.LBB104_372:                            ;   in Loop: Header=BB104_15 Depth=1
	s_mov_b32 s10, -1
	s_mov_b32 s86, 0
                                        ; implicit-def: $sgpr84
                                        ; implicit-def: $vgpr29
	s_branch .LBB104_375
.LBB104_373:                            ;   in Loop: Header=BB104_15 Depth=1
	s_set_inst_prefetch_distance 0x2
	s_or_b32 exec_lo, exec_lo, s86
	v_lshrrev_b32_e32 v29, 16, v4
	s_and_b32 s86, s88, exec_lo
.LBB104_374:                            ;   in Loop: Header=BB104_15 Depth=1
	s_or_b32 exec_lo, exec_lo, s85
	s_mov_b32 s10, 0
	s_mov_b32 s84, -1
.LBB104_375:                            ;   in Loop: Header=BB104_15 Depth=1
	s_and_b32 vcc_lo, exec_lo, s10
	s_mov_b32 s85, s10
	s_cbranch_vccz .LBB104_386
; %bb.376:                              ;   in Loop: Header=BB104_15 Depth=1
	s_mov_b32 s86, 0
                                        ; implicit-def: $vgpr29
	s_and_saveexec_b32 s84, s9
	s_cbranch_execz .LBB104_385
; %bb.377:                              ;   in Loop: Header=BB104_15 Depth=1
	v_dual_mov_b32 v8, v7 :: v_dual_mov_b32 v1, v0
	s_mov_b32 s85, 0
                                        ; implicit-def: $sgpr86
	s_branch .LBB104_379
.LBB104_378:                            ;   in Loop: Header=BB104_379 Depth=2
	s_or_b32 exec_lo, exec_lo, s10
	s_waitcnt vmcnt(0) lgkmcnt(0)
	s_barrier
	buffer_gl0_inv
	ds_load_b32 v3, v9 offset:3072
	v_add_nc_u32_e32 v1, s33, v1
	v_add_nc_u32_e32 v8, s34, v8
	s_waitcnt lgkmcnt(0)
	s_barrier
	buffer_gl0_inv
	v_cmp_le_u32_e32 vcc_lo, s58, v1
	v_cmp_neq_f16_e64 s10, 0, v3
	s_delay_alu instid0(VALU_DEP_1) | instskip(NEXT) | instid1(SALU_CYCLE_1)
	s_or_b32 s87, vcc_lo, s10
	s_and_b32 s87, exec_lo, s87
	s_delay_alu instid0(SALU_CYCLE_1) | instskip(SKIP_2) | instid1(SALU_CYCLE_1)
	s_or_b32 s85, s87, s85
	s_and_not1_b32 s86, s86, exec_lo
	s_and_b32 s10, s10, exec_lo
	s_or_b32 s86, s86, s10
	s_and_not1_b32 exec_lo, exec_lo, s85
	s_cbranch_execz .LBB104_384
.LBB104_379:                            ;   Parent Loop BB104_15 Depth=1
                                        ; =>  This Inner Loop Header: Depth=2
	s_delay_alu instid0(VALU_DEP_1)
	v_cmp_gt_u32_e32 vcc_lo, s24, v1
	v_mov_b32_e32 v3, 0
	s_and_saveexec_b32 s87, vcc_lo
	s_cbranch_execz .LBB104_381
; %bb.380:                              ;   in Loop: Header=BB104_379 Depth=2
	v_lshlrev_b64 v[3:4], 1, v[8:9]
	s_delay_alu instid0(VALU_DEP_1) | instskip(NEXT) | instid1(VALU_DEP_1)
	v_add_co_u32 v3, s10, s29, v3
	v_add_co_ci_u32_e64 v4, s10, s30, v4, s10
	global_load_u16 v3, v[3:4], off
.LBB104_381:                            ;   in Loop: Header=BB104_379 Depth=2
	s_or_b32 exec_lo, exec_lo, s87
	s_and_saveexec_b32 s10, vcc_lo
	s_cbranch_execz .LBB104_378
; %bb.382:                              ;   in Loop: Header=BB104_379 Depth=2
	s_waitcnt vmcnt(0)
	v_cmp_lt_i16_e32 vcc_lo, -1, v3
	v_dual_cndmask_b32 v29, 0xffff, v26 :: v_dual_and_b32 v4, 0xffff, v3
	v_cmp_o_f16_e32 vcc_lo, v3, v3
	s_delay_alu instid0(VALU_DEP_2) | instskip(NEXT) | instid1(VALU_DEP_1)
	v_xor_b32_e32 v4, v29, v4
	v_cndmask_b32_e32 v4, 0xffff, v4, vcc_lo
	s_delay_alu instid0(VALU_DEP_1) | instskip(NEXT) | instid1(VALU_DEP_1)
	v_and_b32_e32 v4, v4, v27
	v_cmp_eq_u32_e32 vcc_lo, v4, v28
	s_and_b32 exec_lo, exec_lo, vcc_lo
	s_cbranch_execz .LBB104_378
; %bb.383:                              ;   in Loop: Header=BB104_379 Depth=2
	v_perm_b32 v3, v3, s63, 0x5040100
	ds_store_b32 v9, v3 offset:3072
	s_branch .LBB104_378
.LBB104_384:                            ;   in Loop: Header=BB104_15 Depth=1
	s_or_b32 exec_lo, exec_lo, s85
	v_lshrrev_b32_e32 v29, 16, v3
	s_and_b32 s86, s86, exec_lo
.LBB104_385:                            ;   in Loop: Header=BB104_15 Depth=1
	s_or_b32 exec_lo, exec_lo, s84
	s_mov_b32 s84, 0
	s_mov_b32 s10, -1
	s_mov_b32 s85, 0
.LBB104_386:                            ;   in Loop: Header=BB104_15 Depth=1
	s_or_not1_b32 s86, s86, exec_lo
.LBB104_387:                            ;   in Loop: Header=BB104_15 Depth=1
	s_or_b32 exec_lo, exec_lo, s83
	s_mov_b32 s87, 0
                                        ; implicit-def: $vgpr8
                                        ; implicit-def: $vgpr1
	s_and_saveexec_b32 s83, s86
	s_cbranch_execz .LBB104_399
; %bb.388:                              ;   in Loop: Header=BB104_15 Depth=1
	v_dual_mov_b32 v8, 1 :: v_dual_mov_b32 v1, 1
	s_xor_b32 s86, s17, -1
	s_delay_alu instid0(SALU_CYCLE_1)
	s_and_saveexec_b32 s17, s86
	s_cbranch_execz .LBB104_398
; %bb.389:                              ;   in Loop: Header=BB104_15 Depth=1
	s_mov_b32 s86, exec_lo
                                        ; implicit-def: $sgpr87
	v_cmpx_ge_u32_e64 s12, v2
	s_xor_b32 s86, exec_lo, s86
	s_cbranch_execz .LBB104_395
; %bb.390:                              ;   in Loop: Header=BB104_15 Depth=1
	ds_load_b32 v1, v9 offset:4096
	s_waitcnt lgkmcnt(0)
	v_cmp_ne_u32_e32 vcc_lo, 0, v1
	s_cbranch_vccnz .LBB104_394
; %bb.391:                              ;   in Loop: Header=BB104_15 Depth=1
	s_and_saveexec_b32 s87, s5
	s_cbranch_execz .LBB104_393
; %bb.392:                              ;   in Loop: Header=BB104_15 Depth=1
	v_mov_b32_e32 v1, s12
	ds_store_b32 v9, v1 offset:4100
.LBB104_393:                            ;   in Loop: Header=BB104_15 Depth=1
	s_or_b32 exec_lo, exec_lo, s87
	s_waitcnt lgkmcnt(0)
	s_barrier
	buffer_gl0_inv
.LBB104_394:                            ;   in Loop: Header=BB104_15 Depth=1
	v_and_b32_e32 v28, s14, v28
	v_or_b32_e32 v27, s13, v27
	s_mov_b32 s87, 5
.LBB104_395:                            ;   in Loop: Header=BB104_15 Depth=1
	s_or_saveexec_b32 s13, s86
	v_mov_b32_e32 v8, s87
	s_xor_b32 exec_lo, exec_lo, s13
; %bb.396:                              ;   in Loop: Header=BB104_15 Depth=1
	v_subrev_nc_u32_e32 v2, s12, v2
	v_mov_b32_e32 v8, 5
; %bb.397:                              ;   in Loop: Header=BB104_15 Depth=1
	s_or_b32 exec_lo, exec_lo, s13
	s_delay_alu instid0(VALU_DEP_2)
	v_mov_b32_e32 v1, v2
.LBB104_398:                            ;   in Loop: Header=BB104_15 Depth=1
	s_or_b32 exec_lo, exec_lo, s17
	s_delay_alu instid0(SALU_CYCLE_1)
	s_mov_b32 s87, exec_lo
.LBB104_399:                            ;   in Loop: Header=BB104_15 Depth=1
	s_or_b32 exec_lo, exec_lo, s83
	s_delay_alu instid0(VALU_DEP_1)
	v_mov_b32_e32 v2, v1
	s_or_not1_b32 s17, s87, exec_lo
.LBB104_400:                            ;   in Loop: Header=BB104_15 Depth=1
	s_or_b32 exec_lo, exec_lo, s16
	s_delay_alu instid0(SALU_CYCLE_1)
	s_and_not1_b32 s12, s79, exec_lo
	s_and_b32 s10, s10, exec_lo
	s_and_not1_b32 s13, s81, exec_lo
	s_or_b32 s79, s12, s10
	s_and_not1_b32 s10, s80, exec_lo
	s_and_b32 s12, s84, exec_lo
	s_and_b32 s14, s85, exec_lo
	v_mov_b32_e32 v1, v2
	s_or_b32 s80, s10, s12
	s_or_b32 s81, s13, s14
	s_and_b32 s84, s17, exec_lo
.LBB104_401:                            ;   in Loop: Header=BB104_15 Depth=1
	s_or_b32 exec_lo, exec_lo, s82
	s_delay_alu instid0(SALU_CYCLE_1)
	s_and_b32 s82, s79, exec_lo
	s_and_b32 s80, s80, exec_lo
	;; [unrolled: 1-line block ×3, first 2 shown]
	s_or_not1_b32 s10, s84, exec_lo
.LBB104_402:                            ;   in Loop: Header=BB104_15 Depth=1
	s_or_b32 exec_lo, exec_lo, s18
	s_delay_alu instid0(SALU_CYCLE_1)
	s_and_not1_b32 s12, s22, exec_lo
	s_and_b32 s13, s82, exec_lo
	s_and_not1_b32 s14, s77, exec_lo
	s_or_b32 s22, s12, s13
	s_and_not1_b32 s12, s76, exec_lo
	s_and_b32 s13, s80, exec_lo
	s_and_b32 s16, s79, exec_lo
	v_mov_b32_e32 v4, v1
	s_or_b32 s76, s12, s13
	s_or_b32 s77, s14, s16
	s_and_b32 s80, s10, exec_lo
.LBB104_403:                            ;   in Loop: Header=BB104_15 Depth=1
	s_or_b32 exec_lo, exec_lo, s78
	s_delay_alu instid0(SALU_CYCLE_1)
	s_and_b32 s78, s22, exec_lo
	s_and_b32 s76, s76, exec_lo
	;; [unrolled: 1-line block ×3, first 2 shown]
	s_or_not1_b32 s77, s80, exec_lo
.LBB104_404:                            ;   in Loop: Header=BB104_15 Depth=1
	s_or_b32 exec_lo, exec_lo, s19
	s_mov_b32 s10, s20
	s_mov_b32 s12, s11
	s_and_saveexec_b32 s13, s77
; %bb.405:                              ;   in Loop: Header=BB104_15 Depth=1
	v_cmp_eq_u32_e32 vcc_lo, 5, v8
	v_cmp_ne_u32_e64 s10, 5, v8
	s_and_not1_b32 s12, s11, exec_lo
	s_and_not1_b32 s14, s20, exec_lo
	s_and_not1_b32 s78, s78, exec_lo
	s_and_b32 s16, vcc_lo, exec_lo
	s_and_b32 s10, s10, exec_lo
	s_and_not1_b32 s76, s76, exec_lo
	s_and_not1_b32 s22, s22, exec_lo
	s_or_b32 s12, s12, s10
	s_or_b32 s10, s14, s16
; %bb.406:                              ;   in Loop: Header=BB104_15 Depth=1
	s_or_b32 exec_lo, exec_lo, s13
	s_delay_alu instid0(SALU_CYCLE_1)
	s_and_not1_b32 s13, s23, exec_lo
	s_and_b32 s14, s78, exec_lo
	v_dual_mov_b32 v1, v28 :: v_dual_mov_b32 v2, v27
	s_or_b32 s23, s13, s14
	s_and_not1_b32 s13, s75, exec_lo
	s_and_b32 s14, s76, exec_lo
	v_mov_b32_e32 v3, v29
	s_and_not1_b32 s15, s15, exec_lo
	s_and_b32 s16, s22, exec_lo
	s_or_b32 s75, s13, s14
	s_and_not1_b32 s11, s11, exec_lo
	s_and_b32 s12, s12, exec_lo
	s_and_not1_b32 s13, s20, exec_lo
	s_and_b32 s10, s10, exec_lo
	s_or_b32 s15, s15, s16
	s_or_b32 s11, s11, s12
	;; [unrolled: 1-line block ×3, first 2 shown]
.LBB104_407:                            ;   in Loop: Header=BB104_15 Depth=1
	s_or_b32 exec_lo, exec_lo, s21
	s_mov_b32 s22, s15
	s_mov_b32 s21, s15
	s_and_saveexec_b32 s10, s20
.LBB104_408:                            ;   in Loop: Header=BB104_15 Depth=1
	v_mov_b32_e32 v8, 0
	s_and_not1_b32 s15, s15, exec_lo
	s_and_not1_b32 s23, s23, exec_lo
	;; [unrolled: 1-line block ×5, first 2 shown]
	s_or_b32 s11, s11, exec_lo
.LBB104_409:                            ;   in Loop: Header=BB104_15 Depth=1
	s_or_b32 exec_lo, exec_lo, s10
	s_delay_alu instid0(SALU_CYCLE_1)
	s_and_not1_b32 s10, s74, exec_lo
	s_and_b32 s13, s15, exec_lo
	s_and_not1_b32 s14, s71, exec_lo
	s_or_b32 s74, s10, s13
	s_and_not1_b32 s10, s73, exec_lo
	s_and_b32 s13, s23, exec_lo
	s_and_b32 s15, s75, exec_lo
	s_or_b32 s73, s10, s13
	s_or_b32 s71, s14, s15
	s_and_not1_b32 s10, s72, exec_lo
	s_and_b32 s13, s22, exec_lo
	s_and_not1_b32 s14, s70, exec_lo
	s_and_b32 s15, s21, exec_lo
	s_mov_b32 s12, -1
	s_or_b32 s72, s10, s13
	s_or_b32 s70, s14, s15
                                        ; implicit-def: $vgpr27
                                        ; implicit-def: $vgpr28
                                        ; implicit-def: $vgpr30
                                        ; implicit-def: $vgpr29
	s_and_saveexec_b32 s10, s11
	s_delay_alu instid0(SALU_CYCLE_1)
	s_xor_b32 s10, exec_lo, s10
	s_cbranch_execz .LBB104_14
; %bb.410:                              ;   in Loop: Header=BB104_15 Depth=1
	s_mov_b32 s11, -1
	s_mov_b32 s13, exec_lo
	v_cmpx_eq_u32_e32 0, v8
	s_cbranch_execz .LBB104_13
; %bb.411:                              ;   in Loop: Header=BB104_15 Depth=1
	s_xor_b32 s64, s64, 1
	s_add_i32 s14, s68, -2
	s_cmp_eq_u32 s68, 0
	s_mov_b32 s68, s14
	s_cselect_b32 s11, -1, 0
	s_xor_b32 s12, exec_lo, -1
	s_or_not1_b32 s11, s11, exec_lo
	s_branch .LBB104_13
.LBB104_412:
	s_or_b32 exec_lo, exec_lo, s41
	s_xor_b32 s7, s69, -1
	s_xor_b32 s12, s66, -1
	s_xor_b32 s11, s67, -1
	s_xor_b32 s8, s62, -1
	s_xor_b32 s6, s65, -1
	s_mov_b32 s9, 0
	s_and_saveexec_b32 s10, s8
	s_delay_alu instid0(SALU_CYCLE_1)
	s_xor_b32 s8, exec_lo, s10
	s_cbranch_execz .LBB104_471
; %bb.413:
	s_mov_b32 s10, 0
	s_and_saveexec_b32 s9, s11
	s_delay_alu instid0(SALU_CYCLE_1)
	s_xor_b32 s9, exec_lo, s9
	s_cbranch_execz .LBB104_469
; %bb.414:
	;; [unrolled: 6-line block ×4, first 2 shown]
	s_and_saveexec_b32 s7, s6
	s_delay_alu instid0(SALU_CYCLE_1)
	s_xor_b32 s6, exec_lo, s7
; %bb.417:
	v_and_b32_e32 v2, 0x8000, v1
	v_mov_b32_e32 v3, 0xffff
	s_delay_alu instid0(VALU_DEP_2) | instskip(NEXT) | instid1(VALU_DEP_2)
	v_cmp_eq_u32_e32 vcc_lo, 0, v2
	v_cndmask_b32_e32 v2, 0x8000, v3, vcc_lo
	s_delay_alu instid0(VALU_DEP_1)
	v_xor_b32_e32 v3, v2, v1
; %bb.418:
	s_or_b32 exec_lo, exec_lo, s6
	s_and_saveexec_b32 s6, s5
	s_cbranch_execz .LBB104_420
; %bb.419:
	v_mov_b32_e32 v1, 0
	ds_store_b32 v1, v1 offset:4108
.LBB104_420:
	s_or_b32 exec_lo, exec_lo, s6
	v_mov_b32_e32 v9, 0
	s_waitcnt lgkmcnt(0)
	s_barrier
	buffer_gl0_inv
	s_and_saveexec_b32 s5, s4
	s_cbranch_execz .LBB104_422
; %bb.421:
	global_load_u16 v9, v[5:6], off
.LBB104_422:
	s_or_b32 exec_lo, exec_lo, s5
	v_mov_b32_e32 v8, 0x8000
	v_cmp_lt_i16_e32 vcc_lo, -1, v3
	s_clause 0x1
	s_load_b32 s5, s[0:1], 0x1c8
	s_load_b32 s12, s[0:1], 0x2a8
	v_and_b32_e32 v1, 0xffff, v3
	s_mul_i32 s0, s44, s43
	s_mov_b32 s7, 0
	v_cndmask_b32_e32 v2, 0xffff, v8, vcc_lo
	s_add_i32 s6, s0, s31
	v_cmp_o_f16_e32 vcc_lo, v3, v3
	s_add_i32 s13, s24, 31
	s_mul_i32 s14, s40, s42
	v_xor_b32_e32 v1, v2, v1
	s_lshl_b64 s[0:1], s[6:7], 1
	s_and_not1_b32 s13, s13, 31
	s_add_i32 s16, s14, s35
	s_mov_b32 s17, s7
	s_add_u32 s6, s38, s0
	v_cndmask_b32_e32 v7, 0xffff, v1, vcc_lo
	s_addc_u32 s14, s39, s1
	s_lshl_b64 s[0:1], s[16:17], 3
	v_cmp_gt_u32_e32 vcc_lo, s13, v0
	s_add_u32 s15, s36, s0
	s_mov_b32 s18, -1
	s_addc_u32 s16, s37, s1
	s_mov_b32 s1, 0
	s_and_saveexec_b32 s17, vcc_lo
	s_cbranch_execz .LBB104_440
; %bb.423:
	v_dual_mov_b32 v2, 0 :: v_dual_add_nc_u32 v1, s33, v0
	v_mov_b32_e32 v3, v0
	s_mov_b32 s18, 0
                                        ; implicit-def: $sgpr19
                                        ; implicit-def: $vgpr11
	s_delay_alu instid0(VALU_DEP_2)
	v_mul_lo_u32 v1, s28, v1
	s_branch .LBB104_425
.LBB104_424:                            ;   in Loop: Header=BB104_425 Depth=1
	s_or_b32 exec_lo, exec_lo, s20
	s_xor_b32 s0, s22, -1
	s_and_b32 s1, exec_lo, s1
	v_mov_b32_e32 v3, v10
	s_or_b32 s18, s1, s18
	s_waitcnt vmcnt(0)
	v_mov_b32_e32 v9, v12
	s_and_not1_b32 s1, s19, exec_lo
	s_and_b32 s0, s0, exec_lo
	s_delay_alu instid0(SALU_CYCLE_1)
	s_or_b32 s19, s1, s0
	s_and_not1_b32 exec_lo, exec_lo, s18
	s_cbranch_execz .LBB104_439
.LBB104_425:                            ; =>This Inner Loop Header: Depth=1
	s_delay_alu instid0(VALU_DEP_2) | instskip(SKIP_2) | instid1(VALU_DEP_2)
	v_add_nc_u32_e32 v10, s33, v3
	v_mov_b32_e32 v12, 0
	s_mov_b32 s1, exec_lo
	v_cmpx_gt_u32_e64 s24, v10
	s_cbranch_execz .LBB104_427
; %bb.426:                              ;   in Loop: Header=BB104_425 Depth=1
	s_delay_alu instid0(VALU_DEP_4) | instskip(NEXT) | instid1(VALU_DEP_1)
	v_lshlrev_b64 v[12:13], 1, v[1:2]
	v_add_co_u32 v12, s0, s29, v12
	s_delay_alu instid0(VALU_DEP_1)
	v_add_co_ci_u32_e64 v13, s0, s30, v13, s0
	global_load_u16 v12, v[12:13], off
.LBB104_427:                            ;   in Loop: Header=BB104_425 Depth=1
	s_or_b32 exec_lo, exec_lo, s1
	s_mov_b32 s20, 0
	s_mov_b32 s1, exec_lo
	v_cmpx_gt_u32_e64 s24, v3
	s_cbranch_execz .LBB104_429
; %bb.428:                              ;   in Loop: Header=BB104_425 Depth=1
	s_waitcnt vmcnt(0)
	v_cmp_lt_i16_e64 s0, -1, v9
	v_and_b32_e32 v4, 0xffff, v9
	s_delay_alu instid0(VALU_DEP_2) | instskip(SKIP_1) | instid1(VALU_DEP_2)
	v_cndmask_b32_e64 v13, 0xffff, v8, s0
	v_cmp_o_f16_e64 s0, v9, v9
	v_xor_b32_e32 v4, v13, v4
	s_delay_alu instid0(VALU_DEP_1) | instskip(NEXT) | instid1(VALU_DEP_1)
	v_cndmask_b32_e64 v4, 0xffff, v4, s0
	v_cmp_gt_u32_e64 s0, v4, v7
	s_delay_alu instid0(VALU_DEP_1) | instskip(SKIP_1) | instid1(VALU_DEP_1)
	v_cndmask_b32_e64 v13, 0, 1, s0
	v_cmp_lt_u32_e64 s0, v4, v7
	v_cndmask_b32_e64 v4, 0, 1, s0
	s_delay_alu instid0(VALU_DEP_1) | instskip(NEXT) | instid1(VALU_DEP_1)
	v_cndmask_b32_e64 v4, v4, v13, s3
	v_and_b32_e32 v4, 1, v4
	s_delay_alu instid0(VALU_DEP_1) | instskip(NEXT) | instid1(VALU_DEP_1)
	v_cmp_eq_u32_e64 s0, 1, v4
	s_and_b32 s20, s0, exec_lo
.LBB104_429:                            ;   in Loop: Header=BB104_425 Depth=1
	s_or_b32 exec_lo, exec_lo, s1
	v_cndmask_b32_e64 v4, 0, 1, s20
	s_delay_alu instid0(VALU_DEP_1) | instskip(NEXT) | instid1(VALU_DEP_1)
	v_cmp_ne_u32_e64 s0, 0, v4
	s_cmp_lg_u32 s0, 0
	s_cselect_b32 s1, -1, 0
	s_delay_alu instid0(SALU_CYCLE_1) | instskip(NEXT) | instid1(SALU_CYCLE_1)
	s_and_b32 s1, s2, s1
	s_and_saveexec_b32 s21, s1
	s_cbranch_execz .LBB104_433
; %bb.430:                              ;   in Loop: Header=BB104_425 Depth=1
	s_mov_b32 s26, exec_lo
	s_bcnt1_i32_b32 s22, s0
	v_mbcnt_lo_u32_b32 v4, s26, 0
	s_mov_b32 s23, exec_lo
                                        ; implicit-def: $vgpr11
	s_delay_alu instid0(VALU_DEP_1)
	v_cmpx_eq_u32_e32 0, v4
	s_cbranch_execz .LBB104_432
; %bb.431:                              ;   in Loop: Header=BB104_425 Depth=1
	s_bcnt1_i32_b32 s1, s26
	s_delay_alu instid0(SALU_CYCLE_1)
	s_mul_i32 s1, s22, s1
	s_waitcnt lgkmcnt(0)
	v_mov_b32_e32 v11, s1
	ds_add_rtn_u32 v11, v2, v11 offset:4108
.LBB104_432:                            ;   in Loop: Header=BB104_425 Depth=1
	s_or_b32 exec_lo, exec_lo, s23
	s_waitcnt lgkmcnt(0)
	v_readfirstlane_b32 s1, v11
	s_delay_alu instid0(VALU_DEP_1)
	v_mad_u32_u24 v11, s22, v4, s1
.LBB104_433:                            ;   in Loop: Header=BB104_425 Depth=1
	s_or_b32 exec_lo, exec_lo, s21
	s_waitcnt lgkmcnt(0)
	ds_bpermute_b32 v11, v2, v11
	s_mov_b32 s1, -1
	s_mov_b32 s23, -1
                                        ; implicit-def: $sgpr22
	s_and_saveexec_b32 s21, s20
	s_cbranch_execz .LBB104_437
; %bb.434:                              ;   in Loop: Header=BB104_425 Depth=1
	v_and_b32_e32 v4, s0, v14
	s_mov_b32 s20, 0
	s_mov_b32 s22, exec_lo
	s_waitcnt lgkmcnt(0)
	s_delay_alu instid0(VALU_DEP_1) | instskip(NEXT) | instid1(VALU_DEP_1)
	v_bcnt_u32_b32 v4, v4, v11
	v_cmpx_gt_u32_e64 s25, v4
	s_cbranch_execz .LBB104_436
; %bb.435:                              ;   in Loop: Header=BB104_425 Depth=1
	v_mul_lo_u32 v15, v4, s5
	v_mov_b32_e32 v16, v2
	v_mul_lo_u32 v17, v4, s12
	v_mov_b32_e32 v18, v2
	v_mov_b32_e32 v4, v2
	s_mov_b32 s20, exec_lo
	v_lshlrev_b64 v[15:16], 1, v[15:16]
	s_delay_alu instid0(VALU_DEP_3) | instskip(NEXT) | instid1(VALU_DEP_2)
	v_lshlrev_b64 v[17:18], 3, v[17:18]
	v_add_co_u32 v15, s0, s6, v15
	s_delay_alu instid0(VALU_DEP_1) | instskip(NEXT) | instid1(VALU_DEP_3)
	v_add_co_ci_u32_e64 v16, s0, s14, v16, s0
	v_add_co_u32 v17, s0, s15, v17
	s_delay_alu instid0(VALU_DEP_1)
	v_add_co_ci_u32_e64 v18, s0, s16, v18, s0
	s_waitcnt vmcnt(0)
	global_store_b16 v[15:16], v9, off
	global_store_b64 v[17:18], v[3:4], off
.LBB104_436:                            ;   in Loop: Header=BB104_425 Depth=1
	s_or_b32 exec_lo, exec_lo, s22
	s_mov_b32 s22, -1
	s_or_not1_b32 s23, s20, exec_lo
.LBB104_437:                            ;   in Loop: Header=BB104_425 Depth=1
	s_or_b32 exec_lo, exec_lo, s21
	s_and_saveexec_b32 s20, s23
	s_cbranch_execz .LBB104_424
; %bb.438:                              ;   in Loop: Header=BB104_425 Depth=1
	v_cmp_le_u32_e64 s0, s13, v10
	v_add_nc_u32_e32 v1, s34, v1
	s_and_not1_b32 s22, s22, exec_lo
	s_delay_alu instid0(VALU_DEP_2)
	s_or_not1_b32 s1, s0, exec_lo
	s_branch .LBB104_424
.LBB104_439:
	s_or_b32 exec_lo, exec_lo, s18
	s_delay_alu instid0(SALU_CYCLE_1)
	s_mov_b32 s1, exec_lo
	s_or_not1_b32 s18, s19, exec_lo
.LBB104_440:
	s_or_b32 exec_lo, exec_lo, s17
	s_and_saveexec_b32 s3, s18
	s_cbranch_execz .LBB104_463
; %bb.441:
	v_mov_b32_e32 v8, 0
	s_waitcnt vmcnt(0) lgkmcnt(0)
	s_waitcnt_vscnt null, 0x0
	s_barrier
	buffer_gl0_inv
	s_and_saveexec_b32 s0, s4
	s_cbranch_execz .LBB104_443
; %bb.442:
	global_load_u16 v8, v[5:6], off
.LBB104_443:
	s_or_b32 exec_lo, exec_lo, s0
	s_mov_b32 s0, 0
	s_and_saveexec_b32 s4, vcc_lo
	s_cbranch_execz .LBB104_462
; %bb.444:
	v_dual_mov_b32 v4, 0x8000 :: v_dual_add_nc_u32 v1, s33, v0
	v_mov_b32_e32 v3, 0
	s_mov_b32 s17, 0
                                        ; implicit-def: $sgpr7
                                        ; implicit-def: $vgpr5
	s_delay_alu instid0(VALU_DEP_2)
	v_mul_lo_u32 v2, s28, v1
	s_branch .LBB104_447
.LBB104_445:                            ;   in Loop: Header=BB104_447 Depth=1
	s_or_b32 exec_lo, exec_lo, s19
	v_mov_b32_e32 v8, v9
	v_mov_b32_e32 v0, v6
	s_or_not1_b32 s20, s20, exec_lo
	s_or_not1_b32 s18, s18, exec_lo
.LBB104_446:                            ;   in Loop: Header=BB104_447 Depth=1
	s_or_b32 exec_lo, exec_lo, s0
	s_xor_b32 s0, s20, -1
	s_and_b32 s18, exec_lo, s18
	s_delay_alu instid0(SALU_CYCLE_1) | instskip(SKIP_2) | instid1(SALU_CYCLE_1)
	s_or_b32 s17, s18, s17
	s_and_not1_b32 s7, s7, exec_lo
	s_and_b32 s0, s0, exec_lo
	s_or_b32 s7, s7, s0
	s_and_not1_b32 exec_lo, exec_lo, s17
	s_cbranch_execz .LBB104_460
.LBB104_447:                            ; =>This Inner Loop Header: Depth=1
	v_dual_mov_b32 v9, 0 :: v_dual_add_nc_u32 v6, s33, v0
	s_mov_b32 s0, exec_lo
	s_delay_alu instid0(VALU_DEP_1)
	v_cmpx_gt_u32_e64 s24, v6
	s_cbranch_execz .LBB104_449
; %bb.448:                              ;   in Loop: Header=BB104_447 Depth=1
	s_delay_alu instid0(VALU_DEP_3) | instskip(NEXT) | instid1(VALU_DEP_1)
	v_lshlrev_b64 v[9:10], 1, v[2:3]
	v_add_co_u32 v9, vcc_lo, s29, v9
	s_delay_alu instid0(VALU_DEP_2)
	v_add_co_ci_u32_e32 v10, vcc_lo, s30, v10, vcc_lo
	global_load_u16 v9, v[9:10], off
.LBB104_449:                            ;   in Loop: Header=BB104_447 Depth=1
	s_or_b32 exec_lo, exec_lo, s0
	s_waitcnt vmcnt(0)
	v_cmp_lt_i16_e32 vcc_lo, -1, v8
	v_and_b32_e32 v1, 0xffff, v8
	v_cndmask_b32_e32 v10, 0xffff, v4, vcc_lo
	v_cmp_o_f16_e32 vcc_lo, v8, v8
	s_delay_alu instid0(VALU_DEP_2) | instskip(NEXT) | instid1(VALU_DEP_1)
	v_xor_b32_e32 v1, v10, v1
	v_cndmask_b32_e32 v1, 0xffff, v1, vcc_lo
	v_cmp_gt_u32_e32 vcc_lo, s24, v0
	s_delay_alu instid0(VALU_DEP_2) | instskip(NEXT) | instid1(VALU_DEP_1)
	v_cmp_eq_u32_e64 s0, v1, v7
	s_and_b32 s19, vcc_lo, s0
	s_delay_alu instid0(SALU_CYCLE_1) | instskip(NEXT) | instid1(VALU_DEP_1)
	v_cndmask_b32_e64 v1, 0, 1, s19
	v_cmp_ne_u32_e32 vcc_lo, 0, v1
	s_cmp_lg_u32 vcc_lo, 0
	s_cselect_b32 s0, -1, 0
	s_delay_alu instid0(SALU_CYCLE_1) | instskip(NEXT) | instid1(SALU_CYCLE_1)
	s_and_b32 s0, s2, s0
	s_and_saveexec_b32 s18, s0
	s_cbranch_execz .LBB104_453
; %bb.450:                              ;   in Loop: Header=BB104_447 Depth=1
	s_mov_b32 s22, exec_lo
	s_bcnt1_i32_b32 s20, vcc_lo
	v_mbcnt_lo_u32_b32 v1, s22, 0
	s_mov_b32 s21, exec_lo
                                        ; implicit-def: $vgpr5
	s_delay_alu instid0(VALU_DEP_1)
	v_cmpx_eq_u32_e32 0, v1
	s_cbranch_execz .LBB104_452
; %bb.451:                              ;   in Loop: Header=BB104_447 Depth=1
	s_bcnt1_i32_b32 s0, s22
	s_delay_alu instid0(SALU_CYCLE_1) | instskip(NEXT) | instid1(SALU_CYCLE_1)
	s_mul_i32 s0, s20, s0
	v_mov_b32_e32 v5, s0
	ds_add_rtn_u32 v5, v3, v5 offset:4108
.LBB104_452:                            ;   in Loop: Header=BB104_447 Depth=1
	s_or_b32 exec_lo, exec_lo, s21
	s_waitcnt lgkmcnt(0)
	v_readfirstlane_b32 s0, v5
	s_delay_alu instid0(VALU_DEP_1)
	v_mad_u32_u24 v5, s20, v1, s0
.LBB104_453:                            ;   in Loop: Header=BB104_447 Depth=1
	s_or_b32 exec_lo, exec_lo, s18
	ds_bpermute_b32 v5, v3, v5
	s_cmp_eq_u32 vcc_lo, 0
	s_mov_b32 s18, -1
	s_cselect_b32 s20, -1, 0
	s_waitcnt lgkmcnt(0)
	v_cmp_gt_u32_e64 s0, s25, v5
	s_delay_alu instid0(VALU_DEP_1)
	s_or_b32 s21, s20, s0
	s_mov_b32 s20, -1
	s_and_saveexec_b32 s0, s21
	s_cbranch_execz .LBB104_446
; %bb.454:                              ;   in Loop: Header=BB104_447 Depth=1
	v_and_b32_e32 v1, vcc_lo, v14
	v_sub_nc_u32_e32 v10, s25, v5
	s_mov_b32 s21, -1
	s_delay_alu instid0(VALU_DEP_2) | instskip(NEXT) | instid1(VALU_DEP_1)
	v_bcnt_u32_b32 v1, v1, 0
	v_bcnt_u32_b32 v1, 0, v1
	s_delay_alu instid0(VALU_DEP_1) | instskip(SKIP_1) | instid1(SALU_CYCLE_1)
	v_cmp_gt_u32_e32 vcc_lo, v10, v1
	s_and_b32 s22, s19, vcc_lo
	s_and_saveexec_b32 s19, s22
	s_cbranch_execz .LBB104_458
; %bb.455:                              ;   in Loop: Header=BB104_447 Depth=1
	v_add_nc_u32_e32 v1, v5, v1
	s_mov_b32 s21, 0
	s_mov_b32 s20, exec_lo
	s_delay_alu instid0(VALU_DEP_1)
	v_cmpx_gt_u32_e64 s25, v1
	s_cbranch_execz .LBB104_457
; %bb.456:                              ;   in Loop: Header=BB104_447 Depth=1
	v_mul_lo_u32 v10, v1, s5
	v_mov_b32_e32 v11, v3
	v_mul_lo_u32 v12, v1, s12
	v_mov_b32_e32 v13, v3
	v_mov_b32_e32 v1, v3
	s_mov_b32 s21, exec_lo
	v_lshlrev_b64 v[10:11], 1, v[10:11]
	s_delay_alu instid0(VALU_DEP_3) | instskip(NEXT) | instid1(VALU_DEP_2)
	v_lshlrev_b64 v[12:13], 3, v[12:13]
	v_add_co_u32 v10, vcc_lo, s6, v10
	s_delay_alu instid0(VALU_DEP_3) | instskip(NEXT) | instid1(VALU_DEP_3)
	v_add_co_ci_u32_e32 v11, vcc_lo, s14, v11, vcc_lo
	v_add_co_u32 v12, vcc_lo, s15, v12
	s_delay_alu instid0(VALU_DEP_4)
	v_add_co_ci_u32_e32 v13, vcc_lo, s16, v13, vcc_lo
	global_store_b16 v[10:11], v8, off
	global_store_b64 v[12:13], v[0:1], off
.LBB104_457:                            ;   in Loop: Header=BB104_447 Depth=1
	s_or_b32 exec_lo, exec_lo, s20
	s_delay_alu instid0(SALU_CYCLE_1)
	s_xor_b32 s20, exec_lo, -1
	s_or_not1_b32 s21, s21, exec_lo
.LBB104_458:                            ;   in Loop: Header=BB104_447 Depth=1
	s_or_b32 exec_lo, exec_lo, s19
	s_and_saveexec_b32 s19, s21
	s_cbranch_execz .LBB104_445
; %bb.459:                              ;   in Loop: Header=BB104_447 Depth=1
	v_cmp_le_u32_e32 vcc_lo, s13, v6
	v_add_nc_u32_e32 v2, s34, v2
	s_or_b32 s20, s20, exec_lo
	s_or_not1_b32 s18, vcc_lo, exec_lo
	s_branch .LBB104_445
.LBB104_460:
	s_or_b32 exec_lo, exec_lo, s17
	s_mov_b32 s0, 0
	s_and_saveexec_b32 s2, s7
	s_delay_alu instid0(SALU_CYCLE_1)
	s_xor_b32 s2, exec_lo, s2
	s_cbranch_execnz .LBB104_495
.LBB104_461:
	s_or_b32 exec_lo, exec_lo, s2
	s_delay_alu instid0(SALU_CYCLE_1)
	s_and_b32 s0, s0, exec_lo
.LBB104_462:
	s_or_b32 exec_lo, exec_lo, s4
	s_delay_alu instid0(SALU_CYCLE_1)
	s_and_b32 s7, s0, exec_lo
	s_and_not1_b32 s1, s1, exec_lo
.LBB104_463:
	s_or_b32 exec_lo, exec_lo, s3
	s_and_saveexec_b32 s0, s1
	s_delay_alu instid0(SALU_CYCLE_1)
	s_xor_b32 s0, exec_lo, s0
	s_cbranch_execnz .LBB104_489
.LBB104_464:
	s_or_b32 exec_lo, exec_lo, s0
	s_waitcnt lgkmcnt(0)
	s_and_b32 s12, s7, exec_lo
.LBB104_465:
	s_and_not1_saveexec_b32 s0, s11
	s_cbranch_execnz .LBB104_485
.LBB104_466:
	s_or_b32 exec_lo, exec_lo, s0
	s_delay_alu instid0(SALU_CYCLE_1)
	s_and_b32 s11, s12, exec_lo
.LBB104_467:
	s_and_not1_saveexec_b32 s0, s10
	s_cbranch_execnz .LBB104_481
.LBB104_468:
	s_or_b32 exec_lo, exec_lo, s0
	s_delay_alu instid0(SALU_CYCLE_1)
	s_and_b32 s10, s11, exec_lo
.LBB104_469:
	s_and_not1_saveexec_b32 s0, s9
	s_cbranch_execnz .LBB104_477
.LBB104_470:
	s_or_b32 exec_lo, exec_lo, s0
	s_delay_alu instid0(SALU_CYCLE_1)
	s_and_b32 s9, s10, exec_lo
.LBB104_471:
	s_and_not1_saveexec_b32 s0, s8
	s_cbranch_execnz .LBB104_475
; %bb.472:
	s_or_b32 exec_lo, exec_lo, s0
	s_and_saveexec_b32 s0, s9
.LBB104_473:
	; divergent unreachable
.LBB104_474:
	s_nop 0
	s_sendmsg sendmsg(MSG_DEALLOC_VGPRS)
	s_endpgm
.LBB104_475:
	s_cbranch_execnz .LBB104_479
; %bb.476:
	s_or_b32 s9, s9, exec_lo
	s_or_b32 exec_lo, exec_lo, s0
	s_and_saveexec_b32 s0, s9
	s_cbranch_execnz .LBB104_473
	s_branch .LBB104_474
.LBB104_477:
	s_cbranch_execnz .LBB104_483
; %bb.478:
	s_or_b32 s10, s10, exec_lo
	s_branch .LBB104_470
.LBB104_479:
	s_trap 2
	s_sendmsg_rtn_b32 s0, sendmsg(MSG_RTN_GET_DOORBELL)
	s_mov_b32 ttmp2, m0
	s_waitcnt lgkmcnt(0)
	s_and_b32 s0, s0, 0x3ff
	s_delay_alu instid0(SALU_CYCLE_1) | instskip(NEXT) | instid1(SALU_CYCLE_1)
	s_bitset1_b32 s0, 10
	s_mov_b32 m0, s0
	s_sendmsg sendmsg(MSG_INTERRUPT)
	s_mov_b32 m0, ttmp2
.LBB104_480:                            ; =>This Inner Loop Header: Depth=1
	s_sethalt 5
	s_branch .LBB104_480
.LBB104_481:
	s_cbranch_execnz .LBB104_487
; %bb.482:
	s_or_b32 s11, s11, exec_lo
	s_branch .LBB104_468
.LBB104_483:
	s_trap 2
	s_sendmsg_rtn_b32 s0, sendmsg(MSG_RTN_GET_DOORBELL)
	s_mov_b32 ttmp2, m0
	s_waitcnt lgkmcnt(0)
	s_and_b32 s0, s0, 0x3ff
	s_delay_alu instid0(SALU_CYCLE_1) | instskip(NEXT) | instid1(SALU_CYCLE_1)
	s_bitset1_b32 s0, 10
	s_mov_b32 m0, s0
	s_sendmsg sendmsg(MSG_INTERRUPT)
	s_mov_b32 m0, ttmp2
.LBB104_484:                            ; =>This Inner Loop Header: Depth=1
	s_sethalt 5
	s_branch .LBB104_484
.LBB104_485:
	s_cbranch_execnz .LBB104_491
; %bb.486:
	s_or_b32 s12, s12, exec_lo
	s_branch .LBB104_466
.LBB104_487:
	s_trap 2
	s_sendmsg_rtn_b32 s0, sendmsg(MSG_RTN_GET_DOORBELL)
	s_mov_b32 ttmp2, m0
	s_waitcnt lgkmcnt(0)
	s_and_b32 s0, s0, 0x3ff
	s_delay_alu instid0(SALU_CYCLE_1) | instskip(NEXT) | instid1(SALU_CYCLE_1)
	s_bitset1_b32 s0, 10
	s_mov_b32 m0, s0
	s_sendmsg sendmsg(MSG_INTERRUPT)
	s_mov_b32 m0, ttmp2
.LBB104_488:                            ; =>This Inner Loop Header: Depth=1
	s_sethalt 5
	s_branch .LBB104_488
.LBB104_489:
	s_cbranch_execnz .LBB104_493
; %bb.490:
	s_or_b32 s7, s7, exec_lo
	s_branch .LBB104_464
.LBB104_491:
	s_trap 2
	s_sendmsg_rtn_b32 s0, sendmsg(MSG_RTN_GET_DOORBELL)
	s_mov_b32 ttmp2, m0
	s_waitcnt lgkmcnt(0)
	s_and_b32 s0, s0, 0x3ff
	s_delay_alu instid0(SALU_CYCLE_1) | instskip(NEXT) | instid1(SALU_CYCLE_1)
	s_bitset1_b32 s0, 10
	s_mov_b32 m0, s0
	s_sendmsg sendmsg(MSG_INTERRUPT)
	s_mov_b32 m0, ttmp2
.LBB104_492:                            ; =>This Inner Loop Header: Depth=1
	s_sethalt 5
	s_branch .LBB104_492
.LBB104_493:
	s_trap 2
	s_sendmsg_rtn_b32 s0, sendmsg(MSG_RTN_GET_DOORBELL)
	s_mov_b32 ttmp2, m0
	s_waitcnt lgkmcnt(0)
	s_and_b32 s0, s0, 0x3ff
	s_delay_alu instid0(SALU_CYCLE_1) | instskip(NEXT) | instid1(SALU_CYCLE_1)
	s_bitset1_b32 s0, 10
	s_mov_b32 m0, s0
	s_sendmsg sendmsg(MSG_INTERRUPT)
	s_mov_b32 m0, ttmp2
.LBB104_494:                            ; =>This Inner Loop Header: Depth=1
	s_sethalt 5
	s_branch .LBB104_494
.LBB104_495:
	s_cbranch_execnz .LBB104_497
; %bb.496:
	s_mov_b32 s0, exec_lo
	s_branch .LBB104_461
.LBB104_497:
	s_trap 2
	s_sendmsg_rtn_b32 s0, sendmsg(MSG_RTN_GET_DOORBELL)
	s_mov_b32 ttmp2, m0
	s_waitcnt lgkmcnt(0)
	s_and_b32 s0, s0, 0x3ff
	s_delay_alu instid0(SALU_CYCLE_1) | instskip(NEXT) | instid1(SALU_CYCLE_1)
	s_bitset1_b32 s0, 10
	s_mov_b32 m0, s0
	s_sendmsg sendmsg(MSG_INTERRUPT)
	s_mov_b32 m0, ttmp2
.LBB104_498:                            ; =>This Inner Loop Header: Depth=1
	s_sethalt 5
	s_branch .LBB104_498
	.section	.rodata,"a",@progbits
	.p2align	6, 0x0
	.amdhsa_kernel _ZN2at6native6sbtopk10gatherTopKIN3c104HalfEjLin1ELb0EEEvNS_4cuda6detail10TensorInfoIKT_T0_EESA_SA_bSA_SA_NS7_IS8_SA_EESA_NS7_IlSA_EESA_PS8_
		.amdhsa_group_segment_fixed_size 4112
		.amdhsa_private_segment_fixed_size 0
		.amdhsa_kernarg_size 952
		.amdhsa_user_sgpr_count 13
		.amdhsa_user_sgpr_dispatch_ptr 0
		.amdhsa_user_sgpr_queue_ptr 0
		.amdhsa_user_sgpr_kernarg_segment_ptr 1
		.amdhsa_user_sgpr_dispatch_id 0
		.amdhsa_user_sgpr_private_segment_size 0
		.amdhsa_wavefront_size32 1
		.amdhsa_uses_dynamic_stack 0
		.amdhsa_enable_private_segment 0
		.amdhsa_system_sgpr_workgroup_id_x 1
		.amdhsa_system_sgpr_workgroup_id_y 1
		.amdhsa_system_sgpr_workgroup_id_z 1
		.amdhsa_system_sgpr_workgroup_info 0
		.amdhsa_system_vgpr_workitem_id 0
		.amdhsa_next_free_vgpr 37
		.amdhsa_next_free_sgpr 94
		.amdhsa_reserve_vcc 1
		.amdhsa_float_round_mode_32 0
		.amdhsa_float_round_mode_16_64 0
		.amdhsa_float_denorm_mode_32 3
		.amdhsa_float_denorm_mode_16_64 3
		.amdhsa_dx10_clamp 1
		.amdhsa_ieee_mode 1
		.amdhsa_fp16_overflow 0
		.amdhsa_workgroup_processor_mode 1
		.amdhsa_memory_ordered 1
		.amdhsa_forward_progress 0
		.amdhsa_shared_vgpr_count 0
		.amdhsa_exception_fp_ieee_invalid_op 0
		.amdhsa_exception_fp_denorm_src 0
		.amdhsa_exception_fp_ieee_div_zero 0
		.amdhsa_exception_fp_ieee_overflow 0
		.amdhsa_exception_fp_ieee_underflow 0
		.amdhsa_exception_fp_ieee_inexact 0
		.amdhsa_exception_int_div_zero 0
	.end_amdhsa_kernel
	.section	.text._ZN2at6native6sbtopk10gatherTopKIN3c104HalfEjLin1ELb0EEEvNS_4cuda6detail10TensorInfoIKT_T0_EESA_SA_bSA_SA_NS7_IS8_SA_EESA_NS7_IlSA_EESA_PS8_,"axG",@progbits,_ZN2at6native6sbtopk10gatherTopKIN3c104HalfEjLin1ELb0EEEvNS_4cuda6detail10TensorInfoIKT_T0_EESA_SA_bSA_SA_NS7_IS8_SA_EESA_NS7_IlSA_EESA_PS8_,comdat
.Lfunc_end104:
	.size	_ZN2at6native6sbtopk10gatherTopKIN3c104HalfEjLin1ELb0EEEvNS_4cuda6detail10TensorInfoIKT_T0_EESA_SA_bSA_SA_NS7_IS8_SA_EESA_NS7_IlSA_EESA_PS8_, .Lfunc_end104-_ZN2at6native6sbtopk10gatherTopKIN3c104HalfEjLin1ELb0EEEvNS_4cuda6detail10TensorInfoIKT_T0_EESA_SA_bSA_SA_NS7_IS8_SA_EESA_NS7_IlSA_EESA_PS8_
                                        ; -- End function
	.section	.AMDGPU.csdata,"",@progbits
; Kernel info:
; codeLenInByte = 17212
; NumSgprs: 96
; NumVgprs: 37
; ScratchSize: 0
; MemoryBound: 0
; FloatMode: 240
; IeeeMode: 1
; LDSByteSize: 4112 bytes/workgroup (compile time only)
; SGPRBlocks: 11
; VGPRBlocks: 4
; NumSGPRsForWavesPerEU: 96
; NumVGPRsForWavesPerEU: 37
; Occupancy: 16
; WaveLimiterHint : 1
; COMPUTE_PGM_RSRC2:SCRATCH_EN: 0
; COMPUTE_PGM_RSRC2:USER_SGPR: 13
; COMPUTE_PGM_RSRC2:TRAP_HANDLER: 0
; COMPUTE_PGM_RSRC2:TGID_X_EN: 1
; COMPUTE_PGM_RSRC2:TGID_Y_EN: 1
; COMPUTE_PGM_RSRC2:TGID_Z_EN: 1
; COMPUTE_PGM_RSRC2:TIDIG_COMP_CNT: 0
	.section	.text._ZN2at6native6mbtopk23computeBlockDigitCountsIN3c108BFloat16EjjLi1EEEvNS_4cuda6detail10TensorInfoIKT_T0_EEjPjjSA_iijT1_PSD_Ps,"axG",@progbits,_ZN2at6native6mbtopk23computeBlockDigitCountsIN3c108BFloat16EjjLi1EEEvNS_4cuda6detail10TensorInfoIKT_T0_EEjPjjSA_iijT1_PSD_Ps,comdat
	.protected	_ZN2at6native6mbtopk23computeBlockDigitCountsIN3c108BFloat16EjjLi1EEEvNS_4cuda6detail10TensorInfoIKT_T0_EEjPjjSA_iijT1_PSD_Ps ; -- Begin function _ZN2at6native6mbtopk23computeBlockDigitCountsIN3c108BFloat16EjjLi1EEEvNS_4cuda6detail10TensorInfoIKT_T0_EEjPjjSA_iijT1_PSD_Ps
	.globl	_ZN2at6native6mbtopk23computeBlockDigitCountsIN3c108BFloat16EjjLi1EEEvNS_4cuda6detail10TensorInfoIKT_T0_EEjPjjSA_iijT1_PSD_Ps
	.p2align	8
	.type	_ZN2at6native6mbtopk23computeBlockDigitCountsIN3c108BFloat16EjjLi1EEEvNS_4cuda6detail10TensorInfoIKT_T0_EEjPjjSA_iijT1_PSD_Ps,@function
_ZN2at6native6mbtopk23computeBlockDigitCountsIN3c108BFloat16EjjLi1EEEvNS_4cuda6detail10TensorInfoIKT_T0_EEjPjjSA_iijT1_PSD_Ps: ; @_ZN2at6native6mbtopk23computeBlockDigitCountsIN3c108BFloat16EjjLi1EEEvNS_4cuda6detail10TensorInfoIKT_T0_EEjPjjSA_iijT1_PSD_Ps
; %bb.0:
	s_clause 0x2
	s_load_b64 s[2:3], s[0:1], 0xf8
	s_load_b128 s[8:11], s[0:1], 0xe8
	s_load_b64 s[4:5], s[0:1], 0x110
	s_waitcnt lgkmcnt(0)
	v_cvt_f32_u32_e32 v1, s2
	s_sub_i32 s7, 0, s2
	s_mul_i32 s5, s5, s15
	s_delay_alu instid0(SALU_CYCLE_1) | instskip(NEXT) | instid1(VALU_DEP_1)
	s_add_i32 s5, s5, s14
	v_rcp_iflag_f32_e32 v1, v1
	s_mul_i32 s16, s5, s4
	s_delay_alu instid0(SALU_CYCLE_1) | instskip(SKIP_3) | instid1(VALU_DEP_1)
	s_add_i32 s16, s16, s13
	s_mov_b32 s13, 0
	s_waitcnt_depctr 0xfff
	v_mul_f32_e32 v1, 0x4f7ffffe, v1
	v_cvt_u32_f32_e32 v1, v1
	s_delay_alu instid0(VALU_DEP_1) | instskip(NEXT) | instid1(VALU_DEP_1)
	v_readfirstlane_b32 s6, v1
	s_mul_i32 s7, s7, s6
	s_delay_alu instid0(SALU_CYCLE_1) | instskip(NEXT) | instid1(SALU_CYCLE_1)
	s_mul_hi_u32 s4, s6, s7
	s_add_i32 s6, s6, s4
	s_delay_alu instid0(SALU_CYCLE_1) | instskip(NEXT) | instid1(SALU_CYCLE_1)
	s_mul_hi_u32 s4, s16, s6
	s_mul_i32 s5, s4, s2
	s_add_i32 s6, s4, 1
	s_sub_i32 s5, s16, s5
	s_delay_alu instid0(SALU_CYCLE_1)
	s_sub_i32 s7, s5, s2
	s_cmp_ge_u32 s5, s2
	s_cselect_b32 s4, s6, s4
	s_cselect_b32 s5, s7, s5
	s_add_i32 s6, s4, 1
	s_cmp_ge_u32 s5, s2
	s_cselect_b32 s12, s6, s4
	s_delay_alu instid0(SALU_CYCLE_1)
	s_cmp_ge_u32 s12, s8
	s_cbranch_scc1 .LBB105_29
; %bb.1:
	s_load_b128 s[4:7], s[0:1], 0x100
	s_lshl_b64 s[14:15], s[12:13], 2
	v_cmp_gt_u32_e32 vcc_lo, 0x100, v0
	v_lshlrev_b32_e32 v3, 2, v0
	s_waitcnt lgkmcnt(0)
	s_add_u32 s14, s4, s14
	s_addc_u32 s15, s5, s15
	s_and_saveexec_b32 s4, vcc_lo
	s_cbranch_execz .LBB105_3
; %bb.2:
	v_mov_b32_e32 v1, 0
	ds_store_b32 v3, v1
.LBB105_3:
	s_or_b32 exec_lo, exec_lo, s4
	s_load_b32 s8, s[0:1], 0xd8
	s_mul_i32 s4, s12, s2
	s_waitcnt lgkmcnt(0)
	s_sub_i32 s4, s16, s4
	s_barrier
	s_mul_i32 s5, s11, s4
	s_add_i32 s4, s4, 1
	s_lshl_b32 s13, s5, 8
	buffer_gl0_inv
	s_sub_i32 s5, s8, s13
	s_delay_alu instid0(SALU_CYCLE_1) | instskip(SKIP_3) | instid1(VALU_DEP_1)
	s_add_u32 s5, s5, 0xff
	s_addc_u32 s17, 0, 0
	s_cmp_lt_u32 s4, s2
	v_alignbit_b32 v1, s17, s5, 8
	v_readfirstlane_b32 s5, v1
	s_delay_alu instid0(VALU_DEP_1)
	s_cselect_b32 s11, s11, s5
	s_mov_b32 s5, 0
	s_cmp_lt_i32 s11, 1
	s_cbranch_scc1 .LBB105_25
; %bb.4:
	s_clause 0x1
	s_load_b32 s2, s[0:1], 0x6c
	s_load_b64 s[18:19], s[0:1], 0x0
	s_load_b32 s1, s[14:15], 0x0
	s_waitcnt lgkmcnt(0)
	s_mul_i32 s4, s2, s12
	s_delay_alu instid0(SALU_CYCLE_1) | instskip(NEXT) | instid1(SALU_CYCLE_1)
	s_lshl_b64 s[14:15], s[4:5], 1
	s_add_u32 s2, s18, s14
	s_addc_u32 s4, s19, s15
	s_and_b32 s10, s10, 0xff
	s_cmp_lt_u32 s11, 4
	s_cbranch_scc1 .LBB105_19
; %bb.5:
	v_dual_mov_b32 v10, 0x8000 :: v_dual_add_nc_u32 v1, s13, v0
	s_and_b32 s5, s11, 0x7ffffffc
	s_lshl_b32 s12, s9, 10
	s_mov_b32 s14, 0
	s_delay_alu instid0(VALU_DEP_1) | instskip(SKIP_2) | instid1(VALU_DEP_2)
	v_add_nc_u32_e32 v2, 0x200, v1
	s_mov_b32 s15, 0
	v_mov_b32_e32 v9, 1
	v_mul_lo_u32 v6, s9, v2
	v_mov_b32_e32 v2, 0
	v_add_nc_u32_e32 v4, 0x300, v1
	v_add_nc_u32_e32 v7, 0x100, v1
	v_mul_lo_u32 v8, s9, v1
	s_delay_alu instid0(VALU_DEP_3) | instskip(NEXT) | instid1(VALU_DEP_3)
	v_mul_lo_u32 v5, s9, v4
	v_mul_lo_u32 v7, s9, v7
	s_branch .LBB105_7
.LBB105_6:                              ;   in Loop: Header=BB105_7 Depth=1
	s_or_b32 exec_lo, exec_lo, s17
	v_add_nc_u32_e32 v4, 0x400, v4
	s_add_i32 s15, s15, 4
	s_add_i32 s14, s14, s12
	s_cmp_eq_u32 s5, s15
	s_cbranch_scc1 .LBB105_19
.LBB105_7:                              ; =>This Inner Loop Header: Depth=1
	v_add_nc_u32_e32 v1, 0xfffffd00, v4
	s_mov_b32 s17, exec_lo
	s_delay_alu instid0(VALU_DEP_1)
	v_cmpx_gt_u32_e64 s8, v1
	s_cbranch_execz .LBB105_10
; %bb.8:                                ;   in Loop: Header=BB105_7 Depth=1
	v_add_nc_u32_e32 v1, s14, v8
	s_delay_alu instid0(VALU_DEP_1) | instskip(NEXT) | instid1(VALU_DEP_1)
	v_lshlrev_b64 v[11:12], 1, v[1:2]
	v_add_co_u32 v11, s0, s2, v11
	s_delay_alu instid0(VALU_DEP_1)
	v_add_co_ci_u32_e64 v12, s0, s4, v12, s0
	global_load_u16 v1, v[11:12], off
	s_waitcnt vmcnt(0)
	v_cmp_lt_i16_e64 s0, -1, v1
	v_and_b32_e32 v11, 0xffff, v1
	v_lshlrev_b32_e32 v1, 16, v1
	s_delay_alu instid0(VALU_DEP_3) | instskip(NEXT) | instid1(VALU_DEP_2)
	v_cndmask_b32_e64 v12, 0xffff, v10, s0
	v_cmp_o_f32_e64 s0, v1, v1
	s_delay_alu instid0(VALU_DEP_2) | instskip(NEXT) | instid1(VALU_DEP_1)
	v_xor_b32_e32 v11, v12, v11
	v_cndmask_b32_e64 v1, 0xffff, v11, s0
	s_delay_alu instid0(VALU_DEP_1) | instskip(NEXT) | instid1(VALU_DEP_1)
	v_xor_b32_e32 v11, s1, v1
	v_and_b32_e32 v11, s3, v11
	s_delay_alu instid0(VALU_DEP_1) | instskip(NEXT) | instid1(VALU_DEP_1)
	v_cmp_eq_u32_e64 s0, 0, v11
	s_and_b32 exec_lo, exec_lo, s0
	s_cbranch_execz .LBB105_10
; %bb.9:                                ;   in Loop: Header=BB105_7 Depth=1
	v_bfe_u32 v1, v1, s10, 8
	s_delay_alu instid0(VALU_DEP_1)
	v_lshlrev_b32_e32 v1, 2, v1
	ds_add_u32 v1, v9
.LBB105_10:                             ;   in Loop: Header=BB105_7 Depth=1
	s_or_b32 exec_lo, exec_lo, s17
	v_add_nc_u32_e32 v1, 0xfffffe00, v4
	s_mov_b32 s17, exec_lo
	s_delay_alu instid0(VALU_DEP_1)
	v_cmpx_gt_u32_e64 s8, v1
	s_cbranch_execz .LBB105_13
; %bb.11:                               ;   in Loop: Header=BB105_7 Depth=1
	v_add_nc_u32_e32 v1, s14, v7
	s_delay_alu instid0(VALU_DEP_1) | instskip(NEXT) | instid1(VALU_DEP_1)
	v_lshlrev_b64 v[11:12], 1, v[1:2]
	v_add_co_u32 v11, s0, s2, v11
	s_delay_alu instid0(VALU_DEP_1)
	v_add_co_ci_u32_e64 v12, s0, s4, v12, s0
	global_load_u16 v1, v[11:12], off
	s_waitcnt vmcnt(0)
	v_cmp_lt_i16_e64 s0, -1, v1
	v_and_b32_e32 v11, 0xffff, v1
	v_lshlrev_b32_e32 v1, 16, v1
	s_delay_alu instid0(VALU_DEP_3) | instskip(NEXT) | instid1(VALU_DEP_2)
	v_cndmask_b32_e64 v12, 0xffff, v10, s0
	v_cmp_o_f32_e64 s0, v1, v1
	s_delay_alu instid0(VALU_DEP_2) | instskip(NEXT) | instid1(VALU_DEP_1)
	v_xor_b32_e32 v11, v12, v11
	v_cndmask_b32_e64 v1, 0xffff, v11, s0
	s_delay_alu instid0(VALU_DEP_1) | instskip(NEXT) | instid1(VALU_DEP_1)
	v_xor_b32_e32 v11, s1, v1
	v_and_b32_e32 v11, s3, v11
	s_delay_alu instid0(VALU_DEP_1) | instskip(NEXT) | instid1(VALU_DEP_1)
	v_cmp_eq_u32_e64 s0, 0, v11
	s_and_b32 exec_lo, exec_lo, s0
	s_cbranch_execz .LBB105_13
; %bb.12:                               ;   in Loop: Header=BB105_7 Depth=1
	v_bfe_u32 v1, v1, s10, 8
	s_delay_alu instid0(VALU_DEP_1)
	v_lshlrev_b32_e32 v1, 2, v1
	ds_add_u32 v1, v9
.LBB105_13:                             ;   in Loop: Header=BB105_7 Depth=1
	s_or_b32 exec_lo, exec_lo, s17
	v_add_nc_u32_e32 v1, 0xffffff00, v4
	s_mov_b32 s17, exec_lo
	s_delay_alu instid0(VALU_DEP_1)
	v_cmpx_gt_u32_e64 s8, v1
	s_cbranch_execz .LBB105_16
; %bb.14:                               ;   in Loop: Header=BB105_7 Depth=1
	v_add_nc_u32_e32 v1, s14, v6
	s_delay_alu instid0(VALU_DEP_1) | instskip(NEXT) | instid1(VALU_DEP_1)
	v_lshlrev_b64 v[11:12], 1, v[1:2]
	v_add_co_u32 v11, s0, s2, v11
	s_delay_alu instid0(VALU_DEP_1)
	v_add_co_ci_u32_e64 v12, s0, s4, v12, s0
	global_load_u16 v1, v[11:12], off
	s_waitcnt vmcnt(0)
	v_cmp_lt_i16_e64 s0, -1, v1
	v_and_b32_e32 v11, 0xffff, v1
	v_lshlrev_b32_e32 v1, 16, v1
	s_delay_alu instid0(VALU_DEP_3) | instskip(NEXT) | instid1(VALU_DEP_2)
	v_cndmask_b32_e64 v12, 0xffff, v10, s0
	v_cmp_o_f32_e64 s0, v1, v1
	s_delay_alu instid0(VALU_DEP_2) | instskip(NEXT) | instid1(VALU_DEP_1)
	v_xor_b32_e32 v11, v12, v11
	v_cndmask_b32_e64 v1, 0xffff, v11, s0
	s_delay_alu instid0(VALU_DEP_1) | instskip(NEXT) | instid1(VALU_DEP_1)
	v_xor_b32_e32 v11, s1, v1
	v_and_b32_e32 v11, s3, v11
	s_delay_alu instid0(VALU_DEP_1) | instskip(NEXT) | instid1(VALU_DEP_1)
	v_cmp_eq_u32_e64 s0, 0, v11
	s_and_b32 exec_lo, exec_lo, s0
	s_cbranch_execz .LBB105_16
; %bb.15:                               ;   in Loop: Header=BB105_7 Depth=1
	v_bfe_u32 v1, v1, s10, 8
	s_delay_alu instid0(VALU_DEP_1)
	v_lshlrev_b32_e32 v1, 2, v1
	ds_add_u32 v1, v9
.LBB105_16:                             ;   in Loop: Header=BB105_7 Depth=1
	s_or_b32 exec_lo, exec_lo, s17
	s_delay_alu instid0(SALU_CYCLE_1)
	s_mov_b32 s17, exec_lo
	v_cmpx_gt_u32_e64 s8, v4
	s_cbranch_execz .LBB105_6
; %bb.17:                               ;   in Loop: Header=BB105_7 Depth=1
	v_add_nc_u32_e32 v1, s14, v5
	s_delay_alu instid0(VALU_DEP_1) | instskip(NEXT) | instid1(VALU_DEP_1)
	v_lshlrev_b64 v[11:12], 1, v[1:2]
	v_add_co_u32 v11, s0, s2, v11
	s_delay_alu instid0(VALU_DEP_1)
	v_add_co_ci_u32_e64 v12, s0, s4, v12, s0
	global_load_u16 v1, v[11:12], off
	s_waitcnt vmcnt(0)
	v_cmp_lt_i16_e64 s0, -1, v1
	v_and_b32_e32 v11, 0xffff, v1
	v_lshlrev_b32_e32 v1, 16, v1
	s_delay_alu instid0(VALU_DEP_3) | instskip(NEXT) | instid1(VALU_DEP_2)
	v_cndmask_b32_e64 v12, 0xffff, v10, s0
	v_cmp_o_f32_e64 s0, v1, v1
	s_delay_alu instid0(VALU_DEP_2) | instskip(NEXT) | instid1(VALU_DEP_1)
	v_xor_b32_e32 v11, v12, v11
	v_cndmask_b32_e64 v1, 0xffff, v11, s0
	s_delay_alu instid0(VALU_DEP_1) | instskip(NEXT) | instid1(VALU_DEP_1)
	v_xor_b32_e32 v11, s1, v1
	v_and_b32_e32 v11, s3, v11
	s_delay_alu instid0(VALU_DEP_1) | instskip(NEXT) | instid1(VALU_DEP_1)
	v_cmp_eq_u32_e64 s0, 0, v11
	s_and_b32 exec_lo, exec_lo, s0
	s_cbranch_execz .LBB105_6
; %bb.18:                               ;   in Loop: Header=BB105_7 Depth=1
	v_bfe_u32 v1, v1, s10, 8
	s_delay_alu instid0(VALU_DEP_1)
	v_lshlrev_b32_e32 v1, 2, v1
	ds_add_u32 v1, v9
	s_branch .LBB105_6
.LBB105_19:
	s_and_b32 s11, s11, 3
	s_delay_alu instid0(SALU_CYCLE_1)
	s_cmp_eq_u32 s11, 0
	s_cbranch_scc1 .LBB105_25
; %bb.20:
	s_lshl_b32 s0, s5, 8
	v_dual_mov_b32 v2, 0 :: v_dual_mov_b32 v5, 1
	v_add3_u32 v4, s0, s13, v0
	v_mov_b32_e32 v6, 0x8000
	s_lshl_b32 s5, s9, 8
	s_delay_alu instid0(VALU_DEP_2)
	v_mul_lo_u32 v1, s9, v4
	s_set_inst_prefetch_distance 0x1
	s_branch .LBB105_22
	.p2align	6
.LBB105_21:                             ;   in Loop: Header=BB105_22 Depth=1
	s_or_b32 exec_lo, exec_lo, s9
	s_delay_alu instid0(VALU_DEP_2) | instskip(SKIP_2) | instid1(SALU_CYCLE_1)
	v_add_nc_u32_e32 v1, s5, v1
	v_add_nc_u32_e32 v4, 0x100, v4
	s_add_i32 s11, s11, -1
	s_cmp_lg_u32 s11, 0
	s_cbranch_scc0 .LBB105_25
.LBB105_22:                             ; =>This Inner Loop Header: Depth=1
	s_mov_b32 s9, exec_lo
	v_cmpx_gt_u32_e64 s8, v4
	s_cbranch_execz .LBB105_21
; %bb.23:                               ;   in Loop: Header=BB105_22 Depth=1
	s_delay_alu instid0(VALU_DEP_2) | instskip(NEXT) | instid1(VALU_DEP_1)
	v_lshlrev_b64 v[7:8], 1, v[1:2]
	v_add_co_u32 v7, s0, s2, v7
	s_delay_alu instid0(VALU_DEP_1)
	v_add_co_ci_u32_e64 v8, s0, s4, v8, s0
	global_load_u16 v7, v[7:8], off
	s_waitcnt vmcnt(0)
	v_cmp_lt_i16_e64 s0, -1, v7
	v_and_b32_e32 v8, 0xffff, v7
	v_lshlrev_b32_e32 v7, 16, v7
	s_delay_alu instid0(VALU_DEP_3) | instskip(NEXT) | instid1(VALU_DEP_2)
	v_cndmask_b32_e64 v9, 0xffff, v6, s0
	v_cmp_o_f32_e64 s0, v7, v7
	s_delay_alu instid0(VALU_DEP_2) | instskip(NEXT) | instid1(VALU_DEP_1)
	v_xor_b32_e32 v8, v9, v8
	v_cndmask_b32_e64 v7, 0xffff, v8, s0
	s_delay_alu instid0(VALU_DEP_1) | instskip(NEXT) | instid1(VALU_DEP_1)
	v_xor_b32_e32 v8, s1, v7
	v_and_b32_e32 v8, s3, v8
	s_delay_alu instid0(VALU_DEP_1) | instskip(NEXT) | instid1(VALU_DEP_1)
	v_cmp_eq_u32_e64 s0, 0, v8
	s_and_b32 exec_lo, exec_lo, s0
	s_cbranch_execz .LBB105_21
; %bb.24:                               ;   in Loop: Header=BB105_22 Depth=1
	v_bfe_u32 v7, v7, s10, 8
	s_delay_alu instid0(VALU_DEP_1)
	v_lshlrev_b32_e32 v7, 2, v7
	ds_add_u32 v7, v5
	s_branch .LBB105_21
.LBB105_25:
	s_set_inst_prefetch_distance 0x2
	v_mov_b32_e32 v1, 0
	s_waitcnt lgkmcnt(0)
	s_barrier
	buffer_gl0_inv
	s_and_saveexec_b32 s0, vcc_lo
	s_cbranch_execz .LBB105_27
; %bb.26:
	ds_load_b32 v1, v3
.LBB105_27:
	s_or_b32 exec_lo, exec_lo, s0
	s_and_saveexec_b32 s0, vcc_lo
	s_cbranch_execz .LBB105_29
; %bb.28:
	v_lshl_or_b32 v2, s16, 8, v0
	v_mov_b32_e32 v3, 0
	s_delay_alu instid0(VALU_DEP_1) | instskip(NEXT) | instid1(VALU_DEP_1)
	v_lshlrev_b64 v[2:3], 1, v[2:3]
	v_add_co_u32 v2, vcc_lo, s6, v2
	s_delay_alu instid0(VALU_DEP_2)
	v_add_co_ci_u32_e32 v3, vcc_lo, s7, v3, vcc_lo
	s_waitcnt lgkmcnt(0)
	global_store_b16 v[2:3], v1, off
.LBB105_29:
	s_nop 0
	s_sendmsg sendmsg(MSG_DEALLOC_VGPRS)
	s_endpgm
	.section	.rodata,"a",@progbits
	.p2align	6, 0x0
	.amdhsa_kernel _ZN2at6native6mbtopk23computeBlockDigitCountsIN3c108BFloat16EjjLi1EEEvNS_4cuda6detail10TensorInfoIKT_T0_EEjPjjSA_iijT1_PSD_Ps
		.amdhsa_group_segment_fixed_size 1024
		.amdhsa_private_segment_fixed_size 0
		.amdhsa_kernarg_size 528
		.amdhsa_user_sgpr_count 13
		.amdhsa_user_sgpr_dispatch_ptr 0
		.amdhsa_user_sgpr_queue_ptr 0
		.amdhsa_user_sgpr_kernarg_segment_ptr 1
		.amdhsa_user_sgpr_dispatch_id 0
		.amdhsa_user_sgpr_private_segment_size 0
		.amdhsa_wavefront_size32 1
		.amdhsa_uses_dynamic_stack 0
		.amdhsa_enable_private_segment 0
		.amdhsa_system_sgpr_workgroup_id_x 1
		.amdhsa_system_sgpr_workgroup_id_y 1
		.amdhsa_system_sgpr_workgroup_id_z 1
		.amdhsa_system_sgpr_workgroup_info 0
		.amdhsa_system_vgpr_workitem_id 0
		.amdhsa_next_free_vgpr 13
		.amdhsa_next_free_sgpr 20
		.amdhsa_reserve_vcc 1
		.amdhsa_float_round_mode_32 0
		.amdhsa_float_round_mode_16_64 0
		.amdhsa_float_denorm_mode_32 3
		.amdhsa_float_denorm_mode_16_64 3
		.amdhsa_dx10_clamp 1
		.amdhsa_ieee_mode 1
		.amdhsa_fp16_overflow 0
		.amdhsa_workgroup_processor_mode 1
		.amdhsa_memory_ordered 1
		.amdhsa_forward_progress 0
		.amdhsa_shared_vgpr_count 0
		.amdhsa_exception_fp_ieee_invalid_op 0
		.amdhsa_exception_fp_denorm_src 0
		.amdhsa_exception_fp_ieee_div_zero 0
		.amdhsa_exception_fp_ieee_overflow 0
		.amdhsa_exception_fp_ieee_underflow 0
		.amdhsa_exception_fp_ieee_inexact 0
		.amdhsa_exception_int_div_zero 0
	.end_amdhsa_kernel
	.section	.text._ZN2at6native6mbtopk23computeBlockDigitCountsIN3c108BFloat16EjjLi1EEEvNS_4cuda6detail10TensorInfoIKT_T0_EEjPjjSA_iijT1_PSD_Ps,"axG",@progbits,_ZN2at6native6mbtopk23computeBlockDigitCountsIN3c108BFloat16EjjLi1EEEvNS_4cuda6detail10TensorInfoIKT_T0_EEjPjjSA_iijT1_PSD_Ps,comdat
.Lfunc_end105:
	.size	_ZN2at6native6mbtopk23computeBlockDigitCountsIN3c108BFloat16EjjLi1EEEvNS_4cuda6detail10TensorInfoIKT_T0_EEjPjjSA_iijT1_PSD_Ps, .Lfunc_end105-_ZN2at6native6mbtopk23computeBlockDigitCountsIN3c108BFloat16EjjLi1EEEvNS_4cuda6detail10TensorInfoIKT_T0_EEjPjjSA_iijT1_PSD_Ps
                                        ; -- End function
	.section	.AMDGPU.csdata,"",@progbits
; Kernel info:
; codeLenInByte = 1732
; NumSgprs: 22
; NumVgprs: 13
; ScratchSize: 0
; MemoryBound: 0
; FloatMode: 240
; IeeeMode: 1
; LDSByteSize: 1024 bytes/workgroup (compile time only)
; SGPRBlocks: 2
; VGPRBlocks: 1
; NumSGPRsForWavesPerEU: 22
; NumVGPRsForWavesPerEU: 13
; Occupancy: 16
; WaveLimiterHint : 1
; COMPUTE_PGM_RSRC2:SCRATCH_EN: 0
; COMPUTE_PGM_RSRC2:USER_SGPR: 13
; COMPUTE_PGM_RSRC2:TRAP_HANDLER: 0
; COMPUTE_PGM_RSRC2:TGID_X_EN: 1
; COMPUTE_PGM_RSRC2:TGID_Y_EN: 1
; COMPUTE_PGM_RSRC2:TGID_Z_EN: 1
; COMPUTE_PGM_RSRC2:TIDIG_COMP_CNT: 0
	.section	.text._ZN2at6native6mbtopk29computeBlockwiseWithinKCountsIjN3c108BFloat16EEEvPT_PsPjjibS8_PT0_S8_S6_S8_j,"axG",@progbits,_ZN2at6native6mbtopk29computeBlockwiseWithinKCountsIjN3c108BFloat16EEEvPT_PsPjjibS8_PT0_S8_S6_S8_j,comdat
	.protected	_ZN2at6native6mbtopk29computeBlockwiseWithinKCountsIjN3c108BFloat16EEEvPT_PsPjjibS8_PT0_S8_S6_S8_j ; -- Begin function _ZN2at6native6mbtopk29computeBlockwiseWithinKCountsIjN3c108BFloat16EEEvPT_PsPjjibS8_PT0_S8_S6_S8_j
	.globl	_ZN2at6native6mbtopk29computeBlockwiseWithinKCountsIjN3c108BFloat16EEEvPT_PsPjjibS8_PT0_S8_S6_S8_j
	.p2align	8
	.type	_ZN2at6native6mbtopk29computeBlockwiseWithinKCountsIjN3c108BFloat16EEEvPT_PsPjjibS8_PT0_S8_S6_S8_j,@function
_ZN2at6native6mbtopk29computeBlockwiseWithinKCountsIjN3c108BFloat16EEEvPT_PsPjjibS8_PT0_S8_S6_S8_j: ; @_ZN2at6native6mbtopk29computeBlockwiseWithinKCountsIjN3c108BFloat16EEEvPT_PsPjjibS8_PT0_S8_S6_S8_j
; %bb.0:
	s_clause 0x2
	s_load_b128 s[16:19], s[0:1], 0x18
	s_load_b64 s[2:3], s[0:1], 0x58
	s_load_b32 s4, s[0:1], 0x50
	s_waitcnt lgkmcnt(0)
	v_cvt_f32_u32_e32 v1, s16
	s_mul_i32 s3, s3, s15
	s_delay_alu instid0(SALU_CYCLE_1) | instskip(NEXT) | instid1(VALU_DEP_1)
	s_add_i32 s3, s3, s14
	v_rcp_iflag_f32_e32 v1, v1
	s_mul_i32 s2, s3, s2
	s_delay_alu instid0(SALU_CYCLE_1) | instskip(NEXT) | instid1(SALU_CYCLE_1)
	s_add_i32 s20, s2, s13
	s_cmp_ge_u32 s20, s4
	s_waitcnt_depctr 0xfff
	v_mul_f32_e32 v1, 0x4f7ffffe, v1
	s_delay_alu instid0(VALU_DEP_1) | instskip(NEXT) | instid1(VALU_DEP_1)
	v_cvt_u32_f32_e32 v1, v1
	v_readfirstlane_b32 s2, v1
	s_cbranch_scc1 .LBB106_40
; %bb.1:
	s_sub_i32 s3, 0, s16
	s_mov_b32 s21, 0
	s_delay_alu instid0(VALU_DEP_1)
	s_mul_i32 s3, s3, s2
	s_mov_b32 s27, s21
	s_mul_hi_u32 s3, s2, s3
	v_cmp_gt_u32_e32 vcc_lo, 0x100, v0
	s_add_i32 s4, s2, s3
	s_clause 0x1
	s_load_b64 s[2:3], s[0:1], 0x10
	s_load_b128 s[12:15], s[0:1], 0x0
	s_mul_hi_u32 s4, s20, s4
	s_delay_alu instid0(SALU_CYCLE_1) | instskip(SKIP_2) | instid1(SALU_CYCLE_1)
	s_mul_i32 s5, s4, s16
	s_add_i32 s6, s4, 1
	s_sub_i32 s5, s20, s5
	s_sub_i32 s7, s5, s16
	s_cmp_ge_u32 s5, s16
	s_cselect_b32 s4, s6, s4
	s_cselect_b32 s5, s7, s5
	s_add_i32 s6, s4, 1
	s_cmp_ge_u32 s5, s16
	s_cselect_b32 s26, s6, s4
	s_delay_alu instid0(SALU_CYCLE_1)
	s_lshl_b64 s[22:23], s[26:27], 2
	s_waitcnt lgkmcnt(0)
	s_add_u32 s4, s2, s22
	s_addc_u32 s5, s3, s23
	s_and_saveexec_b32 s3, vcc_lo
	s_cbranch_execz .LBB106_8
; %bb.2:
	s_mul_i32 s2, s26, s16
	s_mov_b32 s7, s21
	s_lshl_b32 s6, s2, 8
	v_lshlrev_b32_e32 v1, 1, v0
	s_lshl_b64 s[6:7], s[6:7], 1
	v_mov_b32_e32 v3, 0
	s_add_u32 s2, s14, s6
	s_addc_u32 s6, s15, s7
	v_add_co_u32 v1, s2, s2, v1
	s_delay_alu instid0(VALU_DEP_1)
	v_add_co_ci_u32_e64 v2, null, s6, 0, s2
	s_cmp_lt_u32 s16, 4
	s_cbranch_scc1 .LBB106_41
; %bb.3:
	v_mov_b32_e32 v3, 0
	s_mov_b32 s6, 0
	.p2align	6
.LBB106_4:                              ; =>This Inner Loop Header: Depth=1
	s_clause 0x3
	global_load_i16 v4, v[1:2], off
	global_load_i16 v5, v[1:2], off offset:512
	global_load_i16 v6, v[1:2], off offset:1024
	global_load_i16 v7, v[1:2], off offset:1536
	v_add_co_u32 v1, s2, 0x800, v1
	s_delay_alu instid0(VALU_DEP_1)
	v_add_co_ci_u32_e64 v2, s2, 0, v2, s2
	s_add_i32 s2, s6, 7
	s_add_i32 s6, s6, 4
	s_cmp_ge_u32 s2, s16
	s_waitcnt vmcnt(2)
	v_add3_u32 v3, v3, v4, v5
	s_waitcnt vmcnt(0)
	s_delay_alu instid0(VALU_DEP_1)
	v_add3_u32 v3, v3, v6, v7
	s_cbranch_scc0 .LBB106_4
; %bb.5:
	s_cmp_ge_u32 s6, s16
	s_cbranch_scc1 .LBB106_7
.LBB106_6:                              ; =>This Inner Loop Header: Depth=1
	global_load_i16 v4, v[1:2], off
	v_add_co_u32 v1, s2, 0x200, v1
	s_delay_alu instid0(VALU_DEP_1) | instskip(SKIP_1) | instid1(SALU_CYCLE_1)
	v_add_co_ci_u32_e64 v2, s2, 0, v2, s2
	s_add_i32 s6, s6, 1
	s_cmp_lt_u32 s6, s16
	s_waitcnt vmcnt(0)
	v_add_nc_u32_e32 v3, v3, v4
	s_cbranch_scc1 .LBB106_6
.LBB106_7:
	v_lshlrev_b32_e32 v1, 2, v0
	ds_store_b32 v1, v3 offset:1056
.LBB106_8:
	s_or_b32 exec_lo, exec_lo, s3
	s_load_b32 s19, s[4:5], 0x0
	v_mov_b32_e32 v4, 0
	s_waitcnt lgkmcnt(0)
	s_barrier
	buffer_gl0_inv
	s_and_saveexec_b32 s2, vcc_lo
	s_cbranch_execz .LBB106_10
; %bb.9:
	v_lshlrev_b32_e32 v1, 2, v0
	ds_load_b32 v4, v1 offset:1056
.LBB106_10:
	s_or_b32 exec_lo, exec_lo, s2
	v_lshrrev_b32_e32 v2, 5, v0
	v_cmp_gt_u32_e64 s2, 32, v0
	v_mbcnt_lo_u32_b32 v1, -1, 0
	s_delay_alu instid0(VALU_DEP_3)
	v_add_lshl_u32 v3, v2, v0, 2
	s_waitcnt lgkmcnt(0)
	ds_store_b32 v3, v4
	s_waitcnt lgkmcnt(0)
	s_barrier
	buffer_gl0_inv
	s_and_saveexec_b32 s4, s2
	s_cbranch_execz .LBB106_12
; %bb.11:
	v_and_b32_e32 v5, 0xfc, v0
	s_delay_alu instid0(VALU_DEP_1)
	v_lshl_or_b32 v13, v0, 5, v5
	ds_load_2addr_b32 v[5:6], v13 offset1:1
	ds_load_2addr_b32 v[7:8], v13 offset0:2 offset1:3
	ds_load_2addr_b32 v[9:10], v13 offset0:4 offset1:5
	ds_load_2addr_b32 v[11:12], v13 offset0:6 offset1:7
	; wave barrier
	s_waitcnt lgkmcnt(3)
	v_add_nc_u32_e32 v6, v6, v5
	s_waitcnt lgkmcnt(2)
	s_delay_alu instid0(VALU_DEP_1) | instskip(SKIP_2) | instid1(VALU_DEP_2)
	v_add3_u32 v6, v6, v7, v8
	v_and_b32_e32 v7, 15, v1
	s_waitcnt lgkmcnt(1)
	v_add3_u32 v6, v6, v9, v10
	s_delay_alu instid0(VALU_DEP_2) | instskip(SKIP_2) | instid1(VALU_DEP_3)
	v_cmp_ne_u32_e64 s3, 0, v7
	v_bfe_i32 v9, v1, 4, 1
	s_waitcnt lgkmcnt(0)
	v_add3_u32 v6, v6, v11, v12
	s_delay_alu instid0(VALU_DEP_1) | instskip(NEXT) | instid1(VALU_DEP_1)
	v_mov_b32_dpp v8, v6 row_shr:1 row_mask:0xf bank_mask:0xf
	v_cndmask_b32_e64 v8, 0, v8, s3
	v_cmp_lt_u32_e64 s3, 1, v7
	s_delay_alu instid0(VALU_DEP_2) | instskip(NEXT) | instid1(VALU_DEP_1)
	v_add_nc_u32_e32 v6, v8, v6
	v_mov_b32_dpp v8, v6 row_shr:2 row_mask:0xf bank_mask:0xf
	s_delay_alu instid0(VALU_DEP_1) | instskip(SKIP_1) | instid1(VALU_DEP_2)
	v_cndmask_b32_e64 v8, 0, v8, s3
	v_cmp_lt_u32_e64 s3, 3, v7
	v_add_nc_u32_e32 v6, v6, v8
	s_delay_alu instid0(VALU_DEP_1) | instskip(NEXT) | instid1(VALU_DEP_1)
	v_mov_b32_dpp v8, v6 row_shr:4 row_mask:0xf bank_mask:0xf
	v_cndmask_b32_e64 v8, 0, v8, s3
	v_cmp_lt_u32_e64 s3, 7, v7
	s_delay_alu instid0(VALU_DEP_2) | instskip(NEXT) | instid1(VALU_DEP_1)
	v_add_nc_u32_e32 v6, v6, v8
	v_mov_b32_dpp v8, v6 row_shr:8 row_mask:0xf bank_mask:0xf
	s_delay_alu instid0(VALU_DEP_1) | instskip(SKIP_1) | instid1(VALU_DEP_2)
	v_cndmask_b32_e64 v7, 0, v8, s3
	v_add_nc_u32_e32 v8, -1, v1
	v_add_nc_u32_e32 v6, v6, v7
	s_delay_alu instid0(VALU_DEP_2) | instskip(SKIP_3) | instid1(VALU_DEP_2)
	v_cmp_gt_i32_e64 s3, 0, v8
	ds_swizzle_b32 v7, v6 offset:swizzle(BROADCAST,32,15)
	v_cndmask_b32_e64 v8, v8, v1, s3
	v_cmp_eq_u32_e64 s3, 0, v0
	v_lshlrev_b32_e32 v8, 2, v8
	s_waitcnt lgkmcnt(0)
	v_and_b32_e32 v7, v9, v7
	s_delay_alu instid0(VALU_DEP_1) | instskip(SKIP_3) | instid1(VALU_DEP_1)
	v_add_nc_u32_e32 v6, v6, v7
	ds_bpermute_b32 v6, v8, v6
	s_waitcnt lgkmcnt(0)
	v_add_nc_u32_e32 v5, v6, v5
	v_cndmask_b32_e64 v10, v5, v4, s3
	ds_store_b32 v13, v10
	; wave barrier
	ds_load_2addr_b32 v[4:5], v13 offset0:1 offset1:2
	ds_load_2addr_b32 v[6:7], v13 offset0:3 offset1:4
	;; [unrolled: 1-line block ×3, first 2 shown]
	ds_load_b32 v11, v13 offset:28
	s_waitcnt lgkmcnt(3)
	v_add_nc_u32_e32 v4, v4, v10
	s_delay_alu instid0(VALU_DEP_1) | instskip(SKIP_1) | instid1(VALU_DEP_1)
	v_add_nc_u32_e32 v5, v5, v4
	s_waitcnt lgkmcnt(2)
	v_add_nc_u32_e32 v6, v6, v5
	s_delay_alu instid0(VALU_DEP_1) | instskip(SKIP_1) | instid1(VALU_DEP_1)
	v_add_nc_u32_e32 v7, v7, v6
	;; [unrolled: 4-line block ×3, first 2 shown]
	s_waitcnt lgkmcnt(0)
	v_add_nc_u32_e32 v10, v11, v9
	ds_store_2addr_b32 v13, v4, v5 offset0:1 offset1:2
	ds_store_2addr_b32 v13, v6, v7 offset0:3 offset1:4
	;; [unrolled: 1-line block ×3, first 2 shown]
	ds_store_b32 v13, v10 offset:28
.LBB106_12:
	s_or_b32 exec_lo, exec_lo, s4
	s_waitcnt lgkmcnt(0)
	s_barrier
	buffer_gl0_inv
	ds_load_b32 v4, v3
	s_waitcnt lgkmcnt(0)
	s_barrier
	buffer_gl0_inv
	s_and_saveexec_b32 s3, vcc_lo
	s_cbranch_execz .LBB106_14
; %bb.13:
	v_lshlrev_b32_e32 v3, 2, v0
	ds_store_b32 v3, v4 offset:1056
.LBB106_14:
	s_or_b32 exec_lo, exec_lo, s3
	s_clause 0x1
	s_load_b256 s[4:11], s[0:1], 0x28
	s_load_b64 s[24:25], s[0:1], 0x48
	s_waitcnt lgkmcnt(0)
	s_barrier
	buffer_gl0_inv
	s_and_saveexec_b32 s1, vcc_lo
	s_cbranch_execz .LBB106_23
; %bb.15:
	v_mov_b32_e32 v3, 0
	s_mov_b32 s0, exec_lo
	v_cmpx_ne_u32_e32 0, v0
	s_cbranch_execz .LBB106_17
; %bb.16:
	v_lshlrev_b32_e32 v3, 2, v0
	ds_load_b32 v3, v3 offset:1052
.LBB106_17:
	s_or_b32 exec_lo, exec_lo, s0
	s_waitcnt lgkmcnt(0)
	v_cmp_gt_u32_e32 vcc_lo, s19, v3
	v_cmp_le_u32_e64 s0, s19, v4
	s_delay_alu instid0(VALU_DEP_1) | instskip(NEXT) | instid1(SALU_CYCLE_1)
	s_and_b32 s0, vcc_lo, s0
	s_and_b32 exec_lo, exec_lo, s0
	s_cbranch_execz .LBB106_23
; %bb.18:
	s_add_u32 s12, s12, s22
	s_addc_u32 s13, s13, s23
	s_lshl_b32 s0, 0xff, s17
	s_delay_alu instid0(SALU_CYCLE_1) | instskip(SKIP_2) | instid1(SALU_CYCLE_1)
	v_not_b32_e32 v6, s0
	v_mov_b32_e32 v5, 0
	s_mul_i32 s0, s26, s16
	s_cmp_lg_u32 s20, s0
	global_load_b32 v4, v5, s[12:13]
	s_waitcnt vmcnt(0)
	v_and_b32_e32 v4, v4, v6
	s_delay_alu instid0(VALU_DEP_1)
	v_lshl_or_b32 v4, v0, s17, v4
	ds_store_b32 v5, v4 offset:2112
	s_cbranch_scc1 .LBB106_23
; %bb.19:
	s_add_u32 s10, s10, s22
	s_addc_u32 s11, s11, s23
	s_cmp_lt_i32 s17, 1
	s_mov_b32 s0, -1
	global_store_b32 v5, v4, s[10:11]
	s_cbranch_scc0 .LBB106_21
; %bb.20:
	v_and_b32_e32 v5, 0x8000, v4
	v_mov_b32_e32 v6, 0xffff
	s_lshl_b64 s[10:11], s[26:27], 1
	s_mov_b32 s0, 0
	s_add_u32 s6, s6, s10
	v_cmp_eq_u32_e32 vcc_lo, 0, v5
	s_addc_u32 s7, s7, s11
	v_cndmask_b32_e32 v5, 0x8000, v6, vcc_lo
	s_delay_alu instid0(VALU_DEP_1)
	v_xor_b32_e32 v4, v5, v4
	v_mov_b32_e32 v5, 0
	global_store_b16 v5, v4, s[6:7]
.LBB106_21:
	s_and_not1_b32 vcc_lo, exec_lo, s0
	s_cbranch_vccnz .LBB106_23
; %bb.22:
	v_sub_nc_u32_e32 v3, s19, v3
	v_mov_b32_e32 v4, 0
	s_add_u32 s6, s8, s22
	s_addc_u32 s7, s9, s23
	global_store_b32 v4, v3, s[6:7]
.LBB106_23:
	s_or_b32 exec_lo, exec_lo, s1
	v_mov_b32_e32 v3, 0
	s_waitcnt lgkmcnt(0)
	s_waitcnt_vscnt null, 0x0
	s_barrier
	buffer_gl0_inv
	s_bitcmp0_b32 s18, 0
	ds_load_b32 v3, v3 offset:2112
	s_mov_b32 s6, 0
	s_waitcnt lgkmcnt(0)
	v_lshrrev_b32_e32 v3, s17, v3
	s_delay_alu instid0(VALU_DEP_1)
	v_and_b32_e32 v3, 0xff, v3
	s_cbranch_scc0 .LBB106_25
; %bb.24:
	v_and_b32_e32 v4, 0xe0, v0
	s_delay_alu instid0(VALU_DEP_2) | instskip(NEXT) | instid1(VALU_DEP_2)
	v_cmp_lt_u32_e64 s0, v0, v3
	v_cmp_lt_u32_e32 vcc_lo, v4, v3
	s_delay_alu instid0(VALU_DEP_2)
	s_and_b32 s1, s0, exec_lo
	s_and_b32 s3, vcc_lo, exec_lo
	s_and_not1_b32 vcc_lo, exec_lo, s6
	s_cbranch_vccz .LBB106_26
	s_branch .LBB106_27
.LBB106_25:
                                        ; implicit-def: $sgpr1
                                        ; implicit-def: $sgpr3
.LBB106_26:
	v_or_b32_e32 v4, 31, v0
	s_delay_alu instid0(VALU_DEP_2) | instskip(SKIP_2) | instid1(VALU_DEP_2)
	v_cmp_gt_u32_e32 vcc_lo, v0, v3
	s_and_not1_b32 s1, s1, exec_lo
	s_and_not1_b32 s3, s3, exec_lo
	v_cmp_gt_u32_e64 s0, v4, v3
	s_and_b32 s6, vcc_lo, exec_lo
	s_delay_alu instid0(SALU_CYCLE_1) | instskip(NEXT) | instid1(VALU_DEP_1)
	s_or_b32 s1, s1, s6
	s_and_b32 s0, s0, exec_lo
	s_delay_alu instid0(SALU_CYCLE_1)
	s_or_b32 s3, s3, s0
.LBB106_27:
	v_mov_b32_e32 v3, 0
	s_and_saveexec_b32 s0, s3
	s_cbranch_execz .LBB106_31
; %bb.28:
	v_mov_b32_e32 v3, 0
	s_and_saveexec_b32 s3, s1
	s_cbranch_execz .LBB106_30
; %bb.29:
	s_lshl_b32 s6, s20, 8
	s_mov_b32 s7, 0
	v_lshlrev_b32_e32 v3, 1, v0
	s_lshl_b64 s[6:7], s[6:7], 1
	s_delay_alu instid0(SALU_CYCLE_1)
	s_add_u32 s6, s14, s6
	s_addc_u32 s7, s15, s7
	global_load_i16 v3, v3, s[6:7]
.LBB106_30:
	s_or_b32 exec_lo, exec_lo, s3
	v_cmp_gt_u32_e32 vcc_lo, 16, v1
	v_cndmask_b32_e64 v4, 0, 1, vcc_lo
	v_cmp_gt_u32_e32 vcc_lo, 24, v1
	s_delay_alu instid0(VALU_DEP_2) | instskip(SKIP_2) | instid1(VALU_DEP_3)
	v_lshlrev_b32_e32 v4, 4, v4
	v_cndmask_b32_e64 v5, 0, 1, vcc_lo
	v_cmp_gt_u32_e32 vcc_lo, 28, v1
	v_add_lshl_u32 v4, v4, v1, 2
	s_delay_alu instid0(VALU_DEP_3)
	v_lshlrev_b32_e32 v5, 3, v5
	s_waitcnt vmcnt(0)
	ds_bpermute_b32 v4, v4, v3
	v_add_lshl_u32 v5, v5, v1, 2
	s_waitcnt lgkmcnt(0)
	v_add_nc_u32_e32 v3, v4, v3
	ds_bpermute_b32 v4, v5, v3
	v_cndmask_b32_e64 v5, 0, 1, vcc_lo
	v_cmp_gt_u32_e32 vcc_lo, 30, v1
	s_delay_alu instid0(VALU_DEP_2) | instskip(NEXT) | instid1(VALU_DEP_1)
	v_lshlrev_b32_e32 v5, 2, v5
	v_add_lshl_u32 v5, v5, v1, 2
	s_waitcnt lgkmcnt(0)
	v_add_nc_u32_e32 v3, v4, v3
	ds_bpermute_b32 v4, v5, v3
	v_cndmask_b32_e64 v5, 0, 1, vcc_lo
	v_cmp_ne_u32_e32 vcc_lo, 31, v1
	s_delay_alu instid0(VALU_DEP_2) | instskip(NEXT) | instid1(VALU_DEP_1)
	v_lshlrev_b32_e32 v5, 1, v5
	v_add_lshl_u32 v5, v5, v1, 2
	s_waitcnt lgkmcnt(0)
	v_add_nc_u32_e32 v3, v4, v3
	ds_bpermute_b32 v4, v5, v3
	v_add_co_ci_u32_e32 v5, vcc_lo, 0, v1, vcc_lo
	s_waitcnt lgkmcnt(0)
	v_add_nc_u32_e32 v3, v4, v3
	s_delay_alu instid0(VALU_DEP_2)
	v_lshlrev_b32_e32 v4, 2, v5
	ds_bpermute_b32 v4, v4, v3
	s_waitcnt lgkmcnt(0)
	v_add_nc_u32_e32 v3, v4, v3
.LBB106_31:
	s_or_b32 exec_lo, exec_lo, s0
	v_and_b32_e32 v4, 31, v0
	s_mov_b32 s0, exec_lo
	s_delay_alu instid0(VALU_DEP_1)
	v_cmpx_eq_u32_e32 0, v4
	s_cbranch_execz .LBB106_33
; %bb.32:
	v_lshlrev_b32_e32 v2, 2, v2
	ds_store_b32 v2, v3 offset:2080
.LBB106_33:
	s_or_b32 exec_lo, exec_lo, s0
	s_waitcnt lgkmcnt(0)
	s_barrier
	buffer_gl0_inv
	s_and_saveexec_b32 s0, s2
	s_cbranch_execz .LBB106_40
; %bb.34:
	v_mov_b32_e32 v2, 0
	s_mov_b32 s0, exec_lo
	v_cmpx_gt_u32_e32 8, v0
	s_cbranch_execz .LBB106_36
; %bb.35:
	v_lshlrev_b32_e32 v2, 2, v0
	ds_load_b32 v2, v2 offset:2080
.LBB106_36:
	s_or_b32 exec_lo, exec_lo, s0
	v_cmp_gt_u32_e32 vcc_lo, 28, v1
	s_mov_b32 s0, exec_lo
	v_cndmask_b32_e64 v3, 0, 1, vcc_lo
	v_cmp_gt_u32_e32 vcc_lo, 30, v1
	s_delay_alu instid0(VALU_DEP_2) | instskip(SKIP_2) | instid1(VALU_DEP_3)
	v_lshlrev_b32_e32 v3, 2, v3
	v_cndmask_b32_e64 v4, 0, 1, vcc_lo
	v_cmp_ne_u32_e32 vcc_lo, 31, v1
	v_add_lshl_u32 v3, v3, v1, 2
	s_delay_alu instid0(VALU_DEP_3)
	v_lshlrev_b32_e32 v4, 1, v4
	s_waitcnt lgkmcnt(0)
	ds_bpermute_b32 v3, v3, v2
	v_add_lshl_u32 v4, v4, v1, 2
	s_waitcnt lgkmcnt(0)
	v_add_nc_u32_e32 v2, v3, v2
	ds_bpermute_b32 v3, v4, v2
	v_add_co_ci_u32_e32 v4, vcc_lo, 0, v1, vcc_lo
	s_waitcnt lgkmcnt(0)
	v_add_nc_u32_e32 v1, v3, v2
	s_delay_alu instid0(VALU_DEP_2)
	v_lshlrev_b32_e32 v2, 2, v4
	ds_bpermute_b32 v2, v2, v1
	v_cmpx_eq_u32_e32 0, v0
	s_cbranch_execz .LBB106_38
; %bb.37:
	s_lshl_b64 s[2:3], s[20:21], 2
	v_mov_b32_e32 v3, 0
	s_add_u32 s2, s4, s2
	s_addc_u32 s3, s5, s3
	global_load_b32 v4, v3, s[2:3]
	s_waitcnt vmcnt(0) lgkmcnt(0)
	v_add3_u32 v1, v2, v1, v4
	global_store_b32 v3, v1, s[2:3]
.LBB106_38:
	s_or_b32 exec_lo, exec_lo, s0
	v_or_b32_e32 v0, s17, v0
	s_delay_alu instid0(VALU_DEP_1)
	v_cmp_eq_u32_e32 vcc_lo, 0, v0
	s_and_b32 exec_lo, exec_lo, vcc_lo
	s_cbranch_execz .LBB106_40
; %bb.39:
	v_mov_b32_e32 v0, 0
	s_lshl_b32 s0, s20, 8
	s_mov_b32 s1, 0
	s_delay_alu instid0(SALU_CYCLE_1)
	s_lshl_b64 s[0:1], s[0:1], 1
	ds_load_b32 v1, v0 offset:2112
	s_add_u32 s0, s14, s0
	s_addc_u32 s1, s15, s1
	s_waitcnt lgkmcnt(0)
	v_and_b32_e32 v1, 0xff, v1
	s_delay_alu instid0(VALU_DEP_1) | instskip(SKIP_2) | instid1(SALU_CYCLE_1)
	v_lshlrev_b32_e32 v1, 1, v1
	global_load_i16 v1, v1, s[0:1]
	s_lshl_b64 s[0:1], s[20:21], 2
	s_add_u32 s0, s24, s0
	s_addc_u32 s1, s25, s1
	s_waitcnt vmcnt(0)
	global_store_b32 v0, v1, s[0:1]
.LBB106_40:
	s_nop 0
	s_sendmsg sendmsg(MSG_DEALLOC_VGPRS)
	s_endpgm
.LBB106_41:
	s_mov_b32 s6, s21
	s_delay_alu instid0(SALU_CYCLE_1)
	s_cmp_ge_u32 s6, s16
	s_cbranch_scc0 .LBB106_6
	s_branch .LBB106_7
	.section	.rodata,"a",@progbits
	.p2align	6, 0x0
	.amdhsa_kernel _ZN2at6native6mbtopk29computeBlockwiseWithinKCountsIjN3c108BFloat16EEEvPT_PsPjjibS8_PT0_S8_S6_S8_j
		.amdhsa_group_segment_fixed_size 2116
		.amdhsa_private_segment_fixed_size 0
		.amdhsa_kernarg_size 344
		.amdhsa_user_sgpr_count 13
		.amdhsa_user_sgpr_dispatch_ptr 0
		.amdhsa_user_sgpr_queue_ptr 0
		.amdhsa_user_sgpr_kernarg_segment_ptr 1
		.amdhsa_user_sgpr_dispatch_id 0
		.amdhsa_user_sgpr_private_segment_size 0
		.amdhsa_wavefront_size32 1
		.amdhsa_uses_dynamic_stack 0
		.amdhsa_enable_private_segment 0
		.amdhsa_system_sgpr_workgroup_id_x 1
		.amdhsa_system_sgpr_workgroup_id_y 1
		.amdhsa_system_sgpr_workgroup_id_z 1
		.amdhsa_system_sgpr_workgroup_info 0
		.amdhsa_system_vgpr_workitem_id 0
		.amdhsa_next_free_vgpr 14
		.amdhsa_next_free_sgpr 28
		.amdhsa_reserve_vcc 1
		.amdhsa_float_round_mode_32 0
		.amdhsa_float_round_mode_16_64 0
		.amdhsa_float_denorm_mode_32 3
		.amdhsa_float_denorm_mode_16_64 3
		.amdhsa_dx10_clamp 1
		.amdhsa_ieee_mode 1
		.amdhsa_fp16_overflow 0
		.amdhsa_workgroup_processor_mode 1
		.amdhsa_memory_ordered 1
		.amdhsa_forward_progress 0
		.amdhsa_shared_vgpr_count 0
		.amdhsa_exception_fp_ieee_invalid_op 0
		.amdhsa_exception_fp_denorm_src 0
		.amdhsa_exception_fp_ieee_div_zero 0
		.amdhsa_exception_fp_ieee_overflow 0
		.amdhsa_exception_fp_ieee_underflow 0
		.amdhsa_exception_fp_ieee_inexact 0
		.amdhsa_exception_int_div_zero 0
	.end_amdhsa_kernel
	.section	.text._ZN2at6native6mbtopk29computeBlockwiseWithinKCountsIjN3c108BFloat16EEEvPT_PsPjjibS8_PT0_S8_S6_S8_j,"axG",@progbits,_ZN2at6native6mbtopk29computeBlockwiseWithinKCountsIjN3c108BFloat16EEEvPT_PsPjjibS8_PT0_S8_S6_S8_j,comdat
.Lfunc_end106:
	.size	_ZN2at6native6mbtopk29computeBlockwiseWithinKCountsIjN3c108BFloat16EEEvPT_PsPjjibS8_PT0_S8_S6_S8_j, .Lfunc_end106-_ZN2at6native6mbtopk29computeBlockwiseWithinKCountsIjN3c108BFloat16EEEvPT_PsPjjibS8_PT0_S8_S6_S8_j
                                        ; -- End function
	.section	.AMDGPU.csdata,"",@progbits
; Kernel info:
; codeLenInByte = 2292
; NumSgprs: 30
; NumVgprs: 14
; ScratchSize: 0
; MemoryBound: 0
; FloatMode: 240
; IeeeMode: 1
; LDSByteSize: 2116 bytes/workgroup (compile time only)
; SGPRBlocks: 3
; VGPRBlocks: 1
; NumSGPRsForWavesPerEU: 30
; NumVGPRsForWavesPerEU: 14
; Occupancy: 16
; WaveLimiterHint : 1
; COMPUTE_PGM_RSRC2:SCRATCH_EN: 0
; COMPUTE_PGM_RSRC2:USER_SGPR: 13
; COMPUTE_PGM_RSRC2:TRAP_HANDLER: 0
; COMPUTE_PGM_RSRC2:TGID_X_EN: 1
; COMPUTE_PGM_RSRC2:TGID_Y_EN: 1
; COMPUTE_PGM_RSRC2:TGID_Z_EN: 1
; COMPUTE_PGM_RSRC2:TIDIG_COMP_CNT: 0
	.section	.text._ZN2at6native6mbtopk10gatherTopKIN3c108BFloat16EjLi1EEEvNS_4cuda6detail10TensorInfoIKT_T0_EESA_SA_bjSA_NS7_IS8_SA_EESA_NS7_IlSA_EESA_jjPS8_PjSF_j,"axG",@progbits,_ZN2at6native6mbtopk10gatherTopKIN3c108BFloat16EjLi1EEEvNS_4cuda6detail10TensorInfoIKT_T0_EESA_SA_bjSA_NS7_IS8_SA_EESA_NS7_IlSA_EESA_jjPS8_PjSF_j,comdat
	.protected	_ZN2at6native6mbtopk10gatherTopKIN3c108BFloat16EjLi1EEEvNS_4cuda6detail10TensorInfoIKT_T0_EESA_SA_bjSA_NS7_IS8_SA_EESA_NS7_IlSA_EESA_jjPS8_PjSF_j ; -- Begin function _ZN2at6native6mbtopk10gatherTopKIN3c108BFloat16EjLi1EEEvNS_4cuda6detail10TensorInfoIKT_T0_EESA_SA_bjSA_NS7_IS8_SA_EESA_NS7_IlSA_EESA_jjPS8_PjSF_j
	.globl	_ZN2at6native6mbtopk10gatherTopKIN3c108BFloat16EjLi1EEEvNS_4cuda6detail10TensorInfoIKT_T0_EESA_SA_bjSA_NS7_IS8_SA_EESA_NS7_IlSA_EESA_jjPS8_PjSF_j
	.p2align	8
	.type	_ZN2at6native6mbtopk10gatherTopKIN3c108BFloat16EjLi1EEEvNS_4cuda6detail10TensorInfoIKT_T0_EESA_SA_bjSA_NS7_IS8_SA_EESA_NS7_IlSA_EESA_jjPS8_PjSF_j,@function
_ZN2at6native6mbtopk10gatherTopKIN3c108BFloat16EjLi1EEEvNS_4cuda6detail10TensorInfoIKT_T0_EESA_SA_bjSA_NS7_IS8_SA_EESA_NS7_IlSA_EESA_jjPS8_PjSF_j: ; @_ZN2at6native6mbtopk10gatherTopKIN3c108BFloat16EjLi1EEEvNS_4cuda6detail10TensorInfoIKT_T0_EESA_SA_bjSA_NS7_IS8_SA_EESA_NS7_IlSA_EESA_jjPS8_PjSF_j
; %bb.0:
	s_clause 0x1
	s_load_b64 s[2:3], s[0:1], 0x2d8
	s_load_b32 s4, s[0:1], 0x2d0
	s_waitcnt lgkmcnt(0)
	s_mul_i32 s3, s3, s15
	s_delay_alu instid0(SALU_CYCLE_1) | instskip(NEXT) | instid1(SALU_CYCLE_1)
	s_add_i32 s3, s3, s14
	s_mul_i32 s2, s3, s2
	s_delay_alu instid0(SALU_CYCLE_1) | instskip(NEXT) | instid1(SALU_CYCLE_1)
	s_add_i32 s2, s2, s13
	s_cmp_ge_u32 s2, s4
	s_cbranch_scc1 .LBB107_40
; %bb.1:
	s_load_b256 s[4:11], s[0:1], 0x2a8
	s_mov_b32 s19, 0
	s_waitcnt lgkmcnt(0)
	v_cvt_f32_u32_e32 v1, s6
	s_sub_i32 s7, 0, s6
	s_delay_alu instid0(VALU_DEP_1) | instskip(SKIP_2) | instid1(VALU_DEP_1)
	v_rcp_iflag_f32_e32 v1, v1
	s_waitcnt_depctr 0xfff
	v_mul_f32_e32 v1, 0x4f7ffffe, v1
	v_cvt_u32_f32_e32 v1, v1
	s_delay_alu instid0(VALU_DEP_1) | instskip(SKIP_1) | instid1(VALU_DEP_2)
	v_readfirstlane_b32 s3, v1
	v_mov_b32_e32 v1, 0
	s_mul_i32 s7, s7, s3
	s_delay_alu instid0(SALU_CYCLE_1) | instskip(NEXT) | instid1(SALU_CYCLE_1)
	s_mul_hi_u32 s7, s3, s7
	s_add_i32 s3, s3, s7
	s_delay_alu instid0(SALU_CYCLE_1) | instskip(NEXT) | instid1(SALU_CYCLE_1)
	s_mul_hi_u32 s3, s2, s3
	s_mul_i32 s7, s3, s6
	s_add_i32 s12, s3, 1
	s_sub_i32 s7, s2, s7
	s_delay_alu instid0(SALU_CYCLE_1)
	s_sub_i32 s13, s7, s6
	s_cmp_ge_u32 s7, s6
	s_cselect_b32 s3, s12, s3
	s_cselect_b32 s7, s13, s7
	s_add_i32 s12, s3, 1
	s_cmp_ge_u32 s7, s6
	s_cselect_b32 s18, s12, s3
	s_delay_alu instid0(SALU_CYCLE_1)
	s_mul_i32 s12, s18, s6
	s_lshl_b64 s[14:15], s[18:19], 1
	s_sub_i32 s7, s2, s12
	s_add_u32 s2, s8, s14
	s_addc_u32 s3, s9, s15
	global_load_u16 v1, v1, s[2:3]
	s_clause 0x2
	s_load_b64 s[16:17], s[0:1], 0x1d0
	s_load_b64 s[20:21], s[0:1], 0xf0
	;; [unrolled: 1-line block ×3, first 2 shown]
	v_cmp_ne_u32_e64 s2, 0, v0
	v_cmp_eq_u32_e64 s3, 0, v0
	s_waitcnt vmcnt(0)
	v_readfirstlane_b32 s28, v1
	s_delay_alu instid0(VALU_DEP_2)
	s_and_saveexec_b32 s29, s3
	s_cbranch_execz .LBB107_17
; %bb.2:
	s_load_b64 s[8:9], s[0:1], 0x2c8
	s_mov_b32 s13, s19
	s_delay_alu instid0(SALU_CYCLE_1) | instskip(NEXT) | instid1(SALU_CYCLE_1)
	s_lshl_b64 s[24:25], s[12:13], 2
	s_add_u32 s12, s10, s24
	s_addc_u32 s13, s11, s25
	s_waitcnt lgkmcnt(0)
	s_add_u32 s14, s8, s24
	s_addc_u32 s15, s9, s25
	s_cmp_lt_u32 s6, 4
	s_cbranch_scc1 .LBB107_14
; %bb.3:
	s_mov_b32 s30, s19
	s_mov_b32 s31, s19
	;; [unrolled: 1-line block ×3, first 2 shown]
.LBB107_4:                              ; =>This Inner Loop Header: Depth=1
	s_add_u32 s12, s10, s24
	s_addc_u32 s13, s11, s25
	s_add_u32 s26, s8, s24
	s_load_b128 s[12:15], s[12:13], 0x0
	s_addc_u32 s27, s9, s25
	s_cmp_ge_u32 s33, s7
	s_cbranch_scc0 .LBB107_11
; %bb.5:                                ;   in Loop: Header=BB107_4 Depth=1
	s_add_i32 s34, s33, 1
	s_delay_alu instid0(SALU_CYCLE_1)
	s_cmp_ge_u32 s34, s7
	s_cbranch_scc0 .LBB107_12
.LBB107_6:                              ;   in Loop: Header=BB107_4 Depth=1
	s_add_i32 s34, s34, 1
	s_delay_alu instid0(SALU_CYCLE_1)
	s_cmp_ge_u32 s34, s7
	s_cbranch_scc0 .LBB107_13
.LBB107_7:                              ;   in Loop: Header=BB107_4 Depth=1
	s_add_i32 s34, s34, 1
	s_delay_alu instid0(SALU_CYCLE_1)
	s_cmp_ge_u32 s34, s7
	s_cbranch_scc1 .LBB107_9
.LBB107_8:                              ;   in Loop: Header=BB107_4 Depth=1
	s_load_b32 s26, s[26:27], 0xc
	s_waitcnt lgkmcnt(0)
	s_add_i32 s19, s19, s15
	s_add_i32 s30, s26, s30
.LBB107_9:                              ;   in Loop: Header=BB107_4 Depth=1
	s_waitcnt lgkmcnt(0)
	s_add_i32 s12, s12, s31
	s_delay_alu instid0(SALU_CYCLE_1) | instskip(NEXT) | instid1(SALU_CYCLE_1)
	s_add_i32 s12, s12, s13
	s_add_i32 s12, s12, s14
	s_delay_alu instid0(SALU_CYCLE_1)
	s_add_i32 s31, s12, s15
	s_add_u32 s10, s10, 16
	s_addc_u32 s11, s11, 0
	s_add_u32 s8, s8, 16
	s_addc_u32 s9, s9, 0
	s_add_i32 s27, s34, 4
	s_add_u32 s14, s8, s24
	s_addc_u32 s15, s9, s25
	s_add_u32 s12, s10, s24
	s_addc_u32 s13, s11, s25
	s_add_i32 s26, s34, 1
	s_cmp_ge_u32 s27, s6
	s_cbranch_scc1 .LBB107_15
; %bb.10:                               ;   in Loop: Header=BB107_4 Depth=1
	s_mov_b32 s33, s26
	s_branch .LBB107_4
.LBB107_11:                             ;   in Loop: Header=BB107_4 Depth=1
	s_load_b32 s34, s[26:27], 0x0
	s_waitcnt lgkmcnt(0)
	s_add_i32 s19, s12, s19
	s_add_i32 s30, s34, s30
	;; [unrolled: 1-line block ×3, first 2 shown]
	s_delay_alu instid0(SALU_CYCLE_1)
	s_cmp_ge_u32 s34, s7
	s_cbranch_scc1 .LBB107_6
.LBB107_12:                             ;   in Loop: Header=BB107_4 Depth=1
	s_load_b32 s35, s[26:27], 0x4
	s_waitcnt lgkmcnt(0)
	s_add_i32 s19, s19, s13
	s_add_i32 s30, s35, s30
	;; [unrolled: 1-line block ×3, first 2 shown]
	s_delay_alu instid0(SALU_CYCLE_1)
	s_cmp_ge_u32 s34, s7
	s_cbranch_scc1 .LBB107_7
.LBB107_13:                             ;   in Loop: Header=BB107_4 Depth=1
	s_load_b32 s35, s[26:27], 0x8
	s_waitcnt lgkmcnt(0)
	s_add_i32 s19, s19, s14
	s_add_i32 s30, s35, s30
	;; [unrolled: 1-line block ×3, first 2 shown]
	s_delay_alu instid0(SALU_CYCLE_1)
	s_cmp_ge_u32 s34, s7
	s_cbranch_scc0 .LBB107_8
	s_branch .LBB107_9
.LBB107_14:
	s_mov_b32 s30, 0
	s_mov_b32 s31, 0
	;; [unrolled: 1-line block ×3, first 2 shown]
	s_delay_alu instid0(SALU_CYCLE_1)
	s_cmp_ge_u32 s8, s6
	s_cbranch_scc0 .LBB107_38
	s_branch .LBB107_16
.LBB107_15:
	s_add_i32 s8, s33, 4
	s_delay_alu instid0(SALU_CYCLE_1)
	s_cmp_ge_u32 s8, s6
	s_cbranch_scc0 .LBB107_38
.LBB107_16:
	v_dual_mov_b32 v1, s30 :: v_dual_mov_b32 v2, s31
	v_dual_mov_b32 v3, s19 :: v_dual_mov_b32 v4, 0
	ds_store_b96 v4, v[1:3] offset:1056
.LBB107_17:
	s_or_b32 exec_lo, exec_lo, s29
	s_clause 0x3
	s_load_b32 s12, s[0:1], 0x23c
	s_load_b32 s13, s[0:1], 0x15c
	;; [unrolled: 1-line block ×3, first 2 shown]
	s_load_b128 s[8:11], s[0:1], 0xd8
	s_waitcnt lgkmcnt(0)
	s_mul_i32 s11, s5, s7
	s_add_i32 s7, s7, 1
	s_lshl_b32 s19, s11, 8
	s_barrier
	buffer_gl0_inv
	s_sub_i32 s11, s8, s19
	s_delay_alu instid0(SALU_CYCLE_1) | instskip(SKIP_4) | instid1(VALU_DEP_1)
	s_add_u32 s11, s11, 0xff
	s_addc_u32 s15, 0, 0
	s_cmp_lt_u32 s7, s6
	v_alignbit_b32 v1, s15, s11, 8
	s_mov_b32 s7, 0
	v_readfirstlane_b32 s11, v1
	s_delay_alu instid0(VALU_DEP_1) | instskip(NEXT) | instid1(SALU_CYCLE_1)
	s_cselect_b32 s5, s5, s11
	s_cmp_eq_u32 s5, 0
	s_cbranch_scc1 .LBB107_40
; %bb.18:
	s_mul_i32 s6, s18, s14
	s_mul_i32 s14, s18, s13
	s_lshl_b64 s[24:25], s[6:7], 1
	s_mov_b32 s15, s7
	s_add_u32 s6, s22, s24
	s_addc_u32 s11, s23, s25
	s_lshl_b64 s[14:15], s[14:15], 1
	v_mov_b32_e32 v5, 0
	s_mul_i32 s22, s18, s12
	s_mov_b32 s23, s7
	s_add_u32 s12, s20, s14
	s_addc_u32 s13, s21, s15
	s_lshl_b64 s[14:15], s[22:23], 3
	ds_load_b96 v[1:3], v5 offset:1056
	s_add_u32 s7, s16, s14
	s_addc_u32 s14, s17, s15
	s_sext_i32_i16 s15, s28
	s_and_b32 s16, 0xffff, s28
	s_cmp_gt_i32 s15, -1
	s_mov_b32 s15, 0x8000
	s_load_b32 s18, s[0:1], 0xe8
	s_cselect_b32 s15, s15, 0xffff
	s_lshl_b32 s17, s28, 16
	s_xor_b32 s15, s15, s16
	v_cmp_o_f32_e64 s17, s17, s17
	v_lshrrev_b32_e32 v4, 5, v0
	v_add_nc_u32_e32 v9, -1, v0
	v_mbcnt_lo_u32_b32 v8, -1, 0
	v_mov_b32_e32 v13, 0x8000
	s_and_b32 s16, s17, exec_lo
	s_cselect_b32 s15, s15, 0xffff
	s_bitcmp1_b32 s10, 0
	s_load_b32 s10, s[0:1], 0x1c8
	s_waitcnt lgkmcnt(0)
	v_add_nc_u32_e32 v6, v1, v2
	v_add_lshl_u32 v7, v4, v0, 2
	v_lshlrev_b32_e32 v2, 3, v0
	v_lshrrev_b32_e32 v4, 2, v0
	v_add_nc_u32_e32 v1, s19, v0
	v_lshrrev_b32_e32 v10, 5, v9
	v_cmp_gt_u32_e64 s0, 32, v0
	v_bfe_i32 v11, v8, 4, 1
	v_add_lshl_u32 v0, v4, v2, 2
	v_mul_lo_u32 v4, s18, v1
	v_add_lshl_u32 v9, v10, v9, 2
	v_and_b32_e32 v10, 15, v8
	v_add_nc_u32_e32 v12, -1, v8
	s_cselect_b32 s1, -1, 0
	s_lshl_b32 s16, s18, 8
                                        ; implicit-def: $vgpr14
	s_branch .LBB107_21
.LBB107_19:                             ;   in Loop: Header=BB107_21 Depth=1
	s_or_b32 exec_lo, exec_lo, s17
	v_add_nc_u32_e32 v6, v17, v6
.LBB107_20:                             ;   in Loop: Header=BB107_21 Depth=1
	v_add_nc_u32_e32 v3, v16, v3
	v_add_nc_u32_e32 v4, s16, v4
	v_add_nc_u32_e32 v1, 0x100, v1
	s_add_i32 s5, s5, -1
	s_delay_alu instid0(SALU_CYCLE_1)
	s_cmp_lg_u32 s5, 0
	s_cbranch_scc0 .LBB107_40
.LBB107_21:                             ; =>This Inner Loop Header: Depth=1
	v_dual_mov_b32 v2, 0 :: v_dual_mov_b32 v15, 0
	s_mov_b32 s17, exec_lo
	v_cmpx_gt_u32_e64 s8, v1
	s_cbranch_execz .LBB107_23
; %bb.22:                               ;   in Loop: Header=BB107_21 Depth=1
	v_lshlrev_b64 v[14:15], 1, v[4:5]
	s_delay_alu instid0(VALU_DEP_1) | instskip(NEXT) | instid1(VALU_DEP_2)
	v_add_co_u32 v14, vcc_lo, s6, v14
	v_add_co_ci_u32_e32 v15, vcc_lo, s11, v15, vcc_lo
	global_load_u16 v14, v[14:15], off
	s_waitcnt vmcnt(0)
	v_cmp_lt_i16_e32 vcc_lo, -1, v14
	v_and_b32_e32 v2, 0xffff, v14
	v_dual_cndmask_b32 v15, 0xffff, v13 :: v_dual_lshlrev_b32 v16, 16, v14
	s_delay_alu instid0(VALU_DEP_1) | instskip(NEXT) | instid1(VALU_DEP_2)
	v_cmp_o_f32_e32 vcc_lo, v16, v16
	v_xor_b32_e32 v2, v15, v2
	s_delay_alu instid0(VALU_DEP_1) | instskip(NEXT) | instid1(VALU_DEP_1)
	v_cndmask_b32_e32 v15, 0xffff, v2, vcc_lo
	v_cmp_lt_u32_e32 vcc_lo, s15, v15
	v_cndmask_b32_e64 v2, 0, 1, vcc_lo
	v_cmp_gt_u32_e32 vcc_lo, s15, v15
	v_cndmask_b32_e64 v16, 0, 1, vcc_lo
	v_cmp_eq_u32_e32 vcc_lo, s15, v15
	s_delay_alu instid0(VALU_DEP_2) | instskip(SKIP_1) | instid1(VALU_DEP_2)
	v_cndmask_b32_e64 v2, v16, v2, s1
	v_cndmask_b32_e64 v15, 0, 1, vcc_lo
	v_and_b32_e32 v2, 1, v2
.LBB107_23:                             ;   in Loop: Header=BB107_21 Depth=1
	s_or_b32 exec_lo, exec_lo, s17
	ds_store_b32 v7, v2
	s_waitcnt lgkmcnt(0)
	s_waitcnt_vscnt null, 0x0
	s_barrier
	buffer_gl0_inv
	s_and_saveexec_b32 s17, s0
	s_cbranch_execz .LBB107_25
; %bb.24:                               ;   in Loop: Header=BB107_21 Depth=1
	ds_load_2addr_b32 v[16:17], v0 offset1:1
	ds_load_2addr_b32 v[18:19], v0 offset0:2 offset1:3
	ds_load_2addr_b32 v[20:21], v0 offset0:4 offset1:5
	;; [unrolled: 1-line block ×3, first 2 shown]
	v_cmp_ne_u32_e32 vcc_lo, 0, v10
	; wave barrier
	s_waitcnt lgkmcnt(3)
	v_add_nc_u32_e32 v17, v17, v16
	s_waitcnt lgkmcnt(2)
	s_delay_alu instid0(VALU_DEP_1) | instskip(SKIP_1) | instid1(VALU_DEP_1)
	v_add3_u32 v17, v17, v18, v19
	s_waitcnt lgkmcnt(1)
	v_add3_u32 v17, v17, v20, v21
	s_waitcnt lgkmcnt(0)
	s_delay_alu instid0(VALU_DEP_1) | instskip(NEXT) | instid1(VALU_DEP_1)
	v_add3_u32 v17, v17, v22, v23
	v_mov_b32_dpp v18, v17 row_shr:1 row_mask:0xf bank_mask:0xf
	s_delay_alu instid0(VALU_DEP_1) | instskip(SKIP_1) | instid1(VALU_DEP_2)
	v_cndmask_b32_e32 v18, 0, v18, vcc_lo
	v_cmp_lt_u32_e32 vcc_lo, 1, v10
	v_add_nc_u32_e32 v17, v18, v17
	s_delay_alu instid0(VALU_DEP_1) | instskip(NEXT) | instid1(VALU_DEP_1)
	v_mov_b32_dpp v18, v17 row_shr:2 row_mask:0xf bank_mask:0xf
	v_cndmask_b32_e32 v18, 0, v18, vcc_lo
	v_cmp_lt_u32_e32 vcc_lo, 3, v10
	s_delay_alu instid0(VALU_DEP_2) | instskip(NEXT) | instid1(VALU_DEP_1)
	v_add_nc_u32_e32 v17, v17, v18
	v_mov_b32_dpp v18, v17 row_shr:4 row_mask:0xf bank_mask:0xf
	s_delay_alu instid0(VALU_DEP_1) | instskip(SKIP_1) | instid1(VALU_DEP_2)
	v_cndmask_b32_e32 v18, 0, v18, vcc_lo
	v_cmp_lt_u32_e32 vcc_lo, 7, v10
	v_add_nc_u32_e32 v17, v17, v18
	s_delay_alu instid0(VALU_DEP_1) | instskip(NEXT) | instid1(VALU_DEP_1)
	v_mov_b32_dpp v18, v17 row_shr:8 row_mask:0xf bank_mask:0xf
	v_cndmask_b32_e32 v18, 0, v18, vcc_lo
	v_cmp_gt_i32_e32 vcc_lo, 0, v12
	v_cndmask_b32_e32 v19, v12, v8, vcc_lo
	s_delay_alu instid0(VALU_DEP_1) | instskip(NEXT) | instid1(VALU_DEP_4)
	v_lshlrev_b32_e32 v19, 2, v19
	v_add_nc_u32_e32 v17, v17, v18
	ds_swizzle_b32 v18, v17 offset:swizzle(BROADCAST,32,15)
	s_waitcnt lgkmcnt(0)
	v_and_b32_e32 v18, v11, v18
	s_delay_alu instid0(VALU_DEP_1) | instskip(SKIP_3) | instid1(VALU_DEP_1)
	v_add_nc_u32_e32 v17, v17, v18
	ds_bpermute_b32 v17, v19, v17
	s_waitcnt lgkmcnt(0)
	v_add_nc_u32_e32 v16, v17, v16
	v_cndmask_b32_e64 v22, v16, v2, s3
	ds_store_b32 v0, v22
	; wave barrier
	ds_load_2addr_b32 v[16:17], v0 offset0:1 offset1:2
	ds_load_2addr_b32 v[18:19], v0 offset0:3 offset1:4
	;; [unrolled: 1-line block ×3, first 2 shown]
	ds_load_b32 v23, v0 offset:28
	s_waitcnt lgkmcnt(3)
	v_add_nc_u32_e32 v16, v16, v22
	s_delay_alu instid0(VALU_DEP_1) | instskip(SKIP_1) | instid1(VALU_DEP_1)
	v_add_nc_u32_e32 v17, v17, v16
	s_waitcnt lgkmcnt(2)
	v_add_nc_u32_e32 v18, v18, v17
	s_delay_alu instid0(VALU_DEP_1) | instskip(SKIP_1) | instid1(VALU_DEP_1)
	v_add_nc_u32_e32 v19, v19, v18
	;; [unrolled: 4-line block ×3, first 2 shown]
	s_waitcnt lgkmcnt(0)
	v_add_nc_u32_e32 v22, v23, v21
	ds_store_2addr_b32 v0, v16, v17 offset0:1 offset1:2
	ds_store_2addr_b32 v0, v18, v19 offset0:3 offset1:4
	ds_store_2addr_b32 v0, v20, v21 offset0:5 offset1:6
	ds_store_b32 v0, v22 offset:28
.LBB107_25:                             ;   in Loop: Header=BB107_21 Depth=1
	s_or_b32 exec_lo, exec_lo, s17
	v_mov_b32_e32 v17, 0
	s_waitcnt lgkmcnt(0)
	s_barrier
	buffer_gl0_inv
	s_and_saveexec_b32 s17, s2
	s_cbranch_execz .LBB107_27
; %bb.26:                               ;   in Loop: Header=BB107_21 Depth=1
	ds_load_b32 v17, v9
.LBB107_27:                             ;   in Loop: Header=BB107_21 Depth=1
	s_or_b32 exec_lo, exec_lo, s17
	ds_load_b32 v16, v5 offset:1048
	s_mov_b32 s17, exec_lo
	s_waitcnt lgkmcnt(0)
	s_barrier
	buffer_gl0_inv
	v_cmpx_ne_u32_e32 0, v2
	s_cbranch_execz .LBB107_29
; %bb.28:                               ;   in Loop: Header=BB107_21 Depth=1
	v_add_nc_u32_e32 v2, v17, v3
	v_mov_b32_e32 v18, v5
	v_mov_b32_e32 v20, v5
	s_delay_alu instid0(VALU_DEP_3) | instskip(SKIP_2) | instid1(VALU_DEP_3)
	v_mul_lo_u32 v17, v2, s10
	v_mul_lo_u32 v19, v2, s4
	v_mov_b32_e32 v2, v5
	v_lshlrev_b64 v[17:18], 1, v[17:18]
	s_delay_alu instid0(VALU_DEP_3) | instskip(NEXT) | instid1(VALU_DEP_2)
	v_lshlrev_b64 v[19:20], 3, v[19:20]
	v_add_co_u32 v17, vcc_lo, s12, v17
	s_delay_alu instid0(VALU_DEP_3) | instskip(NEXT) | instid1(VALU_DEP_3)
	v_add_co_ci_u32_e32 v18, vcc_lo, s13, v18, vcc_lo
	v_add_co_u32 v19, vcc_lo, s7, v19
	s_delay_alu instid0(VALU_DEP_4)
	v_add_co_ci_u32_e32 v20, vcc_lo, s14, v20, vcc_lo
	global_store_b16 v[17:18], v14, off
	global_store_b64 v[19:20], v[1:2], off
.LBB107_29:                             ;   in Loop: Header=BB107_21 Depth=1
	s_or_b32 exec_lo, exec_lo, s17
	v_cmp_le_u32_e32 vcc_lo, s9, v6
	s_cbranch_vccnz .LBB107_20
; %bb.30:                               ;   in Loop: Header=BB107_21 Depth=1
	ds_store_b32 v7, v15
	s_waitcnt lgkmcnt(0)
	s_waitcnt_vscnt null, 0x0
	s_barrier
	buffer_gl0_inv
	s_and_saveexec_b32 s17, s0
	s_cbranch_execz .LBB107_32
; %bb.31:                               ;   in Loop: Header=BB107_21 Depth=1
	ds_load_2addr_b32 v[17:18], v0 offset1:1
	ds_load_2addr_b32 v[19:20], v0 offset0:2 offset1:3
	ds_load_2addr_b32 v[21:22], v0 offset0:4 offset1:5
	;; [unrolled: 1-line block ×3, first 2 shown]
	v_cmp_ne_u32_e32 vcc_lo, 0, v10
	; wave barrier
	s_waitcnt lgkmcnt(3)
	v_add_nc_u32_e32 v2, v18, v17
	s_waitcnt lgkmcnt(2)
	s_delay_alu instid0(VALU_DEP_1) | instskip(SKIP_1) | instid1(VALU_DEP_1)
	v_add3_u32 v2, v2, v19, v20
	s_waitcnt lgkmcnt(1)
	v_add3_u32 v2, v2, v21, v22
	s_waitcnt lgkmcnt(0)
	s_delay_alu instid0(VALU_DEP_1) | instskip(NEXT) | instid1(VALU_DEP_1)
	v_add3_u32 v2, v2, v23, v24
	v_mov_b32_dpp v18, v2 row_shr:1 row_mask:0xf bank_mask:0xf
	s_delay_alu instid0(VALU_DEP_1) | instskip(SKIP_1) | instid1(VALU_DEP_2)
	v_cndmask_b32_e32 v18, 0, v18, vcc_lo
	v_cmp_lt_u32_e32 vcc_lo, 1, v10
	v_add_nc_u32_e32 v2, v18, v2
	s_delay_alu instid0(VALU_DEP_1) | instskip(NEXT) | instid1(VALU_DEP_1)
	v_mov_b32_dpp v18, v2 row_shr:2 row_mask:0xf bank_mask:0xf
	v_cndmask_b32_e32 v18, 0, v18, vcc_lo
	v_cmp_lt_u32_e32 vcc_lo, 3, v10
	s_delay_alu instid0(VALU_DEP_2) | instskip(NEXT) | instid1(VALU_DEP_1)
	v_add_nc_u32_e32 v2, v2, v18
	v_mov_b32_dpp v18, v2 row_shr:4 row_mask:0xf bank_mask:0xf
	s_delay_alu instid0(VALU_DEP_1) | instskip(SKIP_1) | instid1(VALU_DEP_2)
	v_cndmask_b32_e32 v18, 0, v18, vcc_lo
	v_cmp_lt_u32_e32 vcc_lo, 7, v10
	v_add_nc_u32_e32 v2, v2, v18
	s_delay_alu instid0(VALU_DEP_1) | instskip(NEXT) | instid1(VALU_DEP_1)
	v_mov_b32_dpp v18, v2 row_shr:8 row_mask:0xf bank_mask:0xf
	v_cndmask_b32_e32 v18, 0, v18, vcc_lo
	v_cmp_gt_i32_e32 vcc_lo, 0, v12
	s_delay_alu instid0(VALU_DEP_2) | instskip(SKIP_4) | instid1(VALU_DEP_1)
	v_dual_cndmask_b32 v19, v12, v8 :: v_dual_add_nc_u32 v2, v2, v18
	ds_swizzle_b32 v18, v2 offset:swizzle(BROADCAST,32,15)
	v_lshlrev_b32_e32 v19, 2, v19
	s_waitcnt lgkmcnt(0)
	v_and_b32_e32 v18, v11, v18
	v_add_nc_u32_e32 v2, v2, v18
	ds_bpermute_b32 v2, v19, v2
	s_waitcnt lgkmcnt(0)
	v_add_nc_u32_e32 v2, v2, v17
	s_delay_alu instid0(VALU_DEP_1)
	v_cndmask_b32_e64 v2, v2, v15, s3
	ds_store_b32 v0, v2
	; wave barrier
	ds_load_2addr_b32 v[17:18], v0 offset0:1 offset1:2
	ds_load_2addr_b32 v[19:20], v0 offset0:3 offset1:4
	;; [unrolled: 1-line block ×3, first 2 shown]
	ds_load_b32 v23, v0 offset:28
	s_waitcnt lgkmcnt(3)
	v_add_nc_u32_e32 v2, v17, v2
	s_delay_alu instid0(VALU_DEP_1) | instskip(SKIP_1) | instid1(VALU_DEP_1)
	v_add_nc_u32_e32 v17, v18, v2
	s_waitcnt lgkmcnt(2)
	v_add_nc_u32_e32 v18, v19, v17
	s_delay_alu instid0(VALU_DEP_1) | instskip(SKIP_1) | instid1(VALU_DEP_1)
	v_add_nc_u32_e32 v19, v20, v18
	;; [unrolled: 4-line block ×3, first 2 shown]
	s_waitcnt lgkmcnt(0)
	v_add_nc_u32_e32 v22, v23, v21
	ds_store_2addr_b32 v0, v2, v17 offset0:1 offset1:2
	ds_store_2addr_b32 v0, v18, v19 offset0:3 offset1:4
	;; [unrolled: 1-line block ×3, first 2 shown]
	ds_store_b32 v0, v22 offset:28
.LBB107_32:                             ;   in Loop: Header=BB107_21 Depth=1
	s_or_b32 exec_lo, exec_lo, s17
	v_mov_b32_e32 v2, 0
	s_waitcnt lgkmcnt(0)
	s_barrier
	buffer_gl0_inv
	s_and_saveexec_b32 s17, s2
	s_cbranch_execz .LBB107_34
; %bb.33:                               ;   in Loop: Header=BB107_21 Depth=1
	ds_load_b32 v2, v9
.LBB107_34:                             ;   in Loop: Header=BB107_21 Depth=1
	s_or_b32 exec_lo, exec_lo, s17
	ds_load_b32 v17, v5 offset:1048
	s_mov_b32 s17, exec_lo
	s_waitcnt lgkmcnt(0)
	s_barrier
	buffer_gl0_inv
	v_cmpx_ne_u32_e32 0, v15
	s_cbranch_execz .LBB107_19
; %bb.35:                               ;   in Loop: Header=BB107_21 Depth=1
	v_add_nc_u32_e32 v2, v2, v6
	s_delay_alu instid0(VALU_DEP_1)
	v_cmp_gt_u32_e32 vcc_lo, s9, v2
	s_and_b32 exec_lo, exec_lo, vcc_lo
	s_cbranch_execz .LBB107_19
; %bb.36:                               ;   in Loop: Header=BB107_21 Depth=1
	v_mul_lo_u32 v18, v2, s10
	v_mov_b32_e32 v19, v5
	v_mul_lo_u32 v20, v2, s4
	v_mov_b32_e32 v21, v5
	v_mov_b32_e32 v2, v5
	s_delay_alu instid0(VALU_DEP_4) | instskip(NEXT) | instid1(VALU_DEP_3)
	v_lshlrev_b64 v[18:19], 1, v[18:19]
	v_lshlrev_b64 v[20:21], 3, v[20:21]
	s_delay_alu instid0(VALU_DEP_2) | instskip(NEXT) | instid1(VALU_DEP_3)
	v_add_co_u32 v18, vcc_lo, s12, v18
	v_add_co_ci_u32_e32 v19, vcc_lo, s13, v19, vcc_lo
	s_delay_alu instid0(VALU_DEP_3) | instskip(NEXT) | instid1(VALU_DEP_4)
	v_add_co_u32 v20, vcc_lo, s7, v20
	v_add_co_ci_u32_e32 v21, vcc_lo, s14, v21, vcc_lo
	global_store_b16 v[18:19], v14, off
	global_store_b64 v[20:21], v[1:2], off
	s_branch .LBB107_19
	.p2align	6
.LBB107_37:                             ;   in Loop: Header=BB107_38 Depth=1
	s_add_u32 s12, s12, 4
	s_addc_u32 s13, s13, 0
	s_waitcnt lgkmcnt(0)
	s_add_i32 s31, s9, s31
	s_add_u32 s14, s14, 4
	s_addc_u32 s15, s15, 0
	s_add_i32 s8, s8, 1
	s_delay_alu instid0(SALU_CYCLE_1)
	s_cmp_lt_u32 s8, s6
	s_cbranch_scc0 .LBB107_16
.LBB107_38:                             ; =>This Inner Loop Header: Depth=1
	s_load_b32 s9, s[12:13], 0x0
	s_cmp_ge_u32 s8, s7
	s_cbranch_scc1 .LBB107_37
; %bb.39:                               ;   in Loop: Header=BB107_38 Depth=1
	s_load_b32 s10, s[14:15], 0x0
	s_waitcnt lgkmcnt(0)
	s_add_i32 s19, s9, s19
	s_add_i32 s30, s10, s30
	s_branch .LBB107_37
.LBB107_40:
	s_nop 0
	s_sendmsg sendmsg(MSG_DEALLOC_VGPRS)
	s_endpgm
	.section	.rodata,"a",@progbits
	.p2align	6, 0x0
	.amdhsa_kernel _ZN2at6native6mbtopk10gatherTopKIN3c108BFloat16EjLi1EEEvNS_4cuda6detail10TensorInfoIKT_T0_EESA_SA_bjSA_NS7_IS8_SA_EESA_NS7_IlSA_EESA_jjPS8_PjSF_j
		.amdhsa_group_segment_fixed_size 1068
		.amdhsa_private_segment_fixed_size 0
		.amdhsa_kernarg_size 984
		.amdhsa_user_sgpr_count 13
		.amdhsa_user_sgpr_dispatch_ptr 0
		.amdhsa_user_sgpr_queue_ptr 0
		.amdhsa_user_sgpr_kernarg_segment_ptr 1
		.amdhsa_user_sgpr_dispatch_id 0
		.amdhsa_user_sgpr_private_segment_size 0
		.amdhsa_wavefront_size32 1
		.amdhsa_uses_dynamic_stack 0
		.amdhsa_enable_private_segment 0
		.amdhsa_system_sgpr_workgroup_id_x 1
		.amdhsa_system_sgpr_workgroup_id_y 1
		.amdhsa_system_sgpr_workgroup_id_z 1
		.amdhsa_system_sgpr_workgroup_info 0
		.amdhsa_system_vgpr_workitem_id 0
		.amdhsa_next_free_vgpr 25
		.amdhsa_next_free_sgpr 36
		.amdhsa_reserve_vcc 1
		.amdhsa_float_round_mode_32 0
		.amdhsa_float_round_mode_16_64 0
		.amdhsa_float_denorm_mode_32 3
		.amdhsa_float_denorm_mode_16_64 3
		.amdhsa_dx10_clamp 1
		.amdhsa_ieee_mode 1
		.amdhsa_fp16_overflow 0
		.amdhsa_workgroup_processor_mode 1
		.amdhsa_memory_ordered 1
		.amdhsa_forward_progress 0
		.amdhsa_shared_vgpr_count 0
		.amdhsa_exception_fp_ieee_invalid_op 0
		.amdhsa_exception_fp_denorm_src 0
		.amdhsa_exception_fp_ieee_div_zero 0
		.amdhsa_exception_fp_ieee_overflow 0
		.amdhsa_exception_fp_ieee_underflow 0
		.amdhsa_exception_fp_ieee_inexact 0
		.amdhsa_exception_int_div_zero 0
	.end_amdhsa_kernel
	.section	.text._ZN2at6native6mbtopk10gatherTopKIN3c108BFloat16EjLi1EEEvNS_4cuda6detail10TensorInfoIKT_T0_EESA_SA_bjSA_NS7_IS8_SA_EESA_NS7_IlSA_EESA_jjPS8_PjSF_j,"axG",@progbits,_ZN2at6native6mbtopk10gatherTopKIN3c108BFloat16EjLi1EEEvNS_4cuda6detail10TensorInfoIKT_T0_EESA_SA_bjSA_NS7_IS8_SA_EESA_NS7_IlSA_EESA_jjPS8_PjSF_j,comdat
.Lfunc_end107:
	.size	_ZN2at6native6mbtopk10gatherTopKIN3c108BFloat16EjLi1EEEvNS_4cuda6detail10TensorInfoIKT_T0_EESA_SA_bjSA_NS7_IS8_SA_EESA_NS7_IlSA_EESA_jjPS8_PjSF_j, .Lfunc_end107-_ZN2at6native6mbtopk10gatherTopKIN3c108BFloat16EjLi1EEEvNS_4cuda6detail10TensorInfoIKT_T0_EESA_SA_bjSA_NS7_IS8_SA_EESA_NS7_IlSA_EESA_jjPS8_PjSF_j
                                        ; -- End function
	.section	.AMDGPU.csdata,"",@progbits
; Kernel info:
; codeLenInByte = 2608
; NumSgprs: 38
; NumVgprs: 25
; ScratchSize: 0
; MemoryBound: 0
; FloatMode: 240
; IeeeMode: 1
; LDSByteSize: 1068 bytes/workgroup (compile time only)
; SGPRBlocks: 4
; VGPRBlocks: 3
; NumSGPRsForWavesPerEU: 38
; NumVGPRsForWavesPerEU: 25
; Occupancy: 16
; WaveLimiterHint : 1
; COMPUTE_PGM_RSRC2:SCRATCH_EN: 0
; COMPUTE_PGM_RSRC2:USER_SGPR: 13
; COMPUTE_PGM_RSRC2:TRAP_HANDLER: 0
; COMPUTE_PGM_RSRC2:TGID_X_EN: 1
; COMPUTE_PGM_RSRC2:TGID_Y_EN: 1
; COMPUTE_PGM_RSRC2:TGID_Z_EN: 1
; COMPUTE_PGM_RSRC2:TIDIG_COMP_CNT: 0
	.section	.text._ZN2at6native6sbtopk10gatherTopKIN3c108BFloat16EjLi1ELb0EEEvNS_4cuda6detail10TensorInfoIKT_T0_EESA_SA_bSA_SA_NS7_IS8_SA_EESA_NS7_IlSA_EESA_PS8_,"axG",@progbits,_ZN2at6native6sbtopk10gatherTopKIN3c108BFloat16EjLi1ELb0EEEvNS_4cuda6detail10TensorInfoIKT_T0_EESA_SA_bSA_SA_NS7_IS8_SA_EESA_NS7_IlSA_EESA_PS8_,comdat
	.protected	_ZN2at6native6sbtopk10gatherTopKIN3c108BFloat16EjLi1ELb0EEEvNS_4cuda6detail10TensorInfoIKT_T0_EESA_SA_bSA_SA_NS7_IS8_SA_EESA_NS7_IlSA_EESA_PS8_ ; -- Begin function _ZN2at6native6sbtopk10gatherTopKIN3c108BFloat16EjLi1ELb0EEEvNS_4cuda6detail10TensorInfoIKT_T0_EESA_SA_bSA_SA_NS7_IS8_SA_EESA_NS7_IlSA_EESA_PS8_
	.globl	_ZN2at6native6sbtopk10gatherTopKIN3c108BFloat16EjLi1ELb0EEEvNS_4cuda6detail10TensorInfoIKT_T0_EESA_SA_bSA_SA_NS7_IS8_SA_EESA_NS7_IlSA_EESA_PS8_
	.p2align	8
	.type	_ZN2at6native6sbtopk10gatherTopKIN3c108BFloat16EjLi1ELb0EEEvNS_4cuda6detail10TensorInfoIKT_T0_EESA_SA_bSA_SA_NS7_IS8_SA_EESA_NS7_IlSA_EESA_PS8_,@function
_ZN2at6native6sbtopk10gatherTopKIN3c108BFloat16EjLi1ELb0EEEvNS_4cuda6detail10TensorInfoIKT_T0_EESA_SA_bSA_SA_NS7_IS8_SA_EESA_NS7_IlSA_EESA_PS8_: ; @_ZN2at6native6sbtopk10gatherTopKIN3c108BFloat16EjLi1ELb0EEEvNS_4cuda6detail10TensorInfoIKT_T0_EESA_SA_bSA_SA_NS7_IS8_SA_EESA_NS7_IlSA_EESA_PS8_
; %bb.0:
	s_clause 0x1
	s_load_b64 s[4:5], s[0:1], 0x2b8
	s_load_b128 s[24:27], s[0:1], 0xd8
	s_add_u32 s6, s0, 0x2b8
	s_addc_u32 s7, s1, 0
	s_waitcnt lgkmcnt(0)
	s_mul_i32 s2, s5, s15
	s_delay_alu instid0(SALU_CYCLE_1) | instskip(NEXT) | instid1(SALU_CYCLE_1)
	s_add_i32 s2, s2, s14
	s_mul_i32 s39, s2, s4
	s_delay_alu instid0(SALU_CYCLE_1) | instskip(NEXT) | instid1(SALU_CYCLE_1)
	s_add_i32 s39, s39, s13
	s_cmp_ge_u32 s39, s27
	s_cbranch_scc1 .LBB108_467
; %bb.1:
	s_clause 0x4
	s_load_b64 s[30:31], s[0:1], 0x1d0
	s_load_b64 s[34:35], s[0:1], 0xf0
	s_load_b32 s28, s[0:1], 0xe8
	s_load_b32 s8, s[0:1], 0x6c
	s_load_b64 s[2:3], s[0:1], 0x0
	v_cmp_eq_u32_e64 s5, 0, v0
	s_mov_b32 s37, 0
	s_delay_alu instid0(VALU_DEP_1)
	s_and_saveexec_b32 s9, s5
	s_cbranch_execz .LBB108_3
; %bb.2:
	v_dual_mov_b32 v1, 0 :: v_dual_mov_b32 v2, s24
	s_delay_alu instid0(VALU_DEP_1)
	v_mov_b32_e32 v3, v1
	ds_store_b96 v1, v[1:3] offset:4096
.LBB108_3:
	s_or_b32 exec_lo, exec_lo, s9
	s_waitcnt lgkmcnt(0)
	s_barrier
	buffer_gl0_inv
	s_load_b32 s10, s[6:7], 0xc
	s_mul_i32 s36, s8, s39
	v_mbcnt_lo_u32_b32 v15, -1, 0
	s_lshl_b64 s[8:9], s[36:37], 1
	v_cmp_gt_u32_e32 vcc_lo, 32, v0
	s_add_u32 s29, s2, s8
	s_addc_u32 s33, s3, s9
	s_bitcmp1_b32 s26, 0
	v_cmp_gt_i32_e64 s2, 4, v15
	s_cselect_b32 s3, -1, 0
	v_mul_lo_u32 v7, v0, s28
	s_xor_b32 s42, s3, -1
	s_clause 0x1
	s_load_b32 s40, s[0:1], 0x23c
	s_load_b32 s41, s[0:1], 0x15c
	s_and_b32 s43, vcc_lo, s2
	v_lshlrev_b32_e32 v24, 3, v0
	v_lshl_or_b32 v25, v15, 2, 0xc00
	v_mov_b32_e32 v26, 0x8000
	v_mov_b32_e32 v28, 0
	v_lshlrev_b32_e32 v22, 2, v7
	s_mov_b32 s65, 14
	s_waitcnt lgkmcnt(0)
	s_and_b32 s36, s10, 0xffff
	s_bfe_u32 s2, s10, 0xb0005
	s_lshl_b32 s44, s36, 2
	s_cmpk_gt_u32 s24, 0x600
	v_cvt_f32_u32_e32 v1, s44
	s_cselect_b32 s45, -1, 0
	s_cmp_gt_u32 s36, 31
	v_cvt_f32_u32_e32 v2, s36
	s_cselect_b32 s46, -1, 0
	v_rcp_iflag_f32_e32 v1, v1
	s_add_i32 s47, s36, -1
	v_lshlrev_b32_e32 v16, 2, v0
	s_add_i32 s9, s47, s24
	s_cmp_lt_u32 s13, s4
	v_rcp_iflag_f32_e32 v2, v2
	s_cselect_b32 s4, 12, 18
	v_mov_b32_e32 v9, 0
	s_add_u32 s26, s6, s4
	s_addc_u32 s27, s7, 0
	s_waitcnt_depctr 0xfff
	v_mul_f32_e32 v1, 0x4f7ffffe, v1
	s_add_i32 s4, s2, -1
	s_bfe_u32 s48, s36, 0x30005
	s_cmp_gt_u32 s4, 6
	v_mad_u64_u32 v[12:13], null, s28, v16, s[28:29]
	v_mul_f32_e32 v2, 0x4f7ffffe, v2
	v_cvt_u32_f32_e32 v1, v1
	s_cselect_b32 s49, -1, 0
	s_and_b32 s50, s2, 0x7f8
	s_cmp_lg_u32 s48, 0
	v_cvt_u32_f32_e32 v2, v2
	v_readfirstlane_b32 s2, v1
	s_cselect_b32 s51, -1, 0
	s_sub_i32 s6, 0, s44
	v_lshrrev_b32_e32 v1, 3, v0
	v_dual_mov_b32 v8, v9 :: v_dual_lshlrev_b32 v17, 1, v0
	s_mul_i32 s6, s6, s2
	v_cmp_gt_u32_e64 s4, s24, v0
	s_mul_hi_u32 s7, s2, s6
	v_dual_mov_b32 v29, 0 :: v_dual_and_b32 v18, 0x7c, v1
	s_add_i32 s52, s2, s7
	v_cmp_gt_u32_e64 s6, 2, v0
	s_mul_hi_u32 s2, s24, s52
	v_dual_mov_b32 v30, s25 :: v_dual_add_nc_u32 v19, 0xc00, v17
	s_mul_i32 s7, s2, s44
	v_cmp_eq_u32_e64 s2, 0, v15
	s_sub_i32 s7, s24, s7
	s_mul_i32 s38, s28, s36
	s_sub_i32 s8, s7, s44
	s_cmp_ge_u32 s7, s44
	s_movk_i32 s60, 0x3f80
	s_cselect_b32 s7, s8, s7
	v_readfirstlane_b32 s8, v2
	s_sub_i32 s10, s7, s44
	s_cmp_ge_u32 s7, s44
	v_lshlrev_b64 v[1:2], v15, -1
	s_cselect_b32 s10, s10, s7
	v_lshlrev_b64 v[2:3], 1, v[7:8]
	s_sub_i32 s53, s24, s10
	s_delay_alu instid0(SALU_CYCLE_1)
	v_dual_mov_b32 v27, 0 :: v_dual_add_nc_u32 v20, s53, v0
	s_sub_i32 s7, 0, s36
	v_not_b32_e32 v14, v1
	s_mul_i32 s7, s7, s8
	v_add_co_u32 v5, vcc_lo, s29, v2
	v_mul_lo_u32 v8, v20, s28
	s_mul_hi_u32 s7, s8, s7
	v_add_co_ci_u32_e32 v6, vcc_lo, s33, v3, vcc_lo
	s_add_i32 s54, s8, s7
	v_or_b32_e32 v3, 3, v16
	s_mul_hi_u32 s7, s9, s54
	s_mov_b32 s61, 0
	s_delay_alu instid0(VALU_DEP_3) | instskip(SKIP_3) | instid1(SALU_CYCLE_1)
	v_lshlrev_b64 v[1:2], 1, v[8:9]
	s_mul_i32 s7, s7, s36
	v_mul_lo_u32 v21, s28, v3
	s_sub_i32 s7, s9, s7
                                        ; implicit-def: $sgpr59
                                        ; implicit-def: $sgpr64
                                        ; implicit-def: $sgpr63
                                        ; implicit-def: $sgpr66
                                        ; implicit-def: $sgpr62
                                        ; implicit-def: $sgpr67
                                        ; implicit-def: $sgpr69
                                        ; implicit-def: $sgpr68
                                        ; implicit-def: $sgpr70
                                        ; implicit-def: $sgpr71
	s_sub_i32 s8, s7, s36
	s_delay_alu instid0(VALU_DEP_2)
	v_add_co_u32 v10, vcc_lo, s29, v1
	v_add3_u32 v1, s36, s24, v0
	s_cmp_ge_u32 s7, s36
	v_add_co_ci_u32_e32 v11, vcc_lo, s33, v2, vcc_lo
	s_cselect_b32 s8, s8, s7
	v_or_b32_e32 v2, 2, v16
	v_subrev_nc_u32_e32 v1, s10, v1
	s_sub_i32 s11, s8, s36
	s_cmp_ge_u32 s8, s36
	v_cmp_gt_u32_e64 s7, s53, v16
	s_cselect_b32 s11, s11, s8
	v_mul_lo_u32 v13, s28, v2
	v_mul_lo_u32 v23, s28, v1
	s_sub_i32 s55, s9, s11
	v_cmp_gt_u32_e64 s8, s24, v20
	v_cmp_gt_u32_e64 s9, s55, v0
	s_lshl_b32 s56, s38, 2
	s_lshl_b32 s57, s36, 3
	;; [unrolled: 1-line block ×3, first 2 shown]
	s_branch .LBB108_6
.LBB108_4:                              ;   in Loop: Header=BB108_6 Depth=1
	s_or_b32 exec_lo, exec_lo, s13
	v_dual_mov_b32 v27, v2 :: v_dual_mov_b32 v28, v1
	v_dual_mov_b32 v30, v4 :: v_dual_mov_b32 v29, v3
	s_and_not1_b32 s13, s71, exec_lo
	s_and_b32 s12, s12, exec_lo
	s_and_not1_b32 s70, s70, exec_lo
	s_or_b32 s71, s13, s12
	s_and_not1_b32 s68, s68, exec_lo
	s_and_not1_b32 s69, s69, exec_lo
	;; [unrolled: 1-line block ×3, first 2 shown]
	s_or_not1_b32 s12, s11, exec_lo
.LBB108_5:                              ;   in Loop: Header=BB108_6 Depth=1
	s_or_b32 exec_lo, exec_lo, s10
	s_delay_alu instid0(SALU_CYCLE_1) | instskip(NEXT) | instid1(SALU_CYCLE_1)
	s_and_b32 s10, exec_lo, s12
	s_or_b32 s37, s10, s37
	s_and_not1_b32 s10, s62, exec_lo
	s_and_b32 s11, s71, exec_lo
	s_and_not1_b32 s12, s66, exec_lo
	s_or_b32 s62, s10, s11
	s_and_b32 s10, s70, exec_lo
	s_and_not1_b32 s11, s63, exec_lo
	s_and_b32 s13, s68, exec_lo
	s_or_b32 s66, s12, s10
	s_or_b32 s63, s11, s13
	s_and_not1_b32 s10, s64, exec_lo
	s_and_b32 s11, s69, exec_lo
	s_and_not1_b32 s12, s59, exec_lo
	s_and_b32 s13, s67, exec_lo
	s_or_b32 s64, s10, s11
	s_or_b32 s59, s12, s13
	s_and_not1_b32 exec_lo, exec_lo, s37
	s_cbranch_execz .LBB108_403
.LBB108_6:                              ; =>This Loop Header: Depth=1
                                        ;     Child Loop BB108_11 Depth 2
                                        ;     Child Loop BB108_26 Depth 2
	;; [unrolled: 1-line block ×24, first 2 shown]
	ds_load_b64 v[1:2], v9 offset:4096
	s_waitcnt lgkmcnt(0)
	v_readfirstlane_b32 s72, v1
	s_delay_alu instid0(VALU_DEP_1)
	s_cmp_lg_u32 s72, 0
	s_cbranch_scc1 .LBB108_33
; %bb.7:                                ;   in Loop: Header=BB108_6 Depth=1
	s_and_b32 vcc_lo, exec_lo, s45
	s_cbranch_vccz .LBB108_19
; %bb.8:                                ;   in Loop: Header=BB108_6 Depth=1
	v_cmp_gt_u32_e32 vcc_lo, 0x601, v2
	s_mov_b32 s72, 0
	s_mov_b32 s10, 0
	s_cbranch_vccz .LBB108_20
; %bb.9:                                ;   in Loop: Header=BB108_6 Depth=1
	global_load_u16 v1, v9, s[26:27]
	global_load_u16 v4, v[5:6], off
	v_mov_b32_e32 v3, v0
	s_mov_b32 s12, 0
	s_waitcnt vmcnt(1)
	v_add_nc_u32_e32 v2, v0, v1
	s_delay_alu instid0(VALU_DEP_1)
	v_mul_lo_u32 v8, s28, v2
	v_mul_lo_u32 v2, s28, v1
	s_branch .LBB108_11
.LBB108_10:                             ;   in Loop: Header=BB108_11 Depth=2
	s_or_b32 exec_lo, exec_lo, s11
	v_add_nc_u32_e32 v8, v8, v2
	v_mov_b32_e32 v4, v31
	s_and_not1_b32 exec_lo, exec_lo, s12
	s_cbranch_execz .LBB108_84
.LBB108_11:                             ;   Parent Loop BB108_6 Depth=1
                                        ; =>  This Inner Loop Header: Depth=2
	s_waitcnt lgkmcnt(0)
	v_dual_mov_b32 v32, 0 :: v_dual_add_nc_u32 v3, v3, v1
	v_mov_b32_e32 v31, 0
	s_mov_b32 s11, exec_lo
	s_delay_alu instid0(VALU_DEP_2)
	v_cmp_le_u32_e32 vcc_lo, s24, v3
	v_cmpx_gt_u32_e64 s24, v3
	s_cbranch_execz .LBB108_13
; %bb.12:                               ;   in Loop: Header=BB108_11 Depth=2
	v_lshlrev_b64 v[33:34], 1, v[8:9]
	s_delay_alu instid0(VALU_DEP_1) | instskip(NEXT) | instid1(VALU_DEP_1)
	v_add_co_u32 v33, s10, s29, v33
	v_add_co_ci_u32_e64 v34, s10, s33, v34, s10
	global_load_u16 v31, v[33:34], off
.LBB108_13:                             ;   in Loop: Header=BB108_11 Depth=2
	s_or_b32 exec_lo, exec_lo, s11
	s_waitcnt vmcnt(0)
	v_cmp_lt_i16_e64 s10, -1, v4
	v_and_b32_e32 v33, 0xffff, v4
	v_lshlrev_b32_e32 v35, 16, v4
	s_delay_alu instid0(VALU_DEP_3) | instskip(NEXT) | instid1(VALU_DEP_2)
	v_cndmask_b32_e64 v34, 0xffff, v26, s10
	v_cmp_o_f32_e64 s10, v35, v35
	s_delay_alu instid0(VALU_DEP_2) | instskip(NEXT) | instid1(VALU_DEP_1)
	v_xor_b32_e32 v33, v34, v33
	v_cndmask_b32_e64 v33, 0xffff, v33, s10
	s_delay_alu instid0(VALU_DEP_1) | instskip(NEXT) | instid1(VALU_DEP_1)
	v_and_b32_e32 v33, v33, v27
	v_cmp_eq_u32_e64 s10, v33, v28
	s_delay_alu instid0(VALU_DEP_1) | instskip(SKIP_1) | instid1(SALU_CYCLE_1)
	s_cmp_lg_u32 s10, 0
	s_cselect_b32 s11, -1, 0
	s_and_b32 s11, s2, s11
	s_delay_alu instid0(SALU_CYCLE_1)
	s_and_saveexec_b32 s13, s11
	s_cbranch_execz .LBB108_17
; %bb.14:                               ;   in Loop: Header=BB108_11 Depth=2
	s_mov_b32 s16, exec_lo
	s_bcnt1_i32_b32 s14, s10
	v_mbcnt_lo_u32_b32 v32, s16, 0
	s_mov_b32 s15, exec_lo
                                        ; implicit-def: $vgpr33
	s_delay_alu instid0(VALU_DEP_1)
	v_cmpx_eq_u32_e32 0, v32
	s_cbranch_execz .LBB108_16
; %bb.15:                               ;   in Loop: Header=BB108_11 Depth=2
	s_bcnt1_i32_b32 s11, s16
	s_delay_alu instid0(SALU_CYCLE_1) | instskip(NEXT) | instid1(SALU_CYCLE_1)
	s_mul_i32 s11, s14, s11
	v_mov_b32_e32 v33, s11
	ds_add_rtn_u32 v33, v9, v33 offset:4104
.LBB108_16:                             ;   in Loop: Header=BB108_11 Depth=2
	s_or_b32 exec_lo, exec_lo, s15
	s_waitcnt lgkmcnt(0)
	v_readfirstlane_b32 s11, v33
	s_delay_alu instid0(VALU_DEP_1)
	v_mad_u32_u24 v32, s14, v32, s11
.LBB108_17:                             ;   in Loop: Header=BB108_11 Depth=2
	s_or_b32 exec_lo, exec_lo, s13
	ds_bpermute_b32 v32, v9, v32
	s_and_b32 s11, exec_lo, vcc_lo
	s_delay_alu instid0(SALU_CYCLE_1)
	s_or_b32 s12, s11, s12
	s_and_saveexec_b32 s11, s10
	s_cbranch_execz .LBB108_10
; %bb.18:                               ;   in Loop: Header=BB108_11 Depth=2
	v_and_b32_e32 v33, s10, v14
	s_delay_alu instid0(VALU_DEP_1) | instskip(NEXT) | instid1(VALU_DEP_1)
	v_bcnt_u32_b32 v33, v33, 0
	v_lshlrev_b32_e32 v33, 1, v33
	s_waitcnt lgkmcnt(0)
	s_delay_alu instid0(VALU_DEP_1)
	v_lshl_add_u32 v32, v32, 1, v33
	ds_store_b16 v32, v4
	s_branch .LBB108_10
.LBB108_19:                             ;   in Loop: Header=BB108_6 Depth=1
	s_mov_b32 s72, -1
	s_mov_b32 s10, 0
.LBB108_20:                             ;   in Loop: Header=BB108_6 Depth=1
	s_and_b32 vcc_lo, exec_lo, s72
	s_cbranch_vccz .LBB108_31
.LBB108_21:                             ;   in Loop: Header=BB108_6 Depth=1
	v_mov_b32_e32 v1, 0
	s_and_saveexec_b32 s10, s4
	s_cbranch_execz .LBB108_23
; %bb.22:                               ;   in Loop: Header=BB108_6 Depth=1
	global_load_u16 v1, v[5:6], off
.LBB108_23:                             ;   in Loop: Header=BB108_6 Depth=1
	s_or_b32 exec_lo, exec_lo, s10
	s_and_saveexec_b32 s11, s4
	s_cbranch_execz .LBB108_28
; %bb.24:                               ;   in Loop: Header=BB108_6 Depth=1
	global_load_u16 v2, v9, s[26:27]
	v_mov_b32_e32 v32, v0
	s_mov_b32 s12, 0
	v_mov_b32_e32 v31, v17
	s_waitcnt vmcnt(0)
	v_add_nc_u32_e32 v3, v0, v2
	v_lshlrev_b32_e32 v4, 1, v2
	s_delay_alu instid0(VALU_DEP_2)
	v_mul_lo_u32 v8, s28, v3
	v_mul_lo_u32 v3, s28, v2
	s_set_inst_prefetch_distance 0x1
	s_branch .LBB108_26
	.p2align	6
.LBB108_25:                             ;   in Loop: Header=BB108_26 Depth=2
	s_or_b32 exec_lo, exec_lo, s13
	ds_store_b16 v31, v1
	v_add_nc_u32_e32 v31, v31, v4
	s_waitcnt vmcnt(0)
	v_dual_mov_b32 v1, v33 :: v_dual_add_nc_u32 v8, v8, v3
	s_and_b32 s10, exec_lo, vcc_lo
	s_delay_alu instid0(SALU_CYCLE_1) | instskip(NEXT) | instid1(SALU_CYCLE_1)
	s_or_b32 s12, s10, s12
	s_and_not1_b32 exec_lo, exec_lo, s12
	s_cbranch_execz .LBB108_28
.LBB108_26:                             ;   Parent Loop BB108_6 Depth=1
                                        ; =>  This Inner Loop Header: Depth=2
	v_dual_mov_b32 v33, 0 :: v_dual_add_nc_u32 v32, v32, v2
	s_mov_b32 s13, exec_lo
	s_delay_alu instid0(VALU_DEP_1)
	v_cmp_le_u32_e32 vcc_lo, s24, v32
	v_cmpx_gt_u32_e64 s24, v32
	s_cbranch_execz .LBB108_25
; %bb.27:                               ;   in Loop: Header=BB108_26 Depth=2
	v_lshlrev_b64 v[33:34], 1, v[8:9]
	s_delay_alu instid0(VALU_DEP_1) | instskip(NEXT) | instid1(VALU_DEP_1)
	v_add_co_u32 v33, s10, s29, v33
	v_add_co_ci_u32_e64 v34, s10, s33, v34, s10
	global_load_u16 v33, v[33:34], off
	s_branch .LBB108_25
.LBB108_28:                             ;   in Loop: Header=BB108_6 Depth=1
	s_set_inst_prefetch_distance 0x2
	s_or_b32 exec_lo, exec_lo, s11
	s_waitcnt vmcnt(0) lgkmcnt(0)
	s_barrier
	buffer_gl0_inv
	s_and_saveexec_b32 s10, s5
	s_cbranch_execz .LBB108_30
; %bb.29:                               ;   in Loop: Header=BB108_6 Depth=1
	v_mov_b32_e32 v1, s24
	ds_store_b32 v9, v1 offset:4096
.LBB108_30:                             ;   in Loop: Header=BB108_6 Depth=1
	s_or_b32 exec_lo, exec_lo, s10
	s_mov_b32 s10, -1
	s_waitcnt lgkmcnt(0)
	s_barrier
                                        ; implicit-def: $sgpr72
.LBB108_31:                             ;   in Loop: Header=BB108_6 Depth=1
	s_and_b32 vcc_lo, exec_lo, s10
	s_cbranch_vccz .LBB108_33
; %bb.32:                               ;   in Loop: Header=BB108_6 Depth=1
	buffer_gl0_inv
	ds_load_b32 v1, v9 offset:4096
	s_waitcnt lgkmcnt(0)
	v_readfirstlane_b32 s72, v1
.LBB108_33:                             ;   in Loop: Header=BB108_6 Depth=1
	s_delay_alu instid0(VALU_DEP_1)
	s_cmp_lt_i32 s72, 1
	s_cbranch_scc0 .LBB108_37
; %bb.34:                               ;   in Loop: Header=BB108_6 Depth=1
	v_dual_mov_b32 v1, 0 :: v_dual_mov_b32 v2, 0
	v_dual_mov_b32 v3, 0 :: v_dual_mov_b32 v4, 0
	s_mov_b32 s22, 0
	s_and_saveexec_b32 s21, s7
	s_cbranch_execnz .LBB108_38
; %bb.35:                               ;   in Loop: Header=BB108_6 Depth=1
	s_or_b32 exec_lo, exec_lo, s21
	v_mov_b32_e32 v32, 0
	s_and_saveexec_b32 s10, s8
	s_cbranch_execnz .LBB108_41
.LBB108_36:                             ;   in Loop: Header=BB108_6 Depth=1
	s_or_b32 exec_lo, exec_lo, s10
	s_and_saveexec_b32 s14, s8
	s_cbranch_execnz .LBB108_42
	s_branch .LBB108_47
.LBB108_37:                             ;   in Loop: Header=BB108_6 Depth=1
                                        ; implicit-def: $vgpr4
	s_cbranch_execnz .LBB108_48
	s_branch .LBB108_57
.LBB108_38:                             ;   in Loop: Header=BB108_6 Depth=1
	v_mov_b32_e32 v31, v16
	s_and_b32 s23, s65, 0xfe
	s_mov_b32 s73, 0
	s_mov_b32 s74, 0
	;; [unrolled: 1-line block ×5, first 2 shown]
.LBB108_39:                             ;   Parent Loop BB108_6 Depth=1
                                        ; =>  This Inner Loop Header: Depth=2
	v_add_nc_u32_e32 v8, s73, v22
	s_delay_alu instid0(VALU_DEP_1) | instskip(SKIP_1) | instid1(VALU_DEP_1)
	v_lshlrev_b64 v[1:2], 1, v[8:9]
	v_add_nc_u32_e32 v8, s73, v12
	v_lshlrev_b64 v[3:4], 1, v[8:9]
	s_delay_alu instid0(VALU_DEP_3) | instskip(SKIP_2) | instid1(VALU_DEP_4)
	v_add_co_u32 v1, vcc_lo, s29, v1
	v_add_nc_u32_e32 v8, s73, v13
	v_add_co_ci_u32_e32 v2, vcc_lo, s33, v2, vcc_lo
	v_add_co_u32 v3, vcc_lo, s29, v3
	s_delay_alu instid0(VALU_DEP_3)
	v_lshlrev_b64 v[32:33], 1, v[8:9]
	v_add_nc_u32_e32 v8, s73, v21
	v_add_co_ci_u32_e32 v4, vcc_lo, s33, v4, vcc_lo
	global_load_u16 v34, v[1:2], off
	s_add_i32 s73, s73, s56
	v_lshlrev_b64 v[1:2], 1, v[8:9]
	global_load_u16 v8, v[3:4], off
	v_add_co_u32 v3, vcc_lo, s29, v32
	v_add_co_ci_u32_e32 v4, vcc_lo, s33, v33, vcc_lo
	v_add_co_u32 v1, vcc_lo, s29, v1
	v_add_co_ci_u32_e32 v2, vcc_lo, s33, v2, vcc_lo
	s_clause 0x1
	global_load_u16 v3, v[3:4], off
	global_load_u16 v1, v[1:2], off
	s_waitcnt vmcnt(3)
	v_cmp_lt_i16_e64 s10, -1, v34
	v_and_b32_e32 v2, 0xffff, v34
	v_lshlrev_b32_e32 v32, 16, v34
	s_waitcnt vmcnt(2)
	v_and_b32_e32 v33, 0xffff, v8
	v_cndmask_b32_e64 v4, 0xffff, v26, s10
	v_cmp_lt_i16_e64 s10, -1, v8
	s_delay_alu instid0(VALU_DEP_2) | instskip(NEXT) | instid1(VALU_DEP_2)
	v_xor_b32_e32 v2, v4, v2
	v_cndmask_b32_e64 v34, 0xffff, v26, s10
	v_cmp_o_f32_e64 s10, v32, v32
	v_lshlrev_b32_e32 v4, 16, v8
	s_waitcnt vmcnt(1)
	v_cmp_lt_i16_e64 s11, -1, v3
	v_and_b32_e32 v32, 0xffff, v3
	v_xor_b32_e32 v8, v34, v33
	v_cndmask_b32_e64 v2, 0xffff, v2, s10
	v_cmp_o_f32_e64 s10, v4, v4
	v_cndmask_b32_e64 v33, 0xffff, v26, s11
	v_lshlrev_b32_e32 v3, 16, v3
	s_delay_alu instid0(VALU_DEP_4) | instskip(NEXT) | instid1(VALU_DEP_4)
	v_and_b32_e32 v34, v2, v27
	v_cndmask_b32_e64 v4, 0xffff, v8, s10
	s_waitcnt vmcnt(0)
	v_cmp_lt_i16_e64 s10, -1, v1
	v_xor_b32_e32 v8, v33, v32
	v_bfe_u32 v2, v2, s23, 2
	v_and_b32_e32 v32, 0xffff, v1
	v_lshlrev_b32_e32 v1, 16, v1
	v_cndmask_b32_e64 v33, 0xffff, v26, s10
	v_cmp_o_f32_e64 s10, v3, v3
	v_cmp_eq_u32_e64 s11, 0, v2
	v_cmp_eq_u32_e64 s12, 1, v2
	v_cmp_o_f32_e64 s15, v1, v1
	v_cmp_eq_u32_e64 s13, 2, v2
	v_cndmask_b32_e64 v3, 0xffff, v8, s10
	v_cmp_eq_u32_e64 s10, v34, v28
	v_xor_b32_e32 v8, v33, v32
	v_and_b32_e32 v32, v4, v27
	v_bfe_u32 v4, v4, s23, 2
	v_cmp_eq_u32_e64 s14, 3, v2
	v_and_b32_e32 v2, v3, v27
	v_bfe_u32 v3, v3, s23, 2
	s_and_b32 s11, s10, s11
	v_cndmask_b32_e64 v1, 0xffff, v8, s15
	v_cmp_eq_u32_e64 s15, v32, v28
	v_cmp_eq_u32_e64 s16, 0, v4
	v_cndmask_b32_e64 v8, 0, 1, s11
	v_cmp_eq_u32_e64 s11, 1, v4
	s_and_b32 s12, s10, s12
	s_and_b32 s13, s10, s13
	;; [unrolled: 1-line block ×3, first 2 shown]
	v_cndmask_b32_e64 v32, 0, 1, s12
	v_cmp_eq_u32_e64 s12, 2, v4
	v_cndmask_b32_e64 v33, 0, 1, s13
	v_cmp_eq_u32_e64 s13, 3, v4
	;; [unrolled: 2-line block ×3, first 2 shown]
	v_cmp_eq_u32_e64 s14, 0, v3
	v_and_b32_e32 v2, v1, v27
	v_bfe_u32 v1, v1, s23, 2
	s_and_b32 s16, s15, s16
	s_and_b32 s11, s15, s11
	v_cmp_ne_u32_e64 s17, 0, v8
	v_cndmask_b32_e64 v8, 0, 1, s16
	v_cmp_eq_u32_e64 s16, 1, v3
	v_cmp_ne_u32_e64 s18, 0, v32
	v_cndmask_b32_e64 v32, 0, 1, s11
	v_cmp_eq_u32_e64 s11, 2, v3
	s_and_b32 s12, s15, s12
	s_and_b32 s13, s15, s13
	;; [unrolled: 1-line block ×3, first 2 shown]
	v_cmp_ne_u32_e64 s19, 0, v33
	v_cndmask_b32_e64 v33, 0, 1, s12
	v_cmp_eq_u32_e64 s12, 3, v3
	v_cndmask_b32_e64 v3, 0, 1, s13
	v_cmp_eq_u32_e64 s13, v2, v28
	;; [unrolled: 2-line block ×3, first 2 shown]
	v_cmp_ne_u32_e64 s20, 0, v4
	v_cmp_eq_u32_e64 s15, 0, v1
	s_and_b32 s16, s10, s16
	s_and_b32 s11, s10, s11
	s_bcnt1_i32_b32 s78, s17
	v_cmp_ne_u32_e64 s17, 0, v8
	v_cndmask_b32_e64 v4, 0, 1, s16
	v_cmp_eq_u32_e64 s16, 2, v1
	v_cndmask_b32_e64 v8, 0, 1, s11
	v_cmp_eq_u32_e64 s11, 3, v1
	s_and_b32 s10, s10, s12
	s_and_b32 s14, s13, s14
	s_bcnt1_i32_b32 s81, s20
	v_cmp_ne_u32_e64 s20, 0, v3
	v_cndmask_b32_e64 v1, 0, 1, s10
	v_cndmask_b32_e64 v3, 0, 1, s14
	s_bcnt1_i32_b32 s79, s18
	v_cmp_ne_u32_e64 s18, 0, v32
	s_and_b32 s12, s13, s15
	v_cmp_ne_u32_e64 s10, 0, v2
	v_cndmask_b32_e64 v2, 0, 1, s12
	v_cmp_ne_u32_e64 s12, 0, v4
	s_and_b32 s15, s13, s16
	s_and_b32 s11, s13, s11
	v_cndmask_b32_e64 v4, 0, 1, s15
	v_cmp_ne_u32_e64 s15, 0, v1
	v_cndmask_b32_e64 v1, 0, 1, s11
	v_cmp_ne_u32_e64 s11, 0, v3
	s_bcnt1_i32_b32 s80, s19
	v_cmp_ne_u32_e64 s19, 0, v33
	s_add_i32 s76, s79, s76
	s_add_i32 s74, s81, s74
	s_bcnt1_i32_b32 s18, s18
	s_bcnt1_i32_b32 s16, s20
	v_cmp_ne_u32_e64 s14, 0, v8
	s_add_i32 s18, s76, s18
	s_add_i32 s16, s74, s16
	s_bcnt1_i32_b32 s74, s12
	s_bcnt1_i32_b32 s20, s10
	v_cmp_ne_u32_e64 s10, 0, v2
	v_cmp_ne_u32_e64 s12, 0, v4
	;; [unrolled: 1-line block ×3, first 2 shown]
	s_add_i32 s18, s18, s74
	s_bcnt1_i32_b32 s11, s11
	s_add_i32 s77, s78, s77
	s_add_i32 s75, s80, s75
	s_bcnt1_i32_b32 s17, s17
	s_bcnt1_i32_b32 s19, s19
	s_add_i32 s76, s18, s11
	s_delay_alu instid0(SALU_CYCLE_1)
	v_dual_mov_b32 v2, s76 :: v_dual_add_nc_u32 v31, s44, v31
	s_add_i32 s17, s77, s17
	s_add_i32 s19, s75, s19
	s_bcnt1_i32_b32 s14, s14
	s_bcnt1_i32_b32 s15, s15
	s_add_i32 s17, s17, s20
	s_add_i32 s14, s19, s14
	;; [unrolled: 1-line block ×3, first 2 shown]
	s_bcnt1_i32_b32 s10, s10
	s_bcnt1_i32_b32 s12, s12
	;; [unrolled: 1-line block ×3, first 2 shown]
	v_cmp_le_u32_e32 vcc_lo, s53, v31
	s_add_i32 s77, s17, s10
	s_add_i32 s75, s14, s12
	;; [unrolled: 1-line block ×3, first 2 shown]
	v_mov_b32_e32 v1, s77
	v_dual_mov_b32 v3, s75 :: v_dual_mov_b32 v4, s74
	s_or_b32 s22, vcc_lo, s22
	s_delay_alu instid0(SALU_CYCLE_1)
	s_and_not1_b32 exec_lo, exec_lo, s22
	s_cbranch_execnz .LBB108_39
; %bb.40:                               ;   in Loop: Header=BB108_6 Depth=1
	s_or_b32 exec_lo, exec_lo, s22
	s_delay_alu instid0(SALU_CYCLE_1)
	s_or_b32 exec_lo, exec_lo, s21
	v_mov_b32_e32 v32, 0
	s_and_saveexec_b32 s10, s8
	s_cbranch_execz .LBB108_36
.LBB108_41:                             ;   in Loop: Header=BB108_6 Depth=1
	global_load_u16 v32, v[10:11], off
	s_or_b32 exec_lo, exec_lo, s10
	s_and_saveexec_b32 s14, s8
	s_cbranch_execz .LBB108_47
.LBB108_42:                             ;   in Loop: Header=BB108_6 Depth=1
	v_dual_mov_b32 v8, v23 :: v_dual_mov_b32 v31, v20
	s_and_b32 s16, s65, 0xfe
	s_mov_b32 s15, 0
	s_branch .LBB108_44
.LBB108_43:                             ;   in Loop: Header=BB108_44 Depth=2
	s_or_b32 exec_lo, exec_lo, s11
	s_waitcnt vmcnt(0)
	v_cmp_lt_i16_e64 s10, -1, v32
	v_and_b32_e32 v34, 0xffff, v32
	v_lshlrev_b32_e32 v32, 16, v32
	s_and_b32 s11, exec_lo, vcc_lo
	v_add_nc_u32_e32 v8, s38, v8
	v_cndmask_b32_e64 v35, 0xffff, v26, s10
	s_or_b32 s15, s11, s15
	v_cmp_o_f32_e64 s10, v32, v32
	s_delay_alu instid0(VALU_DEP_2) | instskip(NEXT) | instid1(VALU_DEP_1)
	v_xor_b32_e32 v34, v35, v34
	v_cndmask_b32_e64 v32, 0xffff, v34, s10
	s_delay_alu instid0(VALU_DEP_1) | instskip(SKIP_1) | instid1(VALU_DEP_2)
	v_and_b32_e32 v34, v32, v27
	v_bfe_u32 v32, v32, s16, 2
	v_cmp_eq_u32_e32 vcc_lo, v34, v28
	s_delay_alu instid0(VALU_DEP_2) | instskip(SKIP_3) | instid1(VALU_DEP_4)
	v_cmp_eq_u32_e64 s10, 0, v32
	v_cmp_eq_u32_e64 s11, 1, v32
	v_cmp_eq_u32_e64 s12, 2, v32
	v_cmp_eq_u32_e64 s13, 3, v32
	s_and_b32 s10, vcc_lo, s10
	s_delay_alu instid0(SALU_CYCLE_1) | instskip(SKIP_1) | instid1(SALU_CYCLE_1)
	v_cndmask_b32_e64 v32, 0, 1, s10
	s_and_b32 s10, vcc_lo, s11
	v_cndmask_b32_e64 v34, 0, 1, s10
	s_and_b32 s10, vcc_lo, s12
	s_delay_alu instid0(SALU_CYCLE_1)
	v_cndmask_b32_e64 v35, 0, 1, s10
	s_and_b32 s10, vcc_lo, s13
	v_cmp_ne_u32_e32 vcc_lo, 0, v32
	v_cndmask_b32_e64 v36, 0, 1, s10
	v_cmp_ne_u32_e64 s10, 0, v34
	v_cmp_ne_u32_e64 s11, 0, v35
	v_mov_b32_e32 v32, v33
	s_bcnt1_i32_b32 s13, vcc_lo
	v_cmp_ne_u32_e64 s12, 0, v36
	s_bcnt1_i32_b32 s10, s10
	s_bcnt1_i32_b32 s11, s11
	v_add_nc_u32_e32 v1, s13, v1
	v_add_nc_u32_e32 v2, s10, v2
	s_bcnt1_i32_b32 s12, s12
	v_add_nc_u32_e32 v3, s11, v3
	v_add_nc_u32_e32 v4, s12, v4
	s_and_not1_b32 exec_lo, exec_lo, s15
	s_cbranch_execz .LBB108_46
.LBB108_44:                             ;   Parent Loop BB108_6 Depth=1
                                        ; =>  This Inner Loop Header: Depth=2
	s_delay_alu instid0(VALU_DEP_1) | instskip(SKIP_2) | instid1(VALU_DEP_2)
	v_add_nc_u32_e32 v31, s36, v31
	v_mov_b32_e32 v33, 0
	s_mov_b32 s11, exec_lo
	v_cmp_le_u32_e32 vcc_lo, s24, v31
	v_cmpx_gt_u32_e64 s24, v31
	s_cbranch_execz .LBB108_43
; %bb.45:                               ;   in Loop: Header=BB108_44 Depth=2
	v_lshlrev_b64 v[33:34], 1, v[8:9]
	s_delay_alu instid0(VALU_DEP_1) | instskip(NEXT) | instid1(VALU_DEP_1)
	v_add_co_u32 v33, s10, s29, v33
	v_add_co_ci_u32_e64 v34, s10, s33, v34, s10
	global_load_u16 v33, v[33:34], off
	s_branch .LBB108_43
.LBB108_46:                             ;   in Loop: Header=BB108_6 Depth=1
	s_or_b32 exec_lo, exec_lo, s15
.LBB108_47:                             ;   in Loop: Header=BB108_6 Depth=1
	s_delay_alu instid0(SALU_CYCLE_1)
	s_or_b32 exec_lo, exec_lo, s14
	s_branch .LBB108_57
.LBB108_48:                             ;   in Loop: Header=BB108_6 Depth=1
	s_mul_hi_u32 s10, s72, s52
	v_dual_mov_b32 v1, 0 :: v_dual_mov_b32 v2, 0
	s_mul_i32 s10, s10, s44
	v_dual_mov_b32 v3, 0 :: v_dual_mov_b32 v4, 0
	s_sub_i32 s10, s72, s10
	s_mov_b32 s75, 0
	s_sub_i32 s11, s10, s44
	s_cmp_ge_u32 s10, s44
	s_mov_b32 s74, exec_lo
	s_cselect_b32 s10, s11, s10
	s_delay_alu instid0(SALU_CYCLE_1) | instskip(SKIP_2) | instid1(SALU_CYCLE_1)
	s_sub_i32 s11, s10, s44
	s_cmp_ge_u32 s10, s44
	s_cselect_b32 s10, s11, s10
	s_sub_i32 s73, s72, s10
	s_delay_alu instid0(SALU_CYCLE_1)
	v_cmpx_gt_u32_e64 s73, v16
	s_cbranch_execz .LBB108_52
; %bb.49:                               ;   in Loop: Header=BB108_6 Depth=1
	v_mov_b32_e32 v8, v24
	v_mov_b32_e32 v31, v16
	s_and_b32 s76, s65, 0xfe
	s_mov_b32 s77, 0
	s_mov_b32 s78, 0
	;; [unrolled: 1-line block ×4, first 2 shown]
.LBB108_50:                             ;   Parent Loop BB108_6 Depth=1
                                        ; =>  This Inner Loop Header: Depth=2
	ds_load_b64 v[1:2], v8
	s_waitcnt lgkmcnt(0)
	v_cmp_lt_i16_e64 s10, -1, v1
	v_lshrrev_b32_e32 v4, 16, v2
	v_lshrrev_b32_e32 v3, 16, v1
	s_waitcnt vmcnt(0)
	v_and_b32_e32 v32, 0xffff, v1
	v_lshlrev_b32_e32 v34, 16, v1
	v_cndmask_b32_e64 v33, 0xffff, v26, s10
	v_cmp_lt_i16_e64 s10, -1, v2
	v_and_b32_e32 v35, 0xffff, v2
	v_cmp_lt_i16_e64 s11, -1, v4
	v_lshlrev_b32_e32 v37, 16, v2
	v_xor_b32_e32 v32, v33, v32
	v_cndmask_b32_e64 v36, 0xffff, v26, s10
	v_cmp_lt_i16_e64 s10, -1, v3
	v_and_b32_e32 v1, 0xffff0000, v1
	v_and_b32_e32 v2, 0xffff0000, v2
	s_delay_alu instid0(VALU_DEP_4) | instskip(SKIP_4) | instid1(VALU_DEP_4)
	v_xor_b32_e32 v35, v36, v35
	v_cndmask_b32_e64 v36, 0xffff, v26, s11
	v_cmp_o_f32_e64 s11, v34, v34
	v_cndmask_b32_e64 v33, 0xffff, v26, s10
	v_cmp_o_f32_e64 s10, v37, v37
	v_xor_b32_e32 v4, v36, v4
	s_delay_alu instid0(VALU_DEP_4) | instskip(NEXT) | instid1(VALU_DEP_4)
	v_cndmask_b32_e64 v32, 0xffff, v32, s11
	v_xor_b32_e32 v3, v33, v3
	s_delay_alu instid0(VALU_DEP_4) | instskip(SKIP_4) | instid1(VALU_DEP_3)
	v_cndmask_b32_e64 v33, 0xffff, v35, s10
	v_cmp_o_f32_e64 s10, v2, v2
	v_cmp_o_f32_e64 s11, v1, v1
	v_and_b32_e32 v2, v32, v27
	v_bfe_u32 v32, v32, s76, 2
	v_cndmask_b32_e64 v1, 0xffff, v3, s11
	v_cndmask_b32_e64 v3, 0xffff, v4, s10
	v_and_b32_e32 v4, v33, v27
	v_bfe_u32 v33, v33, s76, 2
	v_cmp_eq_u32_e64 s10, v2, v28
	v_cmp_eq_u32_e64 s12, 0, v32
	v_and_b32_e32 v2, v1, v27
	v_cmp_eq_u32_e64 s11, v4, v28
	v_cmp_eq_u32_e64 s13, 0, v33
	v_and_b32_e32 v4, v3, v27
	v_bfe_u32 v1, v1, s76, 2
	v_bfe_u32 v3, v3, s76, 2
	v_cmp_eq_u32_e64 s14, 1, v32
	v_cmp_eq_u32_e64 s16, 2, v32
	s_and_b32 s12, s10, s12
	v_cmp_eq_u32_e64 s15, 1, v33
	v_cmp_eq_u32_e64 s17, 2, v33
	;; [unrolled: 1-line block ×4, first 2 shown]
	v_cndmask_b32_e64 v2, 0, 1, s12
	s_and_b32 s12, s11, s13
	v_cmp_eq_u32_e64 s19, 3, v33
	v_cmp_eq_u32_e64 s21, v4, v28
	;; [unrolled: 1-line block ×4, first 2 shown]
	v_cndmask_b32_e64 v4, 0, 1, s12
	v_cmp_eq_u32_e64 s12, 1, v1
	s_and_b32 s14, s10, s14
	s_and_b32 s16, s10, s16
	v_cndmask_b32_e64 v32, 0, 1, s14
	s_and_b32 s14, s11, s15
	v_cndmask_b32_e64 v34, 0, 1, s16
	s_and_b32 s16, s11, s17
	s_and_b32 s10, s10, s18
	v_cmp_eq_u32_e64 s13, 1, v3
	v_cndmask_b32_e64 v33, 0, 1, s14
	v_cmp_eq_u32_e64 s14, 2, v1
	v_cmp_eq_u32_e64 s15, 2, v3
	v_cndmask_b32_e64 v35, 0, 1, s16
	v_cmp_eq_u32_e64 s16, 3, v1
	v_cmp_eq_u32_e64 s17, 3, v3
	v_cndmask_b32_e64 v1, 0, 1, s10
	s_and_b32 s10, s11, s19
	s_and_b32 s11, s20, s22
	;; [unrolled: 1-line block ×4, first 2 shown]
	v_cndmask_b32_e64 v3, 0, 1, s10
	v_cmp_ne_u32_e64 s10, 0, v2
	v_cndmask_b32_e64 v2, 0, 1, s11
	v_cmp_ne_u32_e64 s11, 0, v4
	v_cndmask_b32_e64 v4, 0, 1, s18
	v_cmp_ne_u32_e64 s18, 0, v32
	v_cndmask_b32_e64 v32, 0, 1, s12
	s_and_b32 s13, s21, s13
	s_and_b32 s14, s20, s14
	;; [unrolled: 1-line block ×5, first 2 shown]
	v_cmp_ne_u32_e64 s12, 0, v33
	v_cndmask_b32_e64 v33, 0, 1, s13
	v_cmp_ne_u32_e64 s13, 0, v34
	v_cndmask_b32_e64 v34, 0, 1, s14
	v_cmp_ne_u32_e64 s14, 0, v35
	v_cndmask_b32_e64 v35, 0, 1, s15
	v_cmp_ne_u32_e64 s15, 0, v1
	v_cndmask_b32_e64 v1, 0, 1, s16
	v_cmp_ne_u32_e64 s16, 0, v3
	v_cndmask_b32_e64 v3, 0, 1, s17
	v_cmp_ne_u32_e64 s17, 0, v32
	s_bcnt1_i32_b32 s18, s18
	s_bcnt1_i32_b32 s21, s12
	v_cmp_ne_u32_e64 s12, 0, v33
	s_bcnt1_i32_b32 s19, s10
	v_cmp_ne_u32_e64 s10, 0, v2
	;; [unrolled: 2-line block ×4, first 2 shown]
	s_add_i32 s18, s18, s79
	s_bcnt1_i32_b32 s17, s17
	s_bcnt1_i32_b32 s20, s11
	s_add_i32 s17, s18, s17
	v_cmp_ne_u32_e64 s11, 0, v4
	s_bcnt1_i32_b32 s23, s14
	v_cmp_ne_u32_e64 s14, 0, v35
	s_bcnt1_i32_b32 s82, s16
	;; [unrolled: 2-line block ×3, first 2 shown]
	s_add_i32 s17, s17, s21
	s_add_i32 s19, s19, s80
	;; [unrolled: 1-line block ×4, first 2 shown]
	s_bcnt1_i32_b32 s10, s10
	s_bcnt1_i32_b32 s13, s13
	;; [unrolled: 1-line block ×3, first 2 shown]
	s_add_i32 s79, s17, s12
	s_delay_alu instid0(SALU_CYCLE_1)
	v_dual_mov_b32 v2, s79 :: v_dual_add_nc_u32 v31, s44, v31
	s_add_i32 s10, s19, s10
	s_add_i32 s13, s22, s13
	;; [unrolled: 1-line block ×3, first 2 shown]
	s_bcnt1_i32_b32 s11, s11
	s_bcnt1_i32_b32 s14, s14
	;; [unrolled: 1-line block ×3, first 2 shown]
	s_add_i32 s10, s10, s20
	s_add_i32 s13, s13, s23
	;; [unrolled: 1-line block ×3, first 2 shown]
	v_cmp_le_u32_e32 vcc_lo, s73, v31
	s_add_i32 s80, s10, s11
	s_add_i32 s78, s13, s14
	;; [unrolled: 1-line block ×3, first 2 shown]
	v_dual_mov_b32 v1, s80 :: v_dual_add_nc_u32 v8, s57, v8
	v_dual_mov_b32 v3, s78 :: v_dual_mov_b32 v4, s77
	s_or_b32 s75, vcc_lo, s75
	s_delay_alu instid0(SALU_CYCLE_1)
	s_and_not1_b32 exec_lo, exec_lo, s75
	s_cbranch_execnz .LBB108_50
; %bb.51:                               ;   in Loop: Header=BB108_6 Depth=1
	s_or_b32 exec_lo, exec_lo, s75
.LBB108_52:                             ;   in Loop: Header=BB108_6 Depth=1
	s_delay_alu instid0(SALU_CYCLE_1) | instskip(SKIP_2) | instid1(VALU_DEP_1)
	s_or_b32 exec_lo, exec_lo, s74
	v_add_nc_u32_e32 v8, s73, v0
	s_mov_b32 s15, exec_lo
	v_cmpx_gt_u32_e64 s72, v8
	s_cbranch_execz .LBB108_56
; %bb.53:                               ;   in Loop: Header=BB108_6 Depth=1
	v_lshlrev_b32_e32 v31, 1, v8
	s_and_b32 s17, s65, 0xfe
	s_mov_b32 s16, 0
.LBB108_54:                             ;   Parent Loop BB108_6 Depth=1
                                        ; =>  This Inner Loop Header: Depth=2
	s_waitcnt vmcnt(0)
	ds_load_u16 v32, v31
	v_add_nc_u32_e32 v8, s36, v8
	v_add_nc_u32_e32 v31, s58, v31
	s_delay_alu instid0(VALU_DEP_2) | instskip(SKIP_4) | instid1(VALU_DEP_3)
	v_cmp_le_u32_e32 vcc_lo, s72, v8
	s_waitcnt lgkmcnt(0)
	v_cmp_lt_i16_e64 s10, -1, v32
	v_and_b32_e32 v33, 0xffff, v32
	v_lshlrev_b32_e32 v32, 16, v32
	v_cndmask_b32_e64 v34, 0xffff, v26, s10
	s_delay_alu instid0(VALU_DEP_2) | instskip(NEXT) | instid1(VALU_DEP_2)
	v_cmp_o_f32_e64 s10, v32, v32
	v_xor_b32_e32 v33, v34, v33
	s_delay_alu instid0(VALU_DEP_1) | instskip(NEXT) | instid1(VALU_DEP_1)
	v_cndmask_b32_e64 v32, 0xffff, v33, s10
	v_and_b32_e32 v33, v32, v27
	v_bfe_u32 v32, v32, s17, 2
	s_delay_alu instid0(VALU_DEP_2) | instskip(NEXT) | instid1(VALU_DEP_2)
	v_cmp_eq_u32_e64 s10, v33, v28
	v_cmp_eq_u32_e64 s11, 0, v32
	;; [unrolled: 1-line block ×5, first 2 shown]
	s_delay_alu instid0(VALU_DEP_4) | instskip(NEXT) | instid1(SALU_CYCLE_1)
	s_and_b32 s11, s10, s11
	v_cndmask_b32_e64 v32, 0, 1, s11
	s_and_b32 s11, s10, s12
	s_delay_alu instid0(SALU_CYCLE_1)
	v_cndmask_b32_e64 v33, 0, 1, s11
	s_and_b32 s11, s10, s13
	s_and_b32 s10, s10, s14
	v_cndmask_b32_e64 v34, 0, 1, s11
	v_cndmask_b32_e64 v35, 0, 1, s10
	v_cmp_ne_u32_e64 s10, 0, v32
	v_cmp_ne_u32_e64 s11, 0, v33
	s_delay_alu instid0(VALU_DEP_4) | instskip(NEXT) | instid1(VALU_DEP_4)
	v_cmp_ne_u32_e64 s12, 0, v34
	v_cmp_ne_u32_e64 s13, 0, v35
	s_delay_alu instid0(VALU_DEP_4) | instskip(NEXT) | instid1(VALU_DEP_3)
	s_bcnt1_i32_b32 s10, s10
	s_bcnt1_i32_b32 s11, s11
	v_add_nc_u32_e32 v1, s10, v1
	s_bcnt1_i32_b32 s12, s12
	s_bcnt1_i32_b32 s13, s13
	v_add_nc_u32_e32 v2, s11, v2
	v_add_nc_u32_e32 v3, s12, v3
	;; [unrolled: 1-line block ×3, first 2 shown]
	s_or_b32 s16, vcc_lo, s16
	s_delay_alu instid0(SALU_CYCLE_1)
	s_and_not1_b32 exec_lo, exec_lo, s16
	s_cbranch_execnz .LBB108_54
; %bb.55:                               ;   in Loop: Header=BB108_6 Depth=1
	s_or_b32 exec_lo, exec_lo, s16
.LBB108_56:                             ;   in Loop: Header=BB108_6 Depth=1
	s_delay_alu instid0(SALU_CYCLE_1)
	s_or_b32 exec_lo, exec_lo, s15
.LBB108_57:                             ;   in Loop: Header=BB108_6 Depth=1
	s_lshl_b32 s10, s61, 7
	s_and_saveexec_b32 s11, s2
	s_cbranch_execz .LBB108_59
; %bb.58:                               ;   in Loop: Header=BB108_6 Depth=1
	v_or_b32_e32 v8, s10, v18
	s_delay_alu instid0(VALU_DEP_1)
	v_lshlrev_b32_e32 v8, 2, v8
	ds_store_b128 v8, v[1:4] offset:3072
.LBB108_59:                             ;   in Loop: Header=BB108_6 Depth=1
	s_or_b32 exec_lo, exec_lo, s11
	s_waitcnt vmcnt(0) lgkmcnt(0)
	s_barrier
	buffer_gl0_inv
	s_and_saveexec_b32 s11, s43
	s_cbranch_execz .LBB108_69
; %bb.60:                               ;   in Loop: Header=BB108_6 Depth=1
	v_mov_b32_e32 v1, 0
	s_and_not1_b32 vcc_lo, exec_lo, s46
	s_cbranch_vccnz .LBB108_68
; %bb.61:                               ;   in Loop: Header=BB108_6 Depth=1
	v_mov_b32_e32 v1, 0
	s_and_not1_b32 vcc_lo, exec_lo, s49
	s_mov_b32 s12, 0
	s_cbranch_vccnz .LBB108_65
; %bb.62:                               ;   in Loop: Header=BB108_6 Depth=1
	v_lshl_add_u32 v2, s61, 9, v25
	v_mov_b32_e32 v1, 0
	.p2align	6
.LBB108_63:                             ;   Parent Loop BB108_6 Depth=1
                                        ; =>  This Inner Loop Header: Depth=2
	ds_load_2addr_b32 v[3:4], v2 offset1:4
	ds_load_2addr_b32 v[31:32], v2 offset0:8 offset1:12
	ds_load_2addr_b32 v[33:34], v2 offset0:16 offset1:20
	ds_load_2addr_b32 v[35:36], v2 offset0:24 offset1:28
	v_add_nc_u32_e32 v2, 0x80, v2
	s_add_i32 s12, s12, 8
	s_delay_alu instid0(SALU_CYCLE_1) | instskip(SKIP_3) | instid1(VALU_DEP_1)
	s_cmp_eq_u32 s50, s12
	s_waitcnt lgkmcnt(3)
	v_add3_u32 v1, v3, v1, v4
	s_waitcnt lgkmcnt(2)
	v_add3_u32 v1, v31, v1, v32
	s_waitcnt lgkmcnt(1)
	s_delay_alu instid0(VALU_DEP_1) | instskip(SKIP_1) | instid1(VALU_DEP_1)
	v_add3_u32 v1, v33, v1, v34
	s_waitcnt lgkmcnt(0)
	v_add3_u32 v1, v35, v1, v36
	s_cbranch_scc0 .LBB108_63
; %bb.64:                               ;   in Loop: Header=BB108_6 Depth=1
	s_mov_b32 s12, s50
.LBB108_65:                             ;   in Loop: Header=BB108_6 Depth=1
	s_and_not1_b32 vcc_lo, exec_lo, s51
	s_cbranch_vccnz .LBB108_68
; %bb.66:                               ;   in Loop: Header=BB108_6 Depth=1
	s_lshl_b32 s13, s61, 9
	s_lshl_b32 s12, s12, 4
	s_delay_alu instid0(SALU_CYCLE_1)
	v_add3_u32 v2, s13, s12, v25
	s_mov_b32 s12, s48
.LBB108_67:                             ;   Parent Loop BB108_6 Depth=1
                                        ; =>  This Inner Loop Header: Depth=2
	ds_load_b32 v3, v2
	v_add_nc_u32_e32 v2, 16, v2
	s_add_i32 s12, s12, -1
	s_delay_alu instid0(SALU_CYCLE_1)
	s_cmp_lg_u32 s12, 0
	s_waitcnt lgkmcnt(0)
	v_add_nc_u32_e32 v1, v3, v1
	s_cbranch_scc1 .LBB108_67
.LBB108_68:                             ;   in Loop: Header=BB108_6 Depth=1
	v_add_lshl_u32 v2, s10, v15, 2
	ds_store_b32 v2, v1 offset:3072
.LBB108_69:                             ;   in Loop: Header=BB108_6 Depth=1
	s_or_b32 exec_lo, exec_lo, s11
	s_lshl_b32 s10, s10, 2
	s_waitcnt lgkmcnt(0)
	v_mov_b32_e32 v1, s10
	s_barrier
	buffer_gl0_inv
	s_and_b32 s17, s65, 0xfe
	v_cmp_eq_u32_e64 s10, 1, v30
	ds_load_b128 v[1:4], v1 offset:3072
	s_lshl_b32 s13, 3, s17
	s_and_not1_b32 vcc_lo, exec_lo, s42
	s_not_b32 s14, s13
	s_waitcnt lgkmcnt(0)
	v_readfirstlane_b32 s12, v1
	v_readfirstlane_b32 s16, v2
	;; [unrolled: 1-line block ×4, first 2 shown]
	s_cbranch_vccnz .LBB108_82
; %bb.70:                               ;   in Loop: Header=BB108_6 Depth=1
	s_cmp_eq_u32 s12, 1
	v_dual_mov_b32 v1, v28 :: v_dual_mov_b32 v2, v27
	v_mov_b32_e32 v3, v29
	s_cselect_b32 s11, -1, 0
	s_mov_b32 s74, -1
	s_and_b32 s73, s11, s10
                                        ; implicit-def: $sgpr15
                                        ; implicit-def: $sgpr22
                                        ; implicit-def: $sgpr21
	s_delay_alu instid0(SALU_CYCLE_1)
	s_and_saveexec_b32 s20, s73
	s_cbranch_execz .LBB108_101
; %bb.71:                               ;   in Loop: Header=BB108_6 Depth=1
	ds_load_b32 v1, v9 offset:4096
	s_waitcnt lgkmcnt(0)
	s_barrier
	buffer_gl0_inv
	v_readfirstlane_b32 s15, v1
	s_and_saveexec_b32 s11, s6
	s_cbranch_execz .LBB108_73
; %bb.72:                               ;   in Loop: Header=BB108_6 Depth=1
	ds_store_b16 v19, v9
.LBB108_73:                             ;   in Loop: Header=BB108_6 Depth=1
	s_or_b32 exec_lo, exec_lo, s11
	v_and_b32_e32 v1, s14, v28
	v_or_b32_e32 v2, s13, v27
	s_cmp_eq_u32 s15, 0
	s_waitcnt lgkmcnt(0)
	s_barrier
	buffer_gl0_inv
	s_cbranch_scc1 .LBB108_87
; %bb.74:                               ;   in Loop: Header=BB108_6 Depth=1
	s_add_i32 s11, s15, s47
                                        ; implicit-def: $vgpr3
	s_delay_alu instid0(SALU_CYCLE_1) | instskip(NEXT) | instid1(SALU_CYCLE_1)
	s_mul_hi_u32 s21, s11, s54
	s_mul_i32 s21, s21, s36
	s_delay_alu instid0(SALU_CYCLE_1) | instskip(NEXT) | instid1(SALU_CYCLE_1)
	s_sub_i32 s21, s11, s21
	s_sub_i32 s22, s21, s36
	s_cmp_ge_u32 s21, s36
	s_cselect_b32 s21, s22, s21
	s_delay_alu instid0(SALU_CYCLE_1) | instskip(SKIP_2) | instid1(SALU_CYCLE_1)
	s_sub_i32 s22, s21, s36
	s_cmp_ge_u32 s21, s36
	s_cselect_b32 s21, s22, s21
	s_sub_i32 s22, s11, s21
	s_mov_b32 s11, 0
	s_mov_b32 s21, exec_lo
	v_cmpx_gt_u32_e64 s22, v0
	s_cbranch_execz .LBB108_89
; %bb.75:                               ;   in Loop: Header=BB108_6 Depth=1
	v_dual_mov_b32 v3, v17 :: v_dual_mov_b32 v4, v0
	s_mov_b32 s23, 0
                                        ; implicit-def: $sgpr72
	s_branch .LBB108_77
.LBB108_76:                             ;   in Loop: Header=BB108_77 Depth=2
	s_or_b32 exec_lo, exec_lo, s11
	s_waitcnt lgkmcnt(0)
	s_barrier
	buffer_gl0_inv
	ds_load_b32 v8, v9 offset:3072
	v_add_nc_u32_e32 v4, s36, v4
	v_add_nc_u32_e32 v3, s58, v3
	s_waitcnt lgkmcnt(0)
	s_barrier
	buffer_gl0_inv
	v_cmp_le_u32_e32 vcc_lo, s22, v4
	v_and_b32_e32 v31, 0x7fff, v8
	s_delay_alu instid0(VALU_DEP_1) | instskip(NEXT) | instid1(VALU_DEP_1)
	v_cmp_ne_u16_e64 s11, 0, v31
	s_or_b32 s74, vcc_lo, s11
	s_delay_alu instid0(SALU_CYCLE_1) | instskip(NEXT) | instid1(SALU_CYCLE_1)
	s_and_b32 s74, exec_lo, s74
	s_or_b32 s23, s74, s23
	s_and_not1_b32 s72, s72, exec_lo
	s_and_b32 s11, s11, exec_lo
	s_delay_alu instid0(SALU_CYCLE_1)
	s_or_b32 s72, s72, s11
	s_and_not1_b32 exec_lo, exec_lo, s23
	s_cbranch_execz .LBB108_88
.LBB108_77:                             ;   Parent Loop BB108_6 Depth=1
                                        ; =>  This Inner Loop Header: Depth=2
	s_delay_alu instid0(VALU_DEP_1)
	v_cmp_gt_u32_e32 vcc_lo, s15, v4
	v_mov_b32_e32 v8, 0
	s_and_saveexec_b32 s11, vcc_lo
	s_cbranch_execz .LBB108_79
; %bb.78:                               ;   in Loop: Header=BB108_77 Depth=2
	ds_load_u16 v8, v3
.LBB108_79:                             ;   in Loop: Header=BB108_77 Depth=2
	s_or_b32 exec_lo, exec_lo, s11
	s_and_saveexec_b32 s11, vcc_lo
	s_cbranch_execz .LBB108_76
; %bb.80:                               ;   in Loop: Header=BB108_77 Depth=2
	s_waitcnt lgkmcnt(0)
	v_cmp_lt_i16_e32 vcc_lo, -1, v8
	v_and_b32_e32 v31, 0xffff, v8
	v_dual_cndmask_b32 v32, 0xffff, v26 :: v_dual_lshlrev_b32 v33, 16, v8
	s_delay_alu instid0(VALU_DEP_1) | instskip(NEXT) | instid1(VALU_DEP_2)
	v_cmp_o_f32_e32 vcc_lo, v33, v33
	v_xor_b32_e32 v31, v32, v31
	s_delay_alu instid0(VALU_DEP_1) | instskip(NEXT) | instid1(VALU_DEP_1)
	v_cndmask_b32_e32 v31, 0xffff, v31, vcc_lo
	v_and_b32_e32 v31, v31, v2
	s_delay_alu instid0(VALU_DEP_1)
	v_cmp_eq_u32_e32 vcc_lo, v31, v1
	s_and_b32 exec_lo, exec_lo, vcc_lo
	s_cbranch_execz .LBB108_76
; %bb.81:                               ;   in Loop: Header=BB108_77 Depth=2
	v_perm_b32 v8, v8, s60, 0x5040100
	ds_store_b32 v9, v8 offset:3072
	s_branch .LBB108_76
.LBB108_82:                             ;   in Loop: Header=BB108_6 Depth=1
	s_mov_b32 s20, 0
	s_mov_b32 s11, 0
                                        ; implicit-def: $sgpr21
                                        ; implicit-def: $sgpr22
                                        ; implicit-def: $sgpr15
                                        ; implicit-def: $vgpr8
                                        ; implicit-def: $vgpr4
                                        ; implicit-def: $vgpr1
                                        ; implicit-def: $vgpr2
                                        ; implicit-def: $vgpr3
	s_cbranch_execnz .LBB108_237
.LBB108_83:                             ;   in Loop: Header=BB108_6 Depth=1
	s_mov_b32 s23, s15
	s_mov_b32 s72, s15
	s_and_saveexec_b32 s10, s20
	s_cbranch_execnz .LBB108_399
	s_branch .LBB108_400
.LBB108_84:                             ;   in Loop: Header=BB108_6 Depth=1
	s_or_b32 exec_lo, exec_lo, s12
	s_waitcnt lgkmcnt(0)
	s_barrier
	buffer_gl0_inv
	s_and_saveexec_b32 s10, s5
	s_cbranch_execz .LBB108_86
; %bb.85:                               ;   in Loop: Header=BB108_6 Depth=1
	ds_load_b32 v1, v9 offset:4104
	s_waitcnt lgkmcnt(0)
	ds_store_b32 v9, v1 offset:4096
.LBB108_86:                             ;   in Loop: Header=BB108_6 Depth=1
	s_or_b32 exec_lo, exec_lo, s10
	s_waitcnt lgkmcnt(0)
	s_mov_b32 s10, -1
	s_barrier
	s_and_b32 vcc_lo, exec_lo, s72
	s_cbranch_vccnz .LBB108_21
	s_branch .LBB108_31
.LBB108_87:                             ;   in Loop: Header=BB108_6 Depth=1
	s_mov_b32 s15, -1
	s_mov_b32 s11, 0
                                        ; implicit-def: $sgpr21
                                        ; implicit-def: $vgpr3
	s_mov_b32 s22, s15
	s_cbranch_execnz .LBB108_90
	s_branch .LBB108_100
.LBB108_88:                             ;   in Loop: Header=BB108_6 Depth=1
	s_or_b32 exec_lo, exec_lo, s23
	v_lshrrev_b32_e32 v3, 16, v8
	s_and_b32 s11, s72, exec_lo
.LBB108_89:                             ;   in Loop: Header=BB108_6 Depth=1
	s_or_b32 exec_lo, exec_lo, s21
	s_mov_b32 s21, -1
	s_mov_b32 s15, 0
	s_delay_alu instid0(SALU_CYCLE_1)
	s_mov_b32 s22, s15
	s_branch .LBB108_100
.LBB108_90:                             ;   in Loop: Header=BB108_6 Depth=1
	s_mov_b32 s11, 0
                                        ; implicit-def: $vgpr3
	s_and_saveexec_b32 s15, s9
	s_cbranch_execz .LBB108_99
; %bb.91:                               ;   in Loop: Header=BB108_6 Depth=1
	v_dual_mov_b32 v8, v7 :: v_dual_mov_b32 v3, v0
	s_mov_b32 s21, 0
                                        ; implicit-def: $sgpr22
	s_branch .LBB108_93
.LBB108_92:                             ;   in Loop: Header=BB108_93 Depth=2
	s_or_b32 exec_lo, exec_lo, s11
	s_waitcnt vmcnt(0) lgkmcnt(0)
	s_barrier
	buffer_gl0_inv
	ds_load_b32 v4, v9 offset:3072
	v_add_nc_u32_e32 v3, s36, v3
	v_add_nc_u32_e32 v8, s38, v8
	s_waitcnt lgkmcnt(0)
	s_barrier
	buffer_gl0_inv
	v_cmp_le_u32_e32 vcc_lo, s55, v3
	v_and_b32_e32 v31, 0x7fff, v4
	s_delay_alu instid0(VALU_DEP_1) | instskip(NEXT) | instid1(VALU_DEP_1)
	v_cmp_ne_u16_e64 s11, 0, v31
	s_or_b32 s23, vcc_lo, s11
	s_delay_alu instid0(SALU_CYCLE_1) | instskip(NEXT) | instid1(SALU_CYCLE_1)
	s_and_b32 s23, exec_lo, s23
	s_or_b32 s21, s23, s21
	s_and_not1_b32 s22, s22, exec_lo
	s_and_b32 s11, s11, exec_lo
	s_delay_alu instid0(SALU_CYCLE_1)
	s_or_b32 s22, s22, s11
	s_and_not1_b32 exec_lo, exec_lo, s21
	s_cbranch_execz .LBB108_98
.LBB108_93:                             ;   Parent Loop BB108_6 Depth=1
                                        ; =>  This Inner Loop Header: Depth=2
	s_delay_alu instid0(VALU_DEP_1)
	v_cmp_gt_u32_e32 vcc_lo, s24, v3
	v_mov_b32_e32 v4, 0
	s_and_saveexec_b32 s23, vcc_lo
	s_cbranch_execz .LBB108_95
; %bb.94:                               ;   in Loop: Header=BB108_93 Depth=2
	v_lshlrev_b64 v[31:32], 1, v[8:9]
	s_delay_alu instid0(VALU_DEP_1) | instskip(NEXT) | instid1(VALU_DEP_1)
	v_add_co_u32 v31, s11, s29, v31
	v_add_co_ci_u32_e64 v32, s11, s33, v32, s11
	global_load_u16 v4, v[31:32], off
.LBB108_95:                             ;   in Loop: Header=BB108_93 Depth=2
	s_or_b32 exec_lo, exec_lo, s23
	s_and_saveexec_b32 s11, vcc_lo
	s_cbranch_execz .LBB108_92
; %bb.96:                               ;   in Loop: Header=BB108_93 Depth=2
	s_waitcnt vmcnt(0)
	v_cmp_lt_i16_e32 vcc_lo, -1, v4
	v_and_b32_e32 v31, 0xffff, v4
	v_dual_cndmask_b32 v32, 0xffff, v26 :: v_dual_lshlrev_b32 v33, 16, v4
	s_delay_alu instid0(VALU_DEP_1) | instskip(NEXT) | instid1(VALU_DEP_2)
	v_cmp_o_f32_e32 vcc_lo, v33, v33
	v_xor_b32_e32 v31, v32, v31
	s_delay_alu instid0(VALU_DEP_1) | instskip(NEXT) | instid1(VALU_DEP_1)
	v_cndmask_b32_e32 v31, 0xffff, v31, vcc_lo
	v_and_b32_e32 v31, v31, v2
	s_delay_alu instid0(VALU_DEP_1)
	v_cmp_eq_u32_e32 vcc_lo, v31, v1
	s_and_b32 exec_lo, exec_lo, vcc_lo
	s_cbranch_execz .LBB108_92
; %bb.97:                               ;   in Loop: Header=BB108_93 Depth=2
	v_perm_b32 v4, v4, s60, 0x5040100
	ds_store_b32 v9, v4 offset:3072
	s_branch .LBB108_92
.LBB108_98:                             ;   in Loop: Header=BB108_6 Depth=1
	s_or_b32 exec_lo, exec_lo, s21
	v_lshrrev_b32_e32 v3, 16, v4
	s_and_b32 s11, s22, exec_lo
.LBB108_99:                             ;   in Loop: Header=BB108_6 Depth=1
	s_or_b32 exec_lo, exec_lo, s15
	s_mov_b32 s22, -1
	s_mov_b32 s15, 0
	s_mov_b32 s21, 0
.LBB108_100:                            ;   in Loop: Header=BB108_6 Depth=1
	s_or_not1_b32 s74, s11, exec_lo
.LBB108_101:                            ;   in Loop: Header=BB108_6 Depth=1
	s_or_b32 exec_lo, exec_lo, s20
	s_mov_b32 s23, 0
	s_mov_b32 s20, 0
	;; [unrolled: 1-line block ×3, first 2 shown]
                                        ; implicit-def: $vgpr8
                                        ; implicit-def: $vgpr4
	s_and_saveexec_b32 s72, s74
	s_cbranch_execz .LBB108_236
; %bb.102:                              ;   in Loop: Header=BB108_6 Depth=1
	v_mov_b32_e32 v4, 1
	v_mov_b32_e32 v8, 1
	s_xor_b32 s73, s73, -1
	s_delay_alu instid0(SALU_CYCLE_1)
	s_and_saveexec_b32 s11, s73
	s_cbranch_execz .LBB108_112
; %bb.103:                              ;   in Loop: Header=BB108_6 Depth=1
	s_mov_b32 s73, exec_lo
                                        ; implicit-def: $sgpr74
                                        ; implicit-def: $sgpr20
	v_cmpx_ge_u32_e64 s12, v30
	s_xor_b32 s73, exec_lo, s73
	s_cbranch_execz .LBB108_109
; %bb.104:                              ;   in Loop: Header=BB108_6 Depth=1
	ds_load_b32 v4, v9 offset:4096
	s_waitcnt lgkmcnt(0)
	v_cmp_ne_u32_e32 vcc_lo, 0, v4
	s_cbranch_vccnz .LBB108_108
; %bb.105:                              ;   in Loop: Header=BB108_6 Depth=1
	s_and_saveexec_b32 s20, s5
	s_cbranch_execz .LBB108_107
; %bb.106:                              ;   in Loop: Header=BB108_6 Depth=1
	v_mov_b32_e32 v4, s12
	ds_store_b32 v9, v4 offset:4100
.LBB108_107:                            ;   in Loop: Header=BB108_6 Depth=1
	s_or_b32 exec_lo, exec_lo, s20
	s_waitcnt lgkmcnt(0)
	s_barrier
	buffer_gl0_inv
.LBB108_108:                            ;   in Loop: Header=BB108_6 Depth=1
	v_and_b32_e32 v1, s14, v1
	v_or_b32_e32 v2, s13, v2
	s_mov_b32 s20, 0
	s_mov_b32 s74, 8
.LBB108_109:                            ;   in Loop: Header=BB108_6 Depth=1
	s_or_saveexec_b32 s73, s73
	v_mov_b32_e32 v8, s74
	v_mov_b32_e32 v4, v30
	s_xor_b32 exec_lo, exec_lo, s73
; %bb.110:                              ;   in Loop: Header=BB108_6 Depth=1
	v_subrev_nc_u32_e32 v4, s12, v30
	v_mov_b32_e32 v8, 0
	s_or_b32 s20, s20, exec_lo
; %bb.111:                              ;   in Loop: Header=BB108_6 Depth=1
	s_or_b32 exec_lo, exec_lo, s73
	s_delay_alu instid0(SALU_CYCLE_1)
	s_and_b32 s20, s20, exec_lo
.LBB108_112:                            ;   in Loop: Header=BB108_6 Depth=1
	s_or_b32 exec_lo, exec_lo, s11
	s_mov_b32 s11, -1
                                        ; implicit-def: $sgpr73
                                        ; implicit-def: $sgpr75
                                        ; implicit-def: $sgpr76
	s_and_saveexec_b32 s74, s20
	s_delay_alu instid0(SALU_CYCLE_1)
	s_xor_b32 s20, exec_lo, s74
	s_cbranch_execz .LBB108_233
; %bb.113:                              ;   in Loop: Header=BB108_6 Depth=1
	v_cmp_eq_u32_e32 vcc_lo, 1, v4
	s_cmp_eq_u32 s16, 1
                                        ; implicit-def: $sgpr73
                                        ; implicit-def: $sgpr75
                                        ; implicit-def: $sgpr74
	s_cselect_b32 s11, -1, 0
	s_delay_alu instid0(SALU_CYCLE_1)
	s_and_b32 s77, s11, vcc_lo
	s_mov_b32 s11, -1
	s_and_saveexec_b32 s76, s77
	s_cbranch_execz .LBB108_139
; %bb.114:                              ;   in Loop: Header=BB108_6 Depth=1
	ds_load_b32 v3, v9 offset:4096
	s_waitcnt lgkmcnt(0)
	s_barrier
	buffer_gl0_inv
	v_readfirstlane_b32 s73, v3
	s_and_saveexec_b32 s11, s6
	s_cbranch_execz .LBB108_116
; %bb.115:                              ;   in Loop: Header=BB108_6 Depth=1
	ds_store_b16 v19, v9
.LBB108_116:                            ;   in Loop: Header=BB108_6 Depth=1
	s_or_b32 exec_lo, exec_lo, s11
	s_lshl_b32 s11, 1, s17
	v_or_b32_e32 v2, s13, v2
	v_and_or_b32 v1, v1, s14, s11
	s_cmp_eq_u32 s73, 0
	s_waitcnt lgkmcnt(0)
	s_barrier
	buffer_gl0_inv
	s_cbranch_scc1 .LBB108_125
; %bb.117:                              ;   in Loop: Header=BB108_6 Depth=1
	s_add_i32 s11, s73, s47
                                        ; implicit-def: $vgpr3
	s_delay_alu instid0(SALU_CYCLE_1) | instskip(NEXT) | instid1(SALU_CYCLE_1)
	s_mul_hi_u32 s74, s11, s54
	s_mul_i32 s74, s74, s36
	s_delay_alu instid0(SALU_CYCLE_1) | instskip(NEXT) | instid1(SALU_CYCLE_1)
	s_sub_i32 s74, s11, s74
	s_sub_i32 s75, s74, s36
	s_cmp_ge_u32 s74, s36
	s_cselect_b32 s74, s75, s74
	s_delay_alu instid0(SALU_CYCLE_1) | instskip(SKIP_2) | instid1(SALU_CYCLE_1)
	s_sub_i32 s75, s74, s36
	s_cmp_ge_u32 s74, s36
	s_cselect_b32 s74, s75, s74
	s_sub_i32 s75, s11, s74
	s_mov_b32 s11, 0
	s_mov_b32 s74, exec_lo
	v_cmpx_gt_u32_e64 s75, v0
	s_cbranch_execz .LBB108_127
; %bb.118:                              ;   in Loop: Header=BB108_6 Depth=1
	v_dual_mov_b32 v3, v17 :: v_dual_mov_b32 v8, v0
	s_mov_b32 s78, 0
                                        ; implicit-def: $sgpr79
	s_branch .LBB108_120
.LBB108_119:                            ;   in Loop: Header=BB108_120 Depth=2
	s_or_b32 exec_lo, exec_lo, s11
	s_waitcnt lgkmcnt(0)
	s_barrier
	buffer_gl0_inv
	ds_load_b32 v31, v9 offset:3072
	v_add_nc_u32_e32 v8, s36, v8
	v_add_nc_u32_e32 v3, s58, v3
	s_waitcnt lgkmcnt(0)
	s_barrier
	buffer_gl0_inv
	v_cmp_le_u32_e32 vcc_lo, s75, v8
	v_and_b32_e32 v32, 0x7fff, v31
	s_delay_alu instid0(VALU_DEP_1) | instskip(NEXT) | instid1(VALU_DEP_1)
	v_cmp_ne_u16_e64 s11, 0, v32
	s_or_b32 s80, vcc_lo, s11
	s_delay_alu instid0(SALU_CYCLE_1) | instskip(NEXT) | instid1(SALU_CYCLE_1)
	s_and_b32 s80, exec_lo, s80
	s_or_b32 s78, s80, s78
	s_and_not1_b32 s79, s79, exec_lo
	s_and_b32 s11, s11, exec_lo
	s_delay_alu instid0(SALU_CYCLE_1)
	s_or_b32 s79, s79, s11
	s_and_not1_b32 exec_lo, exec_lo, s78
	s_cbranch_execz .LBB108_126
.LBB108_120:                            ;   Parent Loop BB108_6 Depth=1
                                        ; =>  This Inner Loop Header: Depth=2
	s_delay_alu instid0(VALU_DEP_1)
	v_cmp_gt_u32_e32 vcc_lo, s73, v8
	v_mov_b32_e32 v31, 0
	s_and_saveexec_b32 s11, vcc_lo
	s_cbranch_execz .LBB108_122
; %bb.121:                              ;   in Loop: Header=BB108_120 Depth=2
	ds_load_u16 v31, v3
.LBB108_122:                            ;   in Loop: Header=BB108_120 Depth=2
	s_or_b32 exec_lo, exec_lo, s11
	s_and_saveexec_b32 s11, vcc_lo
	s_cbranch_execz .LBB108_119
; %bb.123:                              ;   in Loop: Header=BB108_120 Depth=2
	s_waitcnt lgkmcnt(0)
	v_cmp_lt_i16_e32 vcc_lo, -1, v31
	v_and_b32_e32 v32, 0xffff, v31
	v_dual_cndmask_b32 v33, 0xffff, v26 :: v_dual_lshlrev_b32 v34, 16, v31
	s_delay_alu instid0(VALU_DEP_1) | instskip(NEXT) | instid1(VALU_DEP_2)
	v_cmp_o_f32_e32 vcc_lo, v34, v34
	v_xor_b32_e32 v32, v33, v32
	s_delay_alu instid0(VALU_DEP_1) | instskip(NEXT) | instid1(VALU_DEP_1)
	v_cndmask_b32_e32 v32, 0xffff, v32, vcc_lo
	v_and_b32_e32 v32, v32, v2
	s_delay_alu instid0(VALU_DEP_1)
	v_cmp_eq_u32_e32 vcc_lo, v32, v1
	s_and_b32 exec_lo, exec_lo, vcc_lo
	s_cbranch_execz .LBB108_119
; %bb.124:                              ;   in Loop: Header=BB108_120 Depth=2
	v_perm_b32 v31, v31, s60, 0x5040100
	ds_store_b32 v9, v31 offset:3072
	s_branch .LBB108_119
.LBB108_125:                            ;   in Loop: Header=BB108_6 Depth=1
	s_mov_b32 s73, -1
	s_mov_b32 s11, 0
                                        ; implicit-def: $sgpr74
                                        ; implicit-def: $vgpr3
	s_mov_b32 s75, s73
	s_cbranch_execnz .LBB108_128
	s_branch .LBB108_138
.LBB108_126:                            ;   in Loop: Header=BB108_6 Depth=1
	s_or_b32 exec_lo, exec_lo, s78
	v_lshrrev_b32_e32 v3, 16, v31
	s_and_b32 s11, s79, exec_lo
.LBB108_127:                            ;   in Loop: Header=BB108_6 Depth=1
	s_or_b32 exec_lo, exec_lo, s74
	s_mov_b32 s74, -1
	s_mov_b32 s73, 0
	s_delay_alu instid0(SALU_CYCLE_1)
	s_mov_b32 s75, s73
	s_branch .LBB108_138
.LBB108_128:                            ;   in Loop: Header=BB108_6 Depth=1
	s_mov_b32 s11, 0
                                        ; implicit-def: $vgpr3
	s_and_saveexec_b32 s73, s9
	s_cbranch_execz .LBB108_137
; %bb.129:                              ;   in Loop: Header=BB108_6 Depth=1
	v_dual_mov_b32 v8, v7 :: v_dual_mov_b32 v3, v0
	s_mov_b32 s74, 0
                                        ; implicit-def: $sgpr75
	s_branch .LBB108_131
.LBB108_130:                            ;   in Loop: Header=BB108_131 Depth=2
	s_or_b32 exec_lo, exec_lo, s11
	s_waitcnt vmcnt(0) lgkmcnt(0)
	s_barrier
	buffer_gl0_inv
	ds_load_b32 v31, v9 offset:3072
	v_add_nc_u32_e32 v3, s36, v3
	v_add_nc_u32_e32 v8, s38, v8
	s_waitcnt lgkmcnt(0)
	s_barrier
	buffer_gl0_inv
	v_cmp_le_u32_e32 vcc_lo, s55, v3
	v_and_b32_e32 v32, 0x7fff, v31
	s_delay_alu instid0(VALU_DEP_1) | instskip(NEXT) | instid1(VALU_DEP_1)
	v_cmp_ne_u16_e64 s11, 0, v32
	s_or_b32 s78, vcc_lo, s11
	s_delay_alu instid0(SALU_CYCLE_1) | instskip(NEXT) | instid1(SALU_CYCLE_1)
	s_and_b32 s78, exec_lo, s78
	s_or_b32 s74, s78, s74
	s_and_not1_b32 s75, s75, exec_lo
	s_and_b32 s11, s11, exec_lo
	s_delay_alu instid0(SALU_CYCLE_1)
	s_or_b32 s75, s75, s11
	s_and_not1_b32 exec_lo, exec_lo, s74
	s_cbranch_execz .LBB108_136
.LBB108_131:                            ;   Parent Loop BB108_6 Depth=1
                                        ; =>  This Inner Loop Header: Depth=2
	s_delay_alu instid0(VALU_DEP_1)
	v_cmp_gt_u32_e32 vcc_lo, s24, v3
	v_mov_b32_e32 v31, 0
	s_and_saveexec_b32 s78, vcc_lo
	s_cbranch_execz .LBB108_133
; %bb.132:                              ;   in Loop: Header=BB108_131 Depth=2
	v_lshlrev_b64 v[31:32], 1, v[8:9]
	s_delay_alu instid0(VALU_DEP_1) | instskip(NEXT) | instid1(VALU_DEP_1)
	v_add_co_u32 v31, s11, s29, v31
	v_add_co_ci_u32_e64 v32, s11, s33, v32, s11
	global_load_u16 v31, v[31:32], off
.LBB108_133:                            ;   in Loop: Header=BB108_131 Depth=2
	s_or_b32 exec_lo, exec_lo, s78
	s_and_saveexec_b32 s11, vcc_lo
	s_cbranch_execz .LBB108_130
; %bb.134:                              ;   in Loop: Header=BB108_131 Depth=2
	s_waitcnt vmcnt(0)
	v_cmp_lt_i16_e32 vcc_lo, -1, v31
	v_and_b32_e32 v32, 0xffff, v31
	v_dual_cndmask_b32 v33, 0xffff, v26 :: v_dual_lshlrev_b32 v34, 16, v31
	s_delay_alu instid0(VALU_DEP_1) | instskip(NEXT) | instid1(VALU_DEP_2)
	v_cmp_o_f32_e32 vcc_lo, v34, v34
	v_xor_b32_e32 v32, v33, v32
	s_delay_alu instid0(VALU_DEP_1) | instskip(NEXT) | instid1(VALU_DEP_1)
	v_cndmask_b32_e32 v32, 0xffff, v32, vcc_lo
	v_and_b32_e32 v32, v32, v2
	s_delay_alu instid0(VALU_DEP_1)
	v_cmp_eq_u32_e32 vcc_lo, v32, v1
	s_and_b32 exec_lo, exec_lo, vcc_lo
	s_cbranch_execz .LBB108_130
; %bb.135:                              ;   in Loop: Header=BB108_131 Depth=2
	v_perm_b32 v31, v31, s60, 0x5040100
	ds_store_b32 v9, v31 offset:3072
	s_branch .LBB108_130
.LBB108_136:                            ;   in Loop: Header=BB108_6 Depth=1
	s_or_b32 exec_lo, exec_lo, s74
	v_lshrrev_b32_e32 v3, 16, v31
	s_and_b32 s11, s75, exec_lo
.LBB108_137:                            ;   in Loop: Header=BB108_6 Depth=1
	s_or_b32 exec_lo, exec_lo, s73
	s_mov_b32 s75, -1
	s_mov_b32 s73, 0
	s_mov_b32 s74, 0
.LBB108_138:                            ;   in Loop: Header=BB108_6 Depth=1
	s_or_not1_b32 s11, s11, exec_lo
.LBB108_139:                            ;   in Loop: Header=BB108_6 Depth=1
	s_or_b32 exec_lo, exec_lo, s76
	s_mov_b32 s78, 0
                                        ; implicit-def: $vgpr8
	s_and_saveexec_b32 s76, s11
	s_cbranch_execz .LBB108_232
; %bb.140:                              ;   in Loop: Header=BB108_6 Depth=1
	v_dual_mov_b32 v31, 1 :: v_dual_mov_b32 v8, 1
	s_xor_b32 s77, s77, -1
	s_mov_b32 s79, 0
	s_and_saveexec_b32 s11, s77
	s_cbranch_execz .LBB108_150
; %bb.141:                              ;   in Loop: Header=BB108_6 Depth=1
	s_mov_b32 s78, exec_lo
                                        ; implicit-def: $sgpr79
                                        ; implicit-def: $sgpr77
	v_cmpx_ge_u32_e64 s16, v4
	s_xor_b32 s78, exec_lo, s78
	s_cbranch_execz .LBB108_147
; %bb.142:                              ;   in Loop: Header=BB108_6 Depth=1
	ds_load_b32 v8, v9 offset:4096
	s_waitcnt lgkmcnt(0)
	v_cmp_ne_u32_e32 vcc_lo, 0, v8
	s_cbranch_vccnz .LBB108_146
; %bb.143:                              ;   in Loop: Header=BB108_6 Depth=1
	s_and_saveexec_b32 s77, s5
	s_cbranch_execz .LBB108_145
; %bb.144:                              ;   in Loop: Header=BB108_6 Depth=1
	v_mov_b32_e32 v8, s16
	ds_store_b32 v9, v8 offset:4100
.LBB108_145:                            ;   in Loop: Header=BB108_6 Depth=1
	s_or_b32 exec_lo, exec_lo, s77
	s_waitcnt lgkmcnt(0)
	s_barrier
	buffer_gl0_inv
.LBB108_146:                            ;   in Loop: Header=BB108_6 Depth=1
	s_lshl_b32 s77, 1, s17
	v_or_b32_e32 v2, s13, v2
	v_and_or_b32 v1, v1, s14, s77
	s_mov_b32 s77, 0
	s_mov_b32 s79, 8
.LBB108_147:                            ;   in Loop: Header=BB108_6 Depth=1
	s_or_saveexec_b32 s78, s78
	v_mov_b32_e32 v8, s79
	s_xor_b32 exec_lo, exec_lo, s78
; %bb.148:                              ;   in Loop: Header=BB108_6 Depth=1
	v_subrev_nc_u32_e32 v4, s16, v4
	v_mov_b32_e32 v8, 0
	s_or_b32 s77, s77, exec_lo
; %bb.149:                              ;   in Loop: Header=BB108_6 Depth=1
	s_or_b32 exec_lo, exec_lo, s78
	s_delay_alu instid0(VALU_DEP_2)
	v_mov_b32_e32 v31, v4
	s_and_b32 s79, s77, exec_lo
.LBB108_150:                            ;   in Loop: Header=BB108_6 Depth=1
	s_or_b32 exec_lo, exec_lo, s11
	s_mov_b32 s11, -1
                                        ; implicit-def: $sgpr78
                                        ; implicit-def: $sgpr80
                                        ; implicit-def: $sgpr81
	s_and_saveexec_b32 s77, s79
	s_cbranch_execz .LBB108_231
; %bb.151:                              ;   in Loop: Header=BB108_6 Depth=1
	v_cmp_eq_u32_e32 vcc_lo, 1, v31
	s_cmp_eq_u32 s18, 1
                                        ; implicit-def: $sgpr78
                                        ; implicit-def: $sgpr80
                                        ; implicit-def: $sgpr79
	s_cselect_b32 s11, -1, 0
	s_delay_alu instid0(SALU_CYCLE_1)
	s_and_b32 s82, s11, vcc_lo
	s_mov_b32 s11, -1
	s_and_saveexec_b32 s81, s82
	s_cbranch_execz .LBB108_177
; %bb.152:                              ;   in Loop: Header=BB108_6 Depth=1
	ds_load_b32 v3, v9 offset:4096
	s_waitcnt lgkmcnt(0)
	s_barrier
	buffer_gl0_inv
	v_readfirstlane_b32 s78, v3
	s_and_saveexec_b32 s11, s6
	s_cbranch_execz .LBB108_154
; %bb.153:                              ;   in Loop: Header=BB108_6 Depth=1
	ds_store_b16 v19, v9
.LBB108_154:                            ;   in Loop: Header=BB108_6 Depth=1
	s_or_b32 exec_lo, exec_lo, s11
	s_lshl_b32 s11, 2, s17
	v_or_b32_e32 v2, s13, v2
	v_and_or_b32 v1, v1, s14, s11
	s_cmp_eq_u32 s78, 0
	s_waitcnt lgkmcnt(0)
	s_barrier
	buffer_gl0_inv
	s_cbranch_scc1 .LBB108_163
; %bb.155:                              ;   in Loop: Header=BB108_6 Depth=1
	s_add_i32 s11, s78, s47
                                        ; implicit-def: $vgpr3
	s_delay_alu instid0(SALU_CYCLE_1) | instskip(NEXT) | instid1(SALU_CYCLE_1)
	s_mul_hi_u32 s79, s11, s54
	s_mul_i32 s79, s79, s36
	s_delay_alu instid0(SALU_CYCLE_1) | instskip(NEXT) | instid1(SALU_CYCLE_1)
	s_sub_i32 s79, s11, s79
	s_sub_i32 s80, s79, s36
	s_cmp_ge_u32 s79, s36
	s_cselect_b32 s79, s80, s79
	s_delay_alu instid0(SALU_CYCLE_1) | instskip(SKIP_2) | instid1(SALU_CYCLE_1)
	s_sub_i32 s80, s79, s36
	s_cmp_ge_u32 s79, s36
	s_cselect_b32 s79, s80, s79
	s_sub_i32 s80, s11, s79
	s_mov_b32 s11, 0
	s_mov_b32 s79, exec_lo
	v_cmpx_gt_u32_e64 s80, v0
	s_cbranch_execz .LBB108_165
; %bb.156:                              ;   in Loop: Header=BB108_6 Depth=1
	v_dual_mov_b32 v3, v17 :: v_dual_mov_b32 v4, v0
	s_mov_b32 s83, 0
                                        ; implicit-def: $sgpr84
	s_branch .LBB108_158
.LBB108_157:                            ;   in Loop: Header=BB108_158 Depth=2
	s_or_b32 exec_lo, exec_lo, s11
	s_waitcnt lgkmcnt(0)
	s_barrier
	buffer_gl0_inv
	ds_load_b32 v8, v9 offset:3072
	v_add_nc_u32_e32 v4, s36, v4
	v_add_nc_u32_e32 v3, s58, v3
	s_waitcnt lgkmcnt(0)
	s_barrier
	buffer_gl0_inv
	v_cmp_le_u32_e32 vcc_lo, s80, v4
	v_and_b32_e32 v32, 0x7fff, v8
	s_delay_alu instid0(VALU_DEP_1) | instskip(NEXT) | instid1(VALU_DEP_1)
	v_cmp_ne_u16_e64 s11, 0, v32
	s_or_b32 s85, vcc_lo, s11
	s_delay_alu instid0(SALU_CYCLE_1) | instskip(NEXT) | instid1(SALU_CYCLE_1)
	s_and_b32 s85, exec_lo, s85
	s_or_b32 s83, s85, s83
	s_and_not1_b32 s84, s84, exec_lo
	s_and_b32 s11, s11, exec_lo
	s_delay_alu instid0(SALU_CYCLE_1)
	s_or_b32 s84, s84, s11
	s_and_not1_b32 exec_lo, exec_lo, s83
	s_cbranch_execz .LBB108_164
.LBB108_158:                            ;   Parent Loop BB108_6 Depth=1
                                        ; =>  This Inner Loop Header: Depth=2
	s_delay_alu instid0(VALU_DEP_1)
	v_cmp_gt_u32_e32 vcc_lo, s78, v4
	v_mov_b32_e32 v8, 0
	s_and_saveexec_b32 s11, vcc_lo
	s_cbranch_execz .LBB108_160
; %bb.159:                              ;   in Loop: Header=BB108_158 Depth=2
	ds_load_u16 v8, v3
.LBB108_160:                            ;   in Loop: Header=BB108_158 Depth=2
	s_or_b32 exec_lo, exec_lo, s11
	s_and_saveexec_b32 s11, vcc_lo
	s_cbranch_execz .LBB108_157
; %bb.161:                              ;   in Loop: Header=BB108_158 Depth=2
	s_waitcnt lgkmcnt(0)
	v_cmp_lt_i16_e32 vcc_lo, -1, v8
	v_and_b32_e32 v32, 0xffff, v8
	v_dual_cndmask_b32 v33, 0xffff, v26 :: v_dual_lshlrev_b32 v34, 16, v8
	s_delay_alu instid0(VALU_DEP_1) | instskip(NEXT) | instid1(VALU_DEP_2)
	v_cmp_o_f32_e32 vcc_lo, v34, v34
	v_xor_b32_e32 v32, v33, v32
	s_delay_alu instid0(VALU_DEP_1) | instskip(NEXT) | instid1(VALU_DEP_1)
	v_cndmask_b32_e32 v32, 0xffff, v32, vcc_lo
	v_and_b32_e32 v32, v32, v2
	s_delay_alu instid0(VALU_DEP_1)
	v_cmp_eq_u32_e32 vcc_lo, v32, v1
	s_and_b32 exec_lo, exec_lo, vcc_lo
	s_cbranch_execz .LBB108_157
; %bb.162:                              ;   in Loop: Header=BB108_158 Depth=2
	v_perm_b32 v8, v8, s60, 0x5040100
	ds_store_b32 v9, v8 offset:3072
	s_branch .LBB108_157
.LBB108_163:                            ;   in Loop: Header=BB108_6 Depth=1
	s_mov_b32 s78, -1
	s_mov_b32 s11, 0
                                        ; implicit-def: $sgpr79
                                        ; implicit-def: $vgpr3
	s_mov_b32 s80, s78
	s_cbranch_execnz .LBB108_166
	s_branch .LBB108_176
.LBB108_164:                            ;   in Loop: Header=BB108_6 Depth=1
	s_or_b32 exec_lo, exec_lo, s83
	v_lshrrev_b32_e32 v3, 16, v8
	s_and_b32 s11, s84, exec_lo
.LBB108_165:                            ;   in Loop: Header=BB108_6 Depth=1
	s_or_b32 exec_lo, exec_lo, s79
	s_mov_b32 s79, -1
	s_mov_b32 s78, 0
	s_delay_alu instid0(SALU_CYCLE_1)
	s_mov_b32 s80, s78
	s_branch .LBB108_176
.LBB108_166:                            ;   in Loop: Header=BB108_6 Depth=1
	s_mov_b32 s11, 0
                                        ; implicit-def: $vgpr3
	s_and_saveexec_b32 s78, s9
	s_cbranch_execz .LBB108_175
; %bb.167:                              ;   in Loop: Header=BB108_6 Depth=1
	v_dual_mov_b32 v8, v7 :: v_dual_mov_b32 v3, v0
	s_mov_b32 s79, 0
                                        ; implicit-def: $sgpr80
	s_branch .LBB108_169
.LBB108_168:                            ;   in Loop: Header=BB108_169 Depth=2
	s_or_b32 exec_lo, exec_lo, s11
	s_waitcnt vmcnt(0) lgkmcnt(0)
	s_barrier
	buffer_gl0_inv
	ds_load_b32 v4, v9 offset:3072
	v_add_nc_u32_e32 v3, s36, v3
	v_add_nc_u32_e32 v8, s38, v8
	s_waitcnt lgkmcnt(0)
	s_barrier
	buffer_gl0_inv
	v_cmp_le_u32_e32 vcc_lo, s55, v3
	v_and_b32_e32 v32, 0x7fff, v4
	s_delay_alu instid0(VALU_DEP_1) | instskip(NEXT) | instid1(VALU_DEP_1)
	v_cmp_ne_u16_e64 s11, 0, v32
	s_or_b32 s83, vcc_lo, s11
	s_delay_alu instid0(SALU_CYCLE_1) | instskip(NEXT) | instid1(SALU_CYCLE_1)
	s_and_b32 s83, exec_lo, s83
	s_or_b32 s79, s83, s79
	s_and_not1_b32 s80, s80, exec_lo
	s_and_b32 s11, s11, exec_lo
	s_delay_alu instid0(SALU_CYCLE_1)
	s_or_b32 s80, s80, s11
	s_and_not1_b32 exec_lo, exec_lo, s79
	s_cbranch_execz .LBB108_174
.LBB108_169:                            ;   Parent Loop BB108_6 Depth=1
                                        ; =>  This Inner Loop Header: Depth=2
	s_delay_alu instid0(VALU_DEP_1)
	v_cmp_gt_u32_e32 vcc_lo, s24, v3
	v_mov_b32_e32 v4, 0
	s_and_saveexec_b32 s83, vcc_lo
	s_cbranch_execz .LBB108_171
; %bb.170:                              ;   in Loop: Header=BB108_169 Depth=2
	v_lshlrev_b64 v[32:33], 1, v[8:9]
	s_delay_alu instid0(VALU_DEP_1) | instskip(NEXT) | instid1(VALU_DEP_1)
	v_add_co_u32 v32, s11, s29, v32
	v_add_co_ci_u32_e64 v33, s11, s33, v33, s11
	global_load_u16 v4, v[32:33], off
.LBB108_171:                            ;   in Loop: Header=BB108_169 Depth=2
	s_or_b32 exec_lo, exec_lo, s83
	s_and_saveexec_b32 s11, vcc_lo
	s_cbranch_execz .LBB108_168
; %bb.172:                              ;   in Loop: Header=BB108_169 Depth=2
	s_waitcnt vmcnt(0)
	v_cmp_lt_i16_e32 vcc_lo, -1, v4
	v_and_b32_e32 v32, 0xffff, v4
	v_dual_cndmask_b32 v33, 0xffff, v26 :: v_dual_lshlrev_b32 v34, 16, v4
	s_delay_alu instid0(VALU_DEP_1) | instskip(NEXT) | instid1(VALU_DEP_2)
	v_cmp_o_f32_e32 vcc_lo, v34, v34
	v_xor_b32_e32 v32, v33, v32
	s_delay_alu instid0(VALU_DEP_1) | instskip(NEXT) | instid1(VALU_DEP_1)
	v_cndmask_b32_e32 v32, 0xffff, v32, vcc_lo
	v_and_b32_e32 v32, v32, v2
	s_delay_alu instid0(VALU_DEP_1)
	v_cmp_eq_u32_e32 vcc_lo, v32, v1
	s_and_b32 exec_lo, exec_lo, vcc_lo
	s_cbranch_execz .LBB108_168
; %bb.173:                              ;   in Loop: Header=BB108_169 Depth=2
	v_perm_b32 v4, v4, s60, 0x5040100
	ds_store_b32 v9, v4 offset:3072
	s_branch .LBB108_168
.LBB108_174:                            ;   in Loop: Header=BB108_6 Depth=1
	s_or_b32 exec_lo, exec_lo, s79
	v_lshrrev_b32_e32 v3, 16, v4
	s_and_b32 s11, s80, exec_lo
.LBB108_175:                            ;   in Loop: Header=BB108_6 Depth=1
	s_or_b32 exec_lo, exec_lo, s78
	s_mov_b32 s80, -1
	s_mov_b32 s78, 0
	s_mov_b32 s79, 0
.LBB108_176:                            ;   in Loop: Header=BB108_6 Depth=1
	s_or_not1_b32 s11, s11, exec_lo
.LBB108_177:                            ;   in Loop: Header=BB108_6 Depth=1
	s_or_b32 exec_lo, exec_lo, s81
	s_mov_b32 s83, 0
                                        ; implicit-def: $vgpr8
	s_and_saveexec_b32 s81, s11
	s_cbranch_execz .LBB108_230
; %bb.178:                              ;   in Loop: Header=BB108_6 Depth=1
	v_mov_b32_e32 v4, 1
	v_mov_b32_e32 v8, 1
	s_xor_b32 s82, s82, -1
	s_mov_b32 s84, 0
	s_and_saveexec_b32 s11, s82
	s_cbranch_execz .LBB108_188
; %bb.179:                              ;   in Loop: Header=BB108_6 Depth=1
	s_mov_b32 s83, exec_lo
                                        ; implicit-def: $sgpr84
                                        ; implicit-def: $sgpr82
	v_cmpx_ge_u32_e64 s18, v31
	s_xor_b32 s83, exec_lo, s83
	s_cbranch_execz .LBB108_185
; %bb.180:                              ;   in Loop: Header=BB108_6 Depth=1
	ds_load_b32 v4, v9 offset:4096
	s_waitcnt lgkmcnt(0)
	v_cmp_ne_u32_e32 vcc_lo, 0, v4
	s_cbranch_vccnz .LBB108_184
; %bb.181:                              ;   in Loop: Header=BB108_6 Depth=1
	s_and_saveexec_b32 s82, s5
	s_cbranch_execz .LBB108_183
; %bb.182:                              ;   in Loop: Header=BB108_6 Depth=1
	v_mov_b32_e32 v4, s18
	ds_store_b32 v9, v4 offset:4100
.LBB108_183:                            ;   in Loop: Header=BB108_6 Depth=1
	s_or_b32 exec_lo, exec_lo, s82
	s_waitcnt lgkmcnt(0)
	s_barrier
	buffer_gl0_inv
.LBB108_184:                            ;   in Loop: Header=BB108_6 Depth=1
	s_lshl_b32 s82, 2, s17
	v_or_b32_e32 v2, s13, v2
	v_and_or_b32 v1, v1, s14, s82
	s_mov_b32 s82, 0
	s_mov_b32 s84, 8
.LBB108_185:                            ;   in Loop: Header=BB108_6 Depth=1
	s_or_saveexec_b32 s83, s83
	v_mov_b32_e32 v8, s84
	s_xor_b32 exec_lo, exec_lo, s83
; %bb.186:                              ;   in Loop: Header=BB108_6 Depth=1
	v_subrev_nc_u32_e32 v31, s18, v31
	v_mov_b32_e32 v8, 0
	s_or_b32 s82, s82, exec_lo
; %bb.187:                              ;   in Loop: Header=BB108_6 Depth=1
	s_or_b32 exec_lo, exec_lo, s83
	s_delay_alu instid0(VALU_DEP_2)
	v_mov_b32_e32 v4, v31
	s_and_b32 s84, s82, exec_lo
.LBB108_188:                            ;   in Loop: Header=BB108_6 Depth=1
	s_or_b32 exec_lo, exec_lo, s11
	s_mov_b32 s83, -1
                                        ; implicit-def: $sgpr11
                                        ; implicit-def: $sgpr86
                                        ; implicit-def: $sgpr85
	s_and_saveexec_b32 s82, s84
	s_cbranch_execz .LBB108_229
; %bb.189:                              ;   in Loop: Header=BB108_6 Depth=1
	v_cmp_eq_u32_e32 vcc_lo, 1, v4
	s_cmp_eq_u32 s19, 1
	s_mov_b32 s87, -1
	s_cselect_b32 s11, -1, 0
                                        ; implicit-def: $sgpr86
                                        ; implicit-def: $sgpr85
	s_delay_alu instid0(SALU_CYCLE_1) | instskip(NEXT) | instid1(SALU_CYCLE_1)
	s_and_b32 s83, s11, vcc_lo
                                        ; implicit-def: $sgpr11
	s_and_saveexec_b32 s84, s83
	s_cbranch_execz .LBB108_216
; %bb.190:                              ;   in Loop: Header=BB108_6 Depth=1
	ds_load_b32 v3, v9 offset:4096
	s_waitcnt lgkmcnt(0)
	s_barrier
	buffer_gl0_inv
	v_readfirstlane_b32 s85, v3
	s_and_saveexec_b32 s11, s6
	s_cbranch_execz .LBB108_192
; %bb.191:                              ;   in Loop: Header=BB108_6 Depth=1
	ds_store_b16 v19, v9
.LBB108_192:                            ;   in Loop: Header=BB108_6 Depth=1
	s_or_b32 exec_lo, exec_lo, s11
	v_or_b32_e32 v1, s13, v1
	v_or_b32_e32 v2, s13, v2
	s_cmp_eq_u32 s85, 0
	s_waitcnt lgkmcnt(0)
	s_barrier
	buffer_gl0_inv
	s_cbranch_scc1 .LBB108_201
; %bb.193:                              ;   in Loop: Header=BB108_6 Depth=1
	s_add_i32 s11, s85, s47
	s_mov_b32 s88, 0
	s_mul_hi_u32 s86, s11, s54
                                        ; implicit-def: $vgpr3
	s_delay_alu instid0(SALU_CYCLE_1) | instskip(NEXT) | instid1(SALU_CYCLE_1)
	s_mul_i32 s86, s86, s36
	s_sub_i32 s86, s11, s86
	s_delay_alu instid0(SALU_CYCLE_1) | instskip(SKIP_2) | instid1(SALU_CYCLE_1)
	s_sub_i32 s87, s86, s36
	s_cmp_ge_u32 s86, s36
	s_cselect_b32 s86, s87, s86
	s_sub_i32 s87, s86, s36
	s_cmp_ge_u32 s86, s36
	s_cselect_b32 s86, s87, s86
	s_delay_alu instid0(SALU_CYCLE_1)
	s_sub_i32 s87, s11, s86
	s_mov_b32 s86, exec_lo
	v_cmpx_gt_u32_e64 s87, v0
	s_cbranch_execz .LBB108_203
; %bb.194:                              ;   in Loop: Header=BB108_6 Depth=1
	v_dual_mov_b32 v3, v17 :: v_dual_mov_b32 v8, v0
                                        ; implicit-def: $sgpr89
	s_branch .LBB108_196
.LBB108_195:                            ;   in Loop: Header=BB108_196 Depth=2
	s_or_b32 exec_lo, exec_lo, s11
	s_waitcnt lgkmcnt(0)
	s_barrier
	buffer_gl0_inv
	ds_load_b32 v31, v9 offset:3072
	v_add_nc_u32_e32 v8, s36, v8
	v_add_nc_u32_e32 v3, s58, v3
	s_waitcnt lgkmcnt(0)
	s_barrier
	buffer_gl0_inv
	v_cmp_le_u32_e32 vcc_lo, s87, v8
	v_and_b32_e32 v32, 0x7fff, v31
	s_delay_alu instid0(VALU_DEP_1) | instskip(NEXT) | instid1(VALU_DEP_1)
	v_cmp_ne_u16_e64 s11, 0, v32
	s_or_b32 s90, vcc_lo, s11
	s_delay_alu instid0(SALU_CYCLE_1) | instskip(NEXT) | instid1(SALU_CYCLE_1)
	s_and_b32 s90, exec_lo, s90
	s_or_b32 s88, s90, s88
	s_and_not1_b32 s89, s89, exec_lo
	s_and_b32 s11, s11, exec_lo
	s_delay_alu instid0(SALU_CYCLE_1)
	s_or_b32 s89, s89, s11
	s_and_not1_b32 exec_lo, exec_lo, s88
	s_cbranch_execz .LBB108_202
.LBB108_196:                            ;   Parent Loop BB108_6 Depth=1
                                        ; =>  This Inner Loop Header: Depth=2
	s_delay_alu instid0(VALU_DEP_1)
	v_cmp_gt_u32_e32 vcc_lo, s85, v8
	v_mov_b32_e32 v31, 0
	s_and_saveexec_b32 s11, vcc_lo
	s_cbranch_execz .LBB108_198
; %bb.197:                              ;   in Loop: Header=BB108_196 Depth=2
	ds_load_u16 v31, v3
.LBB108_198:                            ;   in Loop: Header=BB108_196 Depth=2
	s_or_b32 exec_lo, exec_lo, s11
	s_and_saveexec_b32 s11, vcc_lo
	s_cbranch_execz .LBB108_195
; %bb.199:                              ;   in Loop: Header=BB108_196 Depth=2
	s_waitcnt lgkmcnt(0)
	v_cmp_lt_i16_e32 vcc_lo, -1, v31
	v_and_b32_e32 v32, 0xffff, v31
	v_dual_cndmask_b32 v33, 0xffff, v26 :: v_dual_lshlrev_b32 v34, 16, v31
	s_delay_alu instid0(VALU_DEP_1) | instskip(NEXT) | instid1(VALU_DEP_2)
	v_cmp_o_f32_e32 vcc_lo, v34, v34
	v_xor_b32_e32 v32, v33, v32
	s_delay_alu instid0(VALU_DEP_1) | instskip(NEXT) | instid1(VALU_DEP_1)
	v_cndmask_b32_e32 v32, 0xffff, v32, vcc_lo
	v_and_b32_e32 v32, v32, v2
	s_delay_alu instid0(VALU_DEP_1)
	v_cmp_eq_u32_e32 vcc_lo, v32, v1
	s_and_b32 exec_lo, exec_lo, vcc_lo
	s_cbranch_execz .LBB108_195
; %bb.200:                              ;   in Loop: Header=BB108_196 Depth=2
	v_perm_b32 v31, v31, s60, 0x5040100
	ds_store_b32 v9, v31 offset:3072
	s_branch .LBB108_195
.LBB108_201:                            ;   in Loop: Header=BB108_6 Depth=1
	s_mov_b32 s11, -1
	s_mov_b32 s88, 0
                                        ; implicit-def: $sgpr85
                                        ; implicit-def: $vgpr3
	s_branch .LBB108_204
.LBB108_202:                            ;   in Loop: Header=BB108_6 Depth=1
	s_or_b32 exec_lo, exec_lo, s88
	v_lshrrev_b32_e32 v3, 16, v31
	s_and_b32 s88, s89, exec_lo
.LBB108_203:                            ;   in Loop: Header=BB108_6 Depth=1
	s_or_b32 exec_lo, exec_lo, s86
	s_mov_b32 s85, -1
	s_mov_b32 s11, 0
.LBB108_204:                            ;   in Loop: Header=BB108_6 Depth=1
	s_delay_alu instid0(SALU_CYCLE_1)
	s_and_b32 vcc_lo, exec_lo, s11
	s_mov_b32 s86, s11
	s_cbranch_vccz .LBB108_215
; %bb.205:                              ;   in Loop: Header=BB108_6 Depth=1
	s_mov_b32 s88, 0
                                        ; implicit-def: $vgpr3
	s_and_saveexec_b32 s85, s9
	s_cbranch_execz .LBB108_214
; %bb.206:                              ;   in Loop: Header=BB108_6 Depth=1
	v_dual_mov_b32 v8, v7 :: v_dual_mov_b32 v3, v0
	s_mov_b32 s86, 0
                                        ; implicit-def: $sgpr87
	s_branch .LBB108_208
.LBB108_207:                            ;   in Loop: Header=BB108_208 Depth=2
	s_or_b32 exec_lo, exec_lo, s11
	s_waitcnt vmcnt(0) lgkmcnt(0)
	s_barrier
	buffer_gl0_inv
	ds_load_b32 v31, v9 offset:3072
	v_add_nc_u32_e32 v3, s36, v3
	v_add_nc_u32_e32 v8, s38, v8
	s_waitcnt lgkmcnt(0)
	s_barrier
	buffer_gl0_inv
	v_cmp_le_u32_e32 vcc_lo, s55, v3
	v_and_b32_e32 v32, 0x7fff, v31
	s_delay_alu instid0(VALU_DEP_1) | instskip(NEXT) | instid1(VALU_DEP_1)
	v_cmp_ne_u16_e64 s11, 0, v32
	s_or_b32 s88, vcc_lo, s11
	s_delay_alu instid0(SALU_CYCLE_1) | instskip(NEXT) | instid1(SALU_CYCLE_1)
	s_and_b32 s88, exec_lo, s88
	s_or_b32 s86, s88, s86
	s_and_not1_b32 s87, s87, exec_lo
	s_and_b32 s11, s11, exec_lo
	s_delay_alu instid0(SALU_CYCLE_1)
	s_or_b32 s87, s87, s11
	s_and_not1_b32 exec_lo, exec_lo, s86
	s_cbranch_execz .LBB108_213
.LBB108_208:                            ;   Parent Loop BB108_6 Depth=1
                                        ; =>  This Inner Loop Header: Depth=2
	s_delay_alu instid0(VALU_DEP_1)
	v_cmp_gt_u32_e32 vcc_lo, s24, v3
	v_mov_b32_e32 v31, 0
	s_and_saveexec_b32 s88, vcc_lo
	s_cbranch_execz .LBB108_210
; %bb.209:                              ;   in Loop: Header=BB108_208 Depth=2
	v_lshlrev_b64 v[31:32], 1, v[8:9]
	s_delay_alu instid0(VALU_DEP_1) | instskip(NEXT) | instid1(VALU_DEP_1)
	v_add_co_u32 v31, s11, s29, v31
	v_add_co_ci_u32_e64 v32, s11, s33, v32, s11
	global_load_u16 v31, v[31:32], off
.LBB108_210:                            ;   in Loop: Header=BB108_208 Depth=2
	s_or_b32 exec_lo, exec_lo, s88
	s_and_saveexec_b32 s11, vcc_lo
	s_cbranch_execz .LBB108_207
; %bb.211:                              ;   in Loop: Header=BB108_208 Depth=2
	s_waitcnt vmcnt(0)
	v_cmp_lt_i16_e32 vcc_lo, -1, v31
	v_and_b32_e32 v32, 0xffff, v31
	v_dual_cndmask_b32 v33, 0xffff, v26 :: v_dual_lshlrev_b32 v34, 16, v31
	s_delay_alu instid0(VALU_DEP_1) | instskip(NEXT) | instid1(VALU_DEP_2)
	v_cmp_o_f32_e32 vcc_lo, v34, v34
	v_xor_b32_e32 v32, v33, v32
	s_delay_alu instid0(VALU_DEP_1) | instskip(NEXT) | instid1(VALU_DEP_1)
	v_cndmask_b32_e32 v32, 0xffff, v32, vcc_lo
	v_and_b32_e32 v32, v32, v2
	s_delay_alu instid0(VALU_DEP_1)
	v_cmp_eq_u32_e32 vcc_lo, v32, v1
	s_and_b32 exec_lo, exec_lo, vcc_lo
	s_cbranch_execz .LBB108_207
; %bb.212:                              ;   in Loop: Header=BB108_208 Depth=2
	v_perm_b32 v31, v31, s60, 0x5040100
	ds_store_b32 v9, v31 offset:3072
	s_branch .LBB108_207
.LBB108_213:                            ;   in Loop: Header=BB108_6 Depth=1
	s_or_b32 exec_lo, exec_lo, s86
	v_lshrrev_b32_e32 v3, 16, v31
	s_and_b32 s88, s87, exec_lo
.LBB108_214:                            ;   in Loop: Header=BB108_6 Depth=1
	s_or_b32 exec_lo, exec_lo, s85
	s_mov_b32 s86, -1
	s_mov_b32 s11, 0
	s_mov_b32 s85, 0
.LBB108_215:                            ;   in Loop: Header=BB108_6 Depth=1
	s_or_not1_b32 s87, s88, exec_lo
.LBB108_216:                            ;   in Loop: Header=BB108_6 Depth=1
	s_or_b32 exec_lo, exec_lo, s84
	s_mov_b32 s88, 0
                                        ; implicit-def: $vgpr8
                                        ; implicit-def: $vgpr31
	s_and_saveexec_b32 s84, s87
	s_cbranch_execz .LBB108_228
; %bb.217:                              ;   in Loop: Header=BB108_6 Depth=1
	v_dual_mov_b32 v8, 1 :: v_dual_mov_b32 v31, 1
	s_xor_b32 s87, s83, -1
	s_delay_alu instid0(SALU_CYCLE_1)
	s_and_saveexec_b32 s83, s87
	s_cbranch_execz .LBB108_227
; %bb.218:                              ;   in Loop: Header=BB108_6 Depth=1
	s_mov_b32 s87, exec_lo
                                        ; implicit-def: $sgpr88
	v_cmpx_ge_u32_e64 s19, v4
	s_xor_b32 s87, exec_lo, s87
	s_cbranch_execz .LBB108_224
; %bb.219:                              ;   in Loop: Header=BB108_6 Depth=1
	ds_load_b32 v8, v9 offset:4096
	s_waitcnt lgkmcnt(0)
	v_cmp_ne_u32_e32 vcc_lo, 0, v8
	s_cbranch_vccnz .LBB108_223
; %bb.220:                              ;   in Loop: Header=BB108_6 Depth=1
	s_and_saveexec_b32 s88, s5
	s_cbranch_execz .LBB108_222
; %bb.221:                              ;   in Loop: Header=BB108_6 Depth=1
	v_mov_b32_e32 v8, s19
	ds_store_b32 v9, v8 offset:4100
.LBB108_222:                            ;   in Loop: Header=BB108_6 Depth=1
	s_or_b32 exec_lo, exec_lo, s88
	s_waitcnt lgkmcnt(0)
	s_barrier
	buffer_gl0_inv
.LBB108_223:                            ;   in Loop: Header=BB108_6 Depth=1
	v_or_b32_e32 v1, s13, v1
	v_or_b32_e32 v2, s13, v2
	s_mov_b32 s88, 8
.LBB108_224:                            ;   in Loop: Header=BB108_6 Depth=1
	s_or_saveexec_b32 s87, s87
	v_mov_b32_e32 v8, s88
	s_xor_b32 exec_lo, exec_lo, s87
; %bb.225:                              ;   in Loop: Header=BB108_6 Depth=1
	v_subrev_nc_u32_e32 v4, s19, v4
	v_mov_b32_e32 v8, 8
; %bb.226:                              ;   in Loop: Header=BB108_6 Depth=1
	s_or_b32 exec_lo, exec_lo, s87
	s_delay_alu instid0(VALU_DEP_2)
	v_mov_b32_e32 v31, v4
.LBB108_227:                            ;   in Loop: Header=BB108_6 Depth=1
	s_or_b32 exec_lo, exec_lo, s83
	s_delay_alu instid0(SALU_CYCLE_1)
	s_mov_b32 s88, exec_lo
.LBB108_228:                            ;   in Loop: Header=BB108_6 Depth=1
	s_or_b32 exec_lo, exec_lo, s84
	s_delay_alu instid0(VALU_DEP_1)
	v_mov_b32_e32 v4, v31
	s_or_not1_b32 s83, s88, exec_lo
.LBB108_229:                            ;   in Loop: Header=BB108_6 Depth=1
	s_or_b32 exec_lo, exec_lo, s82
	s_delay_alu instid0(SALU_CYCLE_1)
	s_and_not1_b32 s78, s78, exec_lo
	s_and_b32 s11, s11, exec_lo
	v_mov_b32_e32 v31, v4
	s_or_b32 s78, s78, s11
	s_and_not1_b32 s11, s80, exec_lo
	s_and_b32 s80, s86, exec_lo
	s_and_not1_b32 s79, s79, exec_lo
	s_and_b32 s82, s85, exec_lo
	s_or_b32 s80, s11, s80
	s_or_b32 s79, s79, s82
	s_and_b32 s83, s83, exec_lo
.LBB108_230:                            ;   in Loop: Header=BB108_6 Depth=1
	s_or_b32 exec_lo, exec_lo, s81
	s_delay_alu instid0(SALU_CYCLE_1)
	s_and_b32 s81, s78, exec_lo
	s_and_b32 s80, s80, exec_lo
	;; [unrolled: 1-line block ×3, first 2 shown]
	s_or_not1_b32 s11, s83, exec_lo
.LBB108_231:                            ;   in Loop: Header=BB108_6 Depth=1
	s_or_b32 exec_lo, exec_lo, s77
	s_delay_alu instid0(SALU_CYCLE_1)
	s_and_not1_b32 s73, s73, exec_lo
	s_and_b32 s77, s81, exec_lo
	v_mov_b32_e32 v4, v31
	s_or_b32 s73, s73, s77
	s_and_not1_b32 s75, s75, exec_lo
	s_and_b32 s77, s80, exec_lo
	s_and_not1_b32 s74, s74, exec_lo
	s_and_b32 s78, s78, exec_lo
	s_or_b32 s75, s75, s77
	s_or_b32 s74, s74, s78
	s_and_b32 s78, s11, exec_lo
.LBB108_232:                            ;   in Loop: Header=BB108_6 Depth=1
	s_or_b32 exec_lo, exec_lo, s76
	s_delay_alu instid0(SALU_CYCLE_1)
	s_and_b32 s76, s73, exec_lo
	s_and_b32 s75, s75, exec_lo
	;; [unrolled: 1-line block ×3, first 2 shown]
	s_or_not1_b32 s11, s78, exec_lo
.LBB108_233:                            ;   in Loop: Header=BB108_6 Depth=1
	s_or_b32 exec_lo, exec_lo, s20
	s_mov_b32 s20, 0
	s_mov_b32 s74, 0
	s_and_saveexec_b32 s77, s11
	s_delay_alu instid0(SALU_CYCLE_1)
	s_xor_b32 s77, exec_lo, s77
; %bb.234:                              ;   in Loop: Header=BB108_6 Depth=1
	v_cmp_ne_u32_e32 vcc_lo, 8, v8
	v_cmp_eq_u32_e64 s11, 8, v8
	s_and_not1_b32 s76, s76, exec_lo
	s_and_not1_b32 s75, s75, exec_lo
	;; [unrolled: 1-line block ×3, first 2 shown]
	s_and_b32 s74, vcc_lo, exec_lo
	s_and_b32 s20, s11, exec_lo
; %bb.235:                              ;   in Loop: Header=BB108_6 Depth=1
	s_or_b32 exec_lo, exec_lo, s77
	s_delay_alu instid0(SALU_CYCLE_1)
	s_and_not1_b32 s11, s15, exec_lo
	s_and_b32 s15, s76, exec_lo
	s_and_not1_b32 s21, s21, exec_lo
	s_or_b32 s15, s11, s15
	s_and_not1_b32 s11, s22, exec_lo
	s_and_b32 s22, s75, exec_lo
	s_and_b32 s73, s73, exec_lo
	s_or_b32 s22, s11, s22
	s_or_b32 s21, s21, s73
	s_and_b32 s11, s74, exec_lo
	s_and_b32 s20, s20, exec_lo
.LBB108_236:                            ;   in Loop: Header=BB108_6 Depth=1
	s_or_b32 exec_lo, exec_lo, s72
	s_delay_alu instid0(SALU_CYCLE_1)
	s_and_b32 vcc_lo, exec_lo, s23
	s_cbranch_vccz .LBB108_83
.LBB108_237:                            ;   in Loop: Header=BB108_6 Depth=1
	s_cmp_eq_u32 s19, 1
                                        ; implicit-def: $sgpr23
                                        ; implicit-def: $sgpr72
	s_cselect_b32 s15, -1, 0
	s_delay_alu instid0(SALU_CYCLE_1)
	s_and_b32 s22, s15, s10
	s_mov_b32 s10, -1
                                        ; implicit-def: $sgpr15
	s_and_saveexec_b32 s21, s22
	s_cbranch_execz .LBB108_263
; %bb.238:                              ;   in Loop: Header=BB108_6 Depth=1
	ds_load_b32 v1, v9 offset:4096
	s_waitcnt lgkmcnt(0)
	s_barrier
	buffer_gl0_inv
	v_readfirstlane_b32 s15, v1
	s_and_saveexec_b32 s10, s6
	s_cbranch_execz .LBB108_240
; %bb.239:                              ;   in Loop: Header=BB108_6 Depth=1
	ds_store_b16 v19, v9
.LBB108_240:                            ;   in Loop: Header=BB108_6 Depth=1
	s_or_b32 exec_lo, exec_lo, s10
	v_or_b32_e32 v28, s13, v28
	v_or_b32_e32 v27, s13, v27
	s_cmp_eq_u32 s15, 0
	s_waitcnt lgkmcnt(0)
	s_barrier
	buffer_gl0_inv
	s_cbranch_scc1 .LBB108_249
; %bb.241:                              ;   in Loop: Header=BB108_6 Depth=1
	s_add_i32 s10, s15, s47
                                        ; implicit-def: $vgpr29
	s_delay_alu instid0(SALU_CYCLE_1) | instskip(NEXT) | instid1(SALU_CYCLE_1)
	s_mul_hi_u32 s23, s10, s54
	s_mul_i32 s23, s23, s36
	s_delay_alu instid0(SALU_CYCLE_1) | instskip(NEXT) | instid1(SALU_CYCLE_1)
	s_sub_i32 s23, s10, s23
	s_sub_i32 s72, s23, s36
	s_cmp_ge_u32 s23, s36
	s_cselect_b32 s23, s72, s23
	s_delay_alu instid0(SALU_CYCLE_1) | instskip(SKIP_2) | instid1(SALU_CYCLE_1)
	s_sub_i32 s72, s23, s36
	s_cmp_ge_u32 s23, s36
	s_cselect_b32 s23, s72, s23
	s_sub_i32 s72, s10, s23
	s_mov_b32 s10, 0
	s_mov_b32 s23, exec_lo
	v_cmpx_gt_u32_e64 s72, v0
	s_cbranch_execz .LBB108_251
; %bb.242:                              ;   in Loop: Header=BB108_6 Depth=1
	v_dual_mov_b32 v1, v17 :: v_dual_mov_b32 v2, v0
	s_mov_b32 s73, 0
                                        ; implicit-def: $sgpr74
	s_branch .LBB108_244
.LBB108_243:                            ;   in Loop: Header=BB108_244 Depth=2
	s_or_b32 exec_lo, exec_lo, s10
	s_waitcnt lgkmcnt(0)
	s_barrier
	buffer_gl0_inv
	ds_load_b32 v3, v9 offset:3072
	v_add_nc_u32_e32 v2, s36, v2
	v_add_nc_u32_e32 v1, s58, v1
	s_waitcnt lgkmcnt(0)
	s_barrier
	buffer_gl0_inv
	v_cmp_le_u32_e32 vcc_lo, s72, v2
	v_and_b32_e32 v4, 0x7fff, v3
	s_delay_alu instid0(VALU_DEP_1) | instskip(NEXT) | instid1(VALU_DEP_1)
	v_cmp_ne_u16_e64 s10, 0, v4
	s_or_b32 s75, vcc_lo, s10
	s_delay_alu instid0(SALU_CYCLE_1) | instskip(NEXT) | instid1(SALU_CYCLE_1)
	s_and_b32 s75, exec_lo, s75
	s_or_b32 s73, s75, s73
	s_and_not1_b32 s74, s74, exec_lo
	s_and_b32 s10, s10, exec_lo
	s_delay_alu instid0(SALU_CYCLE_1)
	s_or_b32 s74, s74, s10
	s_and_not1_b32 exec_lo, exec_lo, s73
	s_cbranch_execz .LBB108_250
.LBB108_244:                            ;   Parent Loop BB108_6 Depth=1
                                        ; =>  This Inner Loop Header: Depth=2
	s_delay_alu instid0(VALU_DEP_1)
	v_cmp_gt_u32_e32 vcc_lo, s15, v2
	v_mov_b32_e32 v3, 0
	s_and_saveexec_b32 s10, vcc_lo
	s_cbranch_execz .LBB108_246
; %bb.245:                              ;   in Loop: Header=BB108_244 Depth=2
	ds_load_u16 v3, v1
.LBB108_246:                            ;   in Loop: Header=BB108_244 Depth=2
	s_or_b32 exec_lo, exec_lo, s10
	s_and_saveexec_b32 s10, vcc_lo
	s_cbranch_execz .LBB108_243
; %bb.247:                              ;   in Loop: Header=BB108_244 Depth=2
	s_waitcnt lgkmcnt(0)
	v_cmp_lt_i16_e32 vcc_lo, -1, v3
	v_and_b32_e32 v4, 0xffff, v3
	v_dual_cndmask_b32 v8, 0xffff, v26 :: v_dual_lshlrev_b32 v29, 16, v3
	s_delay_alu instid0(VALU_DEP_1) | instskip(NEXT) | instid1(VALU_DEP_2)
	v_cmp_o_f32_e32 vcc_lo, v29, v29
	v_xor_b32_e32 v4, v8, v4
	s_delay_alu instid0(VALU_DEP_1) | instskip(NEXT) | instid1(VALU_DEP_1)
	v_cndmask_b32_e32 v4, 0xffff, v4, vcc_lo
	v_and_b32_e32 v4, v4, v27
	s_delay_alu instid0(VALU_DEP_1)
	v_cmp_eq_u32_e32 vcc_lo, v4, v28
	s_and_b32 exec_lo, exec_lo, vcc_lo
	s_cbranch_execz .LBB108_243
; %bb.248:                              ;   in Loop: Header=BB108_244 Depth=2
	v_perm_b32 v3, v3, s60, 0x5040100
	ds_store_b32 v9, v3 offset:3072
	s_branch .LBB108_243
.LBB108_249:                            ;   in Loop: Header=BB108_6 Depth=1
	s_mov_b32 s23, -1
	s_mov_b32 s10, 0
                                        ; implicit-def: $sgpr72
                                        ; implicit-def: $vgpr29
	s_mov_b32 s15, s23
	s_cbranch_execnz .LBB108_252
	s_branch .LBB108_262
.LBB108_250:                            ;   in Loop: Header=BB108_6 Depth=1
	s_or_b32 exec_lo, exec_lo, s73
	v_lshrrev_b32_e32 v29, 16, v3
	s_and_b32 s10, s74, exec_lo
.LBB108_251:                            ;   in Loop: Header=BB108_6 Depth=1
	s_or_b32 exec_lo, exec_lo, s23
	s_mov_b32 s23, 0
	s_mov_b32 s72, -1
	s_mov_b32 s15, s23
	s_branch .LBB108_262
.LBB108_252:                            ;   in Loop: Header=BB108_6 Depth=1
	s_mov_b32 s10, 0
                                        ; implicit-def: $vgpr29
	s_and_saveexec_b32 s15, s9
	s_cbranch_execz .LBB108_261
; %bb.253:                              ;   in Loop: Header=BB108_6 Depth=1
	v_dual_mov_b32 v8, v7 :: v_dual_mov_b32 v1, v0
	s_mov_b32 s23, 0
                                        ; implicit-def: $sgpr72
	s_branch .LBB108_255
.LBB108_254:                            ;   in Loop: Header=BB108_255 Depth=2
	s_or_b32 exec_lo, exec_lo, s10
	s_waitcnt vmcnt(0) lgkmcnt(0)
	s_barrier
	buffer_gl0_inv
	ds_load_b32 v2, v9 offset:3072
	v_add_nc_u32_e32 v1, s36, v1
	v_add_nc_u32_e32 v8, s38, v8
	s_waitcnt lgkmcnt(0)
	s_barrier
	buffer_gl0_inv
	v_cmp_le_u32_e32 vcc_lo, s55, v1
	v_and_b32_e32 v3, 0x7fff, v2
	s_delay_alu instid0(VALU_DEP_1) | instskip(NEXT) | instid1(VALU_DEP_1)
	v_cmp_ne_u16_e64 s10, 0, v3
	s_or_b32 s73, vcc_lo, s10
	s_delay_alu instid0(SALU_CYCLE_1) | instskip(NEXT) | instid1(SALU_CYCLE_1)
	s_and_b32 s73, exec_lo, s73
	s_or_b32 s23, s73, s23
	s_and_not1_b32 s72, s72, exec_lo
	s_and_b32 s10, s10, exec_lo
	s_delay_alu instid0(SALU_CYCLE_1)
	s_or_b32 s72, s72, s10
	s_and_not1_b32 exec_lo, exec_lo, s23
	s_cbranch_execz .LBB108_260
.LBB108_255:                            ;   Parent Loop BB108_6 Depth=1
                                        ; =>  This Inner Loop Header: Depth=2
	s_delay_alu instid0(VALU_DEP_1)
	v_cmp_gt_u32_e32 vcc_lo, s24, v1
	v_mov_b32_e32 v2, 0
	s_and_saveexec_b32 s73, vcc_lo
	s_cbranch_execz .LBB108_257
; %bb.256:                              ;   in Loop: Header=BB108_255 Depth=2
	v_lshlrev_b64 v[2:3], 1, v[8:9]
	s_delay_alu instid0(VALU_DEP_1) | instskip(NEXT) | instid1(VALU_DEP_1)
	v_add_co_u32 v2, s10, s29, v2
	v_add_co_ci_u32_e64 v3, s10, s33, v3, s10
	global_load_u16 v2, v[2:3], off
.LBB108_257:                            ;   in Loop: Header=BB108_255 Depth=2
	s_or_b32 exec_lo, exec_lo, s73
	s_and_saveexec_b32 s10, vcc_lo
	s_cbranch_execz .LBB108_254
; %bb.258:                              ;   in Loop: Header=BB108_255 Depth=2
	s_waitcnt vmcnt(0)
	v_cmp_lt_i16_e32 vcc_lo, -1, v2
	v_and_b32_e32 v3, 0xffff, v2
	v_lshlrev_b32_e32 v29, 16, v2
	v_cndmask_b32_e32 v4, 0xffff, v26, vcc_lo
	s_delay_alu instid0(VALU_DEP_2) | instskip(NEXT) | instid1(VALU_DEP_2)
	v_cmp_o_f32_e32 vcc_lo, v29, v29
	v_xor_b32_e32 v3, v4, v3
	s_delay_alu instid0(VALU_DEP_1) | instskip(NEXT) | instid1(VALU_DEP_1)
	v_cndmask_b32_e32 v3, 0xffff, v3, vcc_lo
	v_and_b32_e32 v3, v3, v27
	s_delay_alu instid0(VALU_DEP_1)
	v_cmp_eq_u32_e32 vcc_lo, v3, v28
	s_and_b32 exec_lo, exec_lo, vcc_lo
	s_cbranch_execz .LBB108_254
; %bb.259:                              ;   in Loop: Header=BB108_255 Depth=2
	v_perm_b32 v2, v2, s60, 0x5040100
	ds_store_b32 v9, v2 offset:3072
	s_branch .LBB108_254
.LBB108_260:                            ;   in Loop: Header=BB108_6 Depth=1
	s_or_b32 exec_lo, exec_lo, s23
	v_lshrrev_b32_e32 v29, 16, v2
	s_and_b32 s10, s72, exec_lo
.LBB108_261:                            ;   in Loop: Header=BB108_6 Depth=1
	s_or_b32 exec_lo, exec_lo, s15
	s_mov_b32 s72, 0
	s_mov_b32 s23, -1
	s_mov_b32 s15, 0
.LBB108_262:                            ;   in Loop: Header=BB108_6 Depth=1
	s_or_not1_b32 s10, s10, exec_lo
.LBB108_263:                            ;   in Loop: Header=BB108_6 Depth=1
	s_or_b32 exec_lo, exec_lo, s21
                                        ; implicit-def: $vgpr8
                                        ; implicit-def: $vgpr4
                                        ; implicit-def: $vgpr1
                                        ; implicit-def: $vgpr2
                                        ; implicit-def: $vgpr3
	s_and_saveexec_b32 s21, s10
	s_cbranch_execz .LBB108_398
; %bb.264:                              ;   in Loop: Header=BB108_6 Depth=1
	v_mov_b32_e32 v4, 1
	v_mov_b32_e32 v8, 1
	s_xor_b32 s22, s22, -1
	s_mov_b32 s76, 0
	s_and_saveexec_b32 s10, s22
	s_cbranch_execz .LBB108_274
; %bb.265:                              ;   in Loop: Header=BB108_6 Depth=1
	s_mov_b32 s73, exec_lo
                                        ; implicit-def: $sgpr74
                                        ; implicit-def: $sgpr22
	v_cmpx_ge_u32_e64 s19, v30
	s_xor_b32 s73, exec_lo, s73
	s_cbranch_execz .LBB108_271
; %bb.266:                              ;   in Loop: Header=BB108_6 Depth=1
	ds_load_b32 v1, v9 offset:4096
	s_waitcnt lgkmcnt(0)
	v_cmp_ne_u32_e32 vcc_lo, 0, v1
	s_cbranch_vccnz .LBB108_270
; %bb.267:                              ;   in Loop: Header=BB108_6 Depth=1
	s_and_saveexec_b32 s22, s5
	s_cbranch_execz .LBB108_269
; %bb.268:                              ;   in Loop: Header=BB108_6 Depth=1
	v_mov_b32_e32 v1, s19
	ds_store_b32 v9, v1 offset:4100
.LBB108_269:                            ;   in Loop: Header=BB108_6 Depth=1
	s_or_b32 exec_lo, exec_lo, s22
	s_waitcnt lgkmcnt(0)
	s_barrier
	buffer_gl0_inv
.LBB108_270:                            ;   in Loop: Header=BB108_6 Depth=1
	v_or_b32_e32 v28, s13, v28
	v_or_b32_e32 v27, s13, v27
	s_mov_b32 s22, 0
	s_mov_b32 s74, 5
.LBB108_271:                            ;   in Loop: Header=BB108_6 Depth=1
	s_or_saveexec_b32 s73, s73
	v_mov_b32_e32 v8, s74
	s_xor_b32 exec_lo, exec_lo, s73
; %bb.272:                              ;   in Loop: Header=BB108_6 Depth=1
	v_subrev_nc_u32_e32 v30, s19, v30
	v_mov_b32_e32 v8, 0
	s_or_b32 s22, s22, exec_lo
; %bb.273:                              ;   in Loop: Header=BB108_6 Depth=1
	s_or_b32 exec_lo, exec_lo, s73
	s_delay_alu instid0(VALU_DEP_2)
	v_mov_b32_e32 v4, v30
	s_and_b32 s76, s22, exec_lo
.LBB108_274:                            ;   in Loop: Header=BB108_6 Depth=1
	s_or_b32 exec_lo, exec_lo, s10
	s_mov_b32 s74, -1
                                        ; implicit-def: $sgpr22
                                        ; implicit-def: $sgpr73
                                        ; implicit-def: $sgpr75
	s_and_saveexec_b32 s10, s76
	s_delay_alu instid0(SALU_CYCLE_1)
	s_xor_b32 s19, exec_lo, s10
	s_cbranch_execz .LBB108_395
; %bb.275:                              ;   in Loop: Header=BB108_6 Depth=1
	v_cmp_eq_u32_e32 vcc_lo, 1, v4
	s_cmp_eq_u32 s18, 1
                                        ; implicit-def: $sgpr22
                                        ; implicit-def: $sgpr73
                                        ; implicit-def: $sgpr74
	s_cselect_b32 s10, -1, 0
	s_delay_alu instid0(SALU_CYCLE_1)
	s_and_b32 s76, s10, vcc_lo
	s_mov_b32 s10, -1
	s_and_saveexec_b32 s75, s76
	s_cbranch_execz .LBB108_301
; %bb.276:                              ;   in Loop: Header=BB108_6 Depth=1
	ds_load_b32 v1, v9 offset:4096
	s_waitcnt lgkmcnt(0)
	s_barrier
	buffer_gl0_inv
	v_readfirstlane_b32 s22, v1
	s_and_saveexec_b32 s10, s6
	s_cbranch_execz .LBB108_278
; %bb.277:                              ;   in Loop: Header=BB108_6 Depth=1
	ds_store_b16 v19, v9
.LBB108_278:                            ;   in Loop: Header=BB108_6 Depth=1
	s_or_b32 exec_lo, exec_lo, s10
	s_lshl_b32 s10, 2, s17
	v_or_b32_e32 v27, s13, v27
	v_and_or_b32 v28, v28, s14, s10
	s_cmp_eq_u32 s22, 0
	s_waitcnt lgkmcnt(0)
	s_barrier
	buffer_gl0_inv
	s_cbranch_scc1 .LBB108_287
; %bb.279:                              ;   in Loop: Header=BB108_6 Depth=1
	s_add_i32 s10, s22, s47
                                        ; implicit-def: $vgpr29
	s_delay_alu instid0(SALU_CYCLE_1) | instskip(NEXT) | instid1(SALU_CYCLE_1)
	s_mul_hi_u32 s73, s10, s54
	s_mul_i32 s73, s73, s36
	s_delay_alu instid0(SALU_CYCLE_1) | instskip(NEXT) | instid1(SALU_CYCLE_1)
	s_sub_i32 s73, s10, s73
	s_sub_i32 s74, s73, s36
	s_cmp_ge_u32 s73, s36
	s_cselect_b32 s73, s74, s73
	s_delay_alu instid0(SALU_CYCLE_1) | instskip(SKIP_2) | instid1(SALU_CYCLE_1)
	s_sub_i32 s74, s73, s36
	s_cmp_ge_u32 s73, s36
	s_cselect_b32 s73, s74, s73
	s_sub_i32 s74, s10, s73
	s_mov_b32 s10, 0
	s_mov_b32 s73, exec_lo
	v_cmpx_gt_u32_e64 s74, v0
	s_cbranch_execz .LBB108_289
; %bb.280:                              ;   in Loop: Header=BB108_6 Depth=1
	v_dual_mov_b32 v1, v17 :: v_dual_mov_b32 v2, v0
	s_mov_b32 s77, 0
                                        ; implicit-def: $sgpr78
	s_branch .LBB108_282
.LBB108_281:                            ;   in Loop: Header=BB108_282 Depth=2
	s_or_b32 exec_lo, exec_lo, s10
	s_waitcnt lgkmcnt(0)
	s_barrier
	buffer_gl0_inv
	ds_load_b32 v3, v9 offset:3072
	v_add_nc_u32_e32 v2, s36, v2
	v_add_nc_u32_e32 v1, s58, v1
	s_waitcnt lgkmcnt(0)
	s_barrier
	buffer_gl0_inv
	v_cmp_le_u32_e32 vcc_lo, s74, v2
	v_and_b32_e32 v8, 0x7fff, v3
	s_delay_alu instid0(VALU_DEP_1) | instskip(NEXT) | instid1(VALU_DEP_1)
	v_cmp_ne_u16_e64 s10, 0, v8
	s_or_b32 s79, vcc_lo, s10
	s_delay_alu instid0(SALU_CYCLE_1) | instskip(NEXT) | instid1(SALU_CYCLE_1)
	s_and_b32 s79, exec_lo, s79
	s_or_b32 s77, s79, s77
	s_and_not1_b32 s78, s78, exec_lo
	s_and_b32 s10, s10, exec_lo
	s_delay_alu instid0(SALU_CYCLE_1)
	s_or_b32 s78, s78, s10
	s_and_not1_b32 exec_lo, exec_lo, s77
	s_cbranch_execz .LBB108_288
.LBB108_282:                            ;   Parent Loop BB108_6 Depth=1
                                        ; =>  This Inner Loop Header: Depth=2
	s_delay_alu instid0(VALU_DEP_1)
	v_cmp_gt_u32_e32 vcc_lo, s22, v2
	v_mov_b32_e32 v3, 0
	s_and_saveexec_b32 s10, vcc_lo
	s_cbranch_execz .LBB108_284
; %bb.283:                              ;   in Loop: Header=BB108_282 Depth=2
	ds_load_u16 v3, v1
.LBB108_284:                            ;   in Loop: Header=BB108_282 Depth=2
	s_or_b32 exec_lo, exec_lo, s10
	s_and_saveexec_b32 s10, vcc_lo
	s_cbranch_execz .LBB108_281
; %bb.285:                              ;   in Loop: Header=BB108_282 Depth=2
	s_waitcnt lgkmcnt(0)
	v_cmp_lt_i16_e32 vcc_lo, -1, v3
	v_and_b32_e32 v8, 0xffff, v3
	v_dual_cndmask_b32 v29, 0xffff, v26 :: v_dual_lshlrev_b32 v30, 16, v3
	s_delay_alu instid0(VALU_DEP_1) | instskip(NEXT) | instid1(VALU_DEP_2)
	v_cmp_o_f32_e32 vcc_lo, v30, v30
	v_xor_b32_e32 v8, v29, v8
	s_delay_alu instid0(VALU_DEP_1) | instskip(NEXT) | instid1(VALU_DEP_1)
	v_cndmask_b32_e32 v8, 0xffff, v8, vcc_lo
	v_and_b32_e32 v8, v8, v27
	s_delay_alu instid0(VALU_DEP_1)
	v_cmp_eq_u32_e32 vcc_lo, v8, v28
	s_and_b32 exec_lo, exec_lo, vcc_lo
	s_cbranch_execz .LBB108_281
; %bb.286:                              ;   in Loop: Header=BB108_282 Depth=2
	v_perm_b32 v3, v3, s60, 0x5040100
	ds_store_b32 v9, v3 offset:3072
	s_branch .LBB108_281
.LBB108_287:                            ;   in Loop: Header=BB108_6 Depth=1
	s_mov_b32 s22, -1
	s_mov_b32 s10, 0
                                        ; implicit-def: $sgpr73
                                        ; implicit-def: $vgpr29
	s_mov_b32 s74, s22
	s_cbranch_execnz .LBB108_290
	s_branch .LBB108_300
.LBB108_288:                            ;   in Loop: Header=BB108_6 Depth=1
	s_or_b32 exec_lo, exec_lo, s77
	v_lshrrev_b32_e32 v29, 16, v3
	s_and_b32 s10, s78, exec_lo
.LBB108_289:                            ;   in Loop: Header=BB108_6 Depth=1
	s_or_b32 exec_lo, exec_lo, s73
	s_mov_b32 s22, 0
	s_mov_b32 s73, -1
	s_mov_b32 s74, s22
	s_branch .LBB108_300
.LBB108_290:                            ;   in Loop: Header=BB108_6 Depth=1
	s_mov_b32 s10, 0
                                        ; implicit-def: $vgpr29
	s_and_saveexec_b32 s22, s9
	s_cbranch_execz .LBB108_299
; %bb.291:                              ;   in Loop: Header=BB108_6 Depth=1
	v_dual_mov_b32 v8, v7 :: v_dual_mov_b32 v1, v0
	s_mov_b32 s73, 0
                                        ; implicit-def: $sgpr74
	s_branch .LBB108_293
.LBB108_292:                            ;   in Loop: Header=BB108_293 Depth=2
	s_or_b32 exec_lo, exec_lo, s10
	s_waitcnt vmcnt(0) lgkmcnt(0)
	s_barrier
	buffer_gl0_inv
	ds_load_b32 v2, v9 offset:3072
	v_add_nc_u32_e32 v1, s36, v1
	v_add_nc_u32_e32 v8, s38, v8
	s_waitcnt lgkmcnt(0)
	s_barrier
	buffer_gl0_inv
	v_cmp_le_u32_e32 vcc_lo, s55, v1
	v_and_b32_e32 v3, 0x7fff, v2
	s_delay_alu instid0(VALU_DEP_1) | instskip(NEXT) | instid1(VALU_DEP_1)
	v_cmp_ne_u16_e64 s10, 0, v3
	s_or_b32 s77, vcc_lo, s10
	s_delay_alu instid0(SALU_CYCLE_1) | instskip(NEXT) | instid1(SALU_CYCLE_1)
	s_and_b32 s77, exec_lo, s77
	s_or_b32 s73, s77, s73
	s_and_not1_b32 s74, s74, exec_lo
	s_and_b32 s10, s10, exec_lo
	s_delay_alu instid0(SALU_CYCLE_1)
	s_or_b32 s74, s74, s10
	s_and_not1_b32 exec_lo, exec_lo, s73
	s_cbranch_execz .LBB108_298
.LBB108_293:                            ;   Parent Loop BB108_6 Depth=1
                                        ; =>  This Inner Loop Header: Depth=2
	s_delay_alu instid0(VALU_DEP_1)
	v_cmp_gt_u32_e32 vcc_lo, s24, v1
	v_mov_b32_e32 v2, 0
	s_and_saveexec_b32 s77, vcc_lo
	s_cbranch_execz .LBB108_295
; %bb.294:                              ;   in Loop: Header=BB108_293 Depth=2
	v_lshlrev_b64 v[2:3], 1, v[8:9]
	s_delay_alu instid0(VALU_DEP_1) | instskip(NEXT) | instid1(VALU_DEP_1)
	v_add_co_u32 v2, s10, s29, v2
	v_add_co_ci_u32_e64 v3, s10, s33, v3, s10
	global_load_u16 v2, v[2:3], off
.LBB108_295:                            ;   in Loop: Header=BB108_293 Depth=2
	s_or_b32 exec_lo, exec_lo, s77
	s_and_saveexec_b32 s10, vcc_lo
	s_cbranch_execz .LBB108_292
; %bb.296:                              ;   in Loop: Header=BB108_293 Depth=2
	s_waitcnt vmcnt(0)
	v_cmp_lt_i16_e32 vcc_lo, -1, v2
	v_and_b32_e32 v3, 0xffff, v2
	v_cndmask_b32_e32 v29, 0xffff, v26, vcc_lo
	s_delay_alu instid0(VALU_DEP_1) | instskip(SKIP_1) | instid1(VALU_DEP_1)
	v_xor_b32_e32 v3, v29, v3
	v_lshlrev_b32_e32 v30, 16, v2
	v_cmp_o_f32_e32 vcc_lo, v30, v30
	s_delay_alu instid0(VALU_DEP_3) | instskip(NEXT) | instid1(VALU_DEP_1)
	v_cndmask_b32_e32 v3, 0xffff, v3, vcc_lo
	v_and_b32_e32 v3, v3, v27
	s_delay_alu instid0(VALU_DEP_1)
	v_cmp_eq_u32_e32 vcc_lo, v3, v28
	s_and_b32 exec_lo, exec_lo, vcc_lo
	s_cbranch_execz .LBB108_292
; %bb.297:                              ;   in Loop: Header=BB108_293 Depth=2
	v_perm_b32 v2, v2, s60, 0x5040100
	ds_store_b32 v9, v2 offset:3072
	s_branch .LBB108_292
.LBB108_298:                            ;   in Loop: Header=BB108_6 Depth=1
	s_or_b32 exec_lo, exec_lo, s73
	v_lshrrev_b32_e32 v29, 16, v2
	s_and_b32 s10, s74, exec_lo
.LBB108_299:                            ;   in Loop: Header=BB108_6 Depth=1
	s_or_b32 exec_lo, exec_lo, s22
	s_mov_b32 s73, 0
	s_mov_b32 s22, -1
	s_mov_b32 s74, 0
.LBB108_300:                            ;   in Loop: Header=BB108_6 Depth=1
	s_or_not1_b32 s10, s10, exec_lo
.LBB108_301:                            ;   in Loop: Header=BB108_6 Depth=1
	s_or_b32 exec_lo, exec_lo, s75
	s_mov_b32 s77, 0
                                        ; implicit-def: $vgpr8
	s_and_saveexec_b32 s75, s10
	s_cbranch_execz .LBB108_394
; %bb.302:                              ;   in Loop: Header=BB108_6 Depth=1
	v_dual_mov_b32 v1, 1 :: v_dual_mov_b32 v8, 1
	s_xor_b32 s76, s76, -1
	s_mov_b32 s78, 0
	s_and_saveexec_b32 s10, s76
	s_cbranch_execz .LBB108_312
; %bb.303:                              ;   in Loop: Header=BB108_6 Depth=1
	s_mov_b32 s77, exec_lo
                                        ; implicit-def: $sgpr78
                                        ; implicit-def: $sgpr76
	v_cmpx_ge_u32_e64 s18, v4
	s_xor_b32 s77, exec_lo, s77
	s_cbranch_execz .LBB108_309
; %bb.304:                              ;   in Loop: Header=BB108_6 Depth=1
	ds_load_b32 v1, v9 offset:4096
	s_waitcnt lgkmcnt(0)
	v_cmp_ne_u32_e32 vcc_lo, 0, v1
	s_cbranch_vccnz .LBB108_308
; %bb.305:                              ;   in Loop: Header=BB108_6 Depth=1
	s_and_saveexec_b32 s76, s5
	s_cbranch_execz .LBB108_307
; %bb.306:                              ;   in Loop: Header=BB108_6 Depth=1
	v_mov_b32_e32 v1, s18
	ds_store_b32 v9, v1 offset:4100
.LBB108_307:                            ;   in Loop: Header=BB108_6 Depth=1
	s_or_b32 exec_lo, exec_lo, s76
	s_waitcnt lgkmcnt(0)
	s_barrier
	buffer_gl0_inv
.LBB108_308:                            ;   in Loop: Header=BB108_6 Depth=1
	s_lshl_b32 s76, 2, s17
	v_or_b32_e32 v27, s13, v27
	v_and_or_b32 v28, v28, s14, s76
	s_mov_b32 s76, 0
	s_mov_b32 s78, 5
.LBB108_309:                            ;   in Loop: Header=BB108_6 Depth=1
	s_or_saveexec_b32 s77, s77
	v_mov_b32_e32 v8, s78
	s_xor_b32 exec_lo, exec_lo, s77
; %bb.310:                              ;   in Loop: Header=BB108_6 Depth=1
	v_subrev_nc_u32_e32 v4, s18, v4
	v_mov_b32_e32 v8, 0
	s_or_b32 s76, s76, exec_lo
; %bb.311:                              ;   in Loop: Header=BB108_6 Depth=1
	s_or_b32 exec_lo, exec_lo, s77
	s_delay_alu instid0(VALU_DEP_2)
	v_mov_b32_e32 v1, v4
	s_and_b32 s78, s76, exec_lo
.LBB108_312:                            ;   in Loop: Header=BB108_6 Depth=1
	s_or_b32 exec_lo, exec_lo, s10
	s_mov_b32 s10, -1
                                        ; implicit-def: $sgpr76
                                        ; implicit-def: $sgpr77
                                        ; implicit-def: $sgpr79
	s_and_saveexec_b32 s18, s78
	s_cbranch_execz .LBB108_393
; %bb.313:                              ;   in Loop: Header=BB108_6 Depth=1
	v_cmp_eq_u32_e32 vcc_lo, 1, v1
	s_cmp_eq_u32 s16, 1
                                        ; implicit-def: $sgpr76
                                        ; implicit-def: $sgpr77
                                        ; implicit-def: $sgpr78
	s_cselect_b32 s10, -1, 0
	s_delay_alu instid0(SALU_CYCLE_1)
	s_and_b32 s80, s10, vcc_lo
	s_mov_b32 s10, -1
	s_and_saveexec_b32 s79, s80
	s_cbranch_execz .LBB108_339
; %bb.314:                              ;   in Loop: Header=BB108_6 Depth=1
	ds_load_b32 v2, v9 offset:4096
	s_waitcnt lgkmcnt(0)
	s_barrier
	buffer_gl0_inv
	v_readfirstlane_b32 s76, v2
	s_and_saveexec_b32 s10, s6
	s_cbranch_execz .LBB108_316
; %bb.315:                              ;   in Loop: Header=BB108_6 Depth=1
	ds_store_b16 v19, v9
.LBB108_316:                            ;   in Loop: Header=BB108_6 Depth=1
	s_or_b32 exec_lo, exec_lo, s10
	s_lshl_b32 s10, 1, s17
	v_or_b32_e32 v27, s13, v27
	v_and_or_b32 v28, v28, s14, s10
	s_cmp_eq_u32 s76, 0
	s_waitcnt lgkmcnt(0)
	s_barrier
	buffer_gl0_inv
	s_cbranch_scc1 .LBB108_325
; %bb.317:                              ;   in Loop: Header=BB108_6 Depth=1
	s_add_i32 s10, s76, s47
                                        ; implicit-def: $vgpr29
	s_delay_alu instid0(SALU_CYCLE_1) | instskip(NEXT) | instid1(SALU_CYCLE_1)
	s_mul_hi_u32 s77, s10, s54
	s_mul_i32 s77, s77, s36
	s_delay_alu instid0(SALU_CYCLE_1) | instskip(NEXT) | instid1(SALU_CYCLE_1)
	s_sub_i32 s77, s10, s77
	s_sub_i32 s78, s77, s36
	s_cmp_ge_u32 s77, s36
	s_cselect_b32 s77, s78, s77
	s_delay_alu instid0(SALU_CYCLE_1) | instskip(SKIP_2) | instid1(SALU_CYCLE_1)
	s_sub_i32 s78, s77, s36
	s_cmp_ge_u32 s77, s36
	s_cselect_b32 s77, s78, s77
	s_sub_i32 s78, s10, s77
	s_mov_b32 s10, 0
	s_mov_b32 s77, exec_lo
	v_cmpx_gt_u32_e64 s78, v0
	s_cbranch_execz .LBB108_327
; %bb.318:                              ;   in Loop: Header=BB108_6 Depth=1
	v_dual_mov_b32 v2, v17 :: v_dual_mov_b32 v3, v0
	s_mov_b32 s81, 0
                                        ; implicit-def: $sgpr82
	s_branch .LBB108_320
.LBB108_319:                            ;   in Loop: Header=BB108_320 Depth=2
	s_or_b32 exec_lo, exec_lo, s10
	s_waitcnt lgkmcnt(0)
	s_barrier
	buffer_gl0_inv
	ds_load_b32 v4, v9 offset:3072
	v_add_nc_u32_e32 v3, s36, v3
	v_add_nc_u32_e32 v2, s58, v2
	s_waitcnt lgkmcnt(0)
	s_barrier
	buffer_gl0_inv
	v_cmp_le_u32_e32 vcc_lo, s78, v3
	v_and_b32_e32 v8, 0x7fff, v4
	s_delay_alu instid0(VALU_DEP_1) | instskip(NEXT) | instid1(VALU_DEP_1)
	v_cmp_ne_u16_e64 s10, 0, v8
	s_or_b32 s83, vcc_lo, s10
	s_delay_alu instid0(SALU_CYCLE_1) | instskip(NEXT) | instid1(SALU_CYCLE_1)
	s_and_b32 s83, exec_lo, s83
	s_or_b32 s81, s83, s81
	s_and_not1_b32 s82, s82, exec_lo
	s_and_b32 s10, s10, exec_lo
	s_delay_alu instid0(SALU_CYCLE_1)
	s_or_b32 s82, s82, s10
	s_and_not1_b32 exec_lo, exec_lo, s81
	s_cbranch_execz .LBB108_326
.LBB108_320:                            ;   Parent Loop BB108_6 Depth=1
                                        ; =>  This Inner Loop Header: Depth=2
	s_delay_alu instid0(VALU_DEP_1)
	v_cmp_gt_u32_e32 vcc_lo, s76, v3
	v_mov_b32_e32 v4, 0
	s_and_saveexec_b32 s10, vcc_lo
	s_cbranch_execz .LBB108_322
; %bb.321:                              ;   in Loop: Header=BB108_320 Depth=2
	ds_load_u16 v4, v2
.LBB108_322:                            ;   in Loop: Header=BB108_320 Depth=2
	s_or_b32 exec_lo, exec_lo, s10
	s_and_saveexec_b32 s10, vcc_lo
	s_cbranch_execz .LBB108_319
; %bb.323:                              ;   in Loop: Header=BB108_320 Depth=2
	s_waitcnt lgkmcnt(0)
	v_cmp_lt_i16_e32 vcc_lo, -1, v4
	v_and_b32_e32 v8, 0xffff, v4
	v_dual_cndmask_b32 v29, 0xffff, v26 :: v_dual_lshlrev_b32 v30, 16, v4
	s_delay_alu instid0(VALU_DEP_1) | instskip(NEXT) | instid1(VALU_DEP_2)
	v_cmp_o_f32_e32 vcc_lo, v30, v30
	v_xor_b32_e32 v8, v29, v8
	s_delay_alu instid0(VALU_DEP_1) | instskip(NEXT) | instid1(VALU_DEP_1)
	v_cndmask_b32_e32 v8, 0xffff, v8, vcc_lo
	v_and_b32_e32 v8, v8, v27
	s_delay_alu instid0(VALU_DEP_1)
	v_cmp_eq_u32_e32 vcc_lo, v8, v28
	s_and_b32 exec_lo, exec_lo, vcc_lo
	s_cbranch_execz .LBB108_319
; %bb.324:                              ;   in Loop: Header=BB108_320 Depth=2
	v_perm_b32 v4, v4, s60, 0x5040100
	ds_store_b32 v9, v4 offset:3072
	s_branch .LBB108_319
.LBB108_325:                            ;   in Loop: Header=BB108_6 Depth=1
	s_mov_b32 s76, -1
	s_mov_b32 s10, 0
                                        ; implicit-def: $sgpr77
                                        ; implicit-def: $vgpr29
	s_mov_b32 s78, s76
	s_cbranch_execnz .LBB108_328
	s_branch .LBB108_338
.LBB108_326:                            ;   in Loop: Header=BB108_6 Depth=1
	s_or_b32 exec_lo, exec_lo, s81
	v_lshrrev_b32_e32 v29, 16, v4
	s_and_b32 s10, s82, exec_lo
.LBB108_327:                            ;   in Loop: Header=BB108_6 Depth=1
	s_or_b32 exec_lo, exec_lo, s77
	s_mov_b32 s76, 0
	s_mov_b32 s77, -1
	s_mov_b32 s78, s76
	s_branch .LBB108_338
.LBB108_328:                            ;   in Loop: Header=BB108_6 Depth=1
	s_mov_b32 s10, 0
                                        ; implicit-def: $vgpr29
	s_and_saveexec_b32 s76, s9
	s_cbranch_execz .LBB108_337
; %bb.329:                              ;   in Loop: Header=BB108_6 Depth=1
	v_mov_b32_e32 v8, v7
	v_mov_b32_e32 v2, v0
	s_mov_b32 s77, 0
                                        ; implicit-def: $sgpr78
	s_branch .LBB108_331
.LBB108_330:                            ;   in Loop: Header=BB108_331 Depth=2
	s_or_b32 exec_lo, exec_lo, s10
	s_waitcnt vmcnt(0) lgkmcnt(0)
	s_barrier
	buffer_gl0_inv
	ds_load_b32 v3, v9 offset:3072
	v_add_nc_u32_e32 v2, s36, v2
	v_add_nc_u32_e32 v8, s38, v8
	s_waitcnt lgkmcnt(0)
	s_barrier
	buffer_gl0_inv
	v_cmp_le_u32_e32 vcc_lo, s55, v2
	v_and_b32_e32 v4, 0x7fff, v3
	s_delay_alu instid0(VALU_DEP_1) | instskip(NEXT) | instid1(VALU_DEP_1)
	v_cmp_ne_u16_e64 s10, 0, v4
	s_or_b32 s81, vcc_lo, s10
	s_delay_alu instid0(SALU_CYCLE_1) | instskip(NEXT) | instid1(SALU_CYCLE_1)
	s_and_b32 s81, exec_lo, s81
	s_or_b32 s77, s81, s77
	s_and_not1_b32 s78, s78, exec_lo
	s_and_b32 s10, s10, exec_lo
	s_delay_alu instid0(SALU_CYCLE_1)
	s_or_b32 s78, s78, s10
	s_and_not1_b32 exec_lo, exec_lo, s77
	s_cbranch_execz .LBB108_336
.LBB108_331:                            ;   Parent Loop BB108_6 Depth=1
                                        ; =>  This Inner Loop Header: Depth=2
	s_delay_alu instid0(VALU_DEP_1)
	v_cmp_gt_u32_e32 vcc_lo, s24, v2
	v_mov_b32_e32 v3, 0
	s_and_saveexec_b32 s81, vcc_lo
	s_cbranch_execz .LBB108_333
; %bb.332:                              ;   in Loop: Header=BB108_331 Depth=2
	v_lshlrev_b64 v[3:4], 1, v[8:9]
	s_delay_alu instid0(VALU_DEP_1) | instskip(NEXT) | instid1(VALU_DEP_1)
	v_add_co_u32 v3, s10, s29, v3
	v_add_co_ci_u32_e64 v4, s10, s33, v4, s10
	global_load_u16 v3, v[3:4], off
.LBB108_333:                            ;   in Loop: Header=BB108_331 Depth=2
	s_or_b32 exec_lo, exec_lo, s81
	s_and_saveexec_b32 s10, vcc_lo
	s_cbranch_execz .LBB108_330
; %bb.334:                              ;   in Loop: Header=BB108_331 Depth=2
	s_waitcnt vmcnt(0)
	v_cmp_lt_i16_e32 vcc_lo, -1, v3
	v_and_b32_e32 v4, 0xffff, v3
	v_dual_cndmask_b32 v29, 0xffff, v26 :: v_dual_lshlrev_b32 v30, 16, v3
	s_delay_alu instid0(VALU_DEP_1) | instskip(NEXT) | instid1(VALU_DEP_2)
	v_cmp_o_f32_e32 vcc_lo, v30, v30
	v_xor_b32_e32 v4, v29, v4
	s_delay_alu instid0(VALU_DEP_1) | instskip(NEXT) | instid1(VALU_DEP_1)
	v_cndmask_b32_e32 v4, 0xffff, v4, vcc_lo
	v_and_b32_e32 v4, v4, v27
	s_delay_alu instid0(VALU_DEP_1)
	v_cmp_eq_u32_e32 vcc_lo, v4, v28
	s_and_b32 exec_lo, exec_lo, vcc_lo
	s_cbranch_execz .LBB108_330
; %bb.335:                              ;   in Loop: Header=BB108_331 Depth=2
	v_perm_b32 v3, v3, s60, 0x5040100
	ds_store_b32 v9, v3 offset:3072
	s_branch .LBB108_330
.LBB108_336:                            ;   in Loop: Header=BB108_6 Depth=1
	s_or_b32 exec_lo, exec_lo, s77
	v_lshrrev_b32_e32 v29, 16, v3
	s_and_b32 s10, s78, exec_lo
.LBB108_337:                            ;   in Loop: Header=BB108_6 Depth=1
	s_or_b32 exec_lo, exec_lo, s76
	s_mov_b32 s77, 0
	s_mov_b32 s76, -1
	s_mov_b32 s78, 0
.LBB108_338:                            ;   in Loop: Header=BB108_6 Depth=1
	s_or_not1_b32 s10, s10, exec_lo
.LBB108_339:                            ;   in Loop: Header=BB108_6 Depth=1
	s_or_b32 exec_lo, exec_lo, s79
	s_mov_b32 s81, 0
                                        ; implicit-def: $vgpr8
	s_and_saveexec_b32 s79, s10
	s_cbranch_execz .LBB108_392
; %bb.340:                              ;   in Loop: Header=BB108_6 Depth=1
	v_mov_b32_e32 v2, 1
	v_mov_b32_e32 v8, 1
	s_xor_b32 s81, s80, -1
	s_mov_b32 s80, 0
	s_and_saveexec_b32 s10, s81
	s_cbranch_execz .LBB108_350
; %bb.341:                              ;   in Loop: Header=BB108_6 Depth=1
	s_mov_b32 s81, exec_lo
                                        ; implicit-def: $sgpr82
                                        ; implicit-def: $sgpr80
	v_cmpx_ge_u32_e64 s16, v1
	s_xor_b32 s81, exec_lo, s81
	s_cbranch_execz .LBB108_347
; %bb.342:                              ;   in Loop: Header=BB108_6 Depth=1
	ds_load_b32 v2, v9 offset:4096
	s_waitcnt lgkmcnt(0)
	v_cmp_ne_u32_e32 vcc_lo, 0, v2
	s_cbranch_vccnz .LBB108_346
; %bb.343:                              ;   in Loop: Header=BB108_6 Depth=1
	s_and_saveexec_b32 s80, s5
	s_cbranch_execz .LBB108_345
; %bb.344:                              ;   in Loop: Header=BB108_6 Depth=1
	v_mov_b32_e32 v2, s16
	ds_store_b32 v9, v2 offset:4100
.LBB108_345:                            ;   in Loop: Header=BB108_6 Depth=1
	s_or_b32 exec_lo, exec_lo, s80
	s_waitcnt lgkmcnt(0)
	s_barrier
	buffer_gl0_inv
.LBB108_346:                            ;   in Loop: Header=BB108_6 Depth=1
	s_lshl_b32 s17, 1, s17
	v_or_b32_e32 v27, s13, v27
	v_and_or_b32 v28, v28, s14, s17
	s_mov_b32 s80, 0
	s_mov_b32 s82, 5
.LBB108_347:                            ;   in Loop: Header=BB108_6 Depth=1
	s_or_saveexec_b32 s17, s81
	v_mov_b32_e32 v8, s82
	s_xor_b32 exec_lo, exec_lo, s17
; %bb.348:                              ;   in Loop: Header=BB108_6 Depth=1
	v_subrev_nc_u32_e32 v1, s16, v1
	v_mov_b32_e32 v8, 0
	s_or_b32 s80, s80, exec_lo
; %bb.349:                              ;   in Loop: Header=BB108_6 Depth=1
	s_or_b32 exec_lo, exec_lo, s17
	s_delay_alu instid0(VALU_DEP_2)
	v_mov_b32_e32 v2, v1
	s_and_b32 s80, s80, exec_lo
.LBB108_350:                            ;   in Loop: Header=BB108_6 Depth=1
	s_or_b32 exec_lo, exec_lo, s10
	s_mov_b32 s17, -1
                                        ; implicit-def: $sgpr10
                                        ; implicit-def: $sgpr81
                                        ; implicit-def: $sgpr82
	s_and_saveexec_b32 s16, s80
	s_cbranch_execz .LBB108_391
; %bb.351:                              ;   in Loop: Header=BB108_6 Depth=1
	v_cmp_eq_u32_e32 vcc_lo, 1, v2
	s_cmp_eq_u32 s12, 1
	s_mov_b32 s83, -1
	s_cselect_b32 s10, -1, 0
                                        ; implicit-def: $sgpr81
                                        ; implicit-def: $sgpr82
	s_delay_alu instid0(SALU_CYCLE_1) | instskip(NEXT) | instid1(SALU_CYCLE_1)
	s_and_b32 s17, s10, vcc_lo
                                        ; implicit-def: $sgpr10
	s_and_saveexec_b32 s80, s17
	s_cbranch_execz .LBB108_378
; %bb.352:                              ;   in Loop: Header=BB108_6 Depth=1
	ds_load_b32 v1, v9 offset:4096
	s_waitcnt lgkmcnt(0)
	s_barrier
	buffer_gl0_inv
	v_readfirstlane_b32 s81, v1
	s_and_saveexec_b32 s10, s6
	s_cbranch_execz .LBB108_354
; %bb.353:                              ;   in Loop: Header=BB108_6 Depth=1
	ds_store_b16 v19, v9
.LBB108_354:                            ;   in Loop: Header=BB108_6 Depth=1
	s_or_b32 exec_lo, exec_lo, s10
	v_and_b32_e32 v28, s14, v28
	v_or_b32_e32 v27, s13, v27
	s_cmp_eq_u32 s81, 0
	s_waitcnt lgkmcnt(0)
	s_barrier
	buffer_gl0_inv
	s_cbranch_scc1 .LBB108_363
; %bb.355:                              ;   in Loop: Header=BB108_6 Depth=1
	s_add_i32 s10, s81, s47
	s_mov_b32 s84, 0
	s_mul_hi_u32 s82, s10, s54
                                        ; implicit-def: $vgpr29
	s_delay_alu instid0(SALU_CYCLE_1) | instskip(NEXT) | instid1(SALU_CYCLE_1)
	s_mul_i32 s82, s82, s36
	s_sub_i32 s82, s10, s82
	s_delay_alu instid0(SALU_CYCLE_1) | instskip(SKIP_2) | instid1(SALU_CYCLE_1)
	s_sub_i32 s83, s82, s36
	s_cmp_ge_u32 s82, s36
	s_cselect_b32 s82, s83, s82
	s_sub_i32 s83, s82, s36
	s_cmp_ge_u32 s82, s36
	s_cselect_b32 s82, s83, s82
	s_delay_alu instid0(SALU_CYCLE_1)
	s_sub_i32 s83, s10, s82
	s_mov_b32 s82, exec_lo
	v_cmpx_gt_u32_e64 s83, v0
	s_cbranch_execz .LBB108_365
; %bb.356:                              ;   in Loop: Header=BB108_6 Depth=1
	v_mov_b32_e32 v1, v17
	v_mov_b32_e32 v3, v0
                                        ; implicit-def: $sgpr85
	s_branch .LBB108_358
.LBB108_357:                            ;   in Loop: Header=BB108_358 Depth=2
	s_or_b32 exec_lo, exec_lo, s10
	s_waitcnt lgkmcnt(0)
	s_barrier
	buffer_gl0_inv
	ds_load_b32 v4, v9 offset:3072
	v_add_nc_u32_e32 v3, s36, v3
	v_add_nc_u32_e32 v1, s58, v1
	s_waitcnt lgkmcnt(0)
	s_barrier
	buffer_gl0_inv
	v_cmp_le_u32_e32 vcc_lo, s83, v3
	v_and_b32_e32 v8, 0x7fff, v4
	s_delay_alu instid0(VALU_DEP_1) | instskip(NEXT) | instid1(VALU_DEP_1)
	v_cmp_ne_u16_e64 s10, 0, v8
	s_or_b32 s86, vcc_lo, s10
	s_delay_alu instid0(SALU_CYCLE_1) | instskip(NEXT) | instid1(SALU_CYCLE_1)
	s_and_b32 s86, exec_lo, s86
	s_or_b32 s84, s86, s84
	s_and_not1_b32 s85, s85, exec_lo
	s_and_b32 s10, s10, exec_lo
	s_delay_alu instid0(SALU_CYCLE_1)
	s_or_b32 s85, s85, s10
	s_and_not1_b32 exec_lo, exec_lo, s84
	s_cbranch_execz .LBB108_364
.LBB108_358:                            ;   Parent Loop BB108_6 Depth=1
                                        ; =>  This Inner Loop Header: Depth=2
	s_delay_alu instid0(VALU_DEP_1)
	v_cmp_gt_u32_e32 vcc_lo, s81, v3
	v_mov_b32_e32 v4, 0
	s_and_saveexec_b32 s10, vcc_lo
	s_cbranch_execz .LBB108_360
; %bb.359:                              ;   in Loop: Header=BB108_358 Depth=2
	ds_load_u16 v4, v1
.LBB108_360:                            ;   in Loop: Header=BB108_358 Depth=2
	s_or_b32 exec_lo, exec_lo, s10
	s_and_saveexec_b32 s10, vcc_lo
	s_cbranch_execz .LBB108_357
; %bb.361:                              ;   in Loop: Header=BB108_358 Depth=2
	s_waitcnt lgkmcnt(0)
	v_cmp_lt_i16_e32 vcc_lo, -1, v4
	v_and_b32_e32 v8, 0xffff, v4
	v_dual_cndmask_b32 v29, 0xffff, v26 :: v_dual_lshlrev_b32 v30, 16, v4
	s_delay_alu instid0(VALU_DEP_1) | instskip(NEXT) | instid1(VALU_DEP_2)
	v_cmp_o_f32_e32 vcc_lo, v30, v30
	v_xor_b32_e32 v8, v29, v8
	s_delay_alu instid0(VALU_DEP_1) | instskip(NEXT) | instid1(VALU_DEP_1)
	v_cndmask_b32_e32 v8, 0xffff, v8, vcc_lo
	v_and_b32_e32 v8, v8, v27
	s_delay_alu instid0(VALU_DEP_1)
	v_cmp_eq_u32_e32 vcc_lo, v8, v28
	s_and_b32 exec_lo, exec_lo, vcc_lo
	s_cbranch_execz .LBB108_357
; %bb.362:                              ;   in Loop: Header=BB108_358 Depth=2
	v_perm_b32 v4, v4, s60, 0x5040100
	ds_store_b32 v9, v4 offset:3072
	s_branch .LBB108_357
.LBB108_363:                            ;   in Loop: Header=BB108_6 Depth=1
	s_mov_b32 s10, -1
	s_mov_b32 s84, 0
                                        ; implicit-def: $sgpr81
                                        ; implicit-def: $vgpr29
	s_branch .LBB108_366
.LBB108_364:                            ;   in Loop: Header=BB108_6 Depth=1
	s_or_b32 exec_lo, exec_lo, s84
	v_lshrrev_b32_e32 v29, 16, v4
	s_and_b32 s84, s85, exec_lo
.LBB108_365:                            ;   in Loop: Header=BB108_6 Depth=1
	s_or_b32 exec_lo, exec_lo, s82
	s_mov_b32 s10, 0
	s_mov_b32 s81, -1
.LBB108_366:                            ;   in Loop: Header=BB108_6 Depth=1
	s_and_b32 vcc_lo, exec_lo, s10
	s_mov_b32 s82, s10
	s_cbranch_vccz .LBB108_377
; %bb.367:                              ;   in Loop: Header=BB108_6 Depth=1
	s_mov_b32 s84, 0
                                        ; implicit-def: $vgpr29
	s_and_saveexec_b32 s81, s9
	s_cbranch_execz .LBB108_376
; %bb.368:                              ;   in Loop: Header=BB108_6 Depth=1
	v_dual_mov_b32 v8, v7 :: v_dual_mov_b32 v1, v0
	s_mov_b32 s82, 0
                                        ; implicit-def: $sgpr83
	s_branch .LBB108_370
.LBB108_369:                            ;   in Loop: Header=BB108_370 Depth=2
	s_or_b32 exec_lo, exec_lo, s10
	s_waitcnt vmcnt(0) lgkmcnt(0)
	s_barrier
	buffer_gl0_inv
	ds_load_b32 v3, v9 offset:3072
	v_add_nc_u32_e32 v1, s36, v1
	v_add_nc_u32_e32 v8, s38, v8
	s_waitcnt lgkmcnt(0)
	s_barrier
	buffer_gl0_inv
	v_cmp_le_u32_e32 vcc_lo, s55, v1
	v_and_b32_e32 v4, 0x7fff, v3
	s_delay_alu instid0(VALU_DEP_1) | instskip(NEXT) | instid1(VALU_DEP_1)
	v_cmp_ne_u16_e64 s10, 0, v4
	s_or_b32 s84, vcc_lo, s10
	s_delay_alu instid0(SALU_CYCLE_1) | instskip(NEXT) | instid1(SALU_CYCLE_1)
	s_and_b32 s84, exec_lo, s84
	s_or_b32 s82, s84, s82
	s_and_not1_b32 s83, s83, exec_lo
	s_and_b32 s10, s10, exec_lo
	s_delay_alu instid0(SALU_CYCLE_1)
	s_or_b32 s83, s83, s10
	s_and_not1_b32 exec_lo, exec_lo, s82
	s_cbranch_execz .LBB108_375
.LBB108_370:                            ;   Parent Loop BB108_6 Depth=1
                                        ; =>  This Inner Loop Header: Depth=2
	s_delay_alu instid0(VALU_DEP_1)
	v_cmp_gt_u32_e32 vcc_lo, s24, v1
	v_mov_b32_e32 v3, 0
	s_and_saveexec_b32 s84, vcc_lo
	s_cbranch_execz .LBB108_372
; %bb.371:                              ;   in Loop: Header=BB108_370 Depth=2
	v_lshlrev_b64 v[3:4], 1, v[8:9]
	s_delay_alu instid0(VALU_DEP_1) | instskip(NEXT) | instid1(VALU_DEP_1)
	v_add_co_u32 v3, s10, s29, v3
	v_add_co_ci_u32_e64 v4, s10, s33, v4, s10
	global_load_u16 v3, v[3:4], off
.LBB108_372:                            ;   in Loop: Header=BB108_370 Depth=2
	s_or_b32 exec_lo, exec_lo, s84
	s_and_saveexec_b32 s10, vcc_lo
	s_cbranch_execz .LBB108_369
; %bb.373:                              ;   in Loop: Header=BB108_370 Depth=2
	s_waitcnt vmcnt(0)
	v_cmp_lt_i16_e32 vcc_lo, -1, v3
	v_and_b32_e32 v4, 0xffff, v3
	v_dual_cndmask_b32 v29, 0xffff, v26 :: v_dual_lshlrev_b32 v30, 16, v3
	s_delay_alu instid0(VALU_DEP_1) | instskip(NEXT) | instid1(VALU_DEP_2)
	v_cmp_o_f32_e32 vcc_lo, v30, v30
	v_xor_b32_e32 v4, v29, v4
	s_delay_alu instid0(VALU_DEP_1) | instskip(NEXT) | instid1(VALU_DEP_1)
	v_cndmask_b32_e32 v4, 0xffff, v4, vcc_lo
	v_and_b32_e32 v4, v4, v27
	s_delay_alu instid0(VALU_DEP_1)
	v_cmp_eq_u32_e32 vcc_lo, v4, v28
	s_and_b32 exec_lo, exec_lo, vcc_lo
	s_cbranch_execz .LBB108_369
; %bb.374:                              ;   in Loop: Header=BB108_370 Depth=2
	v_perm_b32 v3, v3, s60, 0x5040100
	ds_store_b32 v9, v3 offset:3072
	s_branch .LBB108_369
.LBB108_375:                            ;   in Loop: Header=BB108_6 Depth=1
	s_or_b32 exec_lo, exec_lo, s82
	v_lshrrev_b32_e32 v29, 16, v3
	s_and_b32 s84, s83, exec_lo
.LBB108_376:                            ;   in Loop: Header=BB108_6 Depth=1
	s_or_b32 exec_lo, exec_lo, s81
	s_mov_b32 s81, 0
	s_mov_b32 s10, -1
	s_mov_b32 s82, 0
.LBB108_377:                            ;   in Loop: Header=BB108_6 Depth=1
	s_or_not1_b32 s83, s84, exec_lo
.LBB108_378:                            ;   in Loop: Header=BB108_6 Depth=1
	s_or_b32 exec_lo, exec_lo, s80
	s_mov_b32 s84, 0
                                        ; implicit-def: $vgpr8
                                        ; implicit-def: $vgpr1
	s_and_saveexec_b32 s80, s83
	s_cbranch_execz .LBB108_390
; %bb.379:                              ;   in Loop: Header=BB108_6 Depth=1
	v_dual_mov_b32 v8, 1 :: v_dual_mov_b32 v1, 1
	s_xor_b32 s83, s17, -1
	s_delay_alu instid0(SALU_CYCLE_1)
	s_and_saveexec_b32 s17, s83
	s_cbranch_execz .LBB108_389
; %bb.380:                              ;   in Loop: Header=BB108_6 Depth=1
	s_mov_b32 s83, exec_lo
                                        ; implicit-def: $sgpr84
	v_cmpx_ge_u32_e64 s12, v2
	s_xor_b32 s83, exec_lo, s83
	s_cbranch_execz .LBB108_386
; %bb.381:                              ;   in Loop: Header=BB108_6 Depth=1
	ds_load_b32 v1, v9 offset:4096
	s_waitcnt lgkmcnt(0)
	v_cmp_ne_u32_e32 vcc_lo, 0, v1
	s_cbranch_vccnz .LBB108_385
; %bb.382:                              ;   in Loop: Header=BB108_6 Depth=1
	s_and_saveexec_b32 s84, s5
	s_cbranch_execz .LBB108_384
; %bb.383:                              ;   in Loop: Header=BB108_6 Depth=1
	v_mov_b32_e32 v1, s12
	ds_store_b32 v9, v1 offset:4100
.LBB108_384:                            ;   in Loop: Header=BB108_6 Depth=1
	s_or_b32 exec_lo, exec_lo, s84
	s_waitcnt lgkmcnt(0)
	s_barrier
	buffer_gl0_inv
.LBB108_385:                            ;   in Loop: Header=BB108_6 Depth=1
	v_and_b32_e32 v28, s14, v28
	v_or_b32_e32 v27, s13, v27
	s_mov_b32 s84, 5
.LBB108_386:                            ;   in Loop: Header=BB108_6 Depth=1
	s_or_saveexec_b32 s13, s83
	v_mov_b32_e32 v8, s84
	s_xor_b32 exec_lo, exec_lo, s13
; %bb.387:                              ;   in Loop: Header=BB108_6 Depth=1
	v_subrev_nc_u32_e32 v2, s12, v2
	v_mov_b32_e32 v8, 5
; %bb.388:                              ;   in Loop: Header=BB108_6 Depth=1
	s_or_b32 exec_lo, exec_lo, s13
	s_delay_alu instid0(VALU_DEP_2)
	v_mov_b32_e32 v1, v2
.LBB108_389:                            ;   in Loop: Header=BB108_6 Depth=1
	s_or_b32 exec_lo, exec_lo, s17
	s_delay_alu instid0(SALU_CYCLE_1)
	s_mov_b32 s84, exec_lo
.LBB108_390:                            ;   in Loop: Header=BB108_6 Depth=1
	s_or_b32 exec_lo, exec_lo, s80
	s_delay_alu instid0(VALU_DEP_1)
	v_mov_b32_e32 v2, v1
	s_or_not1_b32 s17, s84, exec_lo
.LBB108_391:                            ;   in Loop: Header=BB108_6 Depth=1
	s_or_b32 exec_lo, exec_lo, s16
	s_delay_alu instid0(SALU_CYCLE_1)
	s_and_not1_b32 s12, s76, exec_lo
	s_and_b32 s10, s10, exec_lo
	s_and_not1_b32 s13, s78, exec_lo
	s_or_b32 s76, s12, s10
	s_and_not1_b32 s10, s77, exec_lo
	s_and_b32 s12, s81, exec_lo
	s_and_b32 s14, s82, exec_lo
	v_mov_b32_e32 v1, v2
	s_or_b32 s77, s10, s12
	s_or_b32 s78, s13, s14
	s_and_b32 s81, s17, exec_lo
.LBB108_392:                            ;   in Loop: Header=BB108_6 Depth=1
	s_or_b32 exec_lo, exec_lo, s79
	s_delay_alu instid0(SALU_CYCLE_1)
	s_and_b32 s79, s76, exec_lo
	s_and_b32 s77, s77, exec_lo
	s_and_b32 s76, s78, exec_lo
	s_or_not1_b32 s10, s81, exec_lo
.LBB108_393:                            ;   in Loop: Header=BB108_6 Depth=1
	s_or_b32 exec_lo, exec_lo, s18
	s_delay_alu instid0(SALU_CYCLE_1)
	s_and_not1_b32 s12, s22, exec_lo
	s_and_b32 s13, s79, exec_lo
	s_and_not1_b32 s14, s74, exec_lo
	s_or_b32 s22, s12, s13
	s_and_not1_b32 s12, s73, exec_lo
	s_and_b32 s13, s77, exec_lo
	s_and_b32 s16, s76, exec_lo
	v_mov_b32_e32 v4, v1
	s_or_b32 s73, s12, s13
	s_or_b32 s74, s14, s16
	s_and_b32 s77, s10, exec_lo
.LBB108_394:                            ;   in Loop: Header=BB108_6 Depth=1
	s_or_b32 exec_lo, exec_lo, s75
	s_delay_alu instid0(SALU_CYCLE_1)
	s_and_b32 s75, s22, exec_lo
	s_and_b32 s73, s73, exec_lo
	s_and_b32 s22, s74, exec_lo
	s_or_not1_b32 s74, s77, exec_lo
.LBB108_395:                            ;   in Loop: Header=BB108_6 Depth=1
	s_or_b32 exec_lo, exec_lo, s19
	s_mov_b32 s10, s20
	s_mov_b32 s12, s11
	s_and_saveexec_b32 s13, s74
; %bb.396:                              ;   in Loop: Header=BB108_6 Depth=1
	v_cmp_eq_u32_e32 vcc_lo, 5, v8
	v_cmp_ne_u32_e64 s10, 5, v8
	s_and_not1_b32 s12, s11, exec_lo
	s_and_not1_b32 s14, s20, exec_lo
	;; [unrolled: 1-line block ×3, first 2 shown]
	s_and_b32 s16, vcc_lo, exec_lo
	s_and_b32 s10, s10, exec_lo
	s_and_not1_b32 s73, s73, exec_lo
	s_and_not1_b32 s22, s22, exec_lo
	s_or_b32 s12, s12, s10
	s_or_b32 s10, s14, s16
; %bb.397:                              ;   in Loop: Header=BB108_6 Depth=1
	s_or_b32 exec_lo, exec_lo, s13
	s_delay_alu instid0(SALU_CYCLE_1)
	s_and_not1_b32 s13, s23, exec_lo
	s_and_b32 s14, s75, exec_lo
	v_dual_mov_b32 v1, v28 :: v_dual_mov_b32 v2, v27
	s_or_b32 s23, s13, s14
	s_and_not1_b32 s13, s72, exec_lo
	s_and_b32 s14, s73, exec_lo
	v_mov_b32_e32 v3, v29
	s_and_not1_b32 s15, s15, exec_lo
	s_and_b32 s16, s22, exec_lo
	s_or_b32 s72, s13, s14
	s_and_not1_b32 s11, s11, exec_lo
	s_and_b32 s12, s12, exec_lo
	s_and_not1_b32 s13, s20, exec_lo
	s_and_b32 s10, s10, exec_lo
	s_or_b32 s15, s15, s16
	s_or_b32 s11, s11, s12
	;; [unrolled: 1-line block ×3, first 2 shown]
.LBB108_398:                            ;   in Loop: Header=BB108_6 Depth=1
	s_or_b32 exec_lo, exec_lo, s21
	s_mov_b32 s22, s15
	s_mov_b32 s21, s15
	s_and_saveexec_b32 s10, s20
.LBB108_399:                            ;   in Loop: Header=BB108_6 Depth=1
	v_mov_b32_e32 v8, 0
	s_and_not1_b32 s15, s15, exec_lo
	s_and_not1_b32 s23, s23, exec_lo
	;; [unrolled: 1-line block ×5, first 2 shown]
	s_or_b32 s11, s11, exec_lo
.LBB108_400:                            ;   in Loop: Header=BB108_6 Depth=1
	s_or_b32 exec_lo, exec_lo, s10
	s_delay_alu instid0(SALU_CYCLE_1)
	s_and_not1_b32 s10, s71, exec_lo
	s_and_b32 s13, s15, exec_lo
	s_and_not1_b32 s14, s68, exec_lo
	s_or_b32 s71, s10, s13
	s_and_not1_b32 s10, s70, exec_lo
	s_and_b32 s13, s23, exec_lo
	s_and_b32 s15, s72, exec_lo
	s_or_b32 s70, s10, s13
	s_or_b32 s68, s14, s15
	s_and_not1_b32 s10, s69, exec_lo
	s_and_b32 s13, s22, exec_lo
	s_and_not1_b32 s14, s67, exec_lo
	s_and_b32 s15, s21, exec_lo
	s_mov_b32 s12, -1
	s_or_b32 s69, s10, s13
	s_or_b32 s67, s14, s15
                                        ; implicit-def: $vgpr27
                                        ; implicit-def: $vgpr28
                                        ; implicit-def: $vgpr30
                                        ; implicit-def: $vgpr29
	s_and_saveexec_b32 s10, s11
	s_delay_alu instid0(SALU_CYCLE_1)
	s_xor_b32 s10, exec_lo, s10
	s_cbranch_execz .LBB108_5
; %bb.401:                              ;   in Loop: Header=BB108_6 Depth=1
	s_mov_b32 s11, -1
	s_mov_b32 s13, exec_lo
	v_cmpx_eq_u32_e32 0, v8
	s_cbranch_execz .LBB108_4
; %bb.402:                              ;   in Loop: Header=BB108_6 Depth=1
	s_xor_b32 s61, s61, 1
	s_add_i32 s14, s65, -2
	s_cmp_eq_u32 s65, 0
	s_mov_b32 s65, s14
	s_cselect_b32 s11, -1, 0
	s_xor_b32 s12, exec_lo, -1
	s_or_not1_b32 s11, s11, exec_lo
	s_branch .LBB108_4
.LBB108_403:
	s_or_b32 exec_lo, exec_lo, s37
	s_xor_b32 s7, s66, -1
	s_xor_b32 s12, s63, -1
	;; [unrolled: 1-line block ×5, first 2 shown]
	s_mov_b32 s9, 0
	s_and_saveexec_b32 s10, s8
	s_delay_alu instid0(SALU_CYCLE_1)
	s_xor_b32 s8, exec_lo, s10
	s_cbranch_execz .LBB108_464
; %bb.404:
	s_mov_b32 s10, 0
	s_and_saveexec_b32 s9, s11
	s_delay_alu instid0(SALU_CYCLE_1)
	s_xor_b32 s9, exec_lo, s9
	s_cbranch_execz .LBB108_462
; %bb.405:
	;; [unrolled: 6-line block ×4, first 2 shown]
	s_and_saveexec_b32 s7, s6
	s_delay_alu instid0(SALU_CYCLE_1)
	s_xor_b32 s6, exec_lo, s7
; %bb.408:
	v_and_b32_e32 v2, 0x8000, v1
	v_mov_b32_e32 v3, 0xffff
	s_delay_alu instid0(VALU_DEP_2) | instskip(NEXT) | instid1(VALU_DEP_2)
	v_cmp_eq_u32_e32 vcc_lo, 0, v2
	v_cndmask_b32_e32 v2, 0x8000, v3, vcc_lo
	s_delay_alu instid0(VALU_DEP_1)
	v_xor_b32_e32 v3, v2, v1
; %bb.409:
	s_or_b32 exec_lo, exec_lo, s6
	s_and_saveexec_b32 s6, s5
	s_cbranch_execz .LBB108_411
; %bb.410:
	v_mov_b32_e32 v1, 0
	ds_store_b32 v1, v1 offset:4108
.LBB108_411:
	s_or_b32 exec_lo, exec_lo, s6
	v_mov_b32_e32 v9, 0
	s_waitcnt lgkmcnt(0)
	s_barrier
	buffer_gl0_inv
	s_and_saveexec_b32 s5, s4
	s_cbranch_execz .LBB108_413
; %bb.412:
	global_load_u16 v9, v[5:6], off
.LBB108_413:
	s_or_b32 exec_lo, exec_lo, s5
	v_mov_b32_e32 v8, 0x8000
	v_cmp_lt_i16_e32 vcc_lo, -1, v3
	s_clause 0x1
	s_load_b32 s5, s[0:1], 0x1c8
	s_load_b32 s12, s[0:1], 0x2a8
	v_and_b32_e32 v1, 0xffff, v3
	v_lshlrev_b32_e32 v3, 16, v3
	s_mul_i32 s6, s41, s39
	v_cndmask_b32_e32 v2, 0xffff, v8, vcc_lo
	s_mov_b32 s7, 0
	s_add_i32 s13, s24, 31
	v_cmp_o_f32_e32 vcc_lo, v3, v3
	s_lshl_b64 s[14:15], s[6:7], 1
	v_xor_b32_e32 v1, v2, v1
	s_and_not1_b32 s13, s13, 31
	s_mul_i32 s16, s40, s39
	s_mov_b32 s17, s7
	s_add_u32 s6, s34, s14
	v_cndmask_b32_e32 v7, 0xffff, v1, vcc_lo
	s_addc_u32 s14, s35, s15
	s_lshl_b64 s[16:17], s[16:17], 3
	v_cmp_gt_u32_e32 vcc_lo, s13, v0
	s_add_u32 s15, s30, s16
	s_mov_b32 s0, -1
	s_addc_u32 s16, s31, s17
	s_mov_b32 s1, 0
	s_and_saveexec_b32 s17, vcc_lo
	s_cbranch_execz .LBB108_431
; %bb.414:
	v_dual_mov_b32 v2, 0 :: v_dual_add_nc_u32 v1, s36, v0
	v_mov_b32_e32 v3, v0
	s_mov_b32 s18, 0
                                        ; implicit-def: $sgpr19
                                        ; implicit-def: $vgpr11
	s_delay_alu instid0(VALU_DEP_2)
	v_mul_lo_u32 v1, s28, v1
	s_branch .LBB108_416
.LBB108_415:                            ;   in Loop: Header=BB108_416 Depth=1
	s_or_b32 exec_lo, exec_lo, s20
	s_xor_b32 s0, s22, -1
	s_and_b32 s1, exec_lo, s1
	v_mov_b32_e32 v3, v10
	s_or_b32 s18, s1, s18
	s_waitcnt vmcnt(0)
	v_mov_b32_e32 v9, v12
	s_and_not1_b32 s1, s19, exec_lo
	s_and_b32 s0, s0, exec_lo
	s_delay_alu instid0(SALU_CYCLE_1)
	s_or_b32 s19, s1, s0
	s_and_not1_b32 exec_lo, exec_lo, s18
	s_cbranch_execz .LBB108_430
.LBB108_416:                            ; =>This Inner Loop Header: Depth=1
	s_delay_alu instid0(VALU_DEP_2) | instskip(SKIP_2) | instid1(VALU_DEP_2)
	v_add_nc_u32_e32 v10, s36, v3
	v_mov_b32_e32 v12, 0
	s_mov_b32 s1, exec_lo
	v_cmpx_gt_u32_e64 s24, v10
	s_cbranch_execz .LBB108_418
; %bb.417:                              ;   in Loop: Header=BB108_416 Depth=1
	s_delay_alu instid0(VALU_DEP_4) | instskip(NEXT) | instid1(VALU_DEP_1)
	v_lshlrev_b64 v[12:13], 1, v[1:2]
	v_add_co_u32 v12, s0, s29, v12
	s_delay_alu instid0(VALU_DEP_1)
	v_add_co_ci_u32_e64 v13, s0, s33, v13, s0
	global_load_u16 v12, v[12:13], off
.LBB108_418:                            ;   in Loop: Header=BB108_416 Depth=1
	s_or_b32 exec_lo, exec_lo, s1
	s_mov_b32 s20, 0
	s_mov_b32 s1, exec_lo
	v_cmpx_gt_u32_e64 s24, v3
	s_cbranch_execz .LBB108_420
; %bb.419:                              ;   in Loop: Header=BB108_416 Depth=1
	s_waitcnt vmcnt(0)
	v_cmp_lt_i16_e64 s0, -1, v9
	v_and_b32_e32 v4, 0xffff, v9
	v_lshlrev_b32_e32 v15, 16, v9
	s_delay_alu instid0(VALU_DEP_3) | instskip(NEXT) | instid1(VALU_DEP_2)
	v_cndmask_b32_e64 v13, 0xffff, v8, s0
	v_cmp_o_f32_e64 s0, v15, v15
	s_delay_alu instid0(VALU_DEP_2) | instskip(NEXT) | instid1(VALU_DEP_1)
	v_xor_b32_e32 v4, v13, v4
	v_cndmask_b32_e64 v4, 0xffff, v4, s0
	s_delay_alu instid0(VALU_DEP_1) | instskip(NEXT) | instid1(VALU_DEP_1)
	v_cmp_gt_u32_e64 s0, v4, v7
	v_cndmask_b32_e64 v13, 0, 1, s0
	v_cmp_lt_u32_e64 s0, v4, v7
	s_delay_alu instid0(VALU_DEP_1) | instskip(NEXT) | instid1(VALU_DEP_1)
	v_cndmask_b32_e64 v4, 0, 1, s0
	v_cndmask_b32_e64 v4, v4, v13, s3
	s_delay_alu instid0(VALU_DEP_1) | instskip(NEXT) | instid1(VALU_DEP_1)
	v_and_b32_e32 v4, 1, v4
	v_cmp_eq_u32_e64 s0, 1, v4
	s_delay_alu instid0(VALU_DEP_1)
	s_and_b32 s20, s0, exec_lo
.LBB108_420:                            ;   in Loop: Header=BB108_416 Depth=1
	s_or_b32 exec_lo, exec_lo, s1
	v_cndmask_b32_e64 v4, 0, 1, s20
	s_delay_alu instid0(VALU_DEP_1) | instskip(NEXT) | instid1(VALU_DEP_1)
	v_cmp_ne_u32_e64 s0, 0, v4
	s_cmp_lg_u32 s0, 0
	s_cselect_b32 s1, -1, 0
	s_delay_alu instid0(SALU_CYCLE_1) | instskip(NEXT) | instid1(SALU_CYCLE_1)
	s_and_b32 s1, s2, s1
	s_and_saveexec_b32 s21, s1
	s_cbranch_execz .LBB108_424
; %bb.421:                              ;   in Loop: Header=BB108_416 Depth=1
	s_mov_b32 s26, exec_lo
	s_bcnt1_i32_b32 s22, s0
	v_mbcnt_lo_u32_b32 v4, s26, 0
	s_mov_b32 s23, exec_lo
                                        ; implicit-def: $vgpr11
	s_delay_alu instid0(VALU_DEP_1)
	v_cmpx_eq_u32_e32 0, v4
	s_cbranch_execz .LBB108_423
; %bb.422:                              ;   in Loop: Header=BB108_416 Depth=1
	s_bcnt1_i32_b32 s1, s26
	s_delay_alu instid0(SALU_CYCLE_1)
	s_mul_i32 s1, s22, s1
	s_waitcnt lgkmcnt(0)
	v_mov_b32_e32 v11, s1
	ds_add_rtn_u32 v11, v2, v11 offset:4108
.LBB108_423:                            ;   in Loop: Header=BB108_416 Depth=1
	s_or_b32 exec_lo, exec_lo, s23
	s_waitcnt lgkmcnt(0)
	v_readfirstlane_b32 s1, v11
	s_delay_alu instid0(VALU_DEP_1)
	v_mad_u32_u24 v11, s22, v4, s1
.LBB108_424:                            ;   in Loop: Header=BB108_416 Depth=1
	s_or_b32 exec_lo, exec_lo, s21
	s_waitcnt lgkmcnt(0)
	ds_bpermute_b32 v11, v2, v11
	s_mov_b32 s1, -1
	s_mov_b32 s23, -1
                                        ; implicit-def: $sgpr22
	s_and_saveexec_b32 s21, s20
	s_cbranch_execz .LBB108_428
; %bb.425:                              ;   in Loop: Header=BB108_416 Depth=1
	v_and_b32_e32 v4, s0, v14
	s_mov_b32 s20, 0
	s_mov_b32 s22, exec_lo
	s_waitcnt lgkmcnt(0)
	s_delay_alu instid0(VALU_DEP_1) | instskip(NEXT) | instid1(VALU_DEP_1)
	v_bcnt_u32_b32 v4, v4, v11
	v_cmpx_gt_u32_e64 s25, v4
	s_cbranch_execz .LBB108_427
; %bb.426:                              ;   in Loop: Header=BB108_416 Depth=1
	v_mul_lo_u32 v15, v4, s5
	v_mov_b32_e32 v16, v2
	v_mul_lo_u32 v17, v4, s12
	v_mov_b32_e32 v18, v2
	v_mov_b32_e32 v4, v2
	s_mov_b32 s20, exec_lo
	v_lshlrev_b64 v[15:16], 1, v[15:16]
	s_delay_alu instid0(VALU_DEP_3) | instskip(NEXT) | instid1(VALU_DEP_2)
	v_lshlrev_b64 v[17:18], 3, v[17:18]
	v_add_co_u32 v15, s0, s6, v15
	s_delay_alu instid0(VALU_DEP_1) | instskip(NEXT) | instid1(VALU_DEP_3)
	v_add_co_ci_u32_e64 v16, s0, s14, v16, s0
	v_add_co_u32 v17, s0, s15, v17
	s_delay_alu instid0(VALU_DEP_1)
	v_add_co_ci_u32_e64 v18, s0, s16, v18, s0
	s_waitcnt vmcnt(0)
	global_store_b16 v[15:16], v9, off
	global_store_b64 v[17:18], v[3:4], off
.LBB108_427:                            ;   in Loop: Header=BB108_416 Depth=1
	s_or_b32 exec_lo, exec_lo, s22
	s_mov_b32 s22, -1
	s_or_not1_b32 s23, s20, exec_lo
.LBB108_428:                            ;   in Loop: Header=BB108_416 Depth=1
	s_or_b32 exec_lo, exec_lo, s21
	s_and_saveexec_b32 s20, s23
	s_cbranch_execz .LBB108_415
; %bb.429:                              ;   in Loop: Header=BB108_416 Depth=1
	v_cmp_le_u32_e64 s0, s13, v10
	v_add_nc_u32_e32 v1, s38, v1
	s_and_not1_b32 s22, s22, exec_lo
	s_delay_alu instid0(VALU_DEP_2)
	s_or_not1_b32 s1, s0, exec_lo
	s_branch .LBB108_415
.LBB108_430:
	s_or_b32 exec_lo, exec_lo, s18
	s_delay_alu instid0(SALU_CYCLE_1)
	s_mov_b32 s1, exec_lo
	s_or_not1_b32 s0, s19, exec_lo
.LBB108_431:
	s_or_b32 exec_lo, exec_lo, s17
	s_and_saveexec_b32 s3, s0
	s_cbranch_execz .LBB108_456
; %bb.432:
	v_mov_b32_e32 v8, 0
	s_waitcnt vmcnt(0) lgkmcnt(0)
	s_waitcnt_vscnt null, 0x0
	s_barrier
	buffer_gl0_inv
	s_and_saveexec_b32 s0, s4
	s_cbranch_execz .LBB108_434
; %bb.433:
	global_load_u16 v8, v[5:6], off
.LBB108_434:
	s_or_b32 exec_lo, exec_lo, s0
	s_mov_b32 s0, 0
	s_and_saveexec_b32 s4, vcc_lo
	s_cbranch_execz .LBB108_455
; %bb.435:
	v_dual_mov_b32 v4, 0x8000 :: v_dual_add_nc_u32 v1, s36, v0
	v_mov_b32_e32 v3, 0
	s_mov_b32 s17, 0
                                        ; implicit-def: $sgpr7
                                        ; implicit-def: $vgpr5
	s_delay_alu instid0(VALU_DEP_2)
	v_mul_lo_u32 v2, s28, v1
	s_branch .LBB108_438
.LBB108_436:                            ;   in Loop: Header=BB108_438 Depth=1
	s_or_b32 exec_lo, exec_lo, s19
	s_waitcnt vmcnt(0)
	v_mov_b32_e32 v8, v9
	v_mov_b32_e32 v0, v6
	s_or_not1_b32 s20, s20, exec_lo
	s_or_not1_b32 s18, s18, exec_lo
.LBB108_437:                            ;   in Loop: Header=BB108_438 Depth=1
	s_or_b32 exec_lo, exec_lo, s0
	s_xor_b32 s0, s20, -1
	s_and_b32 s18, exec_lo, s18
	s_delay_alu instid0(SALU_CYCLE_1) | instskip(SKIP_2) | instid1(SALU_CYCLE_1)
	s_or_b32 s17, s18, s17
	s_and_not1_b32 s7, s7, exec_lo
	s_and_b32 s0, s0, exec_lo
	s_or_b32 s7, s7, s0
	s_and_not1_b32 exec_lo, exec_lo, s17
	s_cbranch_execz .LBB108_453
.LBB108_438:                            ; =>This Inner Loop Header: Depth=1
	s_waitcnt vmcnt(0)
	v_dual_mov_b32 v9, 0 :: v_dual_add_nc_u32 v6, s36, v0
	s_mov_b32 s0, exec_lo
	s_delay_alu instid0(VALU_DEP_1)
	v_cmpx_gt_u32_e64 s24, v6
	s_cbranch_execz .LBB108_440
; %bb.439:                              ;   in Loop: Header=BB108_438 Depth=1
	s_delay_alu instid0(VALU_DEP_3) | instskip(NEXT) | instid1(VALU_DEP_1)
	v_lshlrev_b64 v[9:10], 1, v[2:3]
	v_add_co_u32 v9, vcc_lo, s29, v9
	s_delay_alu instid0(VALU_DEP_2)
	v_add_co_ci_u32_e32 v10, vcc_lo, s33, v10, vcc_lo
	global_load_u16 v9, v[9:10], off
.LBB108_440:                            ;   in Loop: Header=BB108_438 Depth=1
	s_or_b32 exec_lo, exec_lo, s0
	s_mov_b32 s19, 0
	s_mov_b32 s0, exec_lo
	v_cmpx_gt_u32_e64 s24, v0
	s_cbranch_execz .LBB108_442
; %bb.441:                              ;   in Loop: Header=BB108_438 Depth=1
	s_waitcnt vmcnt(0)
	v_cmp_lt_i16_e32 vcc_lo, -1, v8
	v_and_b32_e32 v1, 0xffff, v8
	v_lshlrev_b32_e32 v11, 16, v8
	v_cndmask_b32_e32 v10, 0xffff, v4, vcc_lo
	s_delay_alu instid0(VALU_DEP_2) | instskip(NEXT) | instid1(VALU_DEP_2)
	v_cmp_o_f32_e32 vcc_lo, v11, v11
	v_xor_b32_e32 v1, v10, v1
	s_delay_alu instid0(VALU_DEP_1) | instskip(NEXT) | instid1(VALU_DEP_1)
	v_cndmask_b32_e32 v1, 0xffff, v1, vcc_lo
	v_cmp_eq_u32_e32 vcc_lo, v1, v7
	s_and_b32 s19, vcc_lo, exec_lo
.LBB108_442:                            ;   in Loop: Header=BB108_438 Depth=1
	s_or_b32 exec_lo, exec_lo, s0
	v_cndmask_b32_e64 v1, 0, 1, s19
	s_delay_alu instid0(VALU_DEP_1) | instskip(SKIP_2) | instid1(SALU_CYCLE_1)
	v_cmp_ne_u32_e32 vcc_lo, 0, v1
	s_cmp_lg_u32 vcc_lo, 0
	s_cselect_b32 s0, -1, 0
	s_and_b32 s0, s2, s0
	s_delay_alu instid0(SALU_CYCLE_1)
	s_and_saveexec_b32 s18, s0
	s_cbranch_execz .LBB108_446
; %bb.443:                              ;   in Loop: Header=BB108_438 Depth=1
	s_mov_b32 s22, exec_lo
	s_bcnt1_i32_b32 s20, vcc_lo
	v_mbcnt_lo_u32_b32 v1, s22, 0
	s_mov_b32 s21, exec_lo
                                        ; implicit-def: $vgpr5
	s_delay_alu instid0(VALU_DEP_1)
	v_cmpx_eq_u32_e32 0, v1
	s_cbranch_execz .LBB108_445
; %bb.444:                              ;   in Loop: Header=BB108_438 Depth=1
	s_bcnt1_i32_b32 s0, s22
	s_delay_alu instid0(SALU_CYCLE_1) | instskip(NEXT) | instid1(SALU_CYCLE_1)
	s_mul_i32 s0, s20, s0
	v_mov_b32_e32 v5, s0
	ds_add_rtn_u32 v5, v3, v5 offset:4108
.LBB108_445:                            ;   in Loop: Header=BB108_438 Depth=1
	s_or_b32 exec_lo, exec_lo, s21
	s_waitcnt lgkmcnt(0)
	v_readfirstlane_b32 s0, v5
	s_delay_alu instid0(VALU_DEP_1)
	v_mad_u32_u24 v5, s20, v1, s0
.LBB108_446:                            ;   in Loop: Header=BB108_438 Depth=1
	s_or_b32 exec_lo, exec_lo, s18
	ds_bpermute_b32 v5, v3, v5
	s_cmp_eq_u32 vcc_lo, 0
	s_mov_b32 s18, -1
	s_cselect_b32 s20, -1, 0
	s_waitcnt lgkmcnt(0)
	v_cmp_gt_u32_e64 s0, s25, v5
	s_delay_alu instid0(VALU_DEP_1)
	s_or_b32 s21, s20, s0
	s_mov_b32 s20, -1
	s_and_saveexec_b32 s0, s21
	s_cbranch_execz .LBB108_437
; %bb.447:                              ;   in Loop: Header=BB108_438 Depth=1
	v_and_b32_e32 v1, vcc_lo, v14
	v_sub_nc_u32_e32 v10, s25, v5
	s_mov_b32 s21, -1
	s_delay_alu instid0(VALU_DEP_2) | instskip(NEXT) | instid1(VALU_DEP_1)
	v_bcnt_u32_b32 v1, v1, 0
	v_bcnt_u32_b32 v1, 0, v1
	s_delay_alu instid0(VALU_DEP_1) | instskip(SKIP_1) | instid1(SALU_CYCLE_1)
	v_cmp_gt_u32_e32 vcc_lo, v10, v1
	s_and_b32 s22, s19, vcc_lo
	s_and_saveexec_b32 s19, s22
	s_cbranch_execz .LBB108_451
; %bb.448:                              ;   in Loop: Header=BB108_438 Depth=1
	v_add_nc_u32_e32 v1, v5, v1
	s_mov_b32 s21, 0
	s_mov_b32 s20, exec_lo
	s_delay_alu instid0(VALU_DEP_1)
	v_cmpx_gt_u32_e64 s25, v1
	s_cbranch_execz .LBB108_450
; %bb.449:                              ;   in Loop: Header=BB108_438 Depth=1
	v_mul_lo_u32 v10, v1, s5
	v_mov_b32_e32 v11, v3
	v_mul_lo_u32 v12, v1, s12
	v_mov_b32_e32 v13, v3
	v_mov_b32_e32 v1, v3
	s_mov_b32 s21, exec_lo
	v_lshlrev_b64 v[10:11], 1, v[10:11]
	s_delay_alu instid0(VALU_DEP_3) | instskip(NEXT) | instid1(VALU_DEP_2)
	v_lshlrev_b64 v[12:13], 3, v[12:13]
	v_add_co_u32 v10, vcc_lo, s6, v10
	s_delay_alu instid0(VALU_DEP_3) | instskip(NEXT) | instid1(VALU_DEP_3)
	v_add_co_ci_u32_e32 v11, vcc_lo, s14, v11, vcc_lo
	v_add_co_u32 v12, vcc_lo, s15, v12
	s_delay_alu instid0(VALU_DEP_4)
	v_add_co_ci_u32_e32 v13, vcc_lo, s16, v13, vcc_lo
	s_waitcnt vmcnt(0)
	global_store_b16 v[10:11], v8, off
	global_store_b64 v[12:13], v[0:1], off
.LBB108_450:                            ;   in Loop: Header=BB108_438 Depth=1
	s_or_b32 exec_lo, exec_lo, s20
	s_delay_alu instid0(SALU_CYCLE_1)
	s_xor_b32 s20, exec_lo, -1
	s_or_not1_b32 s21, s21, exec_lo
.LBB108_451:                            ;   in Loop: Header=BB108_438 Depth=1
	s_or_b32 exec_lo, exec_lo, s19
	s_and_saveexec_b32 s19, s21
	s_cbranch_execz .LBB108_436
; %bb.452:                              ;   in Loop: Header=BB108_438 Depth=1
	v_cmp_le_u32_e32 vcc_lo, s13, v6
	v_add_nc_u32_e32 v2, s38, v2
	s_or_b32 s20, s20, exec_lo
	s_or_not1_b32 s18, vcc_lo, exec_lo
	s_branch .LBB108_436
.LBB108_453:
	s_or_b32 exec_lo, exec_lo, s17
	s_mov_b32 s0, 0
	s_and_saveexec_b32 s2, s7
	s_delay_alu instid0(SALU_CYCLE_1)
	s_xor_b32 s2, exec_lo, s2
	s_cbranch_execnz .LBB108_488
.LBB108_454:
	s_or_b32 exec_lo, exec_lo, s2
	s_delay_alu instid0(SALU_CYCLE_1)
	s_and_b32 s0, s0, exec_lo
.LBB108_455:
	s_or_b32 exec_lo, exec_lo, s4
	s_delay_alu instid0(SALU_CYCLE_1)
	s_and_b32 s7, s0, exec_lo
	s_and_not1_b32 s1, s1, exec_lo
.LBB108_456:
	s_or_b32 exec_lo, exec_lo, s3
	s_and_saveexec_b32 s0, s1
	s_delay_alu instid0(SALU_CYCLE_1)
	s_xor_b32 s0, exec_lo, s0
	s_cbranch_execnz .LBB108_482
.LBB108_457:
	s_or_b32 exec_lo, exec_lo, s0
	s_waitcnt lgkmcnt(0)
	s_and_b32 s12, s7, exec_lo
.LBB108_458:
	s_and_not1_saveexec_b32 s0, s11
	s_cbranch_execnz .LBB108_478
.LBB108_459:
	s_or_b32 exec_lo, exec_lo, s0
	s_delay_alu instid0(SALU_CYCLE_1)
	s_and_b32 s11, s12, exec_lo
.LBB108_460:
	s_and_not1_saveexec_b32 s0, s10
	s_cbranch_execnz .LBB108_474
.LBB108_461:
	s_or_b32 exec_lo, exec_lo, s0
	s_delay_alu instid0(SALU_CYCLE_1)
	s_and_b32 s10, s11, exec_lo
.LBB108_462:
	s_and_not1_saveexec_b32 s0, s9
	s_cbranch_execnz .LBB108_470
.LBB108_463:
	s_or_b32 exec_lo, exec_lo, s0
	s_delay_alu instid0(SALU_CYCLE_1)
	s_and_b32 s9, s10, exec_lo
.LBB108_464:
	s_and_not1_saveexec_b32 s0, s8
	s_cbranch_execnz .LBB108_468
; %bb.465:
	s_or_b32 exec_lo, exec_lo, s0
	s_and_saveexec_b32 s0, s9
.LBB108_466:
	; divergent unreachable
.LBB108_467:
	s_nop 0
	s_sendmsg sendmsg(MSG_DEALLOC_VGPRS)
	s_endpgm
.LBB108_468:
	s_cbranch_execnz .LBB108_472
; %bb.469:
	s_or_b32 s9, s9, exec_lo
	s_or_b32 exec_lo, exec_lo, s0
	s_and_saveexec_b32 s0, s9
	s_cbranch_execnz .LBB108_466
	s_branch .LBB108_467
.LBB108_470:
	s_cbranch_execnz .LBB108_476
; %bb.471:
	s_or_b32 s10, s10, exec_lo
	s_branch .LBB108_463
.LBB108_472:
	s_trap 2
	s_sendmsg_rtn_b32 s0, sendmsg(MSG_RTN_GET_DOORBELL)
	s_mov_b32 ttmp2, m0
	s_waitcnt lgkmcnt(0)
	s_and_b32 s0, s0, 0x3ff
	s_delay_alu instid0(SALU_CYCLE_1) | instskip(NEXT) | instid1(SALU_CYCLE_1)
	s_bitset1_b32 s0, 10
	s_mov_b32 m0, s0
	s_sendmsg sendmsg(MSG_INTERRUPT)
	s_mov_b32 m0, ttmp2
.LBB108_473:                            ; =>This Inner Loop Header: Depth=1
	s_sethalt 5
	s_branch .LBB108_473
.LBB108_474:
	s_cbranch_execnz .LBB108_480
; %bb.475:
	s_or_b32 s11, s11, exec_lo
	s_branch .LBB108_461
.LBB108_476:
	s_trap 2
	s_sendmsg_rtn_b32 s0, sendmsg(MSG_RTN_GET_DOORBELL)
	s_mov_b32 ttmp2, m0
	s_waitcnt lgkmcnt(0)
	s_and_b32 s0, s0, 0x3ff
	s_delay_alu instid0(SALU_CYCLE_1) | instskip(NEXT) | instid1(SALU_CYCLE_1)
	s_bitset1_b32 s0, 10
	s_mov_b32 m0, s0
	s_sendmsg sendmsg(MSG_INTERRUPT)
	s_mov_b32 m0, ttmp2
.LBB108_477:                            ; =>This Inner Loop Header: Depth=1
	s_sethalt 5
	s_branch .LBB108_477
.LBB108_478:
	s_cbranch_execnz .LBB108_484
; %bb.479:
	s_or_b32 s12, s12, exec_lo
	s_branch .LBB108_459
.LBB108_480:
	s_trap 2
	s_sendmsg_rtn_b32 s0, sendmsg(MSG_RTN_GET_DOORBELL)
	s_mov_b32 ttmp2, m0
	s_waitcnt lgkmcnt(0)
	s_and_b32 s0, s0, 0x3ff
	s_delay_alu instid0(SALU_CYCLE_1) | instskip(NEXT) | instid1(SALU_CYCLE_1)
	s_bitset1_b32 s0, 10
	s_mov_b32 m0, s0
	s_sendmsg sendmsg(MSG_INTERRUPT)
	s_mov_b32 m0, ttmp2
.LBB108_481:                            ; =>This Inner Loop Header: Depth=1
	s_sethalt 5
	s_branch .LBB108_481
.LBB108_482:
	s_cbranch_execnz .LBB108_486
; %bb.483:
	s_or_b32 s7, s7, exec_lo
	s_branch .LBB108_457
.LBB108_484:
	s_trap 2
	s_sendmsg_rtn_b32 s0, sendmsg(MSG_RTN_GET_DOORBELL)
	s_mov_b32 ttmp2, m0
	s_waitcnt lgkmcnt(0)
	s_and_b32 s0, s0, 0x3ff
	s_delay_alu instid0(SALU_CYCLE_1) | instskip(NEXT) | instid1(SALU_CYCLE_1)
	s_bitset1_b32 s0, 10
	s_mov_b32 m0, s0
	s_sendmsg sendmsg(MSG_INTERRUPT)
	s_mov_b32 m0, ttmp2
.LBB108_485:                            ; =>This Inner Loop Header: Depth=1
	s_sethalt 5
	s_branch .LBB108_485
.LBB108_486:
	s_trap 2
	s_sendmsg_rtn_b32 s0, sendmsg(MSG_RTN_GET_DOORBELL)
	s_mov_b32 ttmp2, m0
	s_waitcnt lgkmcnt(0)
	s_and_b32 s0, s0, 0x3ff
	s_delay_alu instid0(SALU_CYCLE_1) | instskip(NEXT) | instid1(SALU_CYCLE_1)
	s_bitset1_b32 s0, 10
	s_mov_b32 m0, s0
	s_sendmsg sendmsg(MSG_INTERRUPT)
	s_mov_b32 m0, ttmp2
.LBB108_487:                            ; =>This Inner Loop Header: Depth=1
	s_sethalt 5
	s_branch .LBB108_487
.LBB108_488:
	s_cbranch_execnz .LBB108_490
; %bb.489:
	s_mov_b32 s0, exec_lo
	s_branch .LBB108_454
.LBB108_490:
	s_trap 2
	s_sendmsg_rtn_b32 s0, sendmsg(MSG_RTN_GET_DOORBELL)
	s_mov_b32 ttmp2, m0
	s_waitcnt lgkmcnt(0)
	s_and_b32 s0, s0, 0x3ff
	s_delay_alu instid0(SALU_CYCLE_1) | instskip(NEXT) | instid1(SALU_CYCLE_1)
	s_bitset1_b32 s0, 10
	s_mov_b32 m0, s0
	s_sendmsg sendmsg(MSG_INTERRUPT)
	s_mov_b32 m0, ttmp2
.LBB108_491:                            ; =>This Inner Loop Header: Depth=1
	s_sethalt 5
	s_branch .LBB108_491
	.section	.rodata,"a",@progbits
	.p2align	6, 0x0
	.amdhsa_kernel _ZN2at6native6sbtopk10gatherTopKIN3c108BFloat16EjLi1ELb0EEEvNS_4cuda6detail10TensorInfoIKT_T0_EESA_SA_bSA_SA_NS7_IS8_SA_EESA_NS7_IlSA_EESA_PS8_
		.amdhsa_group_segment_fixed_size 4112
		.amdhsa_private_segment_fixed_size 0
		.amdhsa_kernarg_size 952
		.amdhsa_user_sgpr_count 13
		.amdhsa_user_sgpr_dispatch_ptr 0
		.amdhsa_user_sgpr_queue_ptr 0
		.amdhsa_user_sgpr_kernarg_segment_ptr 1
		.amdhsa_user_sgpr_dispatch_id 0
		.amdhsa_user_sgpr_private_segment_size 0
		.amdhsa_wavefront_size32 1
		.amdhsa_uses_dynamic_stack 0
		.amdhsa_enable_private_segment 0
		.amdhsa_system_sgpr_workgroup_id_x 1
		.amdhsa_system_sgpr_workgroup_id_y 1
		.amdhsa_system_sgpr_workgroup_id_z 1
		.amdhsa_system_sgpr_workgroup_info 0
		.amdhsa_system_vgpr_workitem_id 0
		.amdhsa_next_free_vgpr 38
		.amdhsa_next_free_sgpr 91
		.amdhsa_reserve_vcc 1
		.amdhsa_float_round_mode_32 0
		.amdhsa_float_round_mode_16_64 0
		.amdhsa_float_denorm_mode_32 3
		.amdhsa_float_denorm_mode_16_64 3
		.amdhsa_dx10_clamp 1
		.amdhsa_ieee_mode 1
		.amdhsa_fp16_overflow 0
		.amdhsa_workgroup_processor_mode 1
		.amdhsa_memory_ordered 1
		.amdhsa_forward_progress 0
		.amdhsa_shared_vgpr_count 0
		.amdhsa_exception_fp_ieee_invalid_op 0
		.amdhsa_exception_fp_denorm_src 0
		.amdhsa_exception_fp_ieee_div_zero 0
		.amdhsa_exception_fp_ieee_overflow 0
		.amdhsa_exception_fp_ieee_underflow 0
		.amdhsa_exception_fp_ieee_inexact 0
		.amdhsa_exception_int_div_zero 0
	.end_amdhsa_kernel
	.section	.text._ZN2at6native6sbtopk10gatherTopKIN3c108BFloat16EjLi1ELb0EEEvNS_4cuda6detail10TensorInfoIKT_T0_EESA_SA_bSA_SA_NS7_IS8_SA_EESA_NS7_IlSA_EESA_PS8_,"axG",@progbits,_ZN2at6native6sbtopk10gatherTopKIN3c108BFloat16EjLi1ELb0EEEvNS_4cuda6detail10TensorInfoIKT_T0_EESA_SA_bSA_SA_NS7_IS8_SA_EESA_NS7_IlSA_EESA_PS8_,comdat
.Lfunc_end108:
	.size	_ZN2at6native6sbtopk10gatherTopKIN3c108BFloat16EjLi1ELb0EEEvNS_4cuda6detail10TensorInfoIKT_T0_EESA_SA_bSA_SA_NS7_IS8_SA_EESA_NS7_IlSA_EESA_PS8_, .Lfunc_end108-_ZN2at6native6sbtopk10gatherTopKIN3c108BFloat16EjLi1ELb0EEEvNS_4cuda6detail10TensorInfoIKT_T0_EESA_SA_bSA_SA_NS7_IS8_SA_EESA_NS7_IlSA_EESA_PS8_
                                        ; -- End function
	.section	.AMDGPU.csdata,"",@progbits
; Kernel info:
; codeLenInByte = 16828
; NumSgprs: 93
; NumVgprs: 38
; ScratchSize: 0
; MemoryBound: 0
; FloatMode: 240
; IeeeMode: 1
; LDSByteSize: 4112 bytes/workgroup (compile time only)
; SGPRBlocks: 11
; VGPRBlocks: 4
; NumSGPRsForWavesPerEU: 93
; NumVGPRsForWavesPerEU: 38
; Occupancy: 16
; WaveLimiterHint : 1
; COMPUTE_PGM_RSRC2:SCRATCH_EN: 0
; COMPUTE_PGM_RSRC2:USER_SGPR: 13
; COMPUTE_PGM_RSRC2:TRAP_HANDLER: 0
; COMPUTE_PGM_RSRC2:TGID_X_EN: 1
; COMPUTE_PGM_RSRC2:TGID_Y_EN: 1
; COMPUTE_PGM_RSRC2:TGID_Z_EN: 1
; COMPUTE_PGM_RSRC2:TIDIG_COMP_CNT: 0
	.section	.text._ZN2at6native6mbtopk23computeBlockDigitCountsIN3c108BFloat16EjjLi2EEEvNS_4cuda6detail10TensorInfoIKT_T0_EEjPjjSA_iijT1_PSD_Ps,"axG",@progbits,_ZN2at6native6mbtopk23computeBlockDigitCountsIN3c108BFloat16EjjLi2EEEvNS_4cuda6detail10TensorInfoIKT_T0_EEjPjjSA_iijT1_PSD_Ps,comdat
	.protected	_ZN2at6native6mbtopk23computeBlockDigitCountsIN3c108BFloat16EjjLi2EEEvNS_4cuda6detail10TensorInfoIKT_T0_EEjPjjSA_iijT1_PSD_Ps ; -- Begin function _ZN2at6native6mbtopk23computeBlockDigitCountsIN3c108BFloat16EjjLi2EEEvNS_4cuda6detail10TensorInfoIKT_T0_EEjPjjSA_iijT1_PSD_Ps
	.globl	_ZN2at6native6mbtopk23computeBlockDigitCountsIN3c108BFloat16EjjLi2EEEvNS_4cuda6detail10TensorInfoIKT_T0_EEjPjjSA_iijT1_PSD_Ps
	.p2align	8
	.type	_ZN2at6native6mbtopk23computeBlockDigitCountsIN3c108BFloat16EjjLi2EEEvNS_4cuda6detail10TensorInfoIKT_T0_EEjPjjSA_iijT1_PSD_Ps,@function
_ZN2at6native6mbtopk23computeBlockDigitCountsIN3c108BFloat16EjjLi2EEEvNS_4cuda6detail10TensorInfoIKT_T0_EEjPjjSA_iijT1_PSD_Ps: ; @_ZN2at6native6mbtopk23computeBlockDigitCountsIN3c108BFloat16EjjLi2EEEvNS_4cuda6detail10TensorInfoIKT_T0_EEjPjjSA_iijT1_PSD_Ps
; %bb.0:
	s_clause 0x2
	s_load_b64 s[2:3], s[0:1], 0xf8
	s_load_b128 s[8:11], s[0:1], 0xe8
	s_load_b64 s[4:5], s[0:1], 0x110
	s_waitcnt lgkmcnt(0)
	v_cvt_f32_u32_e32 v1, s2
	s_sub_i32 s7, 0, s2
	s_mul_i32 s5, s5, s15
	s_delay_alu instid0(SALU_CYCLE_1) | instskip(NEXT) | instid1(VALU_DEP_1)
	s_add_i32 s5, s5, s14
	v_rcp_iflag_f32_e32 v1, v1
	s_mul_i32 s16, s5, s4
	s_delay_alu instid0(SALU_CYCLE_1) | instskip(SKIP_3) | instid1(VALU_DEP_1)
	s_add_i32 s16, s16, s13
	s_mov_b32 s13, 0
	s_waitcnt_depctr 0xfff
	v_mul_f32_e32 v1, 0x4f7ffffe, v1
	v_cvt_u32_f32_e32 v1, v1
	s_delay_alu instid0(VALU_DEP_1) | instskip(NEXT) | instid1(VALU_DEP_1)
	v_readfirstlane_b32 s6, v1
	s_mul_i32 s7, s7, s6
	s_delay_alu instid0(SALU_CYCLE_1) | instskip(NEXT) | instid1(SALU_CYCLE_1)
	s_mul_hi_u32 s4, s6, s7
	s_add_i32 s6, s6, s4
	s_delay_alu instid0(SALU_CYCLE_1) | instskip(NEXT) | instid1(SALU_CYCLE_1)
	s_mul_hi_u32 s4, s16, s6
	s_mul_i32 s5, s4, s2
	s_add_i32 s6, s4, 1
	s_sub_i32 s5, s16, s5
	s_delay_alu instid0(SALU_CYCLE_1)
	s_sub_i32 s7, s5, s2
	s_cmp_ge_u32 s5, s2
	s_cselect_b32 s4, s6, s4
	s_cselect_b32 s5, s7, s5
	s_add_i32 s6, s4, 1
	s_cmp_ge_u32 s5, s2
	s_cselect_b32 s12, s6, s4
	s_delay_alu instid0(SALU_CYCLE_1)
	s_cmp_ge_u32 s12, s8
	s_cbranch_scc1 .LBB109_29
; %bb.1:
	s_clause 0x1
	s_load_b32 s17, s[0:1], 0xc
	s_load_b128 s[4:7], s[0:1], 0x100
	s_lshl_b64 s[14:15], s[12:13], 2
	v_cmp_gt_u32_e32 vcc_lo, 0x100, v0
	v_lshlrev_b32_e32 v3, 2, v0
	s_waitcnt lgkmcnt(0)
	v_cvt_f32_u32_e32 v1, s17
	s_add_u32 s14, s4, s14
	s_addc_u32 s15, s5, s15
	s_delay_alu instid0(VALU_DEP_1) | instskip(SKIP_2) | instid1(VALU_DEP_1)
	v_rcp_iflag_f32_e32 v1, v1
	s_waitcnt_depctr 0xfff
	v_mul_f32_e32 v1, 0x4f7ffffe, v1
	v_cvt_u32_f32_e32 v1, v1
	s_delay_alu instid0(VALU_DEP_1)
	v_readfirstlane_b32 s18, v1
	s_and_saveexec_b32 s4, vcc_lo
	s_cbranch_execz .LBB109_3
; %bb.2:
	v_mov_b32_e32 v1, 0
	ds_store_b32 v3, v1
.LBB109_3:
	s_or_b32 exec_lo, exec_lo, s4
	s_load_b32 s8, s[0:1], 0xd8
	s_mul_i32 s4, s12, s2
	s_waitcnt lgkmcnt(0)
	s_sub_i32 s4, s16, s4
	s_barrier
	s_mul_i32 s5, s11, s4
	s_add_i32 s4, s4, 1
	s_lshl_b32 s13, s5, 8
	buffer_gl0_inv
	s_sub_i32 s5, s8, s13
	s_delay_alu instid0(SALU_CYCLE_1) | instskip(SKIP_3) | instid1(VALU_DEP_1)
	s_add_u32 s5, s5, 0xff
	s_addc_u32 s19, 0, 0
	s_cmp_lt_u32 s4, s2
	v_alignbit_b32 v1, s19, s5, 8
	v_readfirstlane_b32 s5, v1
	s_delay_alu instid0(VALU_DEP_1)
	s_cselect_b32 s11, s11, s5
	s_mov_b32 s5, 0
	s_cmp_lt_i32 s11, 1
	s_cbranch_scc1 .LBB109_25
; %bb.4:
	s_sub_i32 s2, 0, s17
	s_load_b64 s[20:21], s[0:1], 0x0
	s_mul_i32 s2, s2, s18
	s_delay_alu instid0(SALU_CYCLE_1) | instskip(NEXT) | instid1(SALU_CYCLE_1)
	s_mul_hi_u32 s2, s18, s2
	s_add_i32 s2, s18, s2
	s_load_b64 s[18:19], s[0:1], 0x6c
	s_mul_hi_u32 s2, s12, s2
	s_load_b32 s1, s[14:15], 0x0
	s_mul_i32 s4, s2, s17
	s_delay_alu instid0(SALU_CYCLE_1)
	s_sub_i32 s0, s12, s4
	s_add_i32 s4, s2, 1
	s_sub_i32 s22, s0, s17
	s_cmp_ge_u32 s0, s17
	s_cselect_b32 s2, s4, s2
	s_cselect_b32 s0, s22, s0
	s_add_i32 s4, s2, 1
	s_cmp_ge_u32 s0, s17
	s_cselect_b32 s0, s4, s2
	s_delay_alu instid0(SALU_CYCLE_1) | instskip(NEXT) | instid1(SALU_CYCLE_1)
	s_mul_i32 s2, s0, s17
	s_sub_i32 s2, s12, s2
	s_waitcnt lgkmcnt(0)
	s_mul_i32 s0, s0, s18
	s_mul_i32 s2, s2, s19
	s_delay_alu instid0(SALU_CYCLE_1) | instskip(NEXT) | instid1(SALU_CYCLE_1)
	s_add_i32 s4, s0, s2
	s_lshl_b64 s[14:15], s[4:5], 1
	s_delay_alu instid0(SALU_CYCLE_1)
	s_add_u32 s2, s20, s14
	s_addc_u32 s4, s21, s15
	s_and_b32 s10, s10, 0xff
	s_cmp_lt_u32 s11, 4
	s_cbranch_scc1 .LBB109_19
; %bb.5:
	v_dual_mov_b32 v10, 0x8000 :: v_dual_add_nc_u32 v1, s13, v0
	s_and_b32 s5, s11, 0x7ffffffc
	s_lshl_b32 s12, s9, 10
	s_mov_b32 s14, 0
	s_delay_alu instid0(VALU_DEP_1) | instskip(SKIP_2) | instid1(VALU_DEP_2)
	v_add_nc_u32_e32 v2, 0x200, v1
	s_mov_b32 s15, 0
	v_mov_b32_e32 v9, 1
	v_mul_lo_u32 v6, s9, v2
	v_mov_b32_e32 v2, 0
	v_add_nc_u32_e32 v4, 0x300, v1
	v_add_nc_u32_e32 v7, 0x100, v1
	v_mul_lo_u32 v8, s9, v1
	s_delay_alu instid0(VALU_DEP_3) | instskip(NEXT) | instid1(VALU_DEP_3)
	v_mul_lo_u32 v5, s9, v4
	v_mul_lo_u32 v7, s9, v7
	s_branch .LBB109_7
.LBB109_6:                              ;   in Loop: Header=BB109_7 Depth=1
	s_or_b32 exec_lo, exec_lo, s17
	v_add_nc_u32_e32 v4, 0x400, v4
	s_add_i32 s15, s15, 4
	s_add_i32 s14, s14, s12
	s_cmp_eq_u32 s5, s15
	s_cbranch_scc1 .LBB109_19
.LBB109_7:                              ; =>This Inner Loop Header: Depth=1
	v_add_nc_u32_e32 v1, 0xfffffd00, v4
	s_mov_b32 s17, exec_lo
	s_delay_alu instid0(VALU_DEP_1)
	v_cmpx_gt_u32_e64 s8, v1
	s_cbranch_execz .LBB109_10
; %bb.8:                                ;   in Loop: Header=BB109_7 Depth=1
	v_add_nc_u32_e32 v1, s14, v8
	s_delay_alu instid0(VALU_DEP_1) | instskip(NEXT) | instid1(VALU_DEP_1)
	v_lshlrev_b64 v[11:12], 1, v[1:2]
	v_add_co_u32 v11, s0, s2, v11
	s_delay_alu instid0(VALU_DEP_1)
	v_add_co_ci_u32_e64 v12, s0, s4, v12, s0
	global_load_u16 v1, v[11:12], off
	s_waitcnt vmcnt(0)
	v_cmp_lt_i16_e64 s0, -1, v1
	v_and_b32_e32 v11, 0xffff, v1
	v_lshlrev_b32_e32 v1, 16, v1
	s_delay_alu instid0(VALU_DEP_3) | instskip(NEXT) | instid1(VALU_DEP_2)
	v_cndmask_b32_e64 v12, 0xffff, v10, s0
	v_cmp_o_f32_e64 s0, v1, v1
	s_delay_alu instid0(VALU_DEP_2) | instskip(NEXT) | instid1(VALU_DEP_1)
	v_xor_b32_e32 v11, v12, v11
	v_cndmask_b32_e64 v1, 0xffff, v11, s0
	s_delay_alu instid0(VALU_DEP_1) | instskip(NEXT) | instid1(VALU_DEP_1)
	v_xor_b32_e32 v11, s1, v1
	v_and_b32_e32 v11, s3, v11
	s_delay_alu instid0(VALU_DEP_1) | instskip(NEXT) | instid1(VALU_DEP_1)
	v_cmp_eq_u32_e64 s0, 0, v11
	s_and_b32 exec_lo, exec_lo, s0
	s_cbranch_execz .LBB109_10
; %bb.9:                                ;   in Loop: Header=BB109_7 Depth=1
	v_bfe_u32 v1, v1, s10, 8
	s_delay_alu instid0(VALU_DEP_1)
	v_lshlrev_b32_e32 v1, 2, v1
	ds_add_u32 v1, v9
.LBB109_10:                             ;   in Loop: Header=BB109_7 Depth=1
	s_or_b32 exec_lo, exec_lo, s17
	v_add_nc_u32_e32 v1, 0xfffffe00, v4
	s_mov_b32 s17, exec_lo
	s_delay_alu instid0(VALU_DEP_1)
	v_cmpx_gt_u32_e64 s8, v1
	s_cbranch_execz .LBB109_13
; %bb.11:                               ;   in Loop: Header=BB109_7 Depth=1
	v_add_nc_u32_e32 v1, s14, v7
	s_delay_alu instid0(VALU_DEP_1) | instskip(NEXT) | instid1(VALU_DEP_1)
	v_lshlrev_b64 v[11:12], 1, v[1:2]
	v_add_co_u32 v11, s0, s2, v11
	s_delay_alu instid0(VALU_DEP_1)
	v_add_co_ci_u32_e64 v12, s0, s4, v12, s0
	global_load_u16 v1, v[11:12], off
	s_waitcnt vmcnt(0)
	v_cmp_lt_i16_e64 s0, -1, v1
	v_and_b32_e32 v11, 0xffff, v1
	v_lshlrev_b32_e32 v1, 16, v1
	s_delay_alu instid0(VALU_DEP_3) | instskip(NEXT) | instid1(VALU_DEP_2)
	v_cndmask_b32_e64 v12, 0xffff, v10, s0
	v_cmp_o_f32_e64 s0, v1, v1
	s_delay_alu instid0(VALU_DEP_2) | instskip(NEXT) | instid1(VALU_DEP_1)
	v_xor_b32_e32 v11, v12, v11
	v_cndmask_b32_e64 v1, 0xffff, v11, s0
	s_delay_alu instid0(VALU_DEP_1) | instskip(NEXT) | instid1(VALU_DEP_1)
	v_xor_b32_e32 v11, s1, v1
	v_and_b32_e32 v11, s3, v11
	s_delay_alu instid0(VALU_DEP_1) | instskip(NEXT) | instid1(VALU_DEP_1)
	v_cmp_eq_u32_e64 s0, 0, v11
	s_and_b32 exec_lo, exec_lo, s0
	s_cbranch_execz .LBB109_13
; %bb.12:                               ;   in Loop: Header=BB109_7 Depth=1
	v_bfe_u32 v1, v1, s10, 8
	s_delay_alu instid0(VALU_DEP_1)
	v_lshlrev_b32_e32 v1, 2, v1
	ds_add_u32 v1, v9
.LBB109_13:                             ;   in Loop: Header=BB109_7 Depth=1
	s_or_b32 exec_lo, exec_lo, s17
	v_add_nc_u32_e32 v1, 0xffffff00, v4
	s_mov_b32 s17, exec_lo
	s_delay_alu instid0(VALU_DEP_1)
	v_cmpx_gt_u32_e64 s8, v1
	s_cbranch_execz .LBB109_16
; %bb.14:                               ;   in Loop: Header=BB109_7 Depth=1
	v_add_nc_u32_e32 v1, s14, v6
	s_delay_alu instid0(VALU_DEP_1) | instskip(NEXT) | instid1(VALU_DEP_1)
	v_lshlrev_b64 v[11:12], 1, v[1:2]
	v_add_co_u32 v11, s0, s2, v11
	s_delay_alu instid0(VALU_DEP_1)
	v_add_co_ci_u32_e64 v12, s0, s4, v12, s0
	global_load_u16 v1, v[11:12], off
	s_waitcnt vmcnt(0)
	v_cmp_lt_i16_e64 s0, -1, v1
	v_and_b32_e32 v11, 0xffff, v1
	v_lshlrev_b32_e32 v1, 16, v1
	s_delay_alu instid0(VALU_DEP_3) | instskip(NEXT) | instid1(VALU_DEP_2)
	v_cndmask_b32_e64 v12, 0xffff, v10, s0
	v_cmp_o_f32_e64 s0, v1, v1
	s_delay_alu instid0(VALU_DEP_2) | instskip(NEXT) | instid1(VALU_DEP_1)
	v_xor_b32_e32 v11, v12, v11
	v_cndmask_b32_e64 v1, 0xffff, v11, s0
	s_delay_alu instid0(VALU_DEP_1) | instskip(NEXT) | instid1(VALU_DEP_1)
	v_xor_b32_e32 v11, s1, v1
	v_and_b32_e32 v11, s3, v11
	s_delay_alu instid0(VALU_DEP_1) | instskip(NEXT) | instid1(VALU_DEP_1)
	v_cmp_eq_u32_e64 s0, 0, v11
	s_and_b32 exec_lo, exec_lo, s0
	s_cbranch_execz .LBB109_16
; %bb.15:                               ;   in Loop: Header=BB109_7 Depth=1
	v_bfe_u32 v1, v1, s10, 8
	s_delay_alu instid0(VALU_DEP_1)
	v_lshlrev_b32_e32 v1, 2, v1
	ds_add_u32 v1, v9
.LBB109_16:                             ;   in Loop: Header=BB109_7 Depth=1
	s_or_b32 exec_lo, exec_lo, s17
	s_delay_alu instid0(SALU_CYCLE_1)
	s_mov_b32 s17, exec_lo
	v_cmpx_gt_u32_e64 s8, v4
	s_cbranch_execz .LBB109_6
; %bb.17:                               ;   in Loop: Header=BB109_7 Depth=1
	v_add_nc_u32_e32 v1, s14, v5
	s_delay_alu instid0(VALU_DEP_1) | instskip(NEXT) | instid1(VALU_DEP_1)
	v_lshlrev_b64 v[11:12], 1, v[1:2]
	v_add_co_u32 v11, s0, s2, v11
	s_delay_alu instid0(VALU_DEP_1)
	v_add_co_ci_u32_e64 v12, s0, s4, v12, s0
	global_load_u16 v1, v[11:12], off
	s_waitcnt vmcnt(0)
	v_cmp_lt_i16_e64 s0, -1, v1
	v_and_b32_e32 v11, 0xffff, v1
	v_lshlrev_b32_e32 v1, 16, v1
	s_delay_alu instid0(VALU_DEP_3) | instskip(NEXT) | instid1(VALU_DEP_2)
	v_cndmask_b32_e64 v12, 0xffff, v10, s0
	v_cmp_o_f32_e64 s0, v1, v1
	s_delay_alu instid0(VALU_DEP_2) | instskip(NEXT) | instid1(VALU_DEP_1)
	v_xor_b32_e32 v11, v12, v11
	v_cndmask_b32_e64 v1, 0xffff, v11, s0
	s_delay_alu instid0(VALU_DEP_1) | instskip(NEXT) | instid1(VALU_DEP_1)
	v_xor_b32_e32 v11, s1, v1
	v_and_b32_e32 v11, s3, v11
	s_delay_alu instid0(VALU_DEP_1) | instskip(NEXT) | instid1(VALU_DEP_1)
	v_cmp_eq_u32_e64 s0, 0, v11
	s_and_b32 exec_lo, exec_lo, s0
	s_cbranch_execz .LBB109_6
; %bb.18:                               ;   in Loop: Header=BB109_7 Depth=1
	v_bfe_u32 v1, v1, s10, 8
	s_delay_alu instid0(VALU_DEP_1)
	v_lshlrev_b32_e32 v1, 2, v1
	ds_add_u32 v1, v9
	s_branch .LBB109_6
.LBB109_19:
	s_and_b32 s11, s11, 3
	s_delay_alu instid0(SALU_CYCLE_1)
	s_cmp_eq_u32 s11, 0
	s_cbranch_scc1 .LBB109_25
; %bb.20:
	s_lshl_b32 s0, s5, 8
	v_dual_mov_b32 v2, 0 :: v_dual_mov_b32 v5, 1
	v_add3_u32 v4, s0, s13, v0
	v_mov_b32_e32 v6, 0x8000
	s_lshl_b32 s5, s9, 8
	s_delay_alu instid0(VALU_DEP_2)
	v_mul_lo_u32 v1, s9, v4
	s_set_inst_prefetch_distance 0x1
	s_branch .LBB109_22
	.p2align	6
.LBB109_21:                             ;   in Loop: Header=BB109_22 Depth=1
	s_or_b32 exec_lo, exec_lo, s9
	s_delay_alu instid0(VALU_DEP_2) | instskip(SKIP_2) | instid1(SALU_CYCLE_1)
	v_add_nc_u32_e32 v1, s5, v1
	v_add_nc_u32_e32 v4, 0x100, v4
	s_add_i32 s11, s11, -1
	s_cmp_lg_u32 s11, 0
	s_cbranch_scc0 .LBB109_25
.LBB109_22:                             ; =>This Inner Loop Header: Depth=1
	s_mov_b32 s9, exec_lo
	v_cmpx_gt_u32_e64 s8, v4
	s_cbranch_execz .LBB109_21
; %bb.23:                               ;   in Loop: Header=BB109_22 Depth=1
	s_delay_alu instid0(VALU_DEP_2) | instskip(NEXT) | instid1(VALU_DEP_1)
	v_lshlrev_b64 v[7:8], 1, v[1:2]
	v_add_co_u32 v7, s0, s2, v7
	s_delay_alu instid0(VALU_DEP_1)
	v_add_co_ci_u32_e64 v8, s0, s4, v8, s0
	global_load_u16 v7, v[7:8], off
	s_waitcnt vmcnt(0)
	v_cmp_lt_i16_e64 s0, -1, v7
	v_and_b32_e32 v8, 0xffff, v7
	v_lshlrev_b32_e32 v7, 16, v7
	s_delay_alu instid0(VALU_DEP_3) | instskip(NEXT) | instid1(VALU_DEP_2)
	v_cndmask_b32_e64 v9, 0xffff, v6, s0
	v_cmp_o_f32_e64 s0, v7, v7
	s_delay_alu instid0(VALU_DEP_2) | instskip(NEXT) | instid1(VALU_DEP_1)
	v_xor_b32_e32 v8, v9, v8
	v_cndmask_b32_e64 v7, 0xffff, v8, s0
	s_delay_alu instid0(VALU_DEP_1) | instskip(NEXT) | instid1(VALU_DEP_1)
	v_xor_b32_e32 v8, s1, v7
	v_and_b32_e32 v8, s3, v8
	s_delay_alu instid0(VALU_DEP_1) | instskip(NEXT) | instid1(VALU_DEP_1)
	v_cmp_eq_u32_e64 s0, 0, v8
	s_and_b32 exec_lo, exec_lo, s0
	s_cbranch_execz .LBB109_21
; %bb.24:                               ;   in Loop: Header=BB109_22 Depth=1
	v_bfe_u32 v7, v7, s10, 8
	s_delay_alu instid0(VALU_DEP_1)
	v_lshlrev_b32_e32 v7, 2, v7
	ds_add_u32 v7, v5
	s_branch .LBB109_21
.LBB109_25:
	s_set_inst_prefetch_distance 0x2
	v_mov_b32_e32 v1, 0
	s_waitcnt lgkmcnt(0)
	s_barrier
	buffer_gl0_inv
	s_and_saveexec_b32 s0, vcc_lo
	s_cbranch_execz .LBB109_27
; %bb.26:
	ds_load_b32 v1, v3
.LBB109_27:
	s_or_b32 exec_lo, exec_lo, s0
	s_and_saveexec_b32 s0, vcc_lo
	s_cbranch_execz .LBB109_29
; %bb.28:
	v_lshl_or_b32 v2, s16, 8, v0
	v_mov_b32_e32 v3, 0
	s_delay_alu instid0(VALU_DEP_1) | instskip(NEXT) | instid1(VALU_DEP_1)
	v_lshlrev_b64 v[2:3], 1, v[2:3]
	v_add_co_u32 v2, vcc_lo, s6, v2
	s_delay_alu instid0(VALU_DEP_2)
	v_add_co_ci_u32_e32 v3, vcc_lo, s7, v3, vcc_lo
	s_waitcnt lgkmcnt(0)
	global_store_b16 v[2:3], v1, off
.LBB109_29:
	s_nop 0
	s_sendmsg sendmsg(MSG_DEALLOC_VGPRS)
	s_endpgm
	.section	.rodata,"a",@progbits
	.p2align	6, 0x0
	.amdhsa_kernel _ZN2at6native6mbtopk23computeBlockDigitCountsIN3c108BFloat16EjjLi2EEEvNS_4cuda6detail10TensorInfoIKT_T0_EEjPjjSA_iijT1_PSD_Ps
		.amdhsa_group_segment_fixed_size 1024
		.amdhsa_private_segment_fixed_size 0
		.amdhsa_kernarg_size 528
		.amdhsa_user_sgpr_count 13
		.amdhsa_user_sgpr_dispatch_ptr 0
		.amdhsa_user_sgpr_queue_ptr 0
		.amdhsa_user_sgpr_kernarg_segment_ptr 1
		.amdhsa_user_sgpr_dispatch_id 0
		.amdhsa_user_sgpr_private_segment_size 0
		.amdhsa_wavefront_size32 1
		.amdhsa_uses_dynamic_stack 0
		.amdhsa_enable_private_segment 0
		.amdhsa_system_sgpr_workgroup_id_x 1
		.amdhsa_system_sgpr_workgroup_id_y 1
		.amdhsa_system_sgpr_workgroup_id_z 1
		.amdhsa_system_sgpr_workgroup_info 0
		.amdhsa_system_vgpr_workitem_id 0
		.amdhsa_next_free_vgpr 13
		.amdhsa_next_free_sgpr 23
		.amdhsa_reserve_vcc 1
		.amdhsa_float_round_mode_32 0
		.amdhsa_float_round_mode_16_64 0
		.amdhsa_float_denorm_mode_32 3
		.amdhsa_float_denorm_mode_16_64 3
		.amdhsa_dx10_clamp 1
		.amdhsa_ieee_mode 1
		.amdhsa_fp16_overflow 0
		.amdhsa_workgroup_processor_mode 1
		.amdhsa_memory_ordered 1
		.amdhsa_forward_progress 0
		.amdhsa_shared_vgpr_count 0
		.amdhsa_exception_fp_ieee_invalid_op 0
		.amdhsa_exception_fp_denorm_src 0
		.amdhsa_exception_fp_ieee_div_zero 0
		.amdhsa_exception_fp_ieee_overflow 0
		.amdhsa_exception_fp_ieee_underflow 0
		.amdhsa_exception_fp_ieee_inexact 0
		.amdhsa_exception_int_div_zero 0
	.end_amdhsa_kernel
	.section	.text._ZN2at6native6mbtopk23computeBlockDigitCountsIN3c108BFloat16EjjLi2EEEvNS_4cuda6detail10TensorInfoIKT_T0_EEjPjjSA_iijT1_PSD_Ps,"axG",@progbits,_ZN2at6native6mbtopk23computeBlockDigitCountsIN3c108BFloat16EjjLi2EEEvNS_4cuda6detail10TensorInfoIKT_T0_EEjPjjSA_iijT1_PSD_Ps,comdat
.Lfunc_end109:
	.size	_ZN2at6native6mbtopk23computeBlockDigitCountsIN3c108BFloat16EjjLi2EEEvNS_4cuda6detail10TensorInfoIKT_T0_EEjPjjSA_iijT1_PSD_Ps, .Lfunc_end109-_ZN2at6native6mbtopk23computeBlockDigitCountsIN3c108BFloat16EjjLi2EEEvNS_4cuda6detail10TensorInfoIKT_T0_EEjPjjSA_iijT1_PSD_Ps
                                        ; -- End function
	.section	.AMDGPU.csdata,"",@progbits
; Kernel info:
; codeLenInByte = 1868
; NumSgprs: 25
; NumVgprs: 13
; ScratchSize: 0
; MemoryBound: 0
; FloatMode: 240
; IeeeMode: 1
; LDSByteSize: 1024 bytes/workgroup (compile time only)
; SGPRBlocks: 3
; VGPRBlocks: 1
; NumSGPRsForWavesPerEU: 25
; NumVGPRsForWavesPerEU: 13
; Occupancy: 16
; WaveLimiterHint : 1
; COMPUTE_PGM_RSRC2:SCRATCH_EN: 0
; COMPUTE_PGM_RSRC2:USER_SGPR: 13
; COMPUTE_PGM_RSRC2:TRAP_HANDLER: 0
; COMPUTE_PGM_RSRC2:TGID_X_EN: 1
; COMPUTE_PGM_RSRC2:TGID_Y_EN: 1
; COMPUTE_PGM_RSRC2:TGID_Z_EN: 1
; COMPUTE_PGM_RSRC2:TIDIG_COMP_CNT: 0
	.section	.text._ZN2at6native6mbtopk10gatherTopKIN3c108BFloat16EjLi2EEEvNS_4cuda6detail10TensorInfoIKT_T0_EESA_SA_bjSA_NS7_IS8_SA_EESA_NS7_IlSA_EESA_jjPS8_PjSF_j,"axG",@progbits,_ZN2at6native6mbtopk10gatherTopKIN3c108BFloat16EjLi2EEEvNS_4cuda6detail10TensorInfoIKT_T0_EESA_SA_bjSA_NS7_IS8_SA_EESA_NS7_IlSA_EESA_jjPS8_PjSF_j,comdat
	.protected	_ZN2at6native6mbtopk10gatherTopKIN3c108BFloat16EjLi2EEEvNS_4cuda6detail10TensorInfoIKT_T0_EESA_SA_bjSA_NS7_IS8_SA_EESA_NS7_IlSA_EESA_jjPS8_PjSF_j ; -- Begin function _ZN2at6native6mbtopk10gatherTopKIN3c108BFloat16EjLi2EEEvNS_4cuda6detail10TensorInfoIKT_T0_EESA_SA_bjSA_NS7_IS8_SA_EESA_NS7_IlSA_EESA_jjPS8_PjSF_j
	.globl	_ZN2at6native6mbtopk10gatherTopKIN3c108BFloat16EjLi2EEEvNS_4cuda6detail10TensorInfoIKT_T0_EESA_SA_bjSA_NS7_IS8_SA_EESA_NS7_IlSA_EESA_jjPS8_PjSF_j
	.p2align	8
	.type	_ZN2at6native6mbtopk10gatherTopKIN3c108BFloat16EjLi2EEEvNS_4cuda6detail10TensorInfoIKT_T0_EESA_SA_bjSA_NS7_IS8_SA_EESA_NS7_IlSA_EESA_jjPS8_PjSF_j,@function
_ZN2at6native6mbtopk10gatherTopKIN3c108BFloat16EjLi2EEEvNS_4cuda6detail10TensorInfoIKT_T0_EESA_SA_bjSA_NS7_IS8_SA_EESA_NS7_IlSA_EESA_jjPS8_PjSF_j: ; @_ZN2at6native6mbtopk10gatherTopKIN3c108BFloat16EjLi2EEEvNS_4cuda6detail10TensorInfoIKT_T0_EESA_SA_bjSA_NS7_IS8_SA_EESA_NS7_IlSA_EESA_jjPS8_PjSF_j
; %bb.0:
	s_clause 0x1
	s_load_b64 s[2:3], s[0:1], 0x2d8
	s_load_b32 s4, s[0:1], 0x2d0
	s_waitcnt lgkmcnt(0)
	s_mul_i32 s3, s3, s15
	s_delay_alu instid0(SALU_CYCLE_1) | instskip(NEXT) | instid1(SALU_CYCLE_1)
	s_add_i32 s3, s3, s14
	s_mul_i32 s2, s3, s2
	s_delay_alu instid0(SALU_CYCLE_1) | instskip(NEXT) | instid1(SALU_CYCLE_1)
	s_add_i32 s2, s2, s13
	s_cmp_ge_u32 s2, s4
	s_cbranch_scc1 .LBB110_40
; %bb.1:
	s_clause 0x3
	s_load_b256 s[4:11], s[0:1], 0x2a8
	s_load_b32 s37, s[0:1], 0xc
	s_load_b32 s36, s[0:1], 0xfc
	;; [unrolled: 1-line block ×3, first 2 shown]
	s_mov_b32 s19, 0
	s_load_b64 s[16:17], s[0:1], 0x1d0
	s_waitcnt lgkmcnt(0)
	v_cvt_f32_u32_e32 v1, s6
	v_cvt_f32_u32_e32 v2, s37
	;; [unrolled: 1-line block ×4, first 2 shown]
	s_sub_i32 s7, 0, s6
	v_rcp_iflag_f32_e32 v1, v1
	v_rcp_iflag_f32_e32 v2, v2
	;; [unrolled: 1-line block ×4, first 2 shown]
	s_delay_alu instid0(TRANS32_DEP_3) | instskip(SKIP_4) | instid1(VALU_DEP_3)
	v_dual_mul_f32 v1, 0x4f7ffffe, v1 :: v_dual_mul_f32 v2, 0x4f7ffffe, v2
	s_waitcnt_depctr 0xfff
	v_dual_mul_f32 v3, 0x4f7ffffe, v3 :: v_dual_mul_f32 v4, 0x4f7ffffe, v4
	v_cvt_u32_f32_e32 v1, v1
	v_cvt_u32_f32_e32 v2, v2
	;; [unrolled: 1-line block ×3, first 2 shown]
	s_delay_alu instid0(VALU_DEP_4) | instskip(NEXT) | instid1(VALU_DEP_4)
	v_cvt_u32_f32_e32 v4, v4
	v_readfirstlane_b32 s3, v1
	v_mov_b32_e32 v1, 0
	v_readfirstlane_b32 s13, v2
	v_readfirstlane_b32 s20, v3
	;; [unrolled: 1-line block ×3, first 2 shown]
	s_mul_i32 s7, s7, s3
	s_delay_alu instid0(SALU_CYCLE_1) | instskip(NEXT) | instid1(SALU_CYCLE_1)
	s_mul_hi_u32 s7, s3, s7
	s_add_i32 s3, s3, s7
	s_delay_alu instid0(SALU_CYCLE_1) | instskip(NEXT) | instid1(SALU_CYCLE_1)
	s_mul_hi_u32 s3, s2, s3
	s_mul_i32 s7, s3, s6
	s_add_i32 s12, s3, 1
	s_sub_i32 s7, s2, s7
	s_delay_alu instid0(SALU_CYCLE_1)
	s_sub_i32 s14, s7, s6
	s_cmp_ge_u32 s7, s6
	s_cselect_b32 s3, s12, s3
	s_cselect_b32 s7, s14, s7
	s_add_i32 s12, s3, 1
	s_cmp_ge_u32 s7, s6
	s_cselect_b32 s18, s12, s3
	s_sub_i32 s3, 0, s37
	s_sub_i32 s7, 0, s36
	;; [unrolled: 1-line block ×3, first 2 shown]
	s_mul_i32 s12, s18, s6
	s_mul_i32 s3, s3, s13
	;; [unrolled: 1-line block ×4, first 2 shown]
	s_sub_i32 s7, s2, s12
	s_mul_hi_u32 s2, s13, s3
	s_mul_hi_u32 s3, s20, s22
	s_mul_hi_u32 s22, s21, s23
	s_lshl_b64 s[14:15], s[18:19], 1
	s_add_i32 s13, s13, s2
	s_add_i32 s30, s20, s3
	;; [unrolled: 1-line block ×3, first 2 shown]
	s_add_u32 s2, s8, s14
	s_addc_u32 s3, s9, s15
	s_mul_hi_u32 s41, s18, s13
	global_load_u16 v1, v1, s[2:3]
	s_clause 0x4
	s_load_b64 s[26:27], s[0:1], 0x15c
	s_load_b64 s[20:21], s[0:1], 0xf0
	;; [unrolled: 1-line block ×5, first 2 shown]
	v_cmp_ne_u32_e64 s2, 0, v0
	v_cmp_eq_u32_e64 s3, 0, v0
	s_mul_hi_u32 s40, s18, s30
	s_mul_hi_u32 s39, s18, s31
	s_waitcnt vmcnt(0)
	v_readfirstlane_b32 s38, v1
	s_and_saveexec_b32 s42, s3
	s_cbranch_execz .LBB110_17
; %bb.2:
	s_load_b64 s[8:9], s[0:1], 0x2c8
	s_mov_b32 s13, s19
	s_delay_alu instid0(SALU_CYCLE_1) | instskip(NEXT) | instid1(SALU_CYCLE_1)
	s_lshl_b64 s[30:31], s[12:13], 2
	s_add_u32 s12, s10, s30
	s_addc_u32 s13, s11, s31
	s_waitcnt lgkmcnt(0)
	s_add_u32 s14, s8, s30
	s_addc_u32 s15, s9, s31
	s_cmp_lt_u32 s6, 4
	s_cbranch_scc1 .LBB110_14
; %bb.3:
	s_mov_b32 s43, s19
	s_mov_b32 s44, s19
	;; [unrolled: 1-line block ×3, first 2 shown]
.LBB110_4:                              ; =>This Inner Loop Header: Depth=1
	s_add_u32 s12, s10, s30
	s_addc_u32 s13, s11, s31
	s_add_u32 s34, s8, s30
	s_load_b128 s[12:15], s[12:13], 0x0
	s_addc_u32 s35, s9, s31
	s_cmp_ge_u32 s45, s7
	s_cbranch_scc0 .LBB110_11
; %bb.5:                                ;   in Loop: Header=BB110_4 Depth=1
	s_add_i32 s46, s45, 1
	s_delay_alu instid0(SALU_CYCLE_1)
	s_cmp_ge_u32 s46, s7
	s_cbranch_scc0 .LBB110_12
.LBB110_6:                              ;   in Loop: Header=BB110_4 Depth=1
	s_add_i32 s46, s46, 1
	s_delay_alu instid0(SALU_CYCLE_1)
	s_cmp_ge_u32 s46, s7
	s_cbranch_scc0 .LBB110_13
.LBB110_7:                              ;   in Loop: Header=BB110_4 Depth=1
	s_add_i32 s46, s46, 1
	s_delay_alu instid0(SALU_CYCLE_1)
	s_cmp_ge_u32 s46, s7
	s_cbranch_scc1 .LBB110_9
.LBB110_8:                              ;   in Loop: Header=BB110_4 Depth=1
	s_load_b32 s34, s[34:35], 0xc
	s_waitcnt lgkmcnt(0)
	s_add_i32 s19, s19, s15
	s_add_i32 s43, s34, s43
.LBB110_9:                              ;   in Loop: Header=BB110_4 Depth=1
	s_waitcnt lgkmcnt(0)
	s_add_i32 s12, s12, s44
	s_delay_alu instid0(SALU_CYCLE_1) | instskip(NEXT) | instid1(SALU_CYCLE_1)
	s_add_i32 s12, s12, s13
	s_add_i32 s12, s12, s14
	s_delay_alu instid0(SALU_CYCLE_1)
	s_add_i32 s44, s12, s15
	s_add_u32 s10, s10, 16
	s_addc_u32 s11, s11, 0
	s_add_u32 s8, s8, 16
	s_addc_u32 s9, s9, 0
	s_add_i32 s35, s46, 4
	s_add_u32 s14, s8, s30
	s_addc_u32 s15, s9, s31
	s_add_u32 s12, s10, s30
	s_addc_u32 s13, s11, s31
	s_add_i32 s34, s46, 1
	s_cmp_ge_u32 s35, s6
	s_cbranch_scc1 .LBB110_15
; %bb.10:                               ;   in Loop: Header=BB110_4 Depth=1
	s_mov_b32 s45, s34
	s_branch .LBB110_4
.LBB110_11:                             ;   in Loop: Header=BB110_4 Depth=1
	s_load_b32 s46, s[34:35], 0x0
	s_waitcnt lgkmcnt(0)
	s_add_i32 s19, s12, s19
	s_add_i32 s43, s46, s43
	;; [unrolled: 1-line block ×3, first 2 shown]
	s_delay_alu instid0(SALU_CYCLE_1)
	s_cmp_ge_u32 s46, s7
	s_cbranch_scc1 .LBB110_6
.LBB110_12:                             ;   in Loop: Header=BB110_4 Depth=1
	s_load_b32 s47, s[34:35], 0x4
	s_waitcnt lgkmcnt(0)
	s_add_i32 s19, s19, s13
	s_add_i32 s43, s47, s43
	;; [unrolled: 1-line block ×3, first 2 shown]
	s_delay_alu instid0(SALU_CYCLE_1)
	s_cmp_ge_u32 s46, s7
	s_cbranch_scc1 .LBB110_7
.LBB110_13:                             ;   in Loop: Header=BB110_4 Depth=1
	s_load_b32 s47, s[34:35], 0x8
	s_waitcnt lgkmcnt(0)
	s_add_i32 s19, s19, s14
	s_add_i32 s43, s47, s43
	s_add_i32 s46, s46, 1
	s_delay_alu instid0(SALU_CYCLE_1)
	s_cmp_ge_u32 s46, s7
	s_cbranch_scc0 .LBB110_8
	s_branch .LBB110_9
.LBB110_14:
	s_mov_b32 s43, 0
	s_mov_b32 s44, 0
	;; [unrolled: 1-line block ×3, first 2 shown]
	s_delay_alu instid0(SALU_CYCLE_1)
	s_cmp_ge_u32 s8, s6
	s_cbranch_scc0 .LBB110_38
	s_branch .LBB110_16
.LBB110_15:
	s_add_i32 s8, s45, 4
	s_delay_alu instid0(SALU_CYCLE_1)
	s_cmp_ge_u32 s8, s6
	s_cbranch_scc0 .LBB110_38
.LBB110_16:
	v_dual_mov_b32 v1, s43 :: v_dual_mov_b32 v2, s44
	v_dual_mov_b32 v3, s19 :: v_dual_mov_b32 v4, 0
	ds_store_b96 v4, v[1:3] offset:1056
.LBB110_17:
	s_or_b32 exec_lo, exec_lo, s42
	s_load_b128 s[8:11], s[0:1], 0xd8
	s_waitcnt lgkmcnt(0)
	s_mul_i32 s11, s5, s7
	s_add_i32 s7, s7, 1
	s_lshl_b32 s19, s11, 8
	s_barrier
	buffer_gl0_inv
	s_sub_i32 s11, s8, s19
	s_delay_alu instid0(SALU_CYCLE_1) | instskip(SKIP_4) | instid1(VALU_DEP_1)
	s_add_u32 s11, s11, 0xff
	s_addc_u32 s12, 0, 0
	s_cmp_lt_u32 s7, s6
	v_alignbit_b32 v1, s12, s11, 8
	s_mov_b32 s7, 0
	v_readfirstlane_b32 s11, v1
	s_delay_alu instid0(VALU_DEP_1) | instskip(NEXT) | instid1(SALU_CYCLE_1)
	s_cselect_b32 s5, s5, s11
	s_cmp_eq_u32 s5, 0
	s_cbranch_scc1 .LBB110_40
; %bb.18:
	s_mul_i32 s6, s41, s37
	s_add_i32 s11, s41, 1
	s_sub_i32 s6, s18, s6
	v_mov_b32_e32 v5, 0
	s_sub_i32 s12, s6, s37
	s_cmp_ge_u32 s6, s37
	v_lshrrev_b32_e32 v4, 5, v0
	s_cselect_b32 s11, s11, s41
	s_cselect_b32 s6, s12, s6
	s_add_i32 s12, s11, 1
	s_cmp_ge_u32 s6, s37
	s_mul_i32 s6, s40, s36
	s_cselect_b32 s11, s12, s11
	s_sub_i32 s12, s18, s6
	s_mul_i32 s6, s11, s37
	s_mul_i32 s11, s11, s28
	s_sub_i32 s6, s18, s6
	s_add_i32 s13, s40, 1
	s_mul_i32 s6, s6, s29
	s_sub_i32 s14, s12, s36
	s_add_i32 s6, s11, s6
	s_cmp_ge_u32 s12, s36
	ds_load_b96 v[1:3], v5 offset:1056
	s_cselect_b32 s11, s13, s40
	s_cselect_b32 s12, s14, s12
	s_add_i32 s13, s11, 1
	s_cmp_ge_u32 s12, s36
	s_mul_i32 s12, s39, s33
	s_cselect_b32 s11, s13, s11
	s_sub_i32 s14, s18, s12
	s_mul_i32 s12, s11, s36
	s_mul_i32 s11, s11, s26
	s_sub_i32 s12, s18, s12
	s_add_i32 s15, s39, 1
	s_mul_i32 s12, s12, s27
	s_sub_i32 s26, s14, s33
	s_add_i32 s12, s11, s12
	s_cmp_ge_u32 s14, s33
	s_mov_b32 s13, s7
	s_cselect_b32 s11, s15, s39
	s_cselect_b32 s14, s26, s14
	s_add_i32 s26, s11, 1
	s_waitcnt lgkmcnt(0)
	v_add_nc_u32_e32 v6, v1, v2
	s_cmp_ge_u32 s14, s33
	s_mov_b32 s15, s7
	s_cselect_b32 s11, s26, s11
	s_lshl_b64 s[6:7], s[6:7], 1
	s_mul_i32 s14, s11, s33
	s_mul_i32 s11, s11, s24
	s_sub_i32 s14, s18, s14
	s_sext_i32_i16 s26, s38
	s_mul_i32 s14, s14, s25
	s_mov_b32 s18, 0x8000
	s_add_i32 s14, s11, s14
	s_add_u32 s6, s22, s6
	s_addc_u32 s7, s23, s7
	s_lshl_b64 s[12:13], s[12:13], 1
	v_add_nc_u32_e32 v9, -1, v0
	s_add_u32 s11, s20, s12
	s_addc_u32 s12, s21, s13
	s_lshl_b64 s[14:15], s[14:15], 3
	v_add_lshl_u32 v7, v4, v0, 2
	s_add_u32 s13, s16, s14
	s_addc_u32 s14, s17, s15
	s_and_b32 s16, 0xffff, s38
	s_cmp_gt_i32 s26, -1
	v_dual_mov_b32 v13, 0x8000 :: v_dual_lshlrev_b32 v2, 3, v0
	s_cselect_b32 s17, s18, 0xffff
	s_load_b32 s18, s[0:1], 0xe8
	s_lshl_b32 s15, s38, 16
	v_lshrrev_b32_e32 v4, 2, v0
	v_cmp_o_f32_e64 s20, s15, s15
	s_load_b32 s15, s[0:1], 0x1c8
	v_add_nc_u32_e32 v1, s19, v0
	s_xor_b32 s0, s17, s16
	v_lshrrev_b32_e32 v10, 5, v9
	v_mbcnt_lo_u32_b32 v8, -1, 0
	s_and_b32 s1, s20, exec_lo
	s_cselect_b32 s16, s0, 0xffff
	v_cmp_gt_u32_e64 s0, 32, v0
	v_add_lshl_u32 v0, v4, v2, 2
	v_add_lshl_u32 v9, v10, v9, 2
	v_and_b32_e32 v10, 15, v8
	v_bfe_i32 v11, v8, 4, 1
	v_add_nc_u32_e32 v12, -1, v8
	s_bitcmp1_b32 s10, 0
                                        ; implicit-def: $vgpr14
	s_cselect_b32 s1, -1, 0
	s_waitcnt lgkmcnt(0)
	v_mul_lo_u32 v4, s18, v1
	s_lshl_b32 s10, s18, 8
	s_branch .LBB110_21
.LBB110_19:                             ;   in Loop: Header=BB110_21 Depth=1
	s_or_b32 exec_lo, exec_lo, s17
	v_add_nc_u32_e32 v6, v17, v6
.LBB110_20:                             ;   in Loop: Header=BB110_21 Depth=1
	v_add_nc_u32_e32 v3, v16, v3
	v_add_nc_u32_e32 v4, s10, v4
	;; [unrolled: 1-line block ×3, first 2 shown]
	s_add_i32 s5, s5, -1
	s_delay_alu instid0(SALU_CYCLE_1)
	s_cmp_lg_u32 s5, 0
	s_cbranch_scc0 .LBB110_40
.LBB110_21:                             ; =>This Inner Loop Header: Depth=1
	v_dual_mov_b32 v2, 0 :: v_dual_mov_b32 v15, 0
	s_mov_b32 s17, exec_lo
	v_cmpx_gt_u32_e64 s8, v1
	s_cbranch_execz .LBB110_23
; %bb.22:                               ;   in Loop: Header=BB110_21 Depth=1
	s_delay_alu instid0(VALU_DEP_3) | instskip(NEXT) | instid1(VALU_DEP_1)
	v_lshlrev_b64 v[14:15], 1, v[4:5]
	v_add_co_u32 v14, vcc_lo, s6, v14
	s_delay_alu instid0(VALU_DEP_2)
	v_add_co_ci_u32_e32 v15, vcc_lo, s7, v15, vcc_lo
	global_load_u16 v14, v[14:15], off
	s_waitcnt vmcnt(0)
	v_cmp_lt_i16_e32 vcc_lo, -1, v14
	v_and_b32_e32 v2, 0xffff, v14
	v_dual_cndmask_b32 v15, 0xffff, v13 :: v_dual_lshlrev_b32 v16, 16, v14
	s_delay_alu instid0(VALU_DEP_1) | instskip(NEXT) | instid1(VALU_DEP_2)
	v_cmp_o_f32_e32 vcc_lo, v16, v16
	v_xor_b32_e32 v2, v15, v2
	s_delay_alu instid0(VALU_DEP_1) | instskip(NEXT) | instid1(VALU_DEP_1)
	v_cndmask_b32_e32 v15, 0xffff, v2, vcc_lo
	v_cmp_lt_u32_e32 vcc_lo, s16, v15
	v_cndmask_b32_e64 v2, 0, 1, vcc_lo
	v_cmp_gt_u32_e32 vcc_lo, s16, v15
	v_cndmask_b32_e64 v16, 0, 1, vcc_lo
	v_cmp_eq_u32_e32 vcc_lo, s16, v15
	s_delay_alu instid0(VALU_DEP_2) | instskip(SKIP_1) | instid1(VALU_DEP_2)
	v_cndmask_b32_e64 v2, v16, v2, s1
	v_cndmask_b32_e64 v15, 0, 1, vcc_lo
	v_and_b32_e32 v2, 1, v2
.LBB110_23:                             ;   in Loop: Header=BB110_21 Depth=1
	s_or_b32 exec_lo, exec_lo, s17
	ds_store_b32 v7, v2
	s_waitcnt lgkmcnt(0)
	s_waitcnt_vscnt null, 0x0
	s_barrier
	buffer_gl0_inv
	s_and_saveexec_b32 s17, s0
	s_cbranch_execz .LBB110_25
; %bb.24:                               ;   in Loop: Header=BB110_21 Depth=1
	ds_load_2addr_b32 v[16:17], v0 offset1:1
	ds_load_2addr_b32 v[18:19], v0 offset0:2 offset1:3
	ds_load_2addr_b32 v[20:21], v0 offset0:4 offset1:5
	;; [unrolled: 1-line block ×3, first 2 shown]
	v_cmp_ne_u32_e32 vcc_lo, 0, v10
	; wave barrier
	s_waitcnt lgkmcnt(3)
	v_add_nc_u32_e32 v17, v17, v16
	s_waitcnt lgkmcnt(2)
	s_delay_alu instid0(VALU_DEP_1) | instskip(SKIP_1) | instid1(VALU_DEP_1)
	v_add3_u32 v17, v17, v18, v19
	s_waitcnt lgkmcnt(1)
	v_add3_u32 v17, v17, v20, v21
	s_waitcnt lgkmcnt(0)
	s_delay_alu instid0(VALU_DEP_1) | instskip(NEXT) | instid1(VALU_DEP_1)
	v_add3_u32 v17, v17, v22, v23
	v_mov_b32_dpp v18, v17 row_shr:1 row_mask:0xf bank_mask:0xf
	s_delay_alu instid0(VALU_DEP_1) | instskip(SKIP_1) | instid1(VALU_DEP_2)
	v_cndmask_b32_e32 v18, 0, v18, vcc_lo
	v_cmp_lt_u32_e32 vcc_lo, 1, v10
	v_add_nc_u32_e32 v17, v18, v17
	s_delay_alu instid0(VALU_DEP_1) | instskip(NEXT) | instid1(VALU_DEP_1)
	v_mov_b32_dpp v18, v17 row_shr:2 row_mask:0xf bank_mask:0xf
	v_cndmask_b32_e32 v18, 0, v18, vcc_lo
	v_cmp_lt_u32_e32 vcc_lo, 3, v10
	s_delay_alu instid0(VALU_DEP_2) | instskip(NEXT) | instid1(VALU_DEP_1)
	v_add_nc_u32_e32 v17, v17, v18
	v_mov_b32_dpp v18, v17 row_shr:4 row_mask:0xf bank_mask:0xf
	s_delay_alu instid0(VALU_DEP_1) | instskip(SKIP_1) | instid1(VALU_DEP_2)
	v_cndmask_b32_e32 v18, 0, v18, vcc_lo
	v_cmp_lt_u32_e32 vcc_lo, 7, v10
	v_add_nc_u32_e32 v17, v17, v18
	s_delay_alu instid0(VALU_DEP_1) | instskip(NEXT) | instid1(VALU_DEP_1)
	v_mov_b32_dpp v18, v17 row_shr:8 row_mask:0xf bank_mask:0xf
	v_cndmask_b32_e32 v18, 0, v18, vcc_lo
	v_cmp_gt_i32_e32 vcc_lo, 0, v12
	v_cndmask_b32_e32 v19, v12, v8, vcc_lo
	s_delay_alu instid0(VALU_DEP_1) | instskip(NEXT) | instid1(VALU_DEP_4)
	v_lshlrev_b32_e32 v19, 2, v19
	v_add_nc_u32_e32 v17, v17, v18
	ds_swizzle_b32 v18, v17 offset:swizzle(BROADCAST,32,15)
	s_waitcnt lgkmcnt(0)
	v_and_b32_e32 v18, v11, v18
	s_delay_alu instid0(VALU_DEP_1) | instskip(SKIP_3) | instid1(VALU_DEP_1)
	v_add_nc_u32_e32 v17, v17, v18
	ds_bpermute_b32 v17, v19, v17
	s_waitcnt lgkmcnt(0)
	v_add_nc_u32_e32 v16, v17, v16
	v_cndmask_b32_e64 v22, v16, v2, s3
	ds_store_b32 v0, v22
	; wave barrier
	ds_load_2addr_b32 v[16:17], v0 offset0:1 offset1:2
	ds_load_2addr_b32 v[18:19], v0 offset0:3 offset1:4
	;; [unrolled: 1-line block ×3, first 2 shown]
	ds_load_b32 v23, v0 offset:28
	s_waitcnt lgkmcnt(3)
	v_add_nc_u32_e32 v16, v16, v22
	s_delay_alu instid0(VALU_DEP_1) | instskip(SKIP_1) | instid1(VALU_DEP_1)
	v_add_nc_u32_e32 v17, v17, v16
	s_waitcnt lgkmcnt(2)
	v_add_nc_u32_e32 v18, v18, v17
	s_delay_alu instid0(VALU_DEP_1) | instskip(SKIP_1) | instid1(VALU_DEP_1)
	v_add_nc_u32_e32 v19, v19, v18
	;; [unrolled: 4-line block ×3, first 2 shown]
	s_waitcnt lgkmcnt(0)
	v_add_nc_u32_e32 v22, v23, v21
	ds_store_2addr_b32 v0, v16, v17 offset0:1 offset1:2
	ds_store_2addr_b32 v0, v18, v19 offset0:3 offset1:4
	;; [unrolled: 1-line block ×3, first 2 shown]
	ds_store_b32 v0, v22 offset:28
.LBB110_25:                             ;   in Loop: Header=BB110_21 Depth=1
	s_or_b32 exec_lo, exec_lo, s17
	v_mov_b32_e32 v17, 0
	s_waitcnt lgkmcnt(0)
	s_barrier
	buffer_gl0_inv
	s_and_saveexec_b32 s17, s2
	s_cbranch_execz .LBB110_27
; %bb.26:                               ;   in Loop: Header=BB110_21 Depth=1
	ds_load_b32 v17, v9
.LBB110_27:                             ;   in Loop: Header=BB110_21 Depth=1
	s_or_b32 exec_lo, exec_lo, s17
	ds_load_b32 v16, v5 offset:1048
	s_mov_b32 s17, exec_lo
	s_waitcnt lgkmcnt(0)
	s_barrier
	buffer_gl0_inv
	v_cmpx_ne_u32_e32 0, v2
	s_cbranch_execz .LBB110_29
; %bb.28:                               ;   in Loop: Header=BB110_21 Depth=1
	v_add_nc_u32_e32 v2, v17, v3
	v_mov_b32_e32 v18, v5
	v_mov_b32_e32 v20, v5
	s_delay_alu instid0(VALU_DEP_3) | instskip(SKIP_2) | instid1(VALU_DEP_3)
	v_mul_lo_u32 v17, v2, s15
	v_mul_lo_u32 v19, v2, s4
	v_mov_b32_e32 v2, v5
	v_lshlrev_b64 v[17:18], 1, v[17:18]
	s_delay_alu instid0(VALU_DEP_3) | instskip(NEXT) | instid1(VALU_DEP_2)
	v_lshlrev_b64 v[19:20], 3, v[19:20]
	v_add_co_u32 v17, vcc_lo, s11, v17
	s_delay_alu instid0(VALU_DEP_3) | instskip(NEXT) | instid1(VALU_DEP_3)
	v_add_co_ci_u32_e32 v18, vcc_lo, s12, v18, vcc_lo
	v_add_co_u32 v19, vcc_lo, s13, v19
	s_delay_alu instid0(VALU_DEP_4)
	v_add_co_ci_u32_e32 v20, vcc_lo, s14, v20, vcc_lo
	global_store_b16 v[17:18], v14, off
	global_store_b64 v[19:20], v[1:2], off
.LBB110_29:                             ;   in Loop: Header=BB110_21 Depth=1
	s_or_b32 exec_lo, exec_lo, s17
	v_cmp_le_u32_e32 vcc_lo, s9, v6
	s_cbranch_vccnz .LBB110_20
; %bb.30:                               ;   in Loop: Header=BB110_21 Depth=1
	ds_store_b32 v7, v15
	s_waitcnt lgkmcnt(0)
	s_waitcnt_vscnt null, 0x0
	s_barrier
	buffer_gl0_inv
	s_and_saveexec_b32 s17, s0
	s_cbranch_execz .LBB110_32
; %bb.31:                               ;   in Loop: Header=BB110_21 Depth=1
	ds_load_2addr_b32 v[17:18], v0 offset1:1
	ds_load_2addr_b32 v[19:20], v0 offset0:2 offset1:3
	ds_load_2addr_b32 v[21:22], v0 offset0:4 offset1:5
	;; [unrolled: 1-line block ×3, first 2 shown]
	v_cmp_ne_u32_e32 vcc_lo, 0, v10
	; wave barrier
	s_waitcnt lgkmcnt(3)
	v_add_nc_u32_e32 v2, v18, v17
	s_waitcnt lgkmcnt(2)
	s_delay_alu instid0(VALU_DEP_1) | instskip(SKIP_1) | instid1(VALU_DEP_1)
	v_add3_u32 v2, v2, v19, v20
	s_waitcnt lgkmcnt(1)
	v_add3_u32 v2, v2, v21, v22
	s_waitcnt lgkmcnt(0)
	s_delay_alu instid0(VALU_DEP_1) | instskip(NEXT) | instid1(VALU_DEP_1)
	v_add3_u32 v2, v2, v23, v24
	v_mov_b32_dpp v18, v2 row_shr:1 row_mask:0xf bank_mask:0xf
	s_delay_alu instid0(VALU_DEP_1) | instskip(SKIP_1) | instid1(VALU_DEP_2)
	v_cndmask_b32_e32 v18, 0, v18, vcc_lo
	v_cmp_lt_u32_e32 vcc_lo, 1, v10
	v_add_nc_u32_e32 v2, v18, v2
	s_delay_alu instid0(VALU_DEP_1) | instskip(NEXT) | instid1(VALU_DEP_1)
	v_mov_b32_dpp v18, v2 row_shr:2 row_mask:0xf bank_mask:0xf
	v_cndmask_b32_e32 v18, 0, v18, vcc_lo
	v_cmp_lt_u32_e32 vcc_lo, 3, v10
	s_delay_alu instid0(VALU_DEP_2) | instskip(NEXT) | instid1(VALU_DEP_1)
	v_add_nc_u32_e32 v2, v2, v18
	v_mov_b32_dpp v18, v2 row_shr:4 row_mask:0xf bank_mask:0xf
	s_delay_alu instid0(VALU_DEP_1) | instskip(SKIP_1) | instid1(VALU_DEP_2)
	v_cndmask_b32_e32 v18, 0, v18, vcc_lo
	v_cmp_lt_u32_e32 vcc_lo, 7, v10
	v_add_nc_u32_e32 v2, v2, v18
	s_delay_alu instid0(VALU_DEP_1) | instskip(NEXT) | instid1(VALU_DEP_1)
	v_mov_b32_dpp v18, v2 row_shr:8 row_mask:0xf bank_mask:0xf
	v_cndmask_b32_e32 v18, 0, v18, vcc_lo
	v_cmp_gt_i32_e32 vcc_lo, 0, v12
	s_delay_alu instid0(VALU_DEP_2) | instskip(SKIP_4) | instid1(VALU_DEP_1)
	v_dual_cndmask_b32 v19, v12, v8 :: v_dual_add_nc_u32 v2, v2, v18
	ds_swizzle_b32 v18, v2 offset:swizzle(BROADCAST,32,15)
	v_lshlrev_b32_e32 v19, 2, v19
	s_waitcnt lgkmcnt(0)
	v_and_b32_e32 v18, v11, v18
	v_add_nc_u32_e32 v2, v2, v18
	ds_bpermute_b32 v2, v19, v2
	s_waitcnt lgkmcnt(0)
	v_add_nc_u32_e32 v2, v2, v17
	s_delay_alu instid0(VALU_DEP_1)
	v_cndmask_b32_e64 v2, v2, v15, s3
	ds_store_b32 v0, v2
	; wave barrier
	ds_load_2addr_b32 v[17:18], v0 offset0:1 offset1:2
	ds_load_2addr_b32 v[19:20], v0 offset0:3 offset1:4
	;; [unrolled: 1-line block ×3, first 2 shown]
	ds_load_b32 v23, v0 offset:28
	s_waitcnt lgkmcnt(3)
	v_add_nc_u32_e32 v2, v17, v2
	s_delay_alu instid0(VALU_DEP_1) | instskip(SKIP_1) | instid1(VALU_DEP_1)
	v_add_nc_u32_e32 v17, v18, v2
	s_waitcnt lgkmcnt(2)
	v_add_nc_u32_e32 v18, v19, v17
	s_delay_alu instid0(VALU_DEP_1) | instskip(SKIP_1) | instid1(VALU_DEP_1)
	v_add_nc_u32_e32 v19, v20, v18
	;; [unrolled: 4-line block ×3, first 2 shown]
	s_waitcnt lgkmcnt(0)
	v_add_nc_u32_e32 v22, v23, v21
	ds_store_2addr_b32 v0, v2, v17 offset0:1 offset1:2
	ds_store_2addr_b32 v0, v18, v19 offset0:3 offset1:4
	;; [unrolled: 1-line block ×3, first 2 shown]
	ds_store_b32 v0, v22 offset:28
.LBB110_32:                             ;   in Loop: Header=BB110_21 Depth=1
	s_or_b32 exec_lo, exec_lo, s17
	v_mov_b32_e32 v2, 0
	s_waitcnt lgkmcnt(0)
	s_barrier
	buffer_gl0_inv
	s_and_saveexec_b32 s17, s2
	s_cbranch_execz .LBB110_34
; %bb.33:                               ;   in Loop: Header=BB110_21 Depth=1
	ds_load_b32 v2, v9
.LBB110_34:                             ;   in Loop: Header=BB110_21 Depth=1
	s_or_b32 exec_lo, exec_lo, s17
	ds_load_b32 v17, v5 offset:1048
	s_mov_b32 s17, exec_lo
	s_waitcnt lgkmcnt(0)
	s_barrier
	buffer_gl0_inv
	v_cmpx_ne_u32_e32 0, v15
	s_cbranch_execz .LBB110_19
; %bb.35:                               ;   in Loop: Header=BB110_21 Depth=1
	v_add_nc_u32_e32 v2, v2, v6
	s_delay_alu instid0(VALU_DEP_1)
	v_cmp_gt_u32_e32 vcc_lo, s9, v2
	s_and_b32 exec_lo, exec_lo, vcc_lo
	s_cbranch_execz .LBB110_19
; %bb.36:                               ;   in Loop: Header=BB110_21 Depth=1
	v_mul_lo_u32 v18, v2, s15
	v_mov_b32_e32 v19, v5
	v_mul_lo_u32 v20, v2, s4
	v_mov_b32_e32 v21, v5
	v_mov_b32_e32 v2, v5
	s_delay_alu instid0(VALU_DEP_4) | instskip(NEXT) | instid1(VALU_DEP_3)
	v_lshlrev_b64 v[18:19], 1, v[18:19]
	v_lshlrev_b64 v[20:21], 3, v[20:21]
	s_delay_alu instid0(VALU_DEP_2) | instskip(NEXT) | instid1(VALU_DEP_3)
	v_add_co_u32 v18, vcc_lo, s11, v18
	v_add_co_ci_u32_e32 v19, vcc_lo, s12, v19, vcc_lo
	s_delay_alu instid0(VALU_DEP_3) | instskip(NEXT) | instid1(VALU_DEP_4)
	v_add_co_u32 v20, vcc_lo, s13, v20
	v_add_co_ci_u32_e32 v21, vcc_lo, s14, v21, vcc_lo
	global_store_b16 v[18:19], v14, off
	global_store_b64 v[20:21], v[1:2], off
	s_branch .LBB110_19
	.p2align	6
.LBB110_37:                             ;   in Loop: Header=BB110_38 Depth=1
	s_add_u32 s12, s12, 4
	s_addc_u32 s13, s13, 0
	s_waitcnt lgkmcnt(0)
	s_add_i32 s44, s9, s44
	s_add_u32 s14, s14, 4
	s_addc_u32 s15, s15, 0
	s_add_i32 s8, s8, 1
	s_delay_alu instid0(SALU_CYCLE_1)
	s_cmp_lt_u32 s8, s6
	s_cbranch_scc0 .LBB110_16
.LBB110_38:                             ; =>This Inner Loop Header: Depth=1
	s_load_b32 s9, s[12:13], 0x0
	s_cmp_ge_u32 s8, s7
	s_cbranch_scc1 .LBB110_37
; %bb.39:                               ;   in Loop: Header=BB110_38 Depth=1
	s_load_b32 s10, s[14:15], 0x0
	s_waitcnt lgkmcnt(0)
	s_add_i32 s19, s9, s19
	s_add_i32 s43, s10, s43
	s_branch .LBB110_37
.LBB110_40:
	s_nop 0
	s_sendmsg sendmsg(MSG_DEALLOC_VGPRS)
	s_endpgm
	.section	.rodata,"a",@progbits
	.p2align	6, 0x0
	.amdhsa_kernel _ZN2at6native6mbtopk10gatherTopKIN3c108BFloat16EjLi2EEEvNS_4cuda6detail10TensorInfoIKT_T0_EESA_SA_bjSA_NS7_IS8_SA_EESA_NS7_IlSA_EESA_jjPS8_PjSF_j
		.amdhsa_group_segment_fixed_size 1068
		.amdhsa_private_segment_fixed_size 0
		.amdhsa_kernarg_size 984
		.amdhsa_user_sgpr_count 13
		.amdhsa_user_sgpr_dispatch_ptr 0
		.amdhsa_user_sgpr_queue_ptr 0
		.amdhsa_user_sgpr_kernarg_segment_ptr 1
		.amdhsa_user_sgpr_dispatch_id 0
		.amdhsa_user_sgpr_private_segment_size 0
		.amdhsa_wavefront_size32 1
		.amdhsa_uses_dynamic_stack 0
		.amdhsa_enable_private_segment 0
		.amdhsa_system_sgpr_workgroup_id_x 1
		.amdhsa_system_sgpr_workgroup_id_y 1
		.amdhsa_system_sgpr_workgroup_id_z 1
		.amdhsa_system_sgpr_workgroup_info 0
		.amdhsa_system_vgpr_workitem_id 0
		.amdhsa_next_free_vgpr 25
		.amdhsa_next_free_sgpr 48
		.amdhsa_reserve_vcc 1
		.amdhsa_float_round_mode_32 0
		.amdhsa_float_round_mode_16_64 0
		.amdhsa_float_denorm_mode_32 3
		.amdhsa_float_denorm_mode_16_64 3
		.amdhsa_dx10_clamp 1
		.amdhsa_ieee_mode 1
		.amdhsa_fp16_overflow 0
		.amdhsa_workgroup_processor_mode 1
		.amdhsa_memory_ordered 1
		.amdhsa_forward_progress 0
		.amdhsa_shared_vgpr_count 0
		.amdhsa_exception_fp_ieee_invalid_op 0
		.amdhsa_exception_fp_denorm_src 0
		.amdhsa_exception_fp_ieee_div_zero 0
		.amdhsa_exception_fp_ieee_overflow 0
		.amdhsa_exception_fp_ieee_underflow 0
		.amdhsa_exception_fp_ieee_inexact 0
		.amdhsa_exception_int_div_zero 0
	.end_amdhsa_kernel
	.section	.text._ZN2at6native6mbtopk10gatherTopKIN3c108BFloat16EjLi2EEEvNS_4cuda6detail10TensorInfoIKT_T0_EESA_SA_bjSA_NS7_IS8_SA_EESA_NS7_IlSA_EESA_jjPS8_PjSF_j,"axG",@progbits,_ZN2at6native6mbtopk10gatherTopKIN3c108BFloat16EjLi2EEEvNS_4cuda6detail10TensorInfoIKT_T0_EESA_SA_bjSA_NS7_IS8_SA_EESA_NS7_IlSA_EESA_jjPS8_PjSF_j,comdat
.Lfunc_end110:
	.size	_ZN2at6native6mbtopk10gatherTopKIN3c108BFloat16EjLi2EEEvNS_4cuda6detail10TensorInfoIKT_T0_EESA_SA_bjSA_NS7_IS8_SA_EESA_NS7_IlSA_EESA_jjPS8_PjSF_j, .Lfunc_end110-_ZN2at6native6mbtopk10gatherTopKIN3c108BFloat16EjLi2EEEvNS_4cuda6detail10TensorInfoIKT_T0_EESA_SA_bjSA_NS7_IS8_SA_EESA_NS7_IlSA_EESA_jjPS8_PjSF_j
                                        ; -- End function
	.section	.AMDGPU.csdata,"",@progbits
; Kernel info:
; codeLenInByte = 2924
; NumSgprs: 50
; NumVgprs: 25
; ScratchSize: 0
; MemoryBound: 0
; FloatMode: 240
; IeeeMode: 1
; LDSByteSize: 1068 bytes/workgroup (compile time only)
; SGPRBlocks: 6
; VGPRBlocks: 3
; NumSGPRsForWavesPerEU: 50
; NumVGPRsForWavesPerEU: 25
; Occupancy: 16
; WaveLimiterHint : 1
; COMPUTE_PGM_RSRC2:SCRATCH_EN: 0
; COMPUTE_PGM_RSRC2:USER_SGPR: 13
; COMPUTE_PGM_RSRC2:TRAP_HANDLER: 0
; COMPUTE_PGM_RSRC2:TGID_X_EN: 1
; COMPUTE_PGM_RSRC2:TGID_Y_EN: 1
; COMPUTE_PGM_RSRC2:TGID_Z_EN: 1
; COMPUTE_PGM_RSRC2:TIDIG_COMP_CNT: 0
	.section	.text._ZN2at6native6sbtopk10gatherTopKIN3c108BFloat16EjLi2ELb0EEEvNS_4cuda6detail10TensorInfoIKT_T0_EESA_SA_bSA_SA_NS7_IS8_SA_EESA_NS7_IlSA_EESA_PS8_,"axG",@progbits,_ZN2at6native6sbtopk10gatherTopKIN3c108BFloat16EjLi2ELb0EEEvNS_4cuda6detail10TensorInfoIKT_T0_EESA_SA_bSA_SA_NS7_IS8_SA_EESA_NS7_IlSA_EESA_PS8_,comdat
	.protected	_ZN2at6native6sbtopk10gatherTopKIN3c108BFloat16EjLi2ELb0EEEvNS_4cuda6detail10TensorInfoIKT_T0_EESA_SA_bSA_SA_NS7_IS8_SA_EESA_NS7_IlSA_EESA_PS8_ ; -- Begin function _ZN2at6native6sbtopk10gatherTopKIN3c108BFloat16EjLi2ELb0EEEvNS_4cuda6detail10TensorInfoIKT_T0_EESA_SA_bSA_SA_NS7_IS8_SA_EESA_NS7_IlSA_EESA_PS8_
	.globl	_ZN2at6native6sbtopk10gatherTopKIN3c108BFloat16EjLi2ELb0EEEvNS_4cuda6detail10TensorInfoIKT_T0_EESA_SA_bSA_SA_NS7_IS8_SA_EESA_NS7_IlSA_EESA_PS8_
	.p2align	8
	.type	_ZN2at6native6sbtopk10gatherTopKIN3c108BFloat16EjLi2ELb0EEEvNS_4cuda6detail10TensorInfoIKT_T0_EESA_SA_bSA_SA_NS7_IS8_SA_EESA_NS7_IlSA_EESA_PS8_,@function
_ZN2at6native6sbtopk10gatherTopKIN3c108BFloat16EjLi2ELb0EEEvNS_4cuda6detail10TensorInfoIKT_T0_EESA_SA_bSA_SA_NS7_IS8_SA_EESA_NS7_IlSA_EESA_PS8_: ; @_ZN2at6native6sbtopk10gatherTopKIN3c108BFloat16EjLi2ELb0EEEvNS_4cuda6detail10TensorInfoIKT_T0_EESA_SA_bSA_SA_NS7_IS8_SA_EESA_NS7_IlSA_EESA_PS8_
; %bb.0:
	s_clause 0x1
	s_load_b64 s[4:5], s[0:1], 0x2b8
	s_load_b128 s[24:27], s[0:1], 0xd8
	s_add_u32 s6, s0, 0x2b8
	s_addc_u32 s7, s1, 0
	s_waitcnt lgkmcnt(0)
	s_mul_i32 s2, s5, s15
	s_delay_alu instid0(SALU_CYCLE_1) | instskip(NEXT) | instid1(SALU_CYCLE_1)
	s_add_i32 s2, s2, s14
	s_mul_i32 s43, s2, s4
	s_delay_alu instid0(SALU_CYCLE_1) | instskip(NEXT) | instid1(SALU_CYCLE_1)
	s_add_i32 s43, s43, s13
	s_cmp_ge_u32 s43, s27
	s_cbranch_scc1 .LBB111_467
; %bb.1:
	s_clause 0x9
	s_load_b32 s10, s[0:1], 0xc
	s_load_b32 s45, s[0:1], 0xfc
	;; [unrolled: 1-line block ×3, first 2 shown]
	s_load_b64 s[30:31], s[0:1], 0xf0
	s_load_b64 s[36:37], s[0:1], 0x23c
	;; [unrolled: 1-line block ×4, first 2 shown]
	s_load_b32 s28, s[0:1], 0xe8
	s_load_b64 s[2:3], s[0:1], 0x6c
	s_load_b64 s[8:9], s[0:1], 0x0
	v_cmp_eq_u32_e64 s5, 0, v0
	s_mov_b32 s41, 0
	s_waitcnt lgkmcnt(0)
	v_cvt_f32_u32_e32 v1, s10
	v_cvt_f32_u32_e32 v2, s45
	v_cvt_f32_u32_e32 v3, s44
	s_sub_i32 s11, 0, s10
	s_sub_i32 s16, 0, s45
	v_rcp_iflag_f32_e32 v1, v1
	v_rcp_iflag_f32_e32 v2, v2
	;; [unrolled: 1-line block ×3, first 2 shown]
	s_sub_i32 s17, 0, s44
	s_waitcnt_depctr 0xfff
	v_dual_mul_f32 v1, 0x4f7ffffe, v1 :: v_dual_mul_f32 v2, 0x4f7ffffe, v2
	v_mul_f32_e32 v3, 0x4f7ffffe, v3
	s_delay_alu instid0(VALU_DEP_2) | instskip(NEXT) | instid1(VALU_DEP_3)
	v_cvt_u32_f32_e32 v1, v1
	v_cvt_u32_f32_e32 v2, v2
	s_delay_alu instid0(VALU_DEP_3) | instskip(NEXT) | instid1(VALU_DEP_3)
	v_cvt_u32_f32_e32 v3, v3
	v_readfirstlane_b32 s12, v1
	s_delay_alu instid0(VALU_DEP_3) | instskip(NEXT) | instid1(VALU_DEP_3)
	v_readfirstlane_b32 s14, v2
	v_readfirstlane_b32 s15, v3
	s_delay_alu instid0(VALU_DEP_3) | instskip(NEXT) | instid1(VALU_DEP_2)
	s_mul_i32 s11, s11, s12
	s_mul_i32 s16, s16, s14
	s_delay_alu instid0(VALU_DEP_1)
	s_mul_i32 s17, s17, s15
	s_mul_hi_u32 s11, s12, s11
	s_mul_hi_u32 s16, s14, s16
	;; [unrolled: 1-line block ×3, first 2 shown]
	s_add_i32 s12, s12, s11
	s_add_i32 s14, s14, s16
	;; [unrolled: 1-line block ×3, first 2 shown]
	s_mul_hi_u32 s11, s43, s12
	s_mul_hi_u32 s47, s43, s14
	;; [unrolled: 1-line block ×3, first 2 shown]
	s_and_saveexec_b32 s12, s5
	s_cbranch_execz .LBB111_3
; %bb.2:
	v_dual_mov_b32 v1, 0 :: v_dual_mov_b32 v2, s24
	s_delay_alu instid0(VALU_DEP_1)
	v_mov_b32_e32 v3, v1
	ds_store_b96 v1, v[1:3] offset:4096
.LBB111_3:
	s_or_b32 exec_lo, exec_lo, s12
	s_mul_i32 s12, s11, s10
	s_add_i32 s14, s11, 1
	s_sub_i32 s12, s43, s12
	s_waitcnt lgkmcnt(0)
	s_sub_i32 s15, s12, s10
	s_cmp_ge_u32 s12, s10
	s_barrier
	s_cselect_b32 s11, s14, s11
	s_cselect_b32 s12, s15, s12
	buffer_gl0_inv
	s_load_b32 s15, s[6:7], 0xc
	s_add_i32 s14, s11, 1
	s_cmp_ge_u32 s12, s10
	v_mbcnt_lo_u32_b32 v15, -1, 0
	s_cselect_b32 s11, s14, s11
	v_cmp_gt_u32_e32 vcc_lo, 32, v0
	s_mul_i32 s10, s11, s10
	s_mul_i32 s2, s11, s2
	s_sub_i32 s10, s43, s10
	v_dual_mov_b32 v9, 0 :: v_dual_lshlrev_b32 v16, 2, v0
	s_mul_i32 s10, s10, s3
	v_mul_lo_u32 v7, v0, s28
	s_add_i32 s40, s2, s10
	v_cmp_gt_i32_e64 s2, 4, v15
	s_lshl_b64 s[10:11], s[40:41], 1
	v_dual_mov_b32 v26, 0x8000 :: v_dual_lshlrev_b32 v19, 1, v0
	s_add_u32 s29, s8, s10
	s_addc_u32 s33, s9, s11
	s_bitcmp1_b32 s26, 0
	v_mad_u64_u32 v[12:13], null, s28, v16, s[28:29]
	s_cselect_b32 s3, -1, 0
	s_waitcnt lgkmcnt(0)
	s_and_b32 s40, s15, 0xffff
	s_bfe_u32 s8, s15, 0xb0005
	s_lshl_b32 s49, s40, 2
	s_and_b32 s48, vcc_lo, s2
	v_cvt_f32_u32_e32 v1, s49
	s_xor_b32 s50, s3, -1
	s_cmpk_gt_u32 s24, 0x600
	v_cvt_f32_u32_e32 v3, s40
	s_cselect_b32 s51, -1, 0
	v_rcp_iflag_f32_e32 v1, v1
	s_cmp_gt_u32 s40, 31
	v_dual_mov_b32 v29, 0 :: v_dual_add_nc_u32 v20, 0xc00, v19
	s_cselect_b32 s52, -1, 0
	s_add_i32 s53, s40, -1
	v_mov_b32_e32 v8, v9
	s_add_i32 s9, s53, s24
	s_cmp_lt_u32 s13, s4
	v_rcp_iflag_f32_e32 v3, v3
	s_waitcnt_depctr 0xfff
	v_mul_f32_e32 v1, 0x4f7ffffe, v1
	s_cselect_b32 s2, 12, 18
	v_dual_mov_b32 v27, 0 :: v_dual_lshlrev_b32 v22, 2, v7
	s_add_u32 s26, s6, s2
	s_delay_alu instid0(VALU_DEP_2)
	v_cvt_u32_f32_e32 v1, v1
	s_addc_u32 s27, s7, 0
	s_add_i32 s2, s8, -1
	s_bfe_u32 s54, s40, 0x30005
	s_cmp_gt_u32 s2, 6
	v_readfirstlane_b32 s2, v1
	s_cselect_b32 s55, -1, 0
	s_and_b32 s56, s8, 0x7f8
	s_cmp_lg_u32 s54, 0
	v_lshlrev_b64 v[1:2], 1, v[7:8]
	s_cselect_b32 s57, -1, 0
	s_sub_i32 s4, 0, s49
	v_lshlrev_b32_e32 v24, 3, v0
	s_mul_i32 s4, s4, s2
	v_lshl_or_b32 v25, v15, 2, 0xc00
	s_mul_hi_u32 s4, s2, s4
	v_add_co_u32 v5, vcc_lo, s29, v1
	s_add_i32 s58, s2, s4
	v_add_co_ci_u32_e32 v6, vcc_lo, s33, v2, vcc_lo
	s_mul_hi_u32 s4, s24, s58
	v_lshrrev_b32_e32 v2, 3, v0
	s_mul_i32 s4, s4, s49
	v_cmp_eq_u32_e64 s2, 0, v15
	s_sub_i32 s4, s24, s4
	v_mov_b32_e32 v30, s25
	s_sub_i32 s6, s4, s49
	s_cmp_ge_u32 s4, s49
	v_and_b32_e32 v17, 0x7c, v2
	s_cselect_b32 s6, s6, s4
	v_cmp_gt_u32_e64 s4, s24, v0
	s_sub_i32 s7, s6, s49
	s_cmp_ge_u32 s6, s49
	v_mov_b32_e32 v28, 0
	s_cselect_b32 s10, s7, s6
	s_sub_i32 s6, 0, s40
	s_sub_i32 s59, s24, s10
	s_delay_alu instid0(SALU_CYCLE_1) | instskip(SKIP_3) | instid1(VALU_DEP_2)
	v_dual_mul_f32 v1, 0x4f7ffffe, v3 :: v_dual_add_nc_u32 v18, s59, v0
	v_or_b32_e32 v3, 3, v16
	s_mul_i32 s42, s28, s40
	s_mov_b32 s71, 14
	v_cvt_u32_f32_e32 v1, v1
	v_mul_lo_u32 v8, v18, s28
	v_mul_lo_u32 v21, s28, v3
	s_movk_i32 s66, 0x3f80
	s_mov_b32 s67, 0
	v_readfirstlane_b32 s8, v1
	v_lshlrev_b64 v[1:2], v15, -1
                                        ; implicit-def: $sgpr65
                                        ; implicit-def: $sgpr70
                                        ; implicit-def: $sgpr69
                                        ; implicit-def: $sgpr72
                                        ; implicit-def: $sgpr68
                                        ; implicit-def: $sgpr73
                                        ; implicit-def: $sgpr75
                                        ; implicit-def: $sgpr74
                                        ; implicit-def: $sgpr76
                                        ; implicit-def: $sgpr77
	s_delay_alu instid0(VALU_DEP_2) | instskip(NEXT) | instid1(SALU_CYCLE_1)
	s_mul_i32 s6, s6, s8
	s_mul_hi_u32 s6, s8, s6
	s_delay_alu instid0(VALU_DEP_1) | instskip(SKIP_3) | instid1(SALU_CYCLE_1)
	v_not_b32_e32 v14, v1
	s_add_i32 s60, s8, s6
	v_lshlrev_b64 v[1:2], 1, v[8:9]
	s_mul_hi_u32 s6, s9, s60
	s_mul_i32 s7, s6, s40
	v_cmp_gt_u32_e64 s6, 2, v0
	s_sub_i32 s7, s9, s7
	s_delay_alu instid0(VALU_DEP_2)
	v_add_co_u32 v10, vcc_lo, s29, v1
	v_add3_u32 v1, s40, s24, v0
	s_sub_i32 s8, s7, s40
	s_cmp_ge_u32 s7, s40
	v_add_co_ci_u32_e32 v11, vcc_lo, s33, v2, vcc_lo
	s_cselect_b32 s8, s8, s7
	v_or_b32_e32 v2, 2, v16
	v_subrev_nc_u32_e32 v1, s10, v1
	s_sub_i32 s11, s8, s40
	s_cmp_ge_u32 s8, s40
	v_cmp_gt_u32_e64 s7, s59, v16
	s_cselect_b32 s11, s11, s8
	v_mul_lo_u32 v13, s28, v2
	v_mul_lo_u32 v23, s28, v1
	s_sub_i32 s61, s9, s11
	v_cmp_gt_u32_e64 s8, s24, v18
	v_cmp_gt_u32_e64 s9, s61, v0
	s_lshl_b32 s62, s42, 2
	s_lshl_b32 s63, s40, 3
	;; [unrolled: 1-line block ×3, first 2 shown]
	s_branch .LBB111_6
.LBB111_4:                              ;   in Loop: Header=BB111_6 Depth=1
	s_or_b32 exec_lo, exec_lo, s13
	v_dual_mov_b32 v27, v2 :: v_dual_mov_b32 v28, v1
	v_dual_mov_b32 v30, v4 :: v_dual_mov_b32 v29, v3
	s_and_not1_b32 s13, s77, exec_lo
	s_and_b32 s12, s12, exec_lo
	s_and_not1_b32 s76, s76, exec_lo
	s_or_b32 s77, s13, s12
	s_and_not1_b32 s74, s74, exec_lo
	s_and_not1_b32 s75, s75, exec_lo
	;; [unrolled: 1-line block ×3, first 2 shown]
	s_or_not1_b32 s12, s11, exec_lo
.LBB111_5:                              ;   in Loop: Header=BB111_6 Depth=1
	s_or_b32 exec_lo, exec_lo, s10
	s_delay_alu instid0(SALU_CYCLE_1) | instskip(NEXT) | instid1(SALU_CYCLE_1)
	s_and_b32 s10, exec_lo, s12
	s_or_b32 s41, s10, s41
	s_and_not1_b32 s10, s68, exec_lo
	s_and_b32 s11, s77, exec_lo
	s_and_not1_b32 s12, s72, exec_lo
	s_or_b32 s68, s10, s11
	s_and_b32 s10, s76, exec_lo
	s_and_not1_b32 s11, s69, exec_lo
	s_and_b32 s13, s74, exec_lo
	s_or_b32 s72, s12, s10
	s_or_b32 s69, s11, s13
	s_and_not1_b32 s10, s70, exec_lo
	s_and_b32 s11, s75, exec_lo
	s_and_not1_b32 s12, s65, exec_lo
	s_and_b32 s13, s73, exec_lo
	s_or_b32 s70, s10, s11
	s_or_b32 s65, s12, s13
	s_and_not1_b32 exec_lo, exec_lo, s41
	s_cbranch_execz .LBB111_403
.LBB111_6:                              ; =>This Loop Header: Depth=1
                                        ;     Child Loop BB111_11 Depth 2
                                        ;     Child Loop BB111_26 Depth 2
	;; [unrolled: 1-line block ×24, first 2 shown]
	ds_load_b64 v[1:2], v9 offset:4096
	s_waitcnt lgkmcnt(0)
	v_readfirstlane_b32 s78, v1
	s_delay_alu instid0(VALU_DEP_1)
	s_cmp_lg_u32 s78, 0
	s_cbranch_scc1 .LBB111_33
; %bb.7:                                ;   in Loop: Header=BB111_6 Depth=1
	s_and_b32 vcc_lo, exec_lo, s51
	s_cbranch_vccz .LBB111_19
; %bb.8:                                ;   in Loop: Header=BB111_6 Depth=1
	v_cmp_gt_u32_e32 vcc_lo, 0x601, v2
	s_mov_b32 s78, 0
	s_mov_b32 s10, 0
	s_cbranch_vccz .LBB111_20
; %bb.9:                                ;   in Loop: Header=BB111_6 Depth=1
	global_load_u16 v1, v9, s[26:27]
	global_load_u16 v4, v[5:6], off
	v_mov_b32_e32 v3, v0
	s_mov_b32 s12, 0
	s_waitcnt vmcnt(1)
	v_add_nc_u32_e32 v2, v0, v1
	s_delay_alu instid0(VALU_DEP_1)
	v_mul_lo_u32 v8, s28, v2
	v_mul_lo_u32 v2, s28, v1
	s_branch .LBB111_11
.LBB111_10:                             ;   in Loop: Header=BB111_11 Depth=2
	s_or_b32 exec_lo, exec_lo, s11
	v_add_nc_u32_e32 v8, v8, v2
	v_mov_b32_e32 v4, v31
	s_and_not1_b32 exec_lo, exec_lo, s12
	s_cbranch_execz .LBB111_84
.LBB111_11:                             ;   Parent Loop BB111_6 Depth=1
                                        ; =>  This Inner Loop Header: Depth=2
	s_waitcnt lgkmcnt(0)
	v_dual_mov_b32 v32, 0 :: v_dual_add_nc_u32 v3, v3, v1
	v_mov_b32_e32 v31, 0
	s_mov_b32 s11, exec_lo
	s_delay_alu instid0(VALU_DEP_2)
	v_cmp_le_u32_e32 vcc_lo, s24, v3
	v_cmpx_gt_u32_e64 s24, v3
	s_cbranch_execz .LBB111_13
; %bb.12:                               ;   in Loop: Header=BB111_11 Depth=2
	v_lshlrev_b64 v[33:34], 1, v[8:9]
	s_delay_alu instid0(VALU_DEP_1) | instskip(NEXT) | instid1(VALU_DEP_1)
	v_add_co_u32 v33, s10, s29, v33
	v_add_co_ci_u32_e64 v34, s10, s33, v34, s10
	global_load_u16 v31, v[33:34], off
.LBB111_13:                             ;   in Loop: Header=BB111_11 Depth=2
	s_or_b32 exec_lo, exec_lo, s11
	s_waitcnt vmcnt(0)
	v_cmp_lt_i16_e64 s10, -1, v4
	v_and_b32_e32 v33, 0xffff, v4
	v_lshlrev_b32_e32 v35, 16, v4
	s_delay_alu instid0(VALU_DEP_3) | instskip(NEXT) | instid1(VALU_DEP_2)
	v_cndmask_b32_e64 v34, 0xffff, v26, s10
	v_cmp_o_f32_e64 s10, v35, v35
	s_delay_alu instid0(VALU_DEP_2) | instskip(NEXT) | instid1(VALU_DEP_1)
	v_xor_b32_e32 v33, v34, v33
	v_cndmask_b32_e64 v33, 0xffff, v33, s10
	s_delay_alu instid0(VALU_DEP_1) | instskip(NEXT) | instid1(VALU_DEP_1)
	v_and_b32_e32 v33, v33, v27
	v_cmp_eq_u32_e64 s10, v33, v28
	s_delay_alu instid0(VALU_DEP_1) | instskip(SKIP_1) | instid1(SALU_CYCLE_1)
	s_cmp_lg_u32 s10, 0
	s_cselect_b32 s11, -1, 0
	s_and_b32 s11, s2, s11
	s_delay_alu instid0(SALU_CYCLE_1)
	s_and_saveexec_b32 s13, s11
	s_cbranch_execz .LBB111_17
; %bb.14:                               ;   in Loop: Header=BB111_11 Depth=2
	s_mov_b32 s16, exec_lo
	s_bcnt1_i32_b32 s14, s10
	v_mbcnt_lo_u32_b32 v32, s16, 0
	s_mov_b32 s15, exec_lo
                                        ; implicit-def: $vgpr33
	s_delay_alu instid0(VALU_DEP_1)
	v_cmpx_eq_u32_e32 0, v32
	s_cbranch_execz .LBB111_16
; %bb.15:                               ;   in Loop: Header=BB111_11 Depth=2
	s_bcnt1_i32_b32 s11, s16
	s_delay_alu instid0(SALU_CYCLE_1) | instskip(NEXT) | instid1(SALU_CYCLE_1)
	s_mul_i32 s11, s14, s11
	v_mov_b32_e32 v33, s11
	ds_add_rtn_u32 v33, v9, v33 offset:4104
.LBB111_16:                             ;   in Loop: Header=BB111_11 Depth=2
	s_or_b32 exec_lo, exec_lo, s15
	s_waitcnt lgkmcnt(0)
	v_readfirstlane_b32 s11, v33
	s_delay_alu instid0(VALU_DEP_1)
	v_mad_u32_u24 v32, s14, v32, s11
.LBB111_17:                             ;   in Loop: Header=BB111_11 Depth=2
	s_or_b32 exec_lo, exec_lo, s13
	ds_bpermute_b32 v32, v9, v32
	s_and_b32 s11, exec_lo, vcc_lo
	s_delay_alu instid0(SALU_CYCLE_1)
	s_or_b32 s12, s11, s12
	s_and_saveexec_b32 s11, s10
	s_cbranch_execz .LBB111_10
; %bb.18:                               ;   in Loop: Header=BB111_11 Depth=2
	v_and_b32_e32 v33, s10, v14
	s_delay_alu instid0(VALU_DEP_1) | instskip(NEXT) | instid1(VALU_DEP_1)
	v_bcnt_u32_b32 v33, v33, 0
	v_lshlrev_b32_e32 v33, 1, v33
	s_waitcnt lgkmcnt(0)
	s_delay_alu instid0(VALU_DEP_1)
	v_lshl_add_u32 v32, v32, 1, v33
	ds_store_b16 v32, v4
	s_branch .LBB111_10
.LBB111_19:                             ;   in Loop: Header=BB111_6 Depth=1
	s_mov_b32 s78, -1
	s_mov_b32 s10, 0
.LBB111_20:                             ;   in Loop: Header=BB111_6 Depth=1
	s_and_b32 vcc_lo, exec_lo, s78
	s_cbranch_vccz .LBB111_31
.LBB111_21:                             ;   in Loop: Header=BB111_6 Depth=1
	v_mov_b32_e32 v1, 0
	s_and_saveexec_b32 s10, s4
	s_cbranch_execz .LBB111_23
; %bb.22:                               ;   in Loop: Header=BB111_6 Depth=1
	global_load_u16 v1, v[5:6], off
.LBB111_23:                             ;   in Loop: Header=BB111_6 Depth=1
	s_or_b32 exec_lo, exec_lo, s10
	s_and_saveexec_b32 s11, s4
	s_cbranch_execz .LBB111_28
; %bb.24:                               ;   in Loop: Header=BB111_6 Depth=1
	global_load_u16 v2, v9, s[26:27]
	v_mov_b32_e32 v32, v0
	s_mov_b32 s12, 0
	v_mov_b32_e32 v31, v19
	s_waitcnt vmcnt(0)
	v_add_nc_u32_e32 v3, v0, v2
	v_lshlrev_b32_e32 v4, 1, v2
	s_delay_alu instid0(VALU_DEP_2)
	v_mul_lo_u32 v8, s28, v3
	v_mul_lo_u32 v3, s28, v2
	s_set_inst_prefetch_distance 0x1
	s_branch .LBB111_26
	.p2align	6
.LBB111_25:                             ;   in Loop: Header=BB111_26 Depth=2
	s_or_b32 exec_lo, exec_lo, s13
	ds_store_b16 v31, v1
	v_add_nc_u32_e32 v31, v31, v4
	s_waitcnt vmcnt(0)
	v_dual_mov_b32 v1, v33 :: v_dual_add_nc_u32 v8, v8, v3
	s_and_b32 s10, exec_lo, vcc_lo
	s_delay_alu instid0(SALU_CYCLE_1) | instskip(NEXT) | instid1(SALU_CYCLE_1)
	s_or_b32 s12, s10, s12
	s_and_not1_b32 exec_lo, exec_lo, s12
	s_cbranch_execz .LBB111_28
.LBB111_26:                             ;   Parent Loop BB111_6 Depth=1
                                        ; =>  This Inner Loop Header: Depth=2
	v_dual_mov_b32 v33, 0 :: v_dual_add_nc_u32 v32, v32, v2
	s_mov_b32 s13, exec_lo
	s_delay_alu instid0(VALU_DEP_1)
	v_cmp_le_u32_e32 vcc_lo, s24, v32
	v_cmpx_gt_u32_e64 s24, v32
	s_cbranch_execz .LBB111_25
; %bb.27:                               ;   in Loop: Header=BB111_26 Depth=2
	v_lshlrev_b64 v[33:34], 1, v[8:9]
	s_delay_alu instid0(VALU_DEP_1) | instskip(NEXT) | instid1(VALU_DEP_1)
	v_add_co_u32 v33, s10, s29, v33
	v_add_co_ci_u32_e64 v34, s10, s33, v34, s10
	global_load_u16 v33, v[33:34], off
	s_branch .LBB111_25
.LBB111_28:                             ;   in Loop: Header=BB111_6 Depth=1
	s_set_inst_prefetch_distance 0x2
	s_or_b32 exec_lo, exec_lo, s11
	s_waitcnt vmcnt(0) lgkmcnt(0)
	s_barrier
	buffer_gl0_inv
	s_and_saveexec_b32 s10, s5
	s_cbranch_execz .LBB111_30
; %bb.29:                               ;   in Loop: Header=BB111_6 Depth=1
	v_mov_b32_e32 v1, s24
	ds_store_b32 v9, v1 offset:4096
.LBB111_30:                             ;   in Loop: Header=BB111_6 Depth=1
	s_or_b32 exec_lo, exec_lo, s10
	s_mov_b32 s10, -1
	s_waitcnt lgkmcnt(0)
	s_barrier
                                        ; implicit-def: $sgpr78
.LBB111_31:                             ;   in Loop: Header=BB111_6 Depth=1
	s_and_b32 vcc_lo, exec_lo, s10
	s_cbranch_vccz .LBB111_33
; %bb.32:                               ;   in Loop: Header=BB111_6 Depth=1
	buffer_gl0_inv
	ds_load_b32 v1, v9 offset:4096
	s_waitcnt lgkmcnt(0)
	v_readfirstlane_b32 s78, v1
.LBB111_33:                             ;   in Loop: Header=BB111_6 Depth=1
	s_delay_alu instid0(VALU_DEP_1)
	s_cmp_lt_i32 s78, 1
	s_cbranch_scc0 .LBB111_37
; %bb.34:                               ;   in Loop: Header=BB111_6 Depth=1
	v_dual_mov_b32 v1, 0 :: v_dual_mov_b32 v2, 0
	v_dual_mov_b32 v3, 0 :: v_dual_mov_b32 v4, 0
	s_mov_b32 s22, 0
	s_and_saveexec_b32 s21, s7
	s_cbranch_execnz .LBB111_38
; %bb.35:                               ;   in Loop: Header=BB111_6 Depth=1
	s_or_b32 exec_lo, exec_lo, s21
	v_mov_b32_e32 v32, 0
	s_and_saveexec_b32 s10, s8
	s_cbranch_execnz .LBB111_41
.LBB111_36:                             ;   in Loop: Header=BB111_6 Depth=1
	s_or_b32 exec_lo, exec_lo, s10
	s_and_saveexec_b32 s14, s8
	s_cbranch_execnz .LBB111_42
	s_branch .LBB111_47
.LBB111_37:                             ;   in Loop: Header=BB111_6 Depth=1
                                        ; implicit-def: $vgpr4
	s_cbranch_execnz .LBB111_48
	s_branch .LBB111_57
.LBB111_38:                             ;   in Loop: Header=BB111_6 Depth=1
	v_mov_b32_e32 v31, v16
	s_and_b32 s23, s71, 0xfe
	s_mov_b32 s79, 0
	s_mov_b32 s80, 0
	;; [unrolled: 1-line block ×5, first 2 shown]
.LBB111_39:                             ;   Parent Loop BB111_6 Depth=1
                                        ; =>  This Inner Loop Header: Depth=2
	v_add_nc_u32_e32 v8, s79, v22
	s_delay_alu instid0(VALU_DEP_1) | instskip(SKIP_1) | instid1(VALU_DEP_1)
	v_lshlrev_b64 v[1:2], 1, v[8:9]
	v_add_nc_u32_e32 v8, s79, v12
	v_lshlrev_b64 v[3:4], 1, v[8:9]
	s_delay_alu instid0(VALU_DEP_3) | instskip(SKIP_2) | instid1(VALU_DEP_4)
	v_add_co_u32 v1, vcc_lo, s29, v1
	v_add_nc_u32_e32 v8, s79, v13
	v_add_co_ci_u32_e32 v2, vcc_lo, s33, v2, vcc_lo
	v_add_co_u32 v3, vcc_lo, s29, v3
	s_delay_alu instid0(VALU_DEP_3)
	v_lshlrev_b64 v[32:33], 1, v[8:9]
	v_add_nc_u32_e32 v8, s79, v21
	v_add_co_ci_u32_e32 v4, vcc_lo, s33, v4, vcc_lo
	global_load_u16 v34, v[1:2], off
	s_add_i32 s79, s79, s62
	v_lshlrev_b64 v[1:2], 1, v[8:9]
	global_load_u16 v8, v[3:4], off
	v_add_co_u32 v3, vcc_lo, s29, v32
	v_add_co_ci_u32_e32 v4, vcc_lo, s33, v33, vcc_lo
	v_add_co_u32 v1, vcc_lo, s29, v1
	v_add_co_ci_u32_e32 v2, vcc_lo, s33, v2, vcc_lo
	s_clause 0x1
	global_load_u16 v3, v[3:4], off
	global_load_u16 v1, v[1:2], off
	s_waitcnt vmcnt(3)
	v_cmp_lt_i16_e64 s10, -1, v34
	v_and_b32_e32 v2, 0xffff, v34
	v_lshlrev_b32_e32 v32, 16, v34
	s_waitcnt vmcnt(2)
	v_and_b32_e32 v33, 0xffff, v8
	v_cndmask_b32_e64 v4, 0xffff, v26, s10
	v_cmp_lt_i16_e64 s10, -1, v8
	s_delay_alu instid0(VALU_DEP_2) | instskip(NEXT) | instid1(VALU_DEP_2)
	v_xor_b32_e32 v2, v4, v2
	v_cndmask_b32_e64 v34, 0xffff, v26, s10
	v_cmp_o_f32_e64 s10, v32, v32
	v_lshlrev_b32_e32 v4, 16, v8
	s_waitcnt vmcnt(1)
	v_cmp_lt_i16_e64 s11, -1, v3
	v_and_b32_e32 v32, 0xffff, v3
	v_xor_b32_e32 v8, v34, v33
	v_cndmask_b32_e64 v2, 0xffff, v2, s10
	v_cmp_o_f32_e64 s10, v4, v4
	v_cndmask_b32_e64 v33, 0xffff, v26, s11
	v_lshlrev_b32_e32 v3, 16, v3
	s_delay_alu instid0(VALU_DEP_4) | instskip(NEXT) | instid1(VALU_DEP_4)
	v_and_b32_e32 v34, v2, v27
	v_cndmask_b32_e64 v4, 0xffff, v8, s10
	s_waitcnt vmcnt(0)
	v_cmp_lt_i16_e64 s10, -1, v1
	v_xor_b32_e32 v8, v33, v32
	v_bfe_u32 v2, v2, s23, 2
	v_and_b32_e32 v32, 0xffff, v1
	v_lshlrev_b32_e32 v1, 16, v1
	v_cndmask_b32_e64 v33, 0xffff, v26, s10
	v_cmp_o_f32_e64 s10, v3, v3
	v_cmp_eq_u32_e64 s11, 0, v2
	v_cmp_eq_u32_e64 s12, 1, v2
	v_cmp_o_f32_e64 s15, v1, v1
	v_cmp_eq_u32_e64 s13, 2, v2
	v_cndmask_b32_e64 v3, 0xffff, v8, s10
	v_cmp_eq_u32_e64 s10, v34, v28
	v_xor_b32_e32 v8, v33, v32
	v_and_b32_e32 v32, v4, v27
	v_bfe_u32 v4, v4, s23, 2
	v_cmp_eq_u32_e64 s14, 3, v2
	v_and_b32_e32 v2, v3, v27
	v_bfe_u32 v3, v3, s23, 2
	s_and_b32 s11, s10, s11
	v_cndmask_b32_e64 v1, 0xffff, v8, s15
	v_cmp_eq_u32_e64 s15, v32, v28
	v_cmp_eq_u32_e64 s16, 0, v4
	v_cndmask_b32_e64 v8, 0, 1, s11
	v_cmp_eq_u32_e64 s11, 1, v4
	s_and_b32 s12, s10, s12
	s_and_b32 s13, s10, s13
	;; [unrolled: 1-line block ×3, first 2 shown]
	v_cndmask_b32_e64 v32, 0, 1, s12
	v_cmp_eq_u32_e64 s12, 2, v4
	v_cndmask_b32_e64 v33, 0, 1, s13
	v_cmp_eq_u32_e64 s13, 3, v4
	;; [unrolled: 2-line block ×3, first 2 shown]
	v_cmp_eq_u32_e64 s14, 0, v3
	v_and_b32_e32 v2, v1, v27
	v_bfe_u32 v1, v1, s23, 2
	s_and_b32 s16, s15, s16
	s_and_b32 s11, s15, s11
	v_cmp_ne_u32_e64 s17, 0, v8
	v_cndmask_b32_e64 v8, 0, 1, s16
	v_cmp_eq_u32_e64 s16, 1, v3
	v_cmp_ne_u32_e64 s18, 0, v32
	v_cndmask_b32_e64 v32, 0, 1, s11
	v_cmp_eq_u32_e64 s11, 2, v3
	s_and_b32 s12, s15, s12
	s_and_b32 s13, s15, s13
	;; [unrolled: 1-line block ×3, first 2 shown]
	v_cmp_ne_u32_e64 s19, 0, v33
	v_cndmask_b32_e64 v33, 0, 1, s12
	v_cmp_eq_u32_e64 s12, 3, v3
	v_cndmask_b32_e64 v3, 0, 1, s13
	v_cmp_eq_u32_e64 s13, v2, v28
	;; [unrolled: 2-line block ×3, first 2 shown]
	v_cmp_ne_u32_e64 s20, 0, v4
	v_cmp_eq_u32_e64 s15, 0, v1
	s_and_b32 s16, s10, s16
	s_and_b32 s11, s10, s11
	s_bcnt1_i32_b32 s84, s17
	v_cmp_ne_u32_e64 s17, 0, v8
	v_cndmask_b32_e64 v4, 0, 1, s16
	v_cmp_eq_u32_e64 s16, 2, v1
	v_cndmask_b32_e64 v8, 0, 1, s11
	v_cmp_eq_u32_e64 s11, 3, v1
	s_and_b32 s10, s10, s12
	s_and_b32 s14, s13, s14
	s_bcnt1_i32_b32 s87, s20
	v_cmp_ne_u32_e64 s20, 0, v3
	v_cndmask_b32_e64 v1, 0, 1, s10
	v_cndmask_b32_e64 v3, 0, 1, s14
	s_bcnt1_i32_b32 s85, s18
	v_cmp_ne_u32_e64 s18, 0, v32
	s_and_b32 s12, s13, s15
	v_cmp_ne_u32_e64 s10, 0, v2
	v_cndmask_b32_e64 v2, 0, 1, s12
	v_cmp_ne_u32_e64 s12, 0, v4
	s_and_b32 s15, s13, s16
	s_and_b32 s11, s13, s11
	v_cndmask_b32_e64 v4, 0, 1, s15
	v_cmp_ne_u32_e64 s15, 0, v1
	v_cndmask_b32_e64 v1, 0, 1, s11
	v_cmp_ne_u32_e64 s11, 0, v3
	s_bcnt1_i32_b32 s86, s19
	v_cmp_ne_u32_e64 s19, 0, v33
	s_add_i32 s82, s85, s82
	s_add_i32 s80, s87, s80
	s_bcnt1_i32_b32 s18, s18
	s_bcnt1_i32_b32 s16, s20
	v_cmp_ne_u32_e64 s14, 0, v8
	s_add_i32 s18, s82, s18
	s_add_i32 s16, s80, s16
	s_bcnt1_i32_b32 s80, s12
	s_bcnt1_i32_b32 s20, s10
	v_cmp_ne_u32_e64 s10, 0, v2
	v_cmp_ne_u32_e64 s12, 0, v4
	;; [unrolled: 1-line block ×3, first 2 shown]
	s_add_i32 s18, s18, s80
	s_bcnt1_i32_b32 s11, s11
	s_add_i32 s83, s84, s83
	s_add_i32 s81, s86, s81
	s_bcnt1_i32_b32 s17, s17
	s_bcnt1_i32_b32 s19, s19
	s_add_i32 s82, s18, s11
	s_delay_alu instid0(SALU_CYCLE_1)
	v_dual_mov_b32 v2, s82 :: v_dual_add_nc_u32 v31, s49, v31
	s_add_i32 s17, s83, s17
	s_add_i32 s19, s81, s19
	s_bcnt1_i32_b32 s14, s14
	s_bcnt1_i32_b32 s15, s15
	s_add_i32 s17, s17, s20
	s_add_i32 s14, s19, s14
	;; [unrolled: 1-line block ×3, first 2 shown]
	s_bcnt1_i32_b32 s10, s10
	s_bcnt1_i32_b32 s12, s12
	;; [unrolled: 1-line block ×3, first 2 shown]
	v_cmp_le_u32_e32 vcc_lo, s59, v31
	s_add_i32 s83, s17, s10
	s_add_i32 s81, s14, s12
	;; [unrolled: 1-line block ×3, first 2 shown]
	v_mov_b32_e32 v1, s83
	v_dual_mov_b32 v3, s81 :: v_dual_mov_b32 v4, s80
	s_or_b32 s22, vcc_lo, s22
	s_delay_alu instid0(SALU_CYCLE_1)
	s_and_not1_b32 exec_lo, exec_lo, s22
	s_cbranch_execnz .LBB111_39
; %bb.40:                               ;   in Loop: Header=BB111_6 Depth=1
	s_or_b32 exec_lo, exec_lo, s22
	s_delay_alu instid0(SALU_CYCLE_1)
	s_or_b32 exec_lo, exec_lo, s21
	v_mov_b32_e32 v32, 0
	s_and_saveexec_b32 s10, s8
	s_cbranch_execz .LBB111_36
.LBB111_41:                             ;   in Loop: Header=BB111_6 Depth=1
	global_load_u16 v32, v[10:11], off
	s_or_b32 exec_lo, exec_lo, s10
	s_and_saveexec_b32 s14, s8
	s_cbranch_execz .LBB111_47
.LBB111_42:                             ;   in Loop: Header=BB111_6 Depth=1
	v_dual_mov_b32 v8, v23 :: v_dual_mov_b32 v31, v18
	s_and_b32 s16, s71, 0xfe
	s_mov_b32 s15, 0
	s_branch .LBB111_44
.LBB111_43:                             ;   in Loop: Header=BB111_44 Depth=2
	s_or_b32 exec_lo, exec_lo, s11
	s_waitcnt vmcnt(0)
	v_cmp_lt_i16_e64 s10, -1, v32
	v_and_b32_e32 v34, 0xffff, v32
	v_lshlrev_b32_e32 v32, 16, v32
	s_and_b32 s11, exec_lo, vcc_lo
	v_add_nc_u32_e32 v8, s42, v8
	v_cndmask_b32_e64 v35, 0xffff, v26, s10
	s_or_b32 s15, s11, s15
	v_cmp_o_f32_e64 s10, v32, v32
	s_delay_alu instid0(VALU_DEP_2) | instskip(NEXT) | instid1(VALU_DEP_1)
	v_xor_b32_e32 v34, v35, v34
	v_cndmask_b32_e64 v32, 0xffff, v34, s10
	s_delay_alu instid0(VALU_DEP_1) | instskip(SKIP_1) | instid1(VALU_DEP_2)
	v_and_b32_e32 v34, v32, v27
	v_bfe_u32 v32, v32, s16, 2
	v_cmp_eq_u32_e32 vcc_lo, v34, v28
	s_delay_alu instid0(VALU_DEP_2) | instskip(SKIP_3) | instid1(VALU_DEP_4)
	v_cmp_eq_u32_e64 s10, 0, v32
	v_cmp_eq_u32_e64 s11, 1, v32
	;; [unrolled: 1-line block ×4, first 2 shown]
	s_and_b32 s10, vcc_lo, s10
	s_delay_alu instid0(SALU_CYCLE_1) | instskip(SKIP_1) | instid1(SALU_CYCLE_1)
	v_cndmask_b32_e64 v32, 0, 1, s10
	s_and_b32 s10, vcc_lo, s11
	v_cndmask_b32_e64 v34, 0, 1, s10
	s_and_b32 s10, vcc_lo, s12
	s_delay_alu instid0(SALU_CYCLE_1)
	v_cndmask_b32_e64 v35, 0, 1, s10
	s_and_b32 s10, vcc_lo, s13
	v_cmp_ne_u32_e32 vcc_lo, 0, v32
	v_cndmask_b32_e64 v36, 0, 1, s10
	v_cmp_ne_u32_e64 s10, 0, v34
	v_cmp_ne_u32_e64 s11, 0, v35
	v_mov_b32_e32 v32, v33
	s_bcnt1_i32_b32 s13, vcc_lo
	v_cmp_ne_u32_e64 s12, 0, v36
	s_bcnt1_i32_b32 s10, s10
	s_bcnt1_i32_b32 s11, s11
	v_add_nc_u32_e32 v1, s13, v1
	v_add_nc_u32_e32 v2, s10, v2
	s_bcnt1_i32_b32 s12, s12
	v_add_nc_u32_e32 v3, s11, v3
	v_add_nc_u32_e32 v4, s12, v4
	s_and_not1_b32 exec_lo, exec_lo, s15
	s_cbranch_execz .LBB111_46
.LBB111_44:                             ;   Parent Loop BB111_6 Depth=1
                                        ; =>  This Inner Loop Header: Depth=2
	s_delay_alu instid0(VALU_DEP_1) | instskip(SKIP_2) | instid1(VALU_DEP_2)
	v_add_nc_u32_e32 v31, s40, v31
	v_mov_b32_e32 v33, 0
	s_mov_b32 s11, exec_lo
	v_cmp_le_u32_e32 vcc_lo, s24, v31
	v_cmpx_gt_u32_e64 s24, v31
	s_cbranch_execz .LBB111_43
; %bb.45:                               ;   in Loop: Header=BB111_44 Depth=2
	v_lshlrev_b64 v[33:34], 1, v[8:9]
	s_delay_alu instid0(VALU_DEP_1) | instskip(NEXT) | instid1(VALU_DEP_1)
	v_add_co_u32 v33, s10, s29, v33
	v_add_co_ci_u32_e64 v34, s10, s33, v34, s10
	global_load_u16 v33, v[33:34], off
	s_branch .LBB111_43
.LBB111_46:                             ;   in Loop: Header=BB111_6 Depth=1
	s_or_b32 exec_lo, exec_lo, s15
.LBB111_47:                             ;   in Loop: Header=BB111_6 Depth=1
	s_delay_alu instid0(SALU_CYCLE_1)
	s_or_b32 exec_lo, exec_lo, s14
	s_branch .LBB111_57
.LBB111_48:                             ;   in Loop: Header=BB111_6 Depth=1
	s_mul_hi_u32 s10, s78, s58
	v_dual_mov_b32 v1, 0 :: v_dual_mov_b32 v2, 0
	s_mul_i32 s10, s10, s49
	v_dual_mov_b32 v3, 0 :: v_dual_mov_b32 v4, 0
	s_sub_i32 s10, s78, s10
	s_mov_b32 s81, 0
	s_sub_i32 s11, s10, s49
	s_cmp_ge_u32 s10, s49
	s_mov_b32 s80, exec_lo
	s_cselect_b32 s10, s11, s10
	s_delay_alu instid0(SALU_CYCLE_1) | instskip(SKIP_2) | instid1(SALU_CYCLE_1)
	s_sub_i32 s11, s10, s49
	s_cmp_ge_u32 s10, s49
	s_cselect_b32 s10, s11, s10
	s_sub_i32 s79, s78, s10
	s_delay_alu instid0(SALU_CYCLE_1)
	v_cmpx_gt_u32_e64 s79, v16
	s_cbranch_execz .LBB111_52
; %bb.49:                               ;   in Loop: Header=BB111_6 Depth=1
	v_mov_b32_e32 v8, v24
	v_mov_b32_e32 v31, v16
	s_and_b32 s82, s71, 0xfe
	s_mov_b32 s83, 0
	s_mov_b32 s84, 0
	;; [unrolled: 1-line block ×4, first 2 shown]
.LBB111_50:                             ;   Parent Loop BB111_6 Depth=1
                                        ; =>  This Inner Loop Header: Depth=2
	ds_load_b64 v[1:2], v8
	s_waitcnt lgkmcnt(0)
	v_cmp_lt_i16_e64 s10, -1, v1
	v_lshrrev_b32_e32 v4, 16, v2
	v_lshrrev_b32_e32 v3, 16, v1
	s_waitcnt vmcnt(0)
	v_and_b32_e32 v32, 0xffff, v1
	v_lshlrev_b32_e32 v34, 16, v1
	v_cndmask_b32_e64 v33, 0xffff, v26, s10
	v_cmp_lt_i16_e64 s10, -1, v2
	v_and_b32_e32 v35, 0xffff, v2
	v_cmp_lt_i16_e64 s11, -1, v4
	v_lshlrev_b32_e32 v37, 16, v2
	v_xor_b32_e32 v32, v33, v32
	v_cndmask_b32_e64 v36, 0xffff, v26, s10
	v_cmp_lt_i16_e64 s10, -1, v3
	v_and_b32_e32 v1, 0xffff0000, v1
	v_and_b32_e32 v2, 0xffff0000, v2
	s_delay_alu instid0(VALU_DEP_4) | instskip(SKIP_4) | instid1(VALU_DEP_4)
	v_xor_b32_e32 v35, v36, v35
	v_cndmask_b32_e64 v36, 0xffff, v26, s11
	v_cmp_o_f32_e64 s11, v34, v34
	v_cndmask_b32_e64 v33, 0xffff, v26, s10
	v_cmp_o_f32_e64 s10, v37, v37
	v_xor_b32_e32 v4, v36, v4
	s_delay_alu instid0(VALU_DEP_4) | instskip(NEXT) | instid1(VALU_DEP_4)
	v_cndmask_b32_e64 v32, 0xffff, v32, s11
	v_xor_b32_e32 v3, v33, v3
	s_delay_alu instid0(VALU_DEP_4) | instskip(SKIP_4) | instid1(VALU_DEP_3)
	v_cndmask_b32_e64 v33, 0xffff, v35, s10
	v_cmp_o_f32_e64 s10, v2, v2
	v_cmp_o_f32_e64 s11, v1, v1
	v_and_b32_e32 v2, v32, v27
	v_bfe_u32 v32, v32, s82, 2
	v_cndmask_b32_e64 v1, 0xffff, v3, s11
	v_cndmask_b32_e64 v3, 0xffff, v4, s10
	v_and_b32_e32 v4, v33, v27
	v_bfe_u32 v33, v33, s82, 2
	v_cmp_eq_u32_e64 s10, v2, v28
	v_cmp_eq_u32_e64 s12, 0, v32
	v_and_b32_e32 v2, v1, v27
	v_cmp_eq_u32_e64 s11, v4, v28
	v_cmp_eq_u32_e64 s13, 0, v33
	v_and_b32_e32 v4, v3, v27
	v_bfe_u32 v1, v1, s82, 2
	v_bfe_u32 v3, v3, s82, 2
	v_cmp_eq_u32_e64 s14, 1, v32
	v_cmp_eq_u32_e64 s16, 2, v32
	s_and_b32 s12, s10, s12
	v_cmp_eq_u32_e64 s15, 1, v33
	v_cmp_eq_u32_e64 s17, 2, v33
	v_cmp_eq_u32_e64 s18, 3, v32
	v_cmp_eq_u32_e64 s20, v2, v28
	v_cndmask_b32_e64 v2, 0, 1, s12
	s_and_b32 s12, s11, s13
	v_cmp_eq_u32_e64 s19, 3, v33
	v_cmp_eq_u32_e64 s21, v4, v28
	;; [unrolled: 1-line block ×4, first 2 shown]
	v_cndmask_b32_e64 v4, 0, 1, s12
	v_cmp_eq_u32_e64 s12, 1, v1
	s_and_b32 s14, s10, s14
	s_and_b32 s16, s10, s16
	v_cndmask_b32_e64 v32, 0, 1, s14
	s_and_b32 s14, s11, s15
	v_cndmask_b32_e64 v34, 0, 1, s16
	s_and_b32 s16, s11, s17
	s_and_b32 s10, s10, s18
	v_cmp_eq_u32_e64 s13, 1, v3
	v_cndmask_b32_e64 v33, 0, 1, s14
	v_cmp_eq_u32_e64 s14, 2, v1
	v_cmp_eq_u32_e64 s15, 2, v3
	v_cndmask_b32_e64 v35, 0, 1, s16
	v_cmp_eq_u32_e64 s16, 3, v1
	v_cmp_eq_u32_e64 s17, 3, v3
	v_cndmask_b32_e64 v1, 0, 1, s10
	s_and_b32 s10, s11, s19
	s_and_b32 s11, s20, s22
	;; [unrolled: 1-line block ×4, first 2 shown]
	v_cndmask_b32_e64 v3, 0, 1, s10
	v_cmp_ne_u32_e64 s10, 0, v2
	v_cndmask_b32_e64 v2, 0, 1, s11
	v_cmp_ne_u32_e64 s11, 0, v4
	;; [unrolled: 2-line block ×3, first 2 shown]
	v_cndmask_b32_e64 v32, 0, 1, s12
	s_and_b32 s13, s21, s13
	s_and_b32 s14, s20, s14
	;; [unrolled: 1-line block ×5, first 2 shown]
	v_cmp_ne_u32_e64 s12, 0, v33
	v_cndmask_b32_e64 v33, 0, 1, s13
	v_cmp_ne_u32_e64 s13, 0, v34
	v_cndmask_b32_e64 v34, 0, 1, s14
	v_cmp_ne_u32_e64 s14, 0, v35
	v_cndmask_b32_e64 v35, 0, 1, s15
	v_cmp_ne_u32_e64 s15, 0, v1
	v_cndmask_b32_e64 v1, 0, 1, s16
	v_cmp_ne_u32_e64 s16, 0, v3
	v_cndmask_b32_e64 v3, 0, 1, s17
	v_cmp_ne_u32_e64 s17, 0, v32
	s_bcnt1_i32_b32 s18, s18
	s_bcnt1_i32_b32 s21, s12
	v_cmp_ne_u32_e64 s12, 0, v33
	s_bcnt1_i32_b32 s19, s10
	v_cmp_ne_u32_e64 s10, 0, v2
	;; [unrolled: 2-line block ×4, first 2 shown]
	s_add_i32 s18, s18, s85
	s_bcnt1_i32_b32 s17, s17
	s_bcnt1_i32_b32 s20, s11
	s_add_i32 s17, s18, s17
	v_cmp_ne_u32_e64 s11, 0, v4
	s_bcnt1_i32_b32 s23, s14
	v_cmp_ne_u32_e64 s14, 0, v35
	s_bcnt1_i32_b32 s88, s16
	;; [unrolled: 2-line block ×3, first 2 shown]
	s_add_i32 s17, s17, s21
	s_add_i32 s19, s19, s86
	;; [unrolled: 1-line block ×4, first 2 shown]
	s_bcnt1_i32_b32 s10, s10
	s_bcnt1_i32_b32 s13, s13
	;; [unrolled: 1-line block ×3, first 2 shown]
	s_add_i32 s85, s17, s12
	s_delay_alu instid0(SALU_CYCLE_1)
	v_dual_mov_b32 v2, s85 :: v_dual_add_nc_u32 v31, s49, v31
	s_add_i32 s10, s19, s10
	s_add_i32 s13, s22, s13
	;; [unrolled: 1-line block ×3, first 2 shown]
	s_bcnt1_i32_b32 s11, s11
	s_bcnt1_i32_b32 s14, s14
	;; [unrolled: 1-line block ×3, first 2 shown]
	s_add_i32 s10, s10, s20
	s_add_i32 s13, s13, s23
	;; [unrolled: 1-line block ×3, first 2 shown]
	v_cmp_le_u32_e32 vcc_lo, s79, v31
	s_add_i32 s86, s10, s11
	s_add_i32 s84, s13, s14
	;; [unrolled: 1-line block ×3, first 2 shown]
	v_dual_mov_b32 v1, s86 :: v_dual_add_nc_u32 v8, s63, v8
	v_dual_mov_b32 v3, s84 :: v_dual_mov_b32 v4, s83
	s_or_b32 s81, vcc_lo, s81
	s_delay_alu instid0(SALU_CYCLE_1)
	s_and_not1_b32 exec_lo, exec_lo, s81
	s_cbranch_execnz .LBB111_50
; %bb.51:                               ;   in Loop: Header=BB111_6 Depth=1
	s_or_b32 exec_lo, exec_lo, s81
.LBB111_52:                             ;   in Loop: Header=BB111_6 Depth=1
	s_delay_alu instid0(SALU_CYCLE_1) | instskip(SKIP_2) | instid1(VALU_DEP_1)
	s_or_b32 exec_lo, exec_lo, s80
	v_add_nc_u32_e32 v8, s79, v0
	s_mov_b32 s15, exec_lo
	v_cmpx_gt_u32_e64 s78, v8
	s_cbranch_execz .LBB111_56
; %bb.53:                               ;   in Loop: Header=BB111_6 Depth=1
	v_lshlrev_b32_e32 v31, 1, v8
	s_and_b32 s17, s71, 0xfe
	s_mov_b32 s16, 0
.LBB111_54:                             ;   Parent Loop BB111_6 Depth=1
                                        ; =>  This Inner Loop Header: Depth=2
	s_waitcnt vmcnt(0)
	ds_load_u16 v32, v31
	v_add_nc_u32_e32 v8, s40, v8
	v_add_nc_u32_e32 v31, s64, v31
	s_delay_alu instid0(VALU_DEP_2) | instskip(SKIP_4) | instid1(VALU_DEP_3)
	v_cmp_le_u32_e32 vcc_lo, s78, v8
	s_waitcnt lgkmcnt(0)
	v_cmp_lt_i16_e64 s10, -1, v32
	v_and_b32_e32 v33, 0xffff, v32
	v_lshlrev_b32_e32 v32, 16, v32
	v_cndmask_b32_e64 v34, 0xffff, v26, s10
	s_delay_alu instid0(VALU_DEP_2) | instskip(NEXT) | instid1(VALU_DEP_2)
	v_cmp_o_f32_e64 s10, v32, v32
	v_xor_b32_e32 v33, v34, v33
	s_delay_alu instid0(VALU_DEP_1) | instskip(NEXT) | instid1(VALU_DEP_1)
	v_cndmask_b32_e64 v32, 0xffff, v33, s10
	v_and_b32_e32 v33, v32, v27
	v_bfe_u32 v32, v32, s17, 2
	s_delay_alu instid0(VALU_DEP_2) | instskip(NEXT) | instid1(VALU_DEP_2)
	v_cmp_eq_u32_e64 s10, v33, v28
	v_cmp_eq_u32_e64 s11, 0, v32
	;; [unrolled: 1-line block ×5, first 2 shown]
	s_delay_alu instid0(VALU_DEP_4) | instskip(NEXT) | instid1(SALU_CYCLE_1)
	s_and_b32 s11, s10, s11
	v_cndmask_b32_e64 v32, 0, 1, s11
	s_and_b32 s11, s10, s12
	s_delay_alu instid0(SALU_CYCLE_1)
	v_cndmask_b32_e64 v33, 0, 1, s11
	s_and_b32 s11, s10, s13
	s_and_b32 s10, s10, s14
	v_cndmask_b32_e64 v34, 0, 1, s11
	v_cndmask_b32_e64 v35, 0, 1, s10
	v_cmp_ne_u32_e64 s10, 0, v32
	v_cmp_ne_u32_e64 s11, 0, v33
	s_delay_alu instid0(VALU_DEP_4) | instskip(NEXT) | instid1(VALU_DEP_4)
	v_cmp_ne_u32_e64 s12, 0, v34
	v_cmp_ne_u32_e64 s13, 0, v35
	s_delay_alu instid0(VALU_DEP_4) | instskip(NEXT) | instid1(VALU_DEP_3)
	s_bcnt1_i32_b32 s10, s10
	s_bcnt1_i32_b32 s11, s11
	v_add_nc_u32_e32 v1, s10, v1
	s_bcnt1_i32_b32 s12, s12
	s_bcnt1_i32_b32 s13, s13
	v_add_nc_u32_e32 v2, s11, v2
	v_add_nc_u32_e32 v3, s12, v3
	;; [unrolled: 1-line block ×3, first 2 shown]
	s_or_b32 s16, vcc_lo, s16
	s_delay_alu instid0(SALU_CYCLE_1)
	s_and_not1_b32 exec_lo, exec_lo, s16
	s_cbranch_execnz .LBB111_54
; %bb.55:                               ;   in Loop: Header=BB111_6 Depth=1
	s_or_b32 exec_lo, exec_lo, s16
.LBB111_56:                             ;   in Loop: Header=BB111_6 Depth=1
	s_delay_alu instid0(SALU_CYCLE_1)
	s_or_b32 exec_lo, exec_lo, s15
.LBB111_57:                             ;   in Loop: Header=BB111_6 Depth=1
	s_lshl_b32 s10, s67, 7
	s_and_saveexec_b32 s11, s2
	s_cbranch_execz .LBB111_59
; %bb.58:                               ;   in Loop: Header=BB111_6 Depth=1
	v_or_b32_e32 v8, s10, v17
	s_delay_alu instid0(VALU_DEP_1)
	v_lshlrev_b32_e32 v8, 2, v8
	ds_store_b128 v8, v[1:4] offset:3072
.LBB111_59:                             ;   in Loop: Header=BB111_6 Depth=1
	s_or_b32 exec_lo, exec_lo, s11
	s_waitcnt vmcnt(0) lgkmcnt(0)
	s_barrier
	buffer_gl0_inv
	s_and_saveexec_b32 s11, s48
	s_cbranch_execz .LBB111_69
; %bb.60:                               ;   in Loop: Header=BB111_6 Depth=1
	v_mov_b32_e32 v1, 0
	s_and_not1_b32 vcc_lo, exec_lo, s52
	s_cbranch_vccnz .LBB111_68
; %bb.61:                               ;   in Loop: Header=BB111_6 Depth=1
	v_mov_b32_e32 v1, 0
	s_and_not1_b32 vcc_lo, exec_lo, s55
	s_mov_b32 s12, 0
	s_cbranch_vccnz .LBB111_65
; %bb.62:                               ;   in Loop: Header=BB111_6 Depth=1
	v_lshl_add_u32 v2, s67, 9, v25
	v_mov_b32_e32 v1, 0
	.p2align	6
.LBB111_63:                             ;   Parent Loop BB111_6 Depth=1
                                        ; =>  This Inner Loop Header: Depth=2
	ds_load_2addr_b32 v[3:4], v2 offset1:4
	ds_load_2addr_b32 v[31:32], v2 offset0:8 offset1:12
	ds_load_2addr_b32 v[33:34], v2 offset0:16 offset1:20
	;; [unrolled: 1-line block ×3, first 2 shown]
	v_add_nc_u32_e32 v2, 0x80, v2
	s_add_i32 s12, s12, 8
	s_delay_alu instid0(SALU_CYCLE_1) | instskip(SKIP_3) | instid1(VALU_DEP_1)
	s_cmp_eq_u32 s56, s12
	s_waitcnt lgkmcnt(3)
	v_add3_u32 v1, v3, v1, v4
	s_waitcnt lgkmcnt(2)
	v_add3_u32 v1, v31, v1, v32
	s_waitcnt lgkmcnt(1)
	s_delay_alu instid0(VALU_DEP_1) | instskip(SKIP_1) | instid1(VALU_DEP_1)
	v_add3_u32 v1, v33, v1, v34
	s_waitcnt lgkmcnt(0)
	v_add3_u32 v1, v35, v1, v36
	s_cbranch_scc0 .LBB111_63
; %bb.64:                               ;   in Loop: Header=BB111_6 Depth=1
	s_mov_b32 s12, s56
.LBB111_65:                             ;   in Loop: Header=BB111_6 Depth=1
	s_and_not1_b32 vcc_lo, exec_lo, s57
	s_cbranch_vccnz .LBB111_68
; %bb.66:                               ;   in Loop: Header=BB111_6 Depth=1
	s_lshl_b32 s13, s67, 9
	s_lshl_b32 s12, s12, 4
	s_delay_alu instid0(SALU_CYCLE_1)
	v_add3_u32 v2, s13, s12, v25
	s_mov_b32 s12, s54
.LBB111_67:                             ;   Parent Loop BB111_6 Depth=1
                                        ; =>  This Inner Loop Header: Depth=2
	ds_load_b32 v3, v2
	v_add_nc_u32_e32 v2, 16, v2
	s_add_i32 s12, s12, -1
	s_delay_alu instid0(SALU_CYCLE_1)
	s_cmp_lg_u32 s12, 0
	s_waitcnt lgkmcnt(0)
	v_add_nc_u32_e32 v1, v3, v1
	s_cbranch_scc1 .LBB111_67
.LBB111_68:                             ;   in Loop: Header=BB111_6 Depth=1
	v_add_lshl_u32 v2, s10, v15, 2
	ds_store_b32 v2, v1 offset:3072
.LBB111_69:                             ;   in Loop: Header=BB111_6 Depth=1
	s_or_b32 exec_lo, exec_lo, s11
	s_lshl_b32 s10, s10, 2
	s_waitcnt lgkmcnt(0)
	v_mov_b32_e32 v1, s10
	s_barrier
	buffer_gl0_inv
	s_and_b32 s17, s71, 0xfe
	v_cmp_eq_u32_e64 s10, 1, v30
	ds_load_b128 v[1:4], v1 offset:3072
	s_lshl_b32 s13, 3, s17
	s_and_not1_b32 vcc_lo, exec_lo, s50
	s_not_b32 s14, s13
	s_waitcnt lgkmcnt(0)
	v_readfirstlane_b32 s12, v1
	v_readfirstlane_b32 s16, v2
	;; [unrolled: 1-line block ×4, first 2 shown]
	s_cbranch_vccnz .LBB111_82
; %bb.70:                               ;   in Loop: Header=BB111_6 Depth=1
	s_cmp_eq_u32 s12, 1
	v_dual_mov_b32 v1, v28 :: v_dual_mov_b32 v2, v27
	v_mov_b32_e32 v3, v29
	s_cselect_b32 s11, -1, 0
	s_mov_b32 s80, -1
	s_and_b32 s79, s11, s10
                                        ; implicit-def: $sgpr15
                                        ; implicit-def: $sgpr22
                                        ; implicit-def: $sgpr21
	s_delay_alu instid0(SALU_CYCLE_1)
	s_and_saveexec_b32 s20, s79
	s_cbranch_execz .LBB111_101
; %bb.71:                               ;   in Loop: Header=BB111_6 Depth=1
	ds_load_b32 v1, v9 offset:4096
	s_waitcnt lgkmcnt(0)
	s_barrier
	buffer_gl0_inv
	v_readfirstlane_b32 s15, v1
	s_and_saveexec_b32 s11, s6
	s_cbranch_execz .LBB111_73
; %bb.72:                               ;   in Loop: Header=BB111_6 Depth=1
	ds_store_b16 v20, v9
.LBB111_73:                             ;   in Loop: Header=BB111_6 Depth=1
	s_or_b32 exec_lo, exec_lo, s11
	v_and_b32_e32 v1, s14, v28
	v_or_b32_e32 v2, s13, v27
	s_cmp_eq_u32 s15, 0
	s_waitcnt lgkmcnt(0)
	s_barrier
	buffer_gl0_inv
	s_cbranch_scc1 .LBB111_87
; %bb.74:                               ;   in Loop: Header=BB111_6 Depth=1
	s_add_i32 s11, s15, s53
                                        ; implicit-def: $vgpr3
	s_delay_alu instid0(SALU_CYCLE_1) | instskip(NEXT) | instid1(SALU_CYCLE_1)
	s_mul_hi_u32 s21, s11, s60
	s_mul_i32 s21, s21, s40
	s_delay_alu instid0(SALU_CYCLE_1) | instskip(NEXT) | instid1(SALU_CYCLE_1)
	s_sub_i32 s21, s11, s21
	s_sub_i32 s22, s21, s40
	s_cmp_ge_u32 s21, s40
	s_cselect_b32 s21, s22, s21
	s_delay_alu instid0(SALU_CYCLE_1) | instskip(SKIP_2) | instid1(SALU_CYCLE_1)
	s_sub_i32 s22, s21, s40
	s_cmp_ge_u32 s21, s40
	s_cselect_b32 s21, s22, s21
	s_sub_i32 s22, s11, s21
	s_mov_b32 s11, 0
	s_mov_b32 s21, exec_lo
	v_cmpx_gt_u32_e64 s22, v0
	s_cbranch_execz .LBB111_89
; %bb.75:                               ;   in Loop: Header=BB111_6 Depth=1
	v_dual_mov_b32 v3, v19 :: v_dual_mov_b32 v4, v0
	s_mov_b32 s23, 0
                                        ; implicit-def: $sgpr78
	s_branch .LBB111_77
.LBB111_76:                             ;   in Loop: Header=BB111_77 Depth=2
	s_or_b32 exec_lo, exec_lo, s11
	s_waitcnt lgkmcnt(0)
	s_barrier
	buffer_gl0_inv
	ds_load_b32 v8, v9 offset:3072
	v_add_nc_u32_e32 v4, s40, v4
	v_add_nc_u32_e32 v3, s64, v3
	s_waitcnt lgkmcnt(0)
	s_barrier
	buffer_gl0_inv
	v_cmp_le_u32_e32 vcc_lo, s22, v4
	v_and_b32_e32 v31, 0x7fff, v8
	s_delay_alu instid0(VALU_DEP_1) | instskip(NEXT) | instid1(VALU_DEP_1)
	v_cmp_ne_u16_e64 s11, 0, v31
	s_or_b32 s80, vcc_lo, s11
	s_delay_alu instid0(SALU_CYCLE_1) | instskip(NEXT) | instid1(SALU_CYCLE_1)
	s_and_b32 s80, exec_lo, s80
	s_or_b32 s23, s80, s23
	s_and_not1_b32 s78, s78, exec_lo
	s_and_b32 s11, s11, exec_lo
	s_delay_alu instid0(SALU_CYCLE_1)
	s_or_b32 s78, s78, s11
	s_and_not1_b32 exec_lo, exec_lo, s23
	s_cbranch_execz .LBB111_88
.LBB111_77:                             ;   Parent Loop BB111_6 Depth=1
                                        ; =>  This Inner Loop Header: Depth=2
	s_delay_alu instid0(VALU_DEP_1)
	v_cmp_gt_u32_e32 vcc_lo, s15, v4
	v_mov_b32_e32 v8, 0
	s_and_saveexec_b32 s11, vcc_lo
	s_cbranch_execz .LBB111_79
; %bb.78:                               ;   in Loop: Header=BB111_77 Depth=2
	ds_load_u16 v8, v3
.LBB111_79:                             ;   in Loop: Header=BB111_77 Depth=2
	s_or_b32 exec_lo, exec_lo, s11
	s_and_saveexec_b32 s11, vcc_lo
	s_cbranch_execz .LBB111_76
; %bb.80:                               ;   in Loop: Header=BB111_77 Depth=2
	s_waitcnt lgkmcnt(0)
	v_cmp_lt_i16_e32 vcc_lo, -1, v8
	v_and_b32_e32 v31, 0xffff, v8
	v_dual_cndmask_b32 v32, 0xffff, v26 :: v_dual_lshlrev_b32 v33, 16, v8
	s_delay_alu instid0(VALU_DEP_1) | instskip(NEXT) | instid1(VALU_DEP_2)
	v_cmp_o_f32_e32 vcc_lo, v33, v33
	v_xor_b32_e32 v31, v32, v31
	s_delay_alu instid0(VALU_DEP_1) | instskip(NEXT) | instid1(VALU_DEP_1)
	v_cndmask_b32_e32 v31, 0xffff, v31, vcc_lo
	v_and_b32_e32 v31, v31, v2
	s_delay_alu instid0(VALU_DEP_1)
	v_cmp_eq_u32_e32 vcc_lo, v31, v1
	s_and_b32 exec_lo, exec_lo, vcc_lo
	s_cbranch_execz .LBB111_76
; %bb.81:                               ;   in Loop: Header=BB111_77 Depth=2
	v_perm_b32 v8, v8, s66, 0x5040100
	ds_store_b32 v9, v8 offset:3072
	s_branch .LBB111_76
.LBB111_82:                             ;   in Loop: Header=BB111_6 Depth=1
	s_mov_b32 s20, 0
	s_mov_b32 s11, 0
                                        ; implicit-def: $sgpr21
                                        ; implicit-def: $sgpr22
                                        ; implicit-def: $sgpr15
                                        ; implicit-def: $vgpr8
                                        ; implicit-def: $vgpr4
                                        ; implicit-def: $vgpr1
                                        ; implicit-def: $vgpr2
                                        ; implicit-def: $vgpr3
	s_cbranch_execnz .LBB111_237
.LBB111_83:                             ;   in Loop: Header=BB111_6 Depth=1
	s_mov_b32 s23, s15
	s_mov_b32 s78, s15
	s_and_saveexec_b32 s10, s20
	s_cbranch_execnz .LBB111_399
	s_branch .LBB111_400
.LBB111_84:                             ;   in Loop: Header=BB111_6 Depth=1
	s_or_b32 exec_lo, exec_lo, s12
	s_waitcnt lgkmcnt(0)
	s_barrier
	buffer_gl0_inv
	s_and_saveexec_b32 s10, s5
	s_cbranch_execz .LBB111_86
; %bb.85:                               ;   in Loop: Header=BB111_6 Depth=1
	ds_load_b32 v1, v9 offset:4104
	s_waitcnt lgkmcnt(0)
	ds_store_b32 v9, v1 offset:4096
.LBB111_86:                             ;   in Loop: Header=BB111_6 Depth=1
	s_or_b32 exec_lo, exec_lo, s10
	s_waitcnt lgkmcnt(0)
	s_mov_b32 s10, -1
	s_barrier
	s_and_b32 vcc_lo, exec_lo, s78
	s_cbranch_vccnz .LBB111_21
	s_branch .LBB111_31
.LBB111_87:                             ;   in Loop: Header=BB111_6 Depth=1
	s_mov_b32 s15, -1
	s_mov_b32 s11, 0
                                        ; implicit-def: $sgpr21
                                        ; implicit-def: $vgpr3
	s_mov_b32 s22, s15
	s_cbranch_execnz .LBB111_90
	s_branch .LBB111_100
.LBB111_88:                             ;   in Loop: Header=BB111_6 Depth=1
	s_or_b32 exec_lo, exec_lo, s23
	v_lshrrev_b32_e32 v3, 16, v8
	s_and_b32 s11, s78, exec_lo
.LBB111_89:                             ;   in Loop: Header=BB111_6 Depth=1
	s_or_b32 exec_lo, exec_lo, s21
	s_mov_b32 s21, -1
	s_mov_b32 s15, 0
	s_delay_alu instid0(SALU_CYCLE_1)
	s_mov_b32 s22, s15
	s_branch .LBB111_100
.LBB111_90:                             ;   in Loop: Header=BB111_6 Depth=1
	s_mov_b32 s11, 0
                                        ; implicit-def: $vgpr3
	s_and_saveexec_b32 s15, s9
	s_cbranch_execz .LBB111_99
; %bb.91:                               ;   in Loop: Header=BB111_6 Depth=1
	v_dual_mov_b32 v8, v7 :: v_dual_mov_b32 v3, v0
	s_mov_b32 s21, 0
                                        ; implicit-def: $sgpr22
	s_branch .LBB111_93
.LBB111_92:                             ;   in Loop: Header=BB111_93 Depth=2
	s_or_b32 exec_lo, exec_lo, s11
	s_waitcnt vmcnt(0) lgkmcnt(0)
	s_barrier
	buffer_gl0_inv
	ds_load_b32 v4, v9 offset:3072
	v_add_nc_u32_e32 v3, s40, v3
	v_add_nc_u32_e32 v8, s42, v8
	s_waitcnt lgkmcnt(0)
	s_barrier
	buffer_gl0_inv
	v_cmp_le_u32_e32 vcc_lo, s61, v3
	v_and_b32_e32 v31, 0x7fff, v4
	s_delay_alu instid0(VALU_DEP_1) | instskip(NEXT) | instid1(VALU_DEP_1)
	v_cmp_ne_u16_e64 s11, 0, v31
	s_or_b32 s23, vcc_lo, s11
	s_delay_alu instid0(SALU_CYCLE_1) | instskip(NEXT) | instid1(SALU_CYCLE_1)
	s_and_b32 s23, exec_lo, s23
	s_or_b32 s21, s23, s21
	s_and_not1_b32 s22, s22, exec_lo
	s_and_b32 s11, s11, exec_lo
	s_delay_alu instid0(SALU_CYCLE_1)
	s_or_b32 s22, s22, s11
	s_and_not1_b32 exec_lo, exec_lo, s21
	s_cbranch_execz .LBB111_98
.LBB111_93:                             ;   Parent Loop BB111_6 Depth=1
                                        ; =>  This Inner Loop Header: Depth=2
	s_delay_alu instid0(VALU_DEP_1)
	v_cmp_gt_u32_e32 vcc_lo, s24, v3
	v_mov_b32_e32 v4, 0
	s_and_saveexec_b32 s23, vcc_lo
	s_cbranch_execz .LBB111_95
; %bb.94:                               ;   in Loop: Header=BB111_93 Depth=2
	v_lshlrev_b64 v[31:32], 1, v[8:9]
	s_delay_alu instid0(VALU_DEP_1) | instskip(NEXT) | instid1(VALU_DEP_1)
	v_add_co_u32 v31, s11, s29, v31
	v_add_co_ci_u32_e64 v32, s11, s33, v32, s11
	global_load_u16 v4, v[31:32], off
.LBB111_95:                             ;   in Loop: Header=BB111_93 Depth=2
	s_or_b32 exec_lo, exec_lo, s23
	s_and_saveexec_b32 s11, vcc_lo
	s_cbranch_execz .LBB111_92
; %bb.96:                               ;   in Loop: Header=BB111_93 Depth=2
	s_waitcnt vmcnt(0)
	v_cmp_lt_i16_e32 vcc_lo, -1, v4
	v_and_b32_e32 v31, 0xffff, v4
	v_dual_cndmask_b32 v32, 0xffff, v26 :: v_dual_lshlrev_b32 v33, 16, v4
	s_delay_alu instid0(VALU_DEP_1) | instskip(NEXT) | instid1(VALU_DEP_2)
	v_cmp_o_f32_e32 vcc_lo, v33, v33
	v_xor_b32_e32 v31, v32, v31
	s_delay_alu instid0(VALU_DEP_1) | instskip(NEXT) | instid1(VALU_DEP_1)
	v_cndmask_b32_e32 v31, 0xffff, v31, vcc_lo
	v_and_b32_e32 v31, v31, v2
	s_delay_alu instid0(VALU_DEP_1)
	v_cmp_eq_u32_e32 vcc_lo, v31, v1
	s_and_b32 exec_lo, exec_lo, vcc_lo
	s_cbranch_execz .LBB111_92
; %bb.97:                               ;   in Loop: Header=BB111_93 Depth=2
	v_perm_b32 v4, v4, s66, 0x5040100
	ds_store_b32 v9, v4 offset:3072
	s_branch .LBB111_92
.LBB111_98:                             ;   in Loop: Header=BB111_6 Depth=1
	s_or_b32 exec_lo, exec_lo, s21
	v_lshrrev_b32_e32 v3, 16, v4
	s_and_b32 s11, s22, exec_lo
.LBB111_99:                             ;   in Loop: Header=BB111_6 Depth=1
	s_or_b32 exec_lo, exec_lo, s15
	s_mov_b32 s22, -1
	s_mov_b32 s15, 0
	s_mov_b32 s21, 0
.LBB111_100:                            ;   in Loop: Header=BB111_6 Depth=1
	s_or_not1_b32 s80, s11, exec_lo
.LBB111_101:                            ;   in Loop: Header=BB111_6 Depth=1
	s_or_b32 exec_lo, exec_lo, s20
	s_mov_b32 s23, 0
	s_mov_b32 s20, 0
	;; [unrolled: 1-line block ×3, first 2 shown]
                                        ; implicit-def: $vgpr8
                                        ; implicit-def: $vgpr4
	s_and_saveexec_b32 s78, s80
	s_cbranch_execz .LBB111_236
; %bb.102:                              ;   in Loop: Header=BB111_6 Depth=1
	v_mov_b32_e32 v4, 1
	v_mov_b32_e32 v8, 1
	s_xor_b32 s79, s79, -1
	s_delay_alu instid0(SALU_CYCLE_1)
	s_and_saveexec_b32 s11, s79
	s_cbranch_execz .LBB111_112
; %bb.103:                              ;   in Loop: Header=BB111_6 Depth=1
	s_mov_b32 s79, exec_lo
                                        ; implicit-def: $sgpr80
                                        ; implicit-def: $sgpr20
	v_cmpx_ge_u32_e64 s12, v30
	s_xor_b32 s79, exec_lo, s79
	s_cbranch_execz .LBB111_109
; %bb.104:                              ;   in Loop: Header=BB111_6 Depth=1
	ds_load_b32 v4, v9 offset:4096
	s_waitcnt lgkmcnt(0)
	v_cmp_ne_u32_e32 vcc_lo, 0, v4
	s_cbranch_vccnz .LBB111_108
; %bb.105:                              ;   in Loop: Header=BB111_6 Depth=1
	s_and_saveexec_b32 s20, s5
	s_cbranch_execz .LBB111_107
; %bb.106:                              ;   in Loop: Header=BB111_6 Depth=1
	v_mov_b32_e32 v4, s12
	ds_store_b32 v9, v4 offset:4100
.LBB111_107:                            ;   in Loop: Header=BB111_6 Depth=1
	s_or_b32 exec_lo, exec_lo, s20
	s_waitcnt lgkmcnt(0)
	s_barrier
	buffer_gl0_inv
.LBB111_108:                            ;   in Loop: Header=BB111_6 Depth=1
	v_and_b32_e32 v1, s14, v1
	v_or_b32_e32 v2, s13, v2
	s_mov_b32 s20, 0
	s_mov_b32 s80, 8
.LBB111_109:                            ;   in Loop: Header=BB111_6 Depth=1
	s_or_saveexec_b32 s79, s79
	v_mov_b32_e32 v8, s80
	v_mov_b32_e32 v4, v30
	s_xor_b32 exec_lo, exec_lo, s79
; %bb.110:                              ;   in Loop: Header=BB111_6 Depth=1
	v_subrev_nc_u32_e32 v4, s12, v30
	v_mov_b32_e32 v8, 0
	s_or_b32 s20, s20, exec_lo
; %bb.111:                              ;   in Loop: Header=BB111_6 Depth=1
	s_or_b32 exec_lo, exec_lo, s79
	s_delay_alu instid0(SALU_CYCLE_1)
	s_and_b32 s20, s20, exec_lo
.LBB111_112:                            ;   in Loop: Header=BB111_6 Depth=1
	s_or_b32 exec_lo, exec_lo, s11
	s_mov_b32 s11, -1
                                        ; implicit-def: $sgpr79
                                        ; implicit-def: $sgpr81
                                        ; implicit-def: $sgpr82
	s_and_saveexec_b32 s80, s20
	s_delay_alu instid0(SALU_CYCLE_1)
	s_xor_b32 s20, exec_lo, s80
	s_cbranch_execz .LBB111_233
; %bb.113:                              ;   in Loop: Header=BB111_6 Depth=1
	v_cmp_eq_u32_e32 vcc_lo, 1, v4
	s_cmp_eq_u32 s16, 1
                                        ; implicit-def: $sgpr79
                                        ; implicit-def: $sgpr81
                                        ; implicit-def: $sgpr80
	s_cselect_b32 s11, -1, 0
	s_delay_alu instid0(SALU_CYCLE_1)
	s_and_b32 s83, s11, vcc_lo
	s_mov_b32 s11, -1
	s_and_saveexec_b32 s82, s83
	s_cbranch_execz .LBB111_139
; %bb.114:                              ;   in Loop: Header=BB111_6 Depth=1
	ds_load_b32 v3, v9 offset:4096
	s_waitcnt lgkmcnt(0)
	s_barrier
	buffer_gl0_inv
	v_readfirstlane_b32 s79, v3
	s_and_saveexec_b32 s11, s6
	s_cbranch_execz .LBB111_116
; %bb.115:                              ;   in Loop: Header=BB111_6 Depth=1
	ds_store_b16 v20, v9
.LBB111_116:                            ;   in Loop: Header=BB111_6 Depth=1
	s_or_b32 exec_lo, exec_lo, s11
	s_lshl_b32 s11, 1, s17
	v_or_b32_e32 v2, s13, v2
	v_and_or_b32 v1, v1, s14, s11
	s_cmp_eq_u32 s79, 0
	s_waitcnt lgkmcnt(0)
	s_barrier
	buffer_gl0_inv
	s_cbranch_scc1 .LBB111_125
; %bb.117:                              ;   in Loop: Header=BB111_6 Depth=1
	s_add_i32 s11, s79, s53
                                        ; implicit-def: $vgpr3
	s_delay_alu instid0(SALU_CYCLE_1) | instskip(NEXT) | instid1(SALU_CYCLE_1)
	s_mul_hi_u32 s80, s11, s60
	s_mul_i32 s80, s80, s40
	s_delay_alu instid0(SALU_CYCLE_1) | instskip(NEXT) | instid1(SALU_CYCLE_1)
	s_sub_i32 s80, s11, s80
	s_sub_i32 s81, s80, s40
	s_cmp_ge_u32 s80, s40
	s_cselect_b32 s80, s81, s80
	s_delay_alu instid0(SALU_CYCLE_1) | instskip(SKIP_2) | instid1(SALU_CYCLE_1)
	s_sub_i32 s81, s80, s40
	s_cmp_ge_u32 s80, s40
	s_cselect_b32 s80, s81, s80
	s_sub_i32 s81, s11, s80
	s_mov_b32 s11, 0
	s_mov_b32 s80, exec_lo
	v_cmpx_gt_u32_e64 s81, v0
	s_cbranch_execz .LBB111_127
; %bb.118:                              ;   in Loop: Header=BB111_6 Depth=1
	v_dual_mov_b32 v3, v19 :: v_dual_mov_b32 v8, v0
	s_mov_b32 s84, 0
                                        ; implicit-def: $sgpr85
	s_branch .LBB111_120
.LBB111_119:                            ;   in Loop: Header=BB111_120 Depth=2
	s_or_b32 exec_lo, exec_lo, s11
	s_waitcnt lgkmcnt(0)
	s_barrier
	buffer_gl0_inv
	ds_load_b32 v31, v9 offset:3072
	v_add_nc_u32_e32 v8, s40, v8
	v_add_nc_u32_e32 v3, s64, v3
	s_waitcnt lgkmcnt(0)
	s_barrier
	buffer_gl0_inv
	v_cmp_le_u32_e32 vcc_lo, s81, v8
	v_and_b32_e32 v32, 0x7fff, v31
	s_delay_alu instid0(VALU_DEP_1) | instskip(NEXT) | instid1(VALU_DEP_1)
	v_cmp_ne_u16_e64 s11, 0, v32
	s_or_b32 s86, vcc_lo, s11
	s_delay_alu instid0(SALU_CYCLE_1) | instskip(NEXT) | instid1(SALU_CYCLE_1)
	s_and_b32 s86, exec_lo, s86
	s_or_b32 s84, s86, s84
	s_and_not1_b32 s85, s85, exec_lo
	s_and_b32 s11, s11, exec_lo
	s_delay_alu instid0(SALU_CYCLE_1)
	s_or_b32 s85, s85, s11
	s_and_not1_b32 exec_lo, exec_lo, s84
	s_cbranch_execz .LBB111_126
.LBB111_120:                            ;   Parent Loop BB111_6 Depth=1
                                        ; =>  This Inner Loop Header: Depth=2
	s_delay_alu instid0(VALU_DEP_1)
	v_cmp_gt_u32_e32 vcc_lo, s79, v8
	v_mov_b32_e32 v31, 0
	s_and_saveexec_b32 s11, vcc_lo
	s_cbranch_execz .LBB111_122
; %bb.121:                              ;   in Loop: Header=BB111_120 Depth=2
	ds_load_u16 v31, v3
.LBB111_122:                            ;   in Loop: Header=BB111_120 Depth=2
	s_or_b32 exec_lo, exec_lo, s11
	s_and_saveexec_b32 s11, vcc_lo
	s_cbranch_execz .LBB111_119
; %bb.123:                              ;   in Loop: Header=BB111_120 Depth=2
	s_waitcnt lgkmcnt(0)
	v_cmp_lt_i16_e32 vcc_lo, -1, v31
	v_and_b32_e32 v32, 0xffff, v31
	v_dual_cndmask_b32 v33, 0xffff, v26 :: v_dual_lshlrev_b32 v34, 16, v31
	s_delay_alu instid0(VALU_DEP_1) | instskip(NEXT) | instid1(VALU_DEP_2)
	v_cmp_o_f32_e32 vcc_lo, v34, v34
	v_xor_b32_e32 v32, v33, v32
	s_delay_alu instid0(VALU_DEP_1) | instskip(NEXT) | instid1(VALU_DEP_1)
	v_cndmask_b32_e32 v32, 0xffff, v32, vcc_lo
	v_and_b32_e32 v32, v32, v2
	s_delay_alu instid0(VALU_DEP_1)
	v_cmp_eq_u32_e32 vcc_lo, v32, v1
	s_and_b32 exec_lo, exec_lo, vcc_lo
	s_cbranch_execz .LBB111_119
; %bb.124:                              ;   in Loop: Header=BB111_120 Depth=2
	v_perm_b32 v31, v31, s66, 0x5040100
	ds_store_b32 v9, v31 offset:3072
	s_branch .LBB111_119
.LBB111_125:                            ;   in Loop: Header=BB111_6 Depth=1
	s_mov_b32 s79, -1
	s_mov_b32 s11, 0
                                        ; implicit-def: $sgpr80
                                        ; implicit-def: $vgpr3
	s_mov_b32 s81, s79
	s_cbranch_execnz .LBB111_128
	s_branch .LBB111_138
.LBB111_126:                            ;   in Loop: Header=BB111_6 Depth=1
	s_or_b32 exec_lo, exec_lo, s84
	v_lshrrev_b32_e32 v3, 16, v31
	s_and_b32 s11, s85, exec_lo
.LBB111_127:                            ;   in Loop: Header=BB111_6 Depth=1
	s_or_b32 exec_lo, exec_lo, s80
	s_mov_b32 s80, -1
	s_mov_b32 s79, 0
	s_delay_alu instid0(SALU_CYCLE_1)
	s_mov_b32 s81, s79
	s_branch .LBB111_138
.LBB111_128:                            ;   in Loop: Header=BB111_6 Depth=1
	s_mov_b32 s11, 0
                                        ; implicit-def: $vgpr3
	s_and_saveexec_b32 s79, s9
	s_cbranch_execz .LBB111_137
; %bb.129:                              ;   in Loop: Header=BB111_6 Depth=1
	v_dual_mov_b32 v8, v7 :: v_dual_mov_b32 v3, v0
	s_mov_b32 s80, 0
                                        ; implicit-def: $sgpr81
	s_branch .LBB111_131
.LBB111_130:                            ;   in Loop: Header=BB111_131 Depth=2
	s_or_b32 exec_lo, exec_lo, s11
	s_waitcnt vmcnt(0) lgkmcnt(0)
	s_barrier
	buffer_gl0_inv
	ds_load_b32 v31, v9 offset:3072
	v_add_nc_u32_e32 v3, s40, v3
	v_add_nc_u32_e32 v8, s42, v8
	s_waitcnt lgkmcnt(0)
	s_barrier
	buffer_gl0_inv
	v_cmp_le_u32_e32 vcc_lo, s61, v3
	v_and_b32_e32 v32, 0x7fff, v31
	s_delay_alu instid0(VALU_DEP_1) | instskip(NEXT) | instid1(VALU_DEP_1)
	v_cmp_ne_u16_e64 s11, 0, v32
	s_or_b32 s84, vcc_lo, s11
	s_delay_alu instid0(SALU_CYCLE_1) | instskip(NEXT) | instid1(SALU_CYCLE_1)
	s_and_b32 s84, exec_lo, s84
	s_or_b32 s80, s84, s80
	s_and_not1_b32 s81, s81, exec_lo
	s_and_b32 s11, s11, exec_lo
	s_delay_alu instid0(SALU_CYCLE_1)
	s_or_b32 s81, s81, s11
	s_and_not1_b32 exec_lo, exec_lo, s80
	s_cbranch_execz .LBB111_136
.LBB111_131:                            ;   Parent Loop BB111_6 Depth=1
                                        ; =>  This Inner Loop Header: Depth=2
	s_delay_alu instid0(VALU_DEP_1)
	v_cmp_gt_u32_e32 vcc_lo, s24, v3
	v_mov_b32_e32 v31, 0
	s_and_saveexec_b32 s84, vcc_lo
	s_cbranch_execz .LBB111_133
; %bb.132:                              ;   in Loop: Header=BB111_131 Depth=2
	v_lshlrev_b64 v[31:32], 1, v[8:9]
	s_delay_alu instid0(VALU_DEP_1) | instskip(NEXT) | instid1(VALU_DEP_1)
	v_add_co_u32 v31, s11, s29, v31
	v_add_co_ci_u32_e64 v32, s11, s33, v32, s11
	global_load_u16 v31, v[31:32], off
.LBB111_133:                            ;   in Loop: Header=BB111_131 Depth=2
	s_or_b32 exec_lo, exec_lo, s84
	s_and_saveexec_b32 s11, vcc_lo
	s_cbranch_execz .LBB111_130
; %bb.134:                              ;   in Loop: Header=BB111_131 Depth=2
	s_waitcnt vmcnt(0)
	v_cmp_lt_i16_e32 vcc_lo, -1, v31
	v_and_b32_e32 v32, 0xffff, v31
	v_dual_cndmask_b32 v33, 0xffff, v26 :: v_dual_lshlrev_b32 v34, 16, v31
	s_delay_alu instid0(VALU_DEP_1) | instskip(NEXT) | instid1(VALU_DEP_2)
	v_cmp_o_f32_e32 vcc_lo, v34, v34
	v_xor_b32_e32 v32, v33, v32
	s_delay_alu instid0(VALU_DEP_1) | instskip(NEXT) | instid1(VALU_DEP_1)
	v_cndmask_b32_e32 v32, 0xffff, v32, vcc_lo
	v_and_b32_e32 v32, v32, v2
	s_delay_alu instid0(VALU_DEP_1)
	v_cmp_eq_u32_e32 vcc_lo, v32, v1
	s_and_b32 exec_lo, exec_lo, vcc_lo
	s_cbranch_execz .LBB111_130
; %bb.135:                              ;   in Loop: Header=BB111_131 Depth=2
	v_perm_b32 v31, v31, s66, 0x5040100
	ds_store_b32 v9, v31 offset:3072
	s_branch .LBB111_130
.LBB111_136:                            ;   in Loop: Header=BB111_6 Depth=1
	s_or_b32 exec_lo, exec_lo, s80
	v_lshrrev_b32_e32 v3, 16, v31
	s_and_b32 s11, s81, exec_lo
.LBB111_137:                            ;   in Loop: Header=BB111_6 Depth=1
	s_or_b32 exec_lo, exec_lo, s79
	s_mov_b32 s81, -1
	s_mov_b32 s79, 0
	s_mov_b32 s80, 0
.LBB111_138:                            ;   in Loop: Header=BB111_6 Depth=1
	s_or_not1_b32 s11, s11, exec_lo
.LBB111_139:                            ;   in Loop: Header=BB111_6 Depth=1
	s_or_b32 exec_lo, exec_lo, s82
	s_mov_b32 s84, 0
                                        ; implicit-def: $vgpr8
	s_and_saveexec_b32 s82, s11
	s_cbranch_execz .LBB111_232
; %bb.140:                              ;   in Loop: Header=BB111_6 Depth=1
	v_dual_mov_b32 v31, 1 :: v_dual_mov_b32 v8, 1
	s_xor_b32 s83, s83, -1
	s_mov_b32 s85, 0
	s_and_saveexec_b32 s11, s83
	s_cbranch_execz .LBB111_150
; %bb.141:                              ;   in Loop: Header=BB111_6 Depth=1
	s_mov_b32 s84, exec_lo
                                        ; implicit-def: $sgpr85
                                        ; implicit-def: $sgpr83
	v_cmpx_ge_u32_e64 s16, v4
	s_xor_b32 s84, exec_lo, s84
	s_cbranch_execz .LBB111_147
; %bb.142:                              ;   in Loop: Header=BB111_6 Depth=1
	ds_load_b32 v8, v9 offset:4096
	s_waitcnt lgkmcnt(0)
	v_cmp_ne_u32_e32 vcc_lo, 0, v8
	s_cbranch_vccnz .LBB111_146
; %bb.143:                              ;   in Loop: Header=BB111_6 Depth=1
	s_and_saveexec_b32 s83, s5
	s_cbranch_execz .LBB111_145
; %bb.144:                              ;   in Loop: Header=BB111_6 Depth=1
	v_mov_b32_e32 v8, s16
	ds_store_b32 v9, v8 offset:4100
.LBB111_145:                            ;   in Loop: Header=BB111_6 Depth=1
	s_or_b32 exec_lo, exec_lo, s83
	s_waitcnt lgkmcnt(0)
	s_barrier
	buffer_gl0_inv
.LBB111_146:                            ;   in Loop: Header=BB111_6 Depth=1
	s_lshl_b32 s83, 1, s17
	v_or_b32_e32 v2, s13, v2
	v_and_or_b32 v1, v1, s14, s83
	s_mov_b32 s83, 0
	s_mov_b32 s85, 8
.LBB111_147:                            ;   in Loop: Header=BB111_6 Depth=1
	s_or_saveexec_b32 s84, s84
	v_mov_b32_e32 v8, s85
	s_xor_b32 exec_lo, exec_lo, s84
; %bb.148:                              ;   in Loop: Header=BB111_6 Depth=1
	v_subrev_nc_u32_e32 v4, s16, v4
	v_mov_b32_e32 v8, 0
	s_or_b32 s83, s83, exec_lo
; %bb.149:                              ;   in Loop: Header=BB111_6 Depth=1
	s_or_b32 exec_lo, exec_lo, s84
	s_delay_alu instid0(VALU_DEP_2)
	v_mov_b32_e32 v31, v4
	s_and_b32 s85, s83, exec_lo
.LBB111_150:                            ;   in Loop: Header=BB111_6 Depth=1
	s_or_b32 exec_lo, exec_lo, s11
	s_mov_b32 s11, -1
                                        ; implicit-def: $sgpr84
                                        ; implicit-def: $sgpr86
                                        ; implicit-def: $sgpr87
	s_and_saveexec_b32 s83, s85
	s_cbranch_execz .LBB111_231
; %bb.151:                              ;   in Loop: Header=BB111_6 Depth=1
	v_cmp_eq_u32_e32 vcc_lo, 1, v31
	s_cmp_eq_u32 s18, 1
                                        ; implicit-def: $sgpr84
                                        ; implicit-def: $sgpr86
                                        ; implicit-def: $sgpr85
	s_cselect_b32 s11, -1, 0
	s_delay_alu instid0(SALU_CYCLE_1)
	s_and_b32 s88, s11, vcc_lo
	s_mov_b32 s11, -1
	s_and_saveexec_b32 s87, s88
	s_cbranch_execz .LBB111_177
; %bb.152:                              ;   in Loop: Header=BB111_6 Depth=1
	ds_load_b32 v3, v9 offset:4096
	s_waitcnt lgkmcnt(0)
	s_barrier
	buffer_gl0_inv
	v_readfirstlane_b32 s84, v3
	s_and_saveexec_b32 s11, s6
	s_cbranch_execz .LBB111_154
; %bb.153:                              ;   in Loop: Header=BB111_6 Depth=1
	ds_store_b16 v20, v9
.LBB111_154:                            ;   in Loop: Header=BB111_6 Depth=1
	s_or_b32 exec_lo, exec_lo, s11
	s_lshl_b32 s11, 2, s17
	v_or_b32_e32 v2, s13, v2
	v_and_or_b32 v1, v1, s14, s11
	s_cmp_eq_u32 s84, 0
	s_waitcnt lgkmcnt(0)
	s_barrier
	buffer_gl0_inv
	s_cbranch_scc1 .LBB111_163
; %bb.155:                              ;   in Loop: Header=BB111_6 Depth=1
	s_add_i32 s11, s84, s53
                                        ; implicit-def: $vgpr3
	s_delay_alu instid0(SALU_CYCLE_1) | instskip(NEXT) | instid1(SALU_CYCLE_1)
	s_mul_hi_u32 s85, s11, s60
	s_mul_i32 s85, s85, s40
	s_delay_alu instid0(SALU_CYCLE_1) | instskip(NEXT) | instid1(SALU_CYCLE_1)
	s_sub_i32 s85, s11, s85
	s_sub_i32 s86, s85, s40
	s_cmp_ge_u32 s85, s40
	s_cselect_b32 s85, s86, s85
	s_delay_alu instid0(SALU_CYCLE_1) | instskip(SKIP_2) | instid1(SALU_CYCLE_1)
	s_sub_i32 s86, s85, s40
	s_cmp_ge_u32 s85, s40
	s_cselect_b32 s85, s86, s85
	s_sub_i32 s86, s11, s85
	s_mov_b32 s11, 0
	s_mov_b32 s85, exec_lo
	v_cmpx_gt_u32_e64 s86, v0
	s_cbranch_execz .LBB111_165
; %bb.156:                              ;   in Loop: Header=BB111_6 Depth=1
	v_dual_mov_b32 v3, v19 :: v_dual_mov_b32 v4, v0
	s_mov_b32 s89, 0
                                        ; implicit-def: $sgpr90
	s_branch .LBB111_158
.LBB111_157:                            ;   in Loop: Header=BB111_158 Depth=2
	s_or_b32 exec_lo, exec_lo, s11
	s_waitcnt lgkmcnt(0)
	s_barrier
	buffer_gl0_inv
	ds_load_b32 v8, v9 offset:3072
	v_add_nc_u32_e32 v4, s40, v4
	v_add_nc_u32_e32 v3, s64, v3
	s_waitcnt lgkmcnt(0)
	s_barrier
	buffer_gl0_inv
	v_cmp_le_u32_e32 vcc_lo, s86, v4
	v_and_b32_e32 v32, 0x7fff, v8
	s_delay_alu instid0(VALU_DEP_1) | instskip(NEXT) | instid1(VALU_DEP_1)
	v_cmp_ne_u16_e64 s11, 0, v32
	s_or_b32 s91, vcc_lo, s11
	s_delay_alu instid0(SALU_CYCLE_1) | instskip(NEXT) | instid1(SALU_CYCLE_1)
	s_and_b32 s91, exec_lo, s91
	s_or_b32 s89, s91, s89
	s_and_not1_b32 s90, s90, exec_lo
	s_and_b32 s11, s11, exec_lo
	s_delay_alu instid0(SALU_CYCLE_1)
	s_or_b32 s90, s90, s11
	s_and_not1_b32 exec_lo, exec_lo, s89
	s_cbranch_execz .LBB111_164
.LBB111_158:                            ;   Parent Loop BB111_6 Depth=1
                                        ; =>  This Inner Loop Header: Depth=2
	s_delay_alu instid0(VALU_DEP_1)
	v_cmp_gt_u32_e32 vcc_lo, s84, v4
	v_mov_b32_e32 v8, 0
	s_and_saveexec_b32 s11, vcc_lo
	s_cbranch_execz .LBB111_160
; %bb.159:                              ;   in Loop: Header=BB111_158 Depth=2
	ds_load_u16 v8, v3
.LBB111_160:                            ;   in Loop: Header=BB111_158 Depth=2
	s_or_b32 exec_lo, exec_lo, s11
	s_and_saveexec_b32 s11, vcc_lo
	s_cbranch_execz .LBB111_157
; %bb.161:                              ;   in Loop: Header=BB111_158 Depth=2
	s_waitcnt lgkmcnt(0)
	v_cmp_lt_i16_e32 vcc_lo, -1, v8
	v_and_b32_e32 v32, 0xffff, v8
	v_dual_cndmask_b32 v33, 0xffff, v26 :: v_dual_lshlrev_b32 v34, 16, v8
	s_delay_alu instid0(VALU_DEP_1) | instskip(NEXT) | instid1(VALU_DEP_2)
	v_cmp_o_f32_e32 vcc_lo, v34, v34
	v_xor_b32_e32 v32, v33, v32
	s_delay_alu instid0(VALU_DEP_1) | instskip(NEXT) | instid1(VALU_DEP_1)
	v_cndmask_b32_e32 v32, 0xffff, v32, vcc_lo
	v_and_b32_e32 v32, v32, v2
	s_delay_alu instid0(VALU_DEP_1)
	v_cmp_eq_u32_e32 vcc_lo, v32, v1
	s_and_b32 exec_lo, exec_lo, vcc_lo
	s_cbranch_execz .LBB111_157
; %bb.162:                              ;   in Loop: Header=BB111_158 Depth=2
	v_perm_b32 v8, v8, s66, 0x5040100
	ds_store_b32 v9, v8 offset:3072
	s_branch .LBB111_157
.LBB111_163:                            ;   in Loop: Header=BB111_6 Depth=1
	s_mov_b32 s84, -1
	s_mov_b32 s11, 0
                                        ; implicit-def: $sgpr85
                                        ; implicit-def: $vgpr3
	s_mov_b32 s86, s84
	s_cbranch_execnz .LBB111_166
	s_branch .LBB111_176
.LBB111_164:                            ;   in Loop: Header=BB111_6 Depth=1
	s_or_b32 exec_lo, exec_lo, s89
	v_lshrrev_b32_e32 v3, 16, v8
	s_and_b32 s11, s90, exec_lo
.LBB111_165:                            ;   in Loop: Header=BB111_6 Depth=1
	s_or_b32 exec_lo, exec_lo, s85
	s_mov_b32 s85, -1
	s_mov_b32 s84, 0
	s_delay_alu instid0(SALU_CYCLE_1)
	s_mov_b32 s86, s84
	s_branch .LBB111_176
.LBB111_166:                            ;   in Loop: Header=BB111_6 Depth=1
	s_mov_b32 s11, 0
                                        ; implicit-def: $vgpr3
	s_and_saveexec_b32 s84, s9
	s_cbranch_execz .LBB111_175
; %bb.167:                              ;   in Loop: Header=BB111_6 Depth=1
	v_dual_mov_b32 v8, v7 :: v_dual_mov_b32 v3, v0
	s_mov_b32 s85, 0
                                        ; implicit-def: $sgpr86
	s_branch .LBB111_169
.LBB111_168:                            ;   in Loop: Header=BB111_169 Depth=2
	s_or_b32 exec_lo, exec_lo, s11
	s_waitcnt vmcnt(0) lgkmcnt(0)
	s_barrier
	buffer_gl0_inv
	ds_load_b32 v4, v9 offset:3072
	v_add_nc_u32_e32 v3, s40, v3
	v_add_nc_u32_e32 v8, s42, v8
	s_waitcnt lgkmcnt(0)
	s_barrier
	buffer_gl0_inv
	v_cmp_le_u32_e32 vcc_lo, s61, v3
	v_and_b32_e32 v32, 0x7fff, v4
	s_delay_alu instid0(VALU_DEP_1) | instskip(NEXT) | instid1(VALU_DEP_1)
	v_cmp_ne_u16_e64 s11, 0, v32
	s_or_b32 s89, vcc_lo, s11
	s_delay_alu instid0(SALU_CYCLE_1) | instskip(NEXT) | instid1(SALU_CYCLE_1)
	s_and_b32 s89, exec_lo, s89
	s_or_b32 s85, s89, s85
	s_and_not1_b32 s86, s86, exec_lo
	s_and_b32 s11, s11, exec_lo
	s_delay_alu instid0(SALU_CYCLE_1)
	s_or_b32 s86, s86, s11
	s_and_not1_b32 exec_lo, exec_lo, s85
	s_cbranch_execz .LBB111_174
.LBB111_169:                            ;   Parent Loop BB111_6 Depth=1
                                        ; =>  This Inner Loop Header: Depth=2
	s_delay_alu instid0(VALU_DEP_1)
	v_cmp_gt_u32_e32 vcc_lo, s24, v3
	v_mov_b32_e32 v4, 0
	s_and_saveexec_b32 s89, vcc_lo
	s_cbranch_execz .LBB111_171
; %bb.170:                              ;   in Loop: Header=BB111_169 Depth=2
	v_lshlrev_b64 v[32:33], 1, v[8:9]
	s_delay_alu instid0(VALU_DEP_1) | instskip(NEXT) | instid1(VALU_DEP_1)
	v_add_co_u32 v32, s11, s29, v32
	v_add_co_ci_u32_e64 v33, s11, s33, v33, s11
	global_load_u16 v4, v[32:33], off
.LBB111_171:                            ;   in Loop: Header=BB111_169 Depth=2
	s_or_b32 exec_lo, exec_lo, s89
	s_and_saveexec_b32 s11, vcc_lo
	s_cbranch_execz .LBB111_168
; %bb.172:                              ;   in Loop: Header=BB111_169 Depth=2
	s_waitcnt vmcnt(0)
	v_cmp_lt_i16_e32 vcc_lo, -1, v4
	v_and_b32_e32 v32, 0xffff, v4
	v_dual_cndmask_b32 v33, 0xffff, v26 :: v_dual_lshlrev_b32 v34, 16, v4
	s_delay_alu instid0(VALU_DEP_1) | instskip(NEXT) | instid1(VALU_DEP_2)
	v_cmp_o_f32_e32 vcc_lo, v34, v34
	v_xor_b32_e32 v32, v33, v32
	s_delay_alu instid0(VALU_DEP_1) | instskip(NEXT) | instid1(VALU_DEP_1)
	v_cndmask_b32_e32 v32, 0xffff, v32, vcc_lo
	v_and_b32_e32 v32, v32, v2
	s_delay_alu instid0(VALU_DEP_1)
	v_cmp_eq_u32_e32 vcc_lo, v32, v1
	s_and_b32 exec_lo, exec_lo, vcc_lo
	s_cbranch_execz .LBB111_168
; %bb.173:                              ;   in Loop: Header=BB111_169 Depth=2
	v_perm_b32 v4, v4, s66, 0x5040100
	ds_store_b32 v9, v4 offset:3072
	s_branch .LBB111_168
.LBB111_174:                            ;   in Loop: Header=BB111_6 Depth=1
	s_or_b32 exec_lo, exec_lo, s85
	v_lshrrev_b32_e32 v3, 16, v4
	s_and_b32 s11, s86, exec_lo
.LBB111_175:                            ;   in Loop: Header=BB111_6 Depth=1
	s_or_b32 exec_lo, exec_lo, s84
	s_mov_b32 s86, -1
	s_mov_b32 s84, 0
	s_mov_b32 s85, 0
.LBB111_176:                            ;   in Loop: Header=BB111_6 Depth=1
	s_or_not1_b32 s11, s11, exec_lo
.LBB111_177:                            ;   in Loop: Header=BB111_6 Depth=1
	s_or_b32 exec_lo, exec_lo, s87
	s_mov_b32 s89, 0
                                        ; implicit-def: $vgpr8
	s_and_saveexec_b32 s87, s11
	s_cbranch_execz .LBB111_230
; %bb.178:                              ;   in Loop: Header=BB111_6 Depth=1
	v_mov_b32_e32 v4, 1
	v_mov_b32_e32 v8, 1
	s_xor_b32 s88, s88, -1
	s_mov_b32 s90, 0
	s_and_saveexec_b32 s11, s88
	s_cbranch_execz .LBB111_188
; %bb.179:                              ;   in Loop: Header=BB111_6 Depth=1
	s_mov_b32 s89, exec_lo
                                        ; implicit-def: $sgpr90
                                        ; implicit-def: $sgpr88
	v_cmpx_ge_u32_e64 s18, v31
	s_xor_b32 s89, exec_lo, s89
	s_cbranch_execz .LBB111_185
; %bb.180:                              ;   in Loop: Header=BB111_6 Depth=1
	ds_load_b32 v4, v9 offset:4096
	s_waitcnt lgkmcnt(0)
	v_cmp_ne_u32_e32 vcc_lo, 0, v4
	s_cbranch_vccnz .LBB111_184
; %bb.181:                              ;   in Loop: Header=BB111_6 Depth=1
	s_and_saveexec_b32 s88, s5
	s_cbranch_execz .LBB111_183
; %bb.182:                              ;   in Loop: Header=BB111_6 Depth=1
	v_mov_b32_e32 v4, s18
	ds_store_b32 v9, v4 offset:4100
.LBB111_183:                            ;   in Loop: Header=BB111_6 Depth=1
	s_or_b32 exec_lo, exec_lo, s88
	s_waitcnt lgkmcnt(0)
	s_barrier
	buffer_gl0_inv
.LBB111_184:                            ;   in Loop: Header=BB111_6 Depth=1
	s_lshl_b32 s88, 2, s17
	v_or_b32_e32 v2, s13, v2
	v_and_or_b32 v1, v1, s14, s88
	s_mov_b32 s88, 0
	s_mov_b32 s90, 8
.LBB111_185:                            ;   in Loop: Header=BB111_6 Depth=1
	s_or_saveexec_b32 s89, s89
	v_mov_b32_e32 v8, s90
	s_xor_b32 exec_lo, exec_lo, s89
; %bb.186:                              ;   in Loop: Header=BB111_6 Depth=1
	v_subrev_nc_u32_e32 v31, s18, v31
	v_mov_b32_e32 v8, 0
	s_or_b32 s88, s88, exec_lo
; %bb.187:                              ;   in Loop: Header=BB111_6 Depth=1
	s_or_b32 exec_lo, exec_lo, s89
	s_delay_alu instid0(VALU_DEP_2)
	v_mov_b32_e32 v4, v31
	s_and_b32 s90, s88, exec_lo
.LBB111_188:                            ;   in Loop: Header=BB111_6 Depth=1
	s_or_b32 exec_lo, exec_lo, s11
	s_mov_b32 s89, -1
                                        ; implicit-def: $sgpr11
                                        ; implicit-def: $sgpr92
                                        ; implicit-def: $sgpr91
	s_and_saveexec_b32 s88, s90
	s_cbranch_execz .LBB111_229
; %bb.189:                              ;   in Loop: Header=BB111_6 Depth=1
	v_cmp_eq_u32_e32 vcc_lo, 1, v4
	s_cmp_eq_u32 s19, 1
	s_mov_b32 s93, -1
	s_cselect_b32 s11, -1, 0
                                        ; implicit-def: $sgpr92
                                        ; implicit-def: $sgpr91
	s_delay_alu instid0(SALU_CYCLE_1) | instskip(NEXT) | instid1(SALU_CYCLE_1)
	s_and_b32 s89, s11, vcc_lo
                                        ; implicit-def: $sgpr11
	s_and_saveexec_b32 s90, s89
	s_cbranch_execz .LBB111_216
; %bb.190:                              ;   in Loop: Header=BB111_6 Depth=1
	ds_load_b32 v3, v9 offset:4096
	s_waitcnt lgkmcnt(0)
	s_barrier
	buffer_gl0_inv
	v_readfirstlane_b32 s91, v3
	s_and_saveexec_b32 s11, s6
	s_cbranch_execz .LBB111_192
; %bb.191:                              ;   in Loop: Header=BB111_6 Depth=1
	ds_store_b16 v20, v9
.LBB111_192:                            ;   in Loop: Header=BB111_6 Depth=1
	s_or_b32 exec_lo, exec_lo, s11
	v_or_b32_e32 v1, s13, v1
	v_or_b32_e32 v2, s13, v2
	s_cmp_eq_u32 s91, 0
	s_waitcnt lgkmcnt(0)
	s_barrier
	buffer_gl0_inv
	s_cbranch_scc1 .LBB111_201
; %bb.193:                              ;   in Loop: Header=BB111_6 Depth=1
	s_add_i32 s11, s91, s53
	s_mov_b32 s94, 0
	s_mul_hi_u32 s92, s11, s60
                                        ; implicit-def: $vgpr3
	s_delay_alu instid0(SALU_CYCLE_1) | instskip(NEXT) | instid1(SALU_CYCLE_1)
	s_mul_i32 s92, s92, s40
	s_sub_i32 s92, s11, s92
	s_delay_alu instid0(SALU_CYCLE_1) | instskip(SKIP_2) | instid1(SALU_CYCLE_1)
	s_sub_i32 s93, s92, s40
	s_cmp_ge_u32 s92, s40
	s_cselect_b32 s92, s93, s92
	s_sub_i32 s93, s92, s40
	s_cmp_ge_u32 s92, s40
	s_cselect_b32 s92, s93, s92
	s_delay_alu instid0(SALU_CYCLE_1)
	s_sub_i32 s93, s11, s92
	s_mov_b32 s92, exec_lo
	v_cmpx_gt_u32_e64 s93, v0
	s_cbranch_execz .LBB111_203
; %bb.194:                              ;   in Loop: Header=BB111_6 Depth=1
	v_dual_mov_b32 v3, v19 :: v_dual_mov_b32 v8, v0
                                        ; implicit-def: $sgpr95
	s_branch .LBB111_196
.LBB111_195:                            ;   in Loop: Header=BB111_196 Depth=2
	s_or_b32 exec_lo, exec_lo, s11
	s_waitcnt lgkmcnt(0)
	s_barrier
	buffer_gl0_inv
	ds_load_b32 v31, v9 offset:3072
	v_add_nc_u32_e32 v8, s40, v8
	v_add_nc_u32_e32 v3, s64, v3
	s_waitcnt lgkmcnt(0)
	s_barrier
	buffer_gl0_inv
	v_cmp_le_u32_e32 vcc_lo, s93, v8
	v_and_b32_e32 v32, 0x7fff, v31
	s_delay_alu instid0(VALU_DEP_1) | instskip(NEXT) | instid1(VALU_DEP_1)
	v_cmp_ne_u16_e64 s11, 0, v32
	s_or_b32 s96, vcc_lo, s11
	s_delay_alu instid0(SALU_CYCLE_1) | instskip(NEXT) | instid1(SALU_CYCLE_1)
	s_and_b32 s96, exec_lo, s96
	s_or_b32 s94, s96, s94
	s_and_not1_b32 s95, s95, exec_lo
	s_and_b32 s11, s11, exec_lo
	s_delay_alu instid0(SALU_CYCLE_1)
	s_or_b32 s95, s95, s11
	s_and_not1_b32 exec_lo, exec_lo, s94
	s_cbranch_execz .LBB111_202
.LBB111_196:                            ;   Parent Loop BB111_6 Depth=1
                                        ; =>  This Inner Loop Header: Depth=2
	s_delay_alu instid0(VALU_DEP_1)
	v_cmp_gt_u32_e32 vcc_lo, s91, v8
	v_mov_b32_e32 v31, 0
	s_and_saveexec_b32 s11, vcc_lo
	s_cbranch_execz .LBB111_198
; %bb.197:                              ;   in Loop: Header=BB111_196 Depth=2
	ds_load_u16 v31, v3
.LBB111_198:                            ;   in Loop: Header=BB111_196 Depth=2
	s_or_b32 exec_lo, exec_lo, s11
	s_and_saveexec_b32 s11, vcc_lo
	s_cbranch_execz .LBB111_195
; %bb.199:                              ;   in Loop: Header=BB111_196 Depth=2
	s_waitcnt lgkmcnt(0)
	v_cmp_lt_i16_e32 vcc_lo, -1, v31
	v_and_b32_e32 v32, 0xffff, v31
	v_dual_cndmask_b32 v33, 0xffff, v26 :: v_dual_lshlrev_b32 v34, 16, v31
	s_delay_alu instid0(VALU_DEP_1) | instskip(NEXT) | instid1(VALU_DEP_2)
	v_cmp_o_f32_e32 vcc_lo, v34, v34
	v_xor_b32_e32 v32, v33, v32
	s_delay_alu instid0(VALU_DEP_1) | instskip(NEXT) | instid1(VALU_DEP_1)
	v_cndmask_b32_e32 v32, 0xffff, v32, vcc_lo
	v_and_b32_e32 v32, v32, v2
	s_delay_alu instid0(VALU_DEP_1)
	v_cmp_eq_u32_e32 vcc_lo, v32, v1
	s_and_b32 exec_lo, exec_lo, vcc_lo
	s_cbranch_execz .LBB111_195
; %bb.200:                              ;   in Loop: Header=BB111_196 Depth=2
	v_perm_b32 v31, v31, s66, 0x5040100
	ds_store_b32 v9, v31 offset:3072
	s_branch .LBB111_195
.LBB111_201:                            ;   in Loop: Header=BB111_6 Depth=1
	s_mov_b32 s11, -1
	s_mov_b32 s94, 0
                                        ; implicit-def: $sgpr91
                                        ; implicit-def: $vgpr3
	s_branch .LBB111_204
.LBB111_202:                            ;   in Loop: Header=BB111_6 Depth=1
	s_or_b32 exec_lo, exec_lo, s94
	v_lshrrev_b32_e32 v3, 16, v31
	s_and_b32 s94, s95, exec_lo
.LBB111_203:                            ;   in Loop: Header=BB111_6 Depth=1
	s_or_b32 exec_lo, exec_lo, s92
	s_mov_b32 s91, -1
	s_mov_b32 s11, 0
.LBB111_204:                            ;   in Loop: Header=BB111_6 Depth=1
	s_delay_alu instid0(SALU_CYCLE_1)
	s_and_b32 vcc_lo, exec_lo, s11
	s_mov_b32 s92, s11
	s_cbranch_vccz .LBB111_215
; %bb.205:                              ;   in Loop: Header=BB111_6 Depth=1
	s_mov_b32 s94, 0
                                        ; implicit-def: $vgpr3
	s_and_saveexec_b32 s91, s9
	s_cbranch_execz .LBB111_214
; %bb.206:                              ;   in Loop: Header=BB111_6 Depth=1
	v_dual_mov_b32 v8, v7 :: v_dual_mov_b32 v3, v0
	s_mov_b32 s92, 0
                                        ; implicit-def: $sgpr93
	s_branch .LBB111_208
.LBB111_207:                            ;   in Loop: Header=BB111_208 Depth=2
	s_or_b32 exec_lo, exec_lo, s11
	s_waitcnt vmcnt(0) lgkmcnt(0)
	s_barrier
	buffer_gl0_inv
	ds_load_b32 v31, v9 offset:3072
	v_add_nc_u32_e32 v3, s40, v3
	v_add_nc_u32_e32 v8, s42, v8
	s_waitcnt lgkmcnt(0)
	s_barrier
	buffer_gl0_inv
	v_cmp_le_u32_e32 vcc_lo, s61, v3
	v_and_b32_e32 v32, 0x7fff, v31
	s_delay_alu instid0(VALU_DEP_1) | instskip(NEXT) | instid1(VALU_DEP_1)
	v_cmp_ne_u16_e64 s11, 0, v32
	s_or_b32 s94, vcc_lo, s11
	s_delay_alu instid0(SALU_CYCLE_1) | instskip(NEXT) | instid1(SALU_CYCLE_1)
	s_and_b32 s94, exec_lo, s94
	s_or_b32 s92, s94, s92
	s_and_not1_b32 s93, s93, exec_lo
	s_and_b32 s11, s11, exec_lo
	s_delay_alu instid0(SALU_CYCLE_1)
	s_or_b32 s93, s93, s11
	s_and_not1_b32 exec_lo, exec_lo, s92
	s_cbranch_execz .LBB111_213
.LBB111_208:                            ;   Parent Loop BB111_6 Depth=1
                                        ; =>  This Inner Loop Header: Depth=2
	s_delay_alu instid0(VALU_DEP_1)
	v_cmp_gt_u32_e32 vcc_lo, s24, v3
	v_mov_b32_e32 v31, 0
	s_and_saveexec_b32 s94, vcc_lo
	s_cbranch_execz .LBB111_210
; %bb.209:                              ;   in Loop: Header=BB111_208 Depth=2
	v_lshlrev_b64 v[31:32], 1, v[8:9]
	s_delay_alu instid0(VALU_DEP_1) | instskip(NEXT) | instid1(VALU_DEP_1)
	v_add_co_u32 v31, s11, s29, v31
	v_add_co_ci_u32_e64 v32, s11, s33, v32, s11
	global_load_u16 v31, v[31:32], off
.LBB111_210:                            ;   in Loop: Header=BB111_208 Depth=2
	s_or_b32 exec_lo, exec_lo, s94
	s_and_saveexec_b32 s11, vcc_lo
	s_cbranch_execz .LBB111_207
; %bb.211:                              ;   in Loop: Header=BB111_208 Depth=2
	s_waitcnt vmcnt(0)
	v_cmp_lt_i16_e32 vcc_lo, -1, v31
	v_and_b32_e32 v32, 0xffff, v31
	v_dual_cndmask_b32 v33, 0xffff, v26 :: v_dual_lshlrev_b32 v34, 16, v31
	s_delay_alu instid0(VALU_DEP_1) | instskip(NEXT) | instid1(VALU_DEP_2)
	v_cmp_o_f32_e32 vcc_lo, v34, v34
	v_xor_b32_e32 v32, v33, v32
	s_delay_alu instid0(VALU_DEP_1) | instskip(NEXT) | instid1(VALU_DEP_1)
	v_cndmask_b32_e32 v32, 0xffff, v32, vcc_lo
	v_and_b32_e32 v32, v32, v2
	s_delay_alu instid0(VALU_DEP_1)
	v_cmp_eq_u32_e32 vcc_lo, v32, v1
	s_and_b32 exec_lo, exec_lo, vcc_lo
	s_cbranch_execz .LBB111_207
; %bb.212:                              ;   in Loop: Header=BB111_208 Depth=2
	v_perm_b32 v31, v31, s66, 0x5040100
	ds_store_b32 v9, v31 offset:3072
	s_branch .LBB111_207
.LBB111_213:                            ;   in Loop: Header=BB111_6 Depth=1
	s_or_b32 exec_lo, exec_lo, s92
	v_lshrrev_b32_e32 v3, 16, v31
	s_and_b32 s94, s93, exec_lo
.LBB111_214:                            ;   in Loop: Header=BB111_6 Depth=1
	s_or_b32 exec_lo, exec_lo, s91
	s_mov_b32 s92, -1
	s_mov_b32 s11, 0
	s_mov_b32 s91, 0
.LBB111_215:                            ;   in Loop: Header=BB111_6 Depth=1
	s_or_not1_b32 s93, s94, exec_lo
.LBB111_216:                            ;   in Loop: Header=BB111_6 Depth=1
	s_or_b32 exec_lo, exec_lo, s90
	s_mov_b32 s94, 0
                                        ; implicit-def: $vgpr8
                                        ; implicit-def: $vgpr31
	s_and_saveexec_b32 s90, s93
	s_cbranch_execz .LBB111_228
; %bb.217:                              ;   in Loop: Header=BB111_6 Depth=1
	v_dual_mov_b32 v8, 1 :: v_dual_mov_b32 v31, 1
	s_xor_b32 s93, s89, -1
	s_delay_alu instid0(SALU_CYCLE_1)
	s_and_saveexec_b32 s89, s93
	s_cbranch_execz .LBB111_227
; %bb.218:                              ;   in Loop: Header=BB111_6 Depth=1
	s_mov_b32 s93, exec_lo
                                        ; implicit-def: $sgpr94
	v_cmpx_ge_u32_e64 s19, v4
	s_xor_b32 s93, exec_lo, s93
	s_cbranch_execz .LBB111_224
; %bb.219:                              ;   in Loop: Header=BB111_6 Depth=1
	ds_load_b32 v8, v9 offset:4096
	s_waitcnt lgkmcnt(0)
	v_cmp_ne_u32_e32 vcc_lo, 0, v8
	s_cbranch_vccnz .LBB111_223
; %bb.220:                              ;   in Loop: Header=BB111_6 Depth=1
	s_and_saveexec_b32 s94, s5
	s_cbranch_execz .LBB111_222
; %bb.221:                              ;   in Loop: Header=BB111_6 Depth=1
	v_mov_b32_e32 v8, s19
	ds_store_b32 v9, v8 offset:4100
.LBB111_222:                            ;   in Loop: Header=BB111_6 Depth=1
	s_or_b32 exec_lo, exec_lo, s94
	s_waitcnt lgkmcnt(0)
	s_barrier
	buffer_gl0_inv
.LBB111_223:                            ;   in Loop: Header=BB111_6 Depth=1
	v_or_b32_e32 v1, s13, v1
	v_or_b32_e32 v2, s13, v2
	s_mov_b32 s94, 8
.LBB111_224:                            ;   in Loop: Header=BB111_6 Depth=1
	s_or_saveexec_b32 s93, s93
	v_mov_b32_e32 v8, s94
	s_xor_b32 exec_lo, exec_lo, s93
; %bb.225:                              ;   in Loop: Header=BB111_6 Depth=1
	v_subrev_nc_u32_e32 v4, s19, v4
	v_mov_b32_e32 v8, 8
; %bb.226:                              ;   in Loop: Header=BB111_6 Depth=1
	s_or_b32 exec_lo, exec_lo, s93
	s_delay_alu instid0(VALU_DEP_2)
	v_mov_b32_e32 v31, v4
.LBB111_227:                            ;   in Loop: Header=BB111_6 Depth=1
	s_or_b32 exec_lo, exec_lo, s89
	s_delay_alu instid0(SALU_CYCLE_1)
	s_mov_b32 s94, exec_lo
.LBB111_228:                            ;   in Loop: Header=BB111_6 Depth=1
	s_or_b32 exec_lo, exec_lo, s90
	s_delay_alu instid0(VALU_DEP_1)
	v_mov_b32_e32 v4, v31
	s_or_not1_b32 s89, s94, exec_lo
.LBB111_229:                            ;   in Loop: Header=BB111_6 Depth=1
	s_or_b32 exec_lo, exec_lo, s88
	s_delay_alu instid0(SALU_CYCLE_1)
	s_and_not1_b32 s84, s84, exec_lo
	s_and_b32 s11, s11, exec_lo
	v_mov_b32_e32 v31, v4
	s_or_b32 s84, s84, s11
	s_and_not1_b32 s11, s86, exec_lo
	s_and_b32 s86, s92, exec_lo
	s_and_not1_b32 s85, s85, exec_lo
	s_and_b32 s88, s91, exec_lo
	s_or_b32 s86, s11, s86
	s_or_b32 s85, s85, s88
	s_and_b32 s89, s89, exec_lo
.LBB111_230:                            ;   in Loop: Header=BB111_6 Depth=1
	s_or_b32 exec_lo, exec_lo, s87
	s_delay_alu instid0(SALU_CYCLE_1)
	s_and_b32 s87, s84, exec_lo
	s_and_b32 s86, s86, exec_lo
	;; [unrolled: 1-line block ×3, first 2 shown]
	s_or_not1_b32 s11, s89, exec_lo
.LBB111_231:                            ;   in Loop: Header=BB111_6 Depth=1
	s_or_b32 exec_lo, exec_lo, s83
	s_delay_alu instid0(SALU_CYCLE_1)
	s_and_not1_b32 s79, s79, exec_lo
	s_and_b32 s83, s87, exec_lo
	v_mov_b32_e32 v4, v31
	s_or_b32 s79, s79, s83
	s_and_not1_b32 s81, s81, exec_lo
	s_and_b32 s83, s86, exec_lo
	s_and_not1_b32 s80, s80, exec_lo
	s_and_b32 s84, s84, exec_lo
	s_or_b32 s81, s81, s83
	s_or_b32 s80, s80, s84
	s_and_b32 s84, s11, exec_lo
.LBB111_232:                            ;   in Loop: Header=BB111_6 Depth=1
	s_or_b32 exec_lo, exec_lo, s82
	s_delay_alu instid0(SALU_CYCLE_1)
	s_and_b32 s82, s79, exec_lo
	s_and_b32 s81, s81, exec_lo
	;; [unrolled: 1-line block ×3, first 2 shown]
	s_or_not1_b32 s11, s84, exec_lo
.LBB111_233:                            ;   in Loop: Header=BB111_6 Depth=1
	s_or_b32 exec_lo, exec_lo, s20
	s_mov_b32 s20, 0
	s_mov_b32 s80, 0
	s_and_saveexec_b32 s83, s11
	s_delay_alu instid0(SALU_CYCLE_1)
	s_xor_b32 s83, exec_lo, s83
; %bb.234:                              ;   in Loop: Header=BB111_6 Depth=1
	v_cmp_ne_u32_e32 vcc_lo, 8, v8
	v_cmp_eq_u32_e64 s11, 8, v8
	s_and_not1_b32 s82, s82, exec_lo
	s_and_not1_b32 s81, s81, exec_lo
	;; [unrolled: 1-line block ×3, first 2 shown]
	s_and_b32 s80, vcc_lo, exec_lo
	s_and_b32 s20, s11, exec_lo
; %bb.235:                              ;   in Loop: Header=BB111_6 Depth=1
	s_or_b32 exec_lo, exec_lo, s83
	s_delay_alu instid0(SALU_CYCLE_1)
	s_and_not1_b32 s11, s15, exec_lo
	s_and_b32 s15, s82, exec_lo
	s_and_not1_b32 s21, s21, exec_lo
	s_or_b32 s15, s11, s15
	s_and_not1_b32 s11, s22, exec_lo
	s_and_b32 s22, s81, exec_lo
	s_and_b32 s79, s79, exec_lo
	s_or_b32 s22, s11, s22
	s_or_b32 s21, s21, s79
	s_and_b32 s11, s80, exec_lo
	s_and_b32 s20, s20, exec_lo
.LBB111_236:                            ;   in Loop: Header=BB111_6 Depth=1
	s_or_b32 exec_lo, exec_lo, s78
	s_delay_alu instid0(SALU_CYCLE_1)
	s_and_b32 vcc_lo, exec_lo, s23
	s_cbranch_vccz .LBB111_83
.LBB111_237:                            ;   in Loop: Header=BB111_6 Depth=1
	s_cmp_eq_u32 s19, 1
                                        ; implicit-def: $sgpr23
                                        ; implicit-def: $sgpr78
	s_cselect_b32 s15, -1, 0
	s_delay_alu instid0(SALU_CYCLE_1)
	s_and_b32 s22, s15, s10
	s_mov_b32 s10, -1
                                        ; implicit-def: $sgpr15
	s_and_saveexec_b32 s21, s22
	s_cbranch_execz .LBB111_263
; %bb.238:                              ;   in Loop: Header=BB111_6 Depth=1
	ds_load_b32 v1, v9 offset:4096
	s_waitcnt lgkmcnt(0)
	s_barrier
	buffer_gl0_inv
	v_readfirstlane_b32 s15, v1
	s_and_saveexec_b32 s10, s6
	s_cbranch_execz .LBB111_240
; %bb.239:                              ;   in Loop: Header=BB111_6 Depth=1
	ds_store_b16 v20, v9
.LBB111_240:                            ;   in Loop: Header=BB111_6 Depth=1
	s_or_b32 exec_lo, exec_lo, s10
	v_or_b32_e32 v28, s13, v28
	v_or_b32_e32 v27, s13, v27
	s_cmp_eq_u32 s15, 0
	s_waitcnt lgkmcnt(0)
	s_barrier
	buffer_gl0_inv
	s_cbranch_scc1 .LBB111_249
; %bb.241:                              ;   in Loop: Header=BB111_6 Depth=1
	s_add_i32 s10, s15, s53
                                        ; implicit-def: $vgpr29
	s_delay_alu instid0(SALU_CYCLE_1) | instskip(NEXT) | instid1(SALU_CYCLE_1)
	s_mul_hi_u32 s23, s10, s60
	s_mul_i32 s23, s23, s40
	s_delay_alu instid0(SALU_CYCLE_1) | instskip(NEXT) | instid1(SALU_CYCLE_1)
	s_sub_i32 s23, s10, s23
	s_sub_i32 s78, s23, s40
	s_cmp_ge_u32 s23, s40
	s_cselect_b32 s23, s78, s23
	s_delay_alu instid0(SALU_CYCLE_1) | instskip(SKIP_2) | instid1(SALU_CYCLE_1)
	s_sub_i32 s78, s23, s40
	s_cmp_ge_u32 s23, s40
	s_cselect_b32 s23, s78, s23
	s_sub_i32 s78, s10, s23
	s_mov_b32 s10, 0
	s_mov_b32 s23, exec_lo
	v_cmpx_gt_u32_e64 s78, v0
	s_cbranch_execz .LBB111_251
; %bb.242:                              ;   in Loop: Header=BB111_6 Depth=1
	v_dual_mov_b32 v1, v19 :: v_dual_mov_b32 v2, v0
	s_mov_b32 s79, 0
                                        ; implicit-def: $sgpr80
	s_branch .LBB111_244
.LBB111_243:                            ;   in Loop: Header=BB111_244 Depth=2
	s_or_b32 exec_lo, exec_lo, s10
	s_waitcnt lgkmcnt(0)
	s_barrier
	buffer_gl0_inv
	ds_load_b32 v3, v9 offset:3072
	v_add_nc_u32_e32 v2, s40, v2
	v_add_nc_u32_e32 v1, s64, v1
	s_waitcnt lgkmcnt(0)
	s_barrier
	buffer_gl0_inv
	v_cmp_le_u32_e32 vcc_lo, s78, v2
	v_and_b32_e32 v4, 0x7fff, v3
	s_delay_alu instid0(VALU_DEP_1) | instskip(NEXT) | instid1(VALU_DEP_1)
	v_cmp_ne_u16_e64 s10, 0, v4
	s_or_b32 s81, vcc_lo, s10
	s_delay_alu instid0(SALU_CYCLE_1) | instskip(NEXT) | instid1(SALU_CYCLE_1)
	s_and_b32 s81, exec_lo, s81
	s_or_b32 s79, s81, s79
	s_and_not1_b32 s80, s80, exec_lo
	s_and_b32 s10, s10, exec_lo
	s_delay_alu instid0(SALU_CYCLE_1)
	s_or_b32 s80, s80, s10
	s_and_not1_b32 exec_lo, exec_lo, s79
	s_cbranch_execz .LBB111_250
.LBB111_244:                            ;   Parent Loop BB111_6 Depth=1
                                        ; =>  This Inner Loop Header: Depth=2
	s_delay_alu instid0(VALU_DEP_1)
	v_cmp_gt_u32_e32 vcc_lo, s15, v2
	v_mov_b32_e32 v3, 0
	s_and_saveexec_b32 s10, vcc_lo
	s_cbranch_execz .LBB111_246
; %bb.245:                              ;   in Loop: Header=BB111_244 Depth=2
	ds_load_u16 v3, v1
.LBB111_246:                            ;   in Loop: Header=BB111_244 Depth=2
	s_or_b32 exec_lo, exec_lo, s10
	s_and_saveexec_b32 s10, vcc_lo
	s_cbranch_execz .LBB111_243
; %bb.247:                              ;   in Loop: Header=BB111_244 Depth=2
	s_waitcnt lgkmcnt(0)
	v_cmp_lt_i16_e32 vcc_lo, -1, v3
	v_and_b32_e32 v4, 0xffff, v3
	v_dual_cndmask_b32 v8, 0xffff, v26 :: v_dual_lshlrev_b32 v29, 16, v3
	s_delay_alu instid0(VALU_DEP_1) | instskip(NEXT) | instid1(VALU_DEP_2)
	v_cmp_o_f32_e32 vcc_lo, v29, v29
	v_xor_b32_e32 v4, v8, v4
	s_delay_alu instid0(VALU_DEP_1) | instskip(NEXT) | instid1(VALU_DEP_1)
	v_cndmask_b32_e32 v4, 0xffff, v4, vcc_lo
	v_and_b32_e32 v4, v4, v27
	s_delay_alu instid0(VALU_DEP_1)
	v_cmp_eq_u32_e32 vcc_lo, v4, v28
	s_and_b32 exec_lo, exec_lo, vcc_lo
	s_cbranch_execz .LBB111_243
; %bb.248:                              ;   in Loop: Header=BB111_244 Depth=2
	v_perm_b32 v3, v3, s66, 0x5040100
	ds_store_b32 v9, v3 offset:3072
	s_branch .LBB111_243
.LBB111_249:                            ;   in Loop: Header=BB111_6 Depth=1
	s_mov_b32 s23, -1
	s_mov_b32 s10, 0
                                        ; implicit-def: $sgpr78
                                        ; implicit-def: $vgpr29
	s_mov_b32 s15, s23
	s_cbranch_execnz .LBB111_252
	s_branch .LBB111_262
.LBB111_250:                            ;   in Loop: Header=BB111_6 Depth=1
	s_or_b32 exec_lo, exec_lo, s79
	v_lshrrev_b32_e32 v29, 16, v3
	s_and_b32 s10, s80, exec_lo
.LBB111_251:                            ;   in Loop: Header=BB111_6 Depth=1
	s_or_b32 exec_lo, exec_lo, s23
	s_mov_b32 s23, 0
	s_mov_b32 s78, -1
	s_mov_b32 s15, s23
	s_branch .LBB111_262
.LBB111_252:                            ;   in Loop: Header=BB111_6 Depth=1
	s_mov_b32 s10, 0
                                        ; implicit-def: $vgpr29
	s_and_saveexec_b32 s15, s9
	s_cbranch_execz .LBB111_261
; %bb.253:                              ;   in Loop: Header=BB111_6 Depth=1
	v_dual_mov_b32 v8, v7 :: v_dual_mov_b32 v1, v0
	s_mov_b32 s23, 0
                                        ; implicit-def: $sgpr78
	s_branch .LBB111_255
.LBB111_254:                            ;   in Loop: Header=BB111_255 Depth=2
	s_or_b32 exec_lo, exec_lo, s10
	s_waitcnt vmcnt(0) lgkmcnt(0)
	s_barrier
	buffer_gl0_inv
	ds_load_b32 v2, v9 offset:3072
	v_add_nc_u32_e32 v1, s40, v1
	v_add_nc_u32_e32 v8, s42, v8
	s_waitcnt lgkmcnt(0)
	s_barrier
	buffer_gl0_inv
	v_cmp_le_u32_e32 vcc_lo, s61, v1
	v_and_b32_e32 v3, 0x7fff, v2
	s_delay_alu instid0(VALU_DEP_1) | instskip(NEXT) | instid1(VALU_DEP_1)
	v_cmp_ne_u16_e64 s10, 0, v3
	s_or_b32 s79, vcc_lo, s10
	s_delay_alu instid0(SALU_CYCLE_1) | instskip(NEXT) | instid1(SALU_CYCLE_1)
	s_and_b32 s79, exec_lo, s79
	s_or_b32 s23, s79, s23
	s_and_not1_b32 s78, s78, exec_lo
	s_and_b32 s10, s10, exec_lo
	s_delay_alu instid0(SALU_CYCLE_1)
	s_or_b32 s78, s78, s10
	s_and_not1_b32 exec_lo, exec_lo, s23
	s_cbranch_execz .LBB111_260
.LBB111_255:                            ;   Parent Loop BB111_6 Depth=1
                                        ; =>  This Inner Loop Header: Depth=2
	s_delay_alu instid0(VALU_DEP_1)
	v_cmp_gt_u32_e32 vcc_lo, s24, v1
	v_mov_b32_e32 v2, 0
	s_and_saveexec_b32 s79, vcc_lo
	s_cbranch_execz .LBB111_257
; %bb.256:                              ;   in Loop: Header=BB111_255 Depth=2
	v_lshlrev_b64 v[2:3], 1, v[8:9]
	s_delay_alu instid0(VALU_DEP_1) | instskip(NEXT) | instid1(VALU_DEP_1)
	v_add_co_u32 v2, s10, s29, v2
	v_add_co_ci_u32_e64 v3, s10, s33, v3, s10
	global_load_u16 v2, v[2:3], off
.LBB111_257:                            ;   in Loop: Header=BB111_255 Depth=2
	s_or_b32 exec_lo, exec_lo, s79
	s_and_saveexec_b32 s10, vcc_lo
	s_cbranch_execz .LBB111_254
; %bb.258:                              ;   in Loop: Header=BB111_255 Depth=2
	s_waitcnt vmcnt(0)
	v_cmp_lt_i16_e32 vcc_lo, -1, v2
	v_and_b32_e32 v3, 0xffff, v2
	v_lshlrev_b32_e32 v29, 16, v2
	v_cndmask_b32_e32 v4, 0xffff, v26, vcc_lo
	s_delay_alu instid0(VALU_DEP_2) | instskip(NEXT) | instid1(VALU_DEP_2)
	v_cmp_o_f32_e32 vcc_lo, v29, v29
	v_xor_b32_e32 v3, v4, v3
	s_delay_alu instid0(VALU_DEP_1) | instskip(NEXT) | instid1(VALU_DEP_1)
	v_cndmask_b32_e32 v3, 0xffff, v3, vcc_lo
	v_and_b32_e32 v3, v3, v27
	s_delay_alu instid0(VALU_DEP_1)
	v_cmp_eq_u32_e32 vcc_lo, v3, v28
	s_and_b32 exec_lo, exec_lo, vcc_lo
	s_cbranch_execz .LBB111_254
; %bb.259:                              ;   in Loop: Header=BB111_255 Depth=2
	v_perm_b32 v2, v2, s66, 0x5040100
	ds_store_b32 v9, v2 offset:3072
	s_branch .LBB111_254
.LBB111_260:                            ;   in Loop: Header=BB111_6 Depth=1
	s_or_b32 exec_lo, exec_lo, s23
	v_lshrrev_b32_e32 v29, 16, v2
	s_and_b32 s10, s78, exec_lo
.LBB111_261:                            ;   in Loop: Header=BB111_6 Depth=1
	s_or_b32 exec_lo, exec_lo, s15
	s_mov_b32 s78, 0
	s_mov_b32 s23, -1
	s_mov_b32 s15, 0
.LBB111_262:                            ;   in Loop: Header=BB111_6 Depth=1
	s_or_not1_b32 s10, s10, exec_lo
.LBB111_263:                            ;   in Loop: Header=BB111_6 Depth=1
	s_or_b32 exec_lo, exec_lo, s21
                                        ; implicit-def: $vgpr8
                                        ; implicit-def: $vgpr4
                                        ; implicit-def: $vgpr1
                                        ; implicit-def: $vgpr2
                                        ; implicit-def: $vgpr3
	s_and_saveexec_b32 s21, s10
	s_cbranch_execz .LBB111_398
; %bb.264:                              ;   in Loop: Header=BB111_6 Depth=1
	v_mov_b32_e32 v4, 1
	v_mov_b32_e32 v8, 1
	s_xor_b32 s22, s22, -1
	s_mov_b32 s82, 0
	s_and_saveexec_b32 s10, s22
	s_cbranch_execz .LBB111_274
; %bb.265:                              ;   in Loop: Header=BB111_6 Depth=1
	s_mov_b32 s79, exec_lo
                                        ; implicit-def: $sgpr80
                                        ; implicit-def: $sgpr22
	v_cmpx_ge_u32_e64 s19, v30
	s_xor_b32 s79, exec_lo, s79
	s_cbranch_execz .LBB111_271
; %bb.266:                              ;   in Loop: Header=BB111_6 Depth=1
	ds_load_b32 v1, v9 offset:4096
	s_waitcnt lgkmcnt(0)
	v_cmp_ne_u32_e32 vcc_lo, 0, v1
	s_cbranch_vccnz .LBB111_270
; %bb.267:                              ;   in Loop: Header=BB111_6 Depth=1
	s_and_saveexec_b32 s22, s5
	s_cbranch_execz .LBB111_269
; %bb.268:                              ;   in Loop: Header=BB111_6 Depth=1
	v_mov_b32_e32 v1, s19
	ds_store_b32 v9, v1 offset:4100
.LBB111_269:                            ;   in Loop: Header=BB111_6 Depth=1
	s_or_b32 exec_lo, exec_lo, s22
	s_waitcnt lgkmcnt(0)
	s_barrier
	buffer_gl0_inv
.LBB111_270:                            ;   in Loop: Header=BB111_6 Depth=1
	v_or_b32_e32 v28, s13, v28
	v_or_b32_e32 v27, s13, v27
	s_mov_b32 s22, 0
	s_mov_b32 s80, 5
.LBB111_271:                            ;   in Loop: Header=BB111_6 Depth=1
	s_or_saveexec_b32 s79, s79
	v_mov_b32_e32 v8, s80
	s_xor_b32 exec_lo, exec_lo, s79
; %bb.272:                              ;   in Loop: Header=BB111_6 Depth=1
	v_subrev_nc_u32_e32 v30, s19, v30
	v_mov_b32_e32 v8, 0
	s_or_b32 s22, s22, exec_lo
; %bb.273:                              ;   in Loop: Header=BB111_6 Depth=1
	s_or_b32 exec_lo, exec_lo, s79
	s_delay_alu instid0(VALU_DEP_2)
	v_mov_b32_e32 v4, v30
	s_and_b32 s82, s22, exec_lo
.LBB111_274:                            ;   in Loop: Header=BB111_6 Depth=1
	s_or_b32 exec_lo, exec_lo, s10
	s_mov_b32 s80, -1
                                        ; implicit-def: $sgpr22
                                        ; implicit-def: $sgpr79
                                        ; implicit-def: $sgpr81
	s_and_saveexec_b32 s10, s82
	s_delay_alu instid0(SALU_CYCLE_1)
	s_xor_b32 s19, exec_lo, s10
	s_cbranch_execz .LBB111_395
; %bb.275:                              ;   in Loop: Header=BB111_6 Depth=1
	v_cmp_eq_u32_e32 vcc_lo, 1, v4
	s_cmp_eq_u32 s18, 1
                                        ; implicit-def: $sgpr22
                                        ; implicit-def: $sgpr79
                                        ; implicit-def: $sgpr80
	s_cselect_b32 s10, -1, 0
	s_delay_alu instid0(SALU_CYCLE_1)
	s_and_b32 s82, s10, vcc_lo
	s_mov_b32 s10, -1
	s_and_saveexec_b32 s81, s82
	s_cbranch_execz .LBB111_301
; %bb.276:                              ;   in Loop: Header=BB111_6 Depth=1
	ds_load_b32 v1, v9 offset:4096
	s_waitcnt lgkmcnt(0)
	s_barrier
	buffer_gl0_inv
	v_readfirstlane_b32 s22, v1
	s_and_saveexec_b32 s10, s6
	s_cbranch_execz .LBB111_278
; %bb.277:                              ;   in Loop: Header=BB111_6 Depth=1
	ds_store_b16 v20, v9
.LBB111_278:                            ;   in Loop: Header=BB111_6 Depth=1
	s_or_b32 exec_lo, exec_lo, s10
	s_lshl_b32 s10, 2, s17
	v_or_b32_e32 v27, s13, v27
	v_and_or_b32 v28, v28, s14, s10
	s_cmp_eq_u32 s22, 0
	s_waitcnt lgkmcnt(0)
	s_barrier
	buffer_gl0_inv
	s_cbranch_scc1 .LBB111_287
; %bb.279:                              ;   in Loop: Header=BB111_6 Depth=1
	s_add_i32 s10, s22, s53
                                        ; implicit-def: $vgpr29
	s_delay_alu instid0(SALU_CYCLE_1) | instskip(NEXT) | instid1(SALU_CYCLE_1)
	s_mul_hi_u32 s79, s10, s60
	s_mul_i32 s79, s79, s40
	s_delay_alu instid0(SALU_CYCLE_1) | instskip(NEXT) | instid1(SALU_CYCLE_1)
	s_sub_i32 s79, s10, s79
	s_sub_i32 s80, s79, s40
	s_cmp_ge_u32 s79, s40
	s_cselect_b32 s79, s80, s79
	s_delay_alu instid0(SALU_CYCLE_1) | instskip(SKIP_2) | instid1(SALU_CYCLE_1)
	s_sub_i32 s80, s79, s40
	s_cmp_ge_u32 s79, s40
	s_cselect_b32 s79, s80, s79
	s_sub_i32 s80, s10, s79
	s_mov_b32 s10, 0
	s_mov_b32 s79, exec_lo
	v_cmpx_gt_u32_e64 s80, v0
	s_cbranch_execz .LBB111_289
; %bb.280:                              ;   in Loop: Header=BB111_6 Depth=1
	v_dual_mov_b32 v1, v19 :: v_dual_mov_b32 v2, v0
	s_mov_b32 s83, 0
                                        ; implicit-def: $sgpr84
	s_branch .LBB111_282
.LBB111_281:                            ;   in Loop: Header=BB111_282 Depth=2
	s_or_b32 exec_lo, exec_lo, s10
	s_waitcnt lgkmcnt(0)
	s_barrier
	buffer_gl0_inv
	ds_load_b32 v3, v9 offset:3072
	v_add_nc_u32_e32 v2, s40, v2
	v_add_nc_u32_e32 v1, s64, v1
	s_waitcnt lgkmcnt(0)
	s_barrier
	buffer_gl0_inv
	v_cmp_le_u32_e32 vcc_lo, s80, v2
	v_and_b32_e32 v8, 0x7fff, v3
	s_delay_alu instid0(VALU_DEP_1) | instskip(NEXT) | instid1(VALU_DEP_1)
	v_cmp_ne_u16_e64 s10, 0, v8
	s_or_b32 s85, vcc_lo, s10
	s_delay_alu instid0(SALU_CYCLE_1) | instskip(NEXT) | instid1(SALU_CYCLE_1)
	s_and_b32 s85, exec_lo, s85
	s_or_b32 s83, s85, s83
	s_and_not1_b32 s84, s84, exec_lo
	s_and_b32 s10, s10, exec_lo
	s_delay_alu instid0(SALU_CYCLE_1)
	s_or_b32 s84, s84, s10
	s_and_not1_b32 exec_lo, exec_lo, s83
	s_cbranch_execz .LBB111_288
.LBB111_282:                            ;   Parent Loop BB111_6 Depth=1
                                        ; =>  This Inner Loop Header: Depth=2
	s_delay_alu instid0(VALU_DEP_1)
	v_cmp_gt_u32_e32 vcc_lo, s22, v2
	v_mov_b32_e32 v3, 0
	s_and_saveexec_b32 s10, vcc_lo
	s_cbranch_execz .LBB111_284
; %bb.283:                              ;   in Loop: Header=BB111_282 Depth=2
	ds_load_u16 v3, v1
.LBB111_284:                            ;   in Loop: Header=BB111_282 Depth=2
	s_or_b32 exec_lo, exec_lo, s10
	s_and_saveexec_b32 s10, vcc_lo
	s_cbranch_execz .LBB111_281
; %bb.285:                              ;   in Loop: Header=BB111_282 Depth=2
	s_waitcnt lgkmcnt(0)
	v_cmp_lt_i16_e32 vcc_lo, -1, v3
	v_and_b32_e32 v8, 0xffff, v3
	v_dual_cndmask_b32 v29, 0xffff, v26 :: v_dual_lshlrev_b32 v30, 16, v3
	s_delay_alu instid0(VALU_DEP_1) | instskip(NEXT) | instid1(VALU_DEP_2)
	v_cmp_o_f32_e32 vcc_lo, v30, v30
	v_xor_b32_e32 v8, v29, v8
	s_delay_alu instid0(VALU_DEP_1) | instskip(NEXT) | instid1(VALU_DEP_1)
	v_cndmask_b32_e32 v8, 0xffff, v8, vcc_lo
	v_and_b32_e32 v8, v8, v27
	s_delay_alu instid0(VALU_DEP_1)
	v_cmp_eq_u32_e32 vcc_lo, v8, v28
	s_and_b32 exec_lo, exec_lo, vcc_lo
	s_cbranch_execz .LBB111_281
; %bb.286:                              ;   in Loop: Header=BB111_282 Depth=2
	v_perm_b32 v3, v3, s66, 0x5040100
	ds_store_b32 v9, v3 offset:3072
	s_branch .LBB111_281
.LBB111_287:                            ;   in Loop: Header=BB111_6 Depth=1
	s_mov_b32 s22, -1
	s_mov_b32 s10, 0
                                        ; implicit-def: $sgpr79
                                        ; implicit-def: $vgpr29
	s_mov_b32 s80, s22
	s_cbranch_execnz .LBB111_290
	s_branch .LBB111_300
.LBB111_288:                            ;   in Loop: Header=BB111_6 Depth=1
	s_or_b32 exec_lo, exec_lo, s83
	v_lshrrev_b32_e32 v29, 16, v3
	s_and_b32 s10, s84, exec_lo
.LBB111_289:                            ;   in Loop: Header=BB111_6 Depth=1
	s_or_b32 exec_lo, exec_lo, s79
	s_mov_b32 s22, 0
	s_mov_b32 s79, -1
	s_mov_b32 s80, s22
	s_branch .LBB111_300
.LBB111_290:                            ;   in Loop: Header=BB111_6 Depth=1
	s_mov_b32 s10, 0
                                        ; implicit-def: $vgpr29
	s_and_saveexec_b32 s22, s9
	s_cbranch_execz .LBB111_299
; %bb.291:                              ;   in Loop: Header=BB111_6 Depth=1
	v_dual_mov_b32 v8, v7 :: v_dual_mov_b32 v1, v0
	s_mov_b32 s79, 0
                                        ; implicit-def: $sgpr80
	s_branch .LBB111_293
.LBB111_292:                            ;   in Loop: Header=BB111_293 Depth=2
	s_or_b32 exec_lo, exec_lo, s10
	s_waitcnt vmcnt(0) lgkmcnt(0)
	s_barrier
	buffer_gl0_inv
	ds_load_b32 v2, v9 offset:3072
	v_add_nc_u32_e32 v1, s40, v1
	v_add_nc_u32_e32 v8, s42, v8
	s_waitcnt lgkmcnt(0)
	s_barrier
	buffer_gl0_inv
	v_cmp_le_u32_e32 vcc_lo, s61, v1
	v_and_b32_e32 v3, 0x7fff, v2
	s_delay_alu instid0(VALU_DEP_1) | instskip(NEXT) | instid1(VALU_DEP_1)
	v_cmp_ne_u16_e64 s10, 0, v3
	s_or_b32 s83, vcc_lo, s10
	s_delay_alu instid0(SALU_CYCLE_1) | instskip(NEXT) | instid1(SALU_CYCLE_1)
	s_and_b32 s83, exec_lo, s83
	s_or_b32 s79, s83, s79
	s_and_not1_b32 s80, s80, exec_lo
	s_and_b32 s10, s10, exec_lo
	s_delay_alu instid0(SALU_CYCLE_1)
	s_or_b32 s80, s80, s10
	s_and_not1_b32 exec_lo, exec_lo, s79
	s_cbranch_execz .LBB111_298
.LBB111_293:                            ;   Parent Loop BB111_6 Depth=1
                                        ; =>  This Inner Loop Header: Depth=2
	s_delay_alu instid0(VALU_DEP_1)
	v_cmp_gt_u32_e32 vcc_lo, s24, v1
	v_mov_b32_e32 v2, 0
	s_and_saveexec_b32 s83, vcc_lo
	s_cbranch_execz .LBB111_295
; %bb.294:                              ;   in Loop: Header=BB111_293 Depth=2
	v_lshlrev_b64 v[2:3], 1, v[8:9]
	s_delay_alu instid0(VALU_DEP_1) | instskip(NEXT) | instid1(VALU_DEP_1)
	v_add_co_u32 v2, s10, s29, v2
	v_add_co_ci_u32_e64 v3, s10, s33, v3, s10
	global_load_u16 v2, v[2:3], off
.LBB111_295:                            ;   in Loop: Header=BB111_293 Depth=2
	s_or_b32 exec_lo, exec_lo, s83
	s_and_saveexec_b32 s10, vcc_lo
	s_cbranch_execz .LBB111_292
; %bb.296:                              ;   in Loop: Header=BB111_293 Depth=2
	s_waitcnt vmcnt(0)
	v_cmp_lt_i16_e32 vcc_lo, -1, v2
	v_and_b32_e32 v3, 0xffff, v2
	v_cndmask_b32_e32 v29, 0xffff, v26, vcc_lo
	s_delay_alu instid0(VALU_DEP_1) | instskip(SKIP_1) | instid1(VALU_DEP_1)
	v_xor_b32_e32 v3, v29, v3
	v_lshlrev_b32_e32 v30, 16, v2
	v_cmp_o_f32_e32 vcc_lo, v30, v30
	s_delay_alu instid0(VALU_DEP_3) | instskip(NEXT) | instid1(VALU_DEP_1)
	v_cndmask_b32_e32 v3, 0xffff, v3, vcc_lo
	v_and_b32_e32 v3, v3, v27
	s_delay_alu instid0(VALU_DEP_1)
	v_cmp_eq_u32_e32 vcc_lo, v3, v28
	s_and_b32 exec_lo, exec_lo, vcc_lo
	s_cbranch_execz .LBB111_292
; %bb.297:                              ;   in Loop: Header=BB111_293 Depth=2
	v_perm_b32 v2, v2, s66, 0x5040100
	ds_store_b32 v9, v2 offset:3072
	s_branch .LBB111_292
.LBB111_298:                            ;   in Loop: Header=BB111_6 Depth=1
	s_or_b32 exec_lo, exec_lo, s79
	v_lshrrev_b32_e32 v29, 16, v2
	s_and_b32 s10, s80, exec_lo
.LBB111_299:                            ;   in Loop: Header=BB111_6 Depth=1
	s_or_b32 exec_lo, exec_lo, s22
	s_mov_b32 s79, 0
	s_mov_b32 s22, -1
	s_mov_b32 s80, 0
.LBB111_300:                            ;   in Loop: Header=BB111_6 Depth=1
	s_or_not1_b32 s10, s10, exec_lo
.LBB111_301:                            ;   in Loop: Header=BB111_6 Depth=1
	s_or_b32 exec_lo, exec_lo, s81
	s_mov_b32 s83, 0
                                        ; implicit-def: $vgpr8
	s_and_saveexec_b32 s81, s10
	s_cbranch_execz .LBB111_394
; %bb.302:                              ;   in Loop: Header=BB111_6 Depth=1
	v_dual_mov_b32 v1, 1 :: v_dual_mov_b32 v8, 1
	s_xor_b32 s82, s82, -1
	s_mov_b32 s84, 0
	s_and_saveexec_b32 s10, s82
	s_cbranch_execz .LBB111_312
; %bb.303:                              ;   in Loop: Header=BB111_6 Depth=1
	s_mov_b32 s83, exec_lo
                                        ; implicit-def: $sgpr84
                                        ; implicit-def: $sgpr82
	v_cmpx_ge_u32_e64 s18, v4
	s_xor_b32 s83, exec_lo, s83
	s_cbranch_execz .LBB111_309
; %bb.304:                              ;   in Loop: Header=BB111_6 Depth=1
	ds_load_b32 v1, v9 offset:4096
	s_waitcnt lgkmcnt(0)
	v_cmp_ne_u32_e32 vcc_lo, 0, v1
	s_cbranch_vccnz .LBB111_308
; %bb.305:                              ;   in Loop: Header=BB111_6 Depth=1
	s_and_saveexec_b32 s82, s5
	s_cbranch_execz .LBB111_307
; %bb.306:                              ;   in Loop: Header=BB111_6 Depth=1
	v_mov_b32_e32 v1, s18
	ds_store_b32 v9, v1 offset:4100
.LBB111_307:                            ;   in Loop: Header=BB111_6 Depth=1
	s_or_b32 exec_lo, exec_lo, s82
	s_waitcnt lgkmcnt(0)
	s_barrier
	buffer_gl0_inv
.LBB111_308:                            ;   in Loop: Header=BB111_6 Depth=1
	s_lshl_b32 s82, 2, s17
	v_or_b32_e32 v27, s13, v27
	v_and_or_b32 v28, v28, s14, s82
	s_mov_b32 s82, 0
	s_mov_b32 s84, 5
.LBB111_309:                            ;   in Loop: Header=BB111_6 Depth=1
	s_or_saveexec_b32 s83, s83
	v_mov_b32_e32 v8, s84
	s_xor_b32 exec_lo, exec_lo, s83
; %bb.310:                              ;   in Loop: Header=BB111_6 Depth=1
	v_subrev_nc_u32_e32 v4, s18, v4
	v_mov_b32_e32 v8, 0
	s_or_b32 s82, s82, exec_lo
; %bb.311:                              ;   in Loop: Header=BB111_6 Depth=1
	s_or_b32 exec_lo, exec_lo, s83
	s_delay_alu instid0(VALU_DEP_2)
	v_mov_b32_e32 v1, v4
	s_and_b32 s84, s82, exec_lo
.LBB111_312:                            ;   in Loop: Header=BB111_6 Depth=1
	s_or_b32 exec_lo, exec_lo, s10
	s_mov_b32 s10, -1
                                        ; implicit-def: $sgpr82
                                        ; implicit-def: $sgpr83
                                        ; implicit-def: $sgpr85
	s_and_saveexec_b32 s18, s84
	s_cbranch_execz .LBB111_393
; %bb.313:                              ;   in Loop: Header=BB111_6 Depth=1
	v_cmp_eq_u32_e32 vcc_lo, 1, v1
	s_cmp_eq_u32 s16, 1
                                        ; implicit-def: $sgpr82
                                        ; implicit-def: $sgpr83
                                        ; implicit-def: $sgpr84
	s_cselect_b32 s10, -1, 0
	s_delay_alu instid0(SALU_CYCLE_1)
	s_and_b32 s86, s10, vcc_lo
	s_mov_b32 s10, -1
	s_and_saveexec_b32 s85, s86
	s_cbranch_execz .LBB111_339
; %bb.314:                              ;   in Loop: Header=BB111_6 Depth=1
	ds_load_b32 v2, v9 offset:4096
	s_waitcnt lgkmcnt(0)
	s_barrier
	buffer_gl0_inv
	v_readfirstlane_b32 s82, v2
	s_and_saveexec_b32 s10, s6
	s_cbranch_execz .LBB111_316
; %bb.315:                              ;   in Loop: Header=BB111_6 Depth=1
	ds_store_b16 v20, v9
.LBB111_316:                            ;   in Loop: Header=BB111_6 Depth=1
	s_or_b32 exec_lo, exec_lo, s10
	s_lshl_b32 s10, 1, s17
	v_or_b32_e32 v27, s13, v27
	v_and_or_b32 v28, v28, s14, s10
	s_cmp_eq_u32 s82, 0
	s_waitcnt lgkmcnt(0)
	s_barrier
	buffer_gl0_inv
	s_cbranch_scc1 .LBB111_325
; %bb.317:                              ;   in Loop: Header=BB111_6 Depth=1
	s_add_i32 s10, s82, s53
                                        ; implicit-def: $vgpr29
	s_delay_alu instid0(SALU_CYCLE_1) | instskip(NEXT) | instid1(SALU_CYCLE_1)
	s_mul_hi_u32 s83, s10, s60
	s_mul_i32 s83, s83, s40
	s_delay_alu instid0(SALU_CYCLE_1) | instskip(NEXT) | instid1(SALU_CYCLE_1)
	s_sub_i32 s83, s10, s83
	s_sub_i32 s84, s83, s40
	s_cmp_ge_u32 s83, s40
	s_cselect_b32 s83, s84, s83
	s_delay_alu instid0(SALU_CYCLE_1) | instskip(SKIP_2) | instid1(SALU_CYCLE_1)
	s_sub_i32 s84, s83, s40
	s_cmp_ge_u32 s83, s40
	s_cselect_b32 s83, s84, s83
	s_sub_i32 s84, s10, s83
	s_mov_b32 s10, 0
	s_mov_b32 s83, exec_lo
	v_cmpx_gt_u32_e64 s84, v0
	s_cbranch_execz .LBB111_327
; %bb.318:                              ;   in Loop: Header=BB111_6 Depth=1
	v_dual_mov_b32 v2, v19 :: v_dual_mov_b32 v3, v0
	s_mov_b32 s87, 0
                                        ; implicit-def: $sgpr88
	s_branch .LBB111_320
.LBB111_319:                            ;   in Loop: Header=BB111_320 Depth=2
	s_or_b32 exec_lo, exec_lo, s10
	s_waitcnt lgkmcnt(0)
	s_barrier
	buffer_gl0_inv
	ds_load_b32 v4, v9 offset:3072
	v_add_nc_u32_e32 v3, s40, v3
	v_add_nc_u32_e32 v2, s64, v2
	s_waitcnt lgkmcnt(0)
	s_barrier
	buffer_gl0_inv
	v_cmp_le_u32_e32 vcc_lo, s84, v3
	v_and_b32_e32 v8, 0x7fff, v4
	s_delay_alu instid0(VALU_DEP_1) | instskip(NEXT) | instid1(VALU_DEP_1)
	v_cmp_ne_u16_e64 s10, 0, v8
	s_or_b32 s89, vcc_lo, s10
	s_delay_alu instid0(SALU_CYCLE_1) | instskip(NEXT) | instid1(SALU_CYCLE_1)
	s_and_b32 s89, exec_lo, s89
	s_or_b32 s87, s89, s87
	s_and_not1_b32 s88, s88, exec_lo
	s_and_b32 s10, s10, exec_lo
	s_delay_alu instid0(SALU_CYCLE_1)
	s_or_b32 s88, s88, s10
	s_and_not1_b32 exec_lo, exec_lo, s87
	s_cbranch_execz .LBB111_326
.LBB111_320:                            ;   Parent Loop BB111_6 Depth=1
                                        ; =>  This Inner Loop Header: Depth=2
	s_delay_alu instid0(VALU_DEP_1)
	v_cmp_gt_u32_e32 vcc_lo, s82, v3
	v_mov_b32_e32 v4, 0
	s_and_saveexec_b32 s10, vcc_lo
	s_cbranch_execz .LBB111_322
; %bb.321:                              ;   in Loop: Header=BB111_320 Depth=2
	ds_load_u16 v4, v2
.LBB111_322:                            ;   in Loop: Header=BB111_320 Depth=2
	s_or_b32 exec_lo, exec_lo, s10
	s_and_saveexec_b32 s10, vcc_lo
	s_cbranch_execz .LBB111_319
; %bb.323:                              ;   in Loop: Header=BB111_320 Depth=2
	s_waitcnt lgkmcnt(0)
	v_cmp_lt_i16_e32 vcc_lo, -1, v4
	v_and_b32_e32 v8, 0xffff, v4
	v_dual_cndmask_b32 v29, 0xffff, v26 :: v_dual_lshlrev_b32 v30, 16, v4
	s_delay_alu instid0(VALU_DEP_1) | instskip(NEXT) | instid1(VALU_DEP_2)
	v_cmp_o_f32_e32 vcc_lo, v30, v30
	v_xor_b32_e32 v8, v29, v8
	s_delay_alu instid0(VALU_DEP_1) | instskip(NEXT) | instid1(VALU_DEP_1)
	v_cndmask_b32_e32 v8, 0xffff, v8, vcc_lo
	v_and_b32_e32 v8, v8, v27
	s_delay_alu instid0(VALU_DEP_1)
	v_cmp_eq_u32_e32 vcc_lo, v8, v28
	s_and_b32 exec_lo, exec_lo, vcc_lo
	s_cbranch_execz .LBB111_319
; %bb.324:                              ;   in Loop: Header=BB111_320 Depth=2
	v_perm_b32 v4, v4, s66, 0x5040100
	ds_store_b32 v9, v4 offset:3072
	s_branch .LBB111_319
.LBB111_325:                            ;   in Loop: Header=BB111_6 Depth=1
	s_mov_b32 s82, -1
	s_mov_b32 s10, 0
                                        ; implicit-def: $sgpr83
                                        ; implicit-def: $vgpr29
	s_mov_b32 s84, s82
	s_cbranch_execnz .LBB111_328
	s_branch .LBB111_338
.LBB111_326:                            ;   in Loop: Header=BB111_6 Depth=1
	s_or_b32 exec_lo, exec_lo, s87
	v_lshrrev_b32_e32 v29, 16, v4
	s_and_b32 s10, s88, exec_lo
.LBB111_327:                            ;   in Loop: Header=BB111_6 Depth=1
	s_or_b32 exec_lo, exec_lo, s83
	s_mov_b32 s82, 0
	s_mov_b32 s83, -1
	s_mov_b32 s84, s82
	s_branch .LBB111_338
.LBB111_328:                            ;   in Loop: Header=BB111_6 Depth=1
	s_mov_b32 s10, 0
                                        ; implicit-def: $vgpr29
	s_and_saveexec_b32 s82, s9
	s_cbranch_execz .LBB111_337
; %bb.329:                              ;   in Loop: Header=BB111_6 Depth=1
	v_mov_b32_e32 v8, v7
	v_mov_b32_e32 v2, v0
	s_mov_b32 s83, 0
                                        ; implicit-def: $sgpr84
	s_branch .LBB111_331
.LBB111_330:                            ;   in Loop: Header=BB111_331 Depth=2
	s_or_b32 exec_lo, exec_lo, s10
	s_waitcnt vmcnt(0) lgkmcnt(0)
	s_barrier
	buffer_gl0_inv
	ds_load_b32 v3, v9 offset:3072
	v_add_nc_u32_e32 v2, s40, v2
	v_add_nc_u32_e32 v8, s42, v8
	s_waitcnt lgkmcnt(0)
	s_barrier
	buffer_gl0_inv
	v_cmp_le_u32_e32 vcc_lo, s61, v2
	v_and_b32_e32 v4, 0x7fff, v3
	s_delay_alu instid0(VALU_DEP_1) | instskip(NEXT) | instid1(VALU_DEP_1)
	v_cmp_ne_u16_e64 s10, 0, v4
	s_or_b32 s87, vcc_lo, s10
	s_delay_alu instid0(SALU_CYCLE_1) | instskip(NEXT) | instid1(SALU_CYCLE_1)
	s_and_b32 s87, exec_lo, s87
	s_or_b32 s83, s87, s83
	s_and_not1_b32 s84, s84, exec_lo
	s_and_b32 s10, s10, exec_lo
	s_delay_alu instid0(SALU_CYCLE_1)
	s_or_b32 s84, s84, s10
	s_and_not1_b32 exec_lo, exec_lo, s83
	s_cbranch_execz .LBB111_336
.LBB111_331:                            ;   Parent Loop BB111_6 Depth=1
                                        ; =>  This Inner Loop Header: Depth=2
	s_delay_alu instid0(VALU_DEP_1)
	v_cmp_gt_u32_e32 vcc_lo, s24, v2
	v_mov_b32_e32 v3, 0
	s_and_saveexec_b32 s87, vcc_lo
	s_cbranch_execz .LBB111_333
; %bb.332:                              ;   in Loop: Header=BB111_331 Depth=2
	v_lshlrev_b64 v[3:4], 1, v[8:9]
	s_delay_alu instid0(VALU_DEP_1) | instskip(NEXT) | instid1(VALU_DEP_1)
	v_add_co_u32 v3, s10, s29, v3
	v_add_co_ci_u32_e64 v4, s10, s33, v4, s10
	global_load_u16 v3, v[3:4], off
.LBB111_333:                            ;   in Loop: Header=BB111_331 Depth=2
	s_or_b32 exec_lo, exec_lo, s87
	s_and_saveexec_b32 s10, vcc_lo
	s_cbranch_execz .LBB111_330
; %bb.334:                              ;   in Loop: Header=BB111_331 Depth=2
	s_waitcnt vmcnt(0)
	v_cmp_lt_i16_e32 vcc_lo, -1, v3
	v_and_b32_e32 v4, 0xffff, v3
	v_dual_cndmask_b32 v29, 0xffff, v26 :: v_dual_lshlrev_b32 v30, 16, v3
	s_delay_alu instid0(VALU_DEP_1) | instskip(NEXT) | instid1(VALU_DEP_2)
	v_cmp_o_f32_e32 vcc_lo, v30, v30
	v_xor_b32_e32 v4, v29, v4
	s_delay_alu instid0(VALU_DEP_1) | instskip(NEXT) | instid1(VALU_DEP_1)
	v_cndmask_b32_e32 v4, 0xffff, v4, vcc_lo
	v_and_b32_e32 v4, v4, v27
	s_delay_alu instid0(VALU_DEP_1)
	v_cmp_eq_u32_e32 vcc_lo, v4, v28
	s_and_b32 exec_lo, exec_lo, vcc_lo
	s_cbranch_execz .LBB111_330
; %bb.335:                              ;   in Loop: Header=BB111_331 Depth=2
	v_perm_b32 v3, v3, s66, 0x5040100
	ds_store_b32 v9, v3 offset:3072
	s_branch .LBB111_330
.LBB111_336:                            ;   in Loop: Header=BB111_6 Depth=1
	s_or_b32 exec_lo, exec_lo, s83
	v_lshrrev_b32_e32 v29, 16, v3
	s_and_b32 s10, s84, exec_lo
.LBB111_337:                            ;   in Loop: Header=BB111_6 Depth=1
	s_or_b32 exec_lo, exec_lo, s82
	s_mov_b32 s83, 0
	s_mov_b32 s82, -1
	s_mov_b32 s84, 0
.LBB111_338:                            ;   in Loop: Header=BB111_6 Depth=1
	s_or_not1_b32 s10, s10, exec_lo
.LBB111_339:                            ;   in Loop: Header=BB111_6 Depth=1
	s_or_b32 exec_lo, exec_lo, s85
	s_mov_b32 s87, 0
                                        ; implicit-def: $vgpr8
	s_and_saveexec_b32 s85, s10
	s_cbranch_execz .LBB111_392
; %bb.340:                              ;   in Loop: Header=BB111_6 Depth=1
	v_mov_b32_e32 v2, 1
	v_mov_b32_e32 v8, 1
	s_xor_b32 s87, s86, -1
	s_mov_b32 s86, 0
	s_and_saveexec_b32 s10, s87
	s_cbranch_execz .LBB111_350
; %bb.341:                              ;   in Loop: Header=BB111_6 Depth=1
	s_mov_b32 s87, exec_lo
                                        ; implicit-def: $sgpr88
                                        ; implicit-def: $sgpr86
	v_cmpx_ge_u32_e64 s16, v1
	s_xor_b32 s87, exec_lo, s87
	s_cbranch_execz .LBB111_347
; %bb.342:                              ;   in Loop: Header=BB111_6 Depth=1
	ds_load_b32 v2, v9 offset:4096
	s_waitcnt lgkmcnt(0)
	v_cmp_ne_u32_e32 vcc_lo, 0, v2
	s_cbranch_vccnz .LBB111_346
; %bb.343:                              ;   in Loop: Header=BB111_6 Depth=1
	s_and_saveexec_b32 s86, s5
	s_cbranch_execz .LBB111_345
; %bb.344:                              ;   in Loop: Header=BB111_6 Depth=1
	v_mov_b32_e32 v2, s16
	ds_store_b32 v9, v2 offset:4100
.LBB111_345:                            ;   in Loop: Header=BB111_6 Depth=1
	s_or_b32 exec_lo, exec_lo, s86
	s_waitcnt lgkmcnt(0)
	s_barrier
	buffer_gl0_inv
.LBB111_346:                            ;   in Loop: Header=BB111_6 Depth=1
	s_lshl_b32 s17, 1, s17
	v_or_b32_e32 v27, s13, v27
	v_and_or_b32 v28, v28, s14, s17
	s_mov_b32 s86, 0
	s_mov_b32 s88, 5
.LBB111_347:                            ;   in Loop: Header=BB111_6 Depth=1
	s_or_saveexec_b32 s17, s87
	v_mov_b32_e32 v8, s88
	s_xor_b32 exec_lo, exec_lo, s17
; %bb.348:                              ;   in Loop: Header=BB111_6 Depth=1
	v_subrev_nc_u32_e32 v1, s16, v1
	v_mov_b32_e32 v8, 0
	s_or_b32 s86, s86, exec_lo
; %bb.349:                              ;   in Loop: Header=BB111_6 Depth=1
	s_or_b32 exec_lo, exec_lo, s17
	s_delay_alu instid0(VALU_DEP_2)
	v_mov_b32_e32 v2, v1
	s_and_b32 s86, s86, exec_lo
.LBB111_350:                            ;   in Loop: Header=BB111_6 Depth=1
	s_or_b32 exec_lo, exec_lo, s10
	s_mov_b32 s17, -1
                                        ; implicit-def: $sgpr10
                                        ; implicit-def: $sgpr87
                                        ; implicit-def: $sgpr88
	s_and_saveexec_b32 s16, s86
	s_cbranch_execz .LBB111_391
; %bb.351:                              ;   in Loop: Header=BB111_6 Depth=1
	v_cmp_eq_u32_e32 vcc_lo, 1, v2
	s_cmp_eq_u32 s12, 1
	s_mov_b32 s89, -1
	s_cselect_b32 s10, -1, 0
                                        ; implicit-def: $sgpr87
                                        ; implicit-def: $sgpr88
	s_delay_alu instid0(SALU_CYCLE_1) | instskip(NEXT) | instid1(SALU_CYCLE_1)
	s_and_b32 s17, s10, vcc_lo
                                        ; implicit-def: $sgpr10
	s_and_saveexec_b32 s86, s17
	s_cbranch_execz .LBB111_378
; %bb.352:                              ;   in Loop: Header=BB111_6 Depth=1
	ds_load_b32 v1, v9 offset:4096
	s_waitcnt lgkmcnt(0)
	s_barrier
	buffer_gl0_inv
	v_readfirstlane_b32 s87, v1
	s_and_saveexec_b32 s10, s6
	s_cbranch_execz .LBB111_354
; %bb.353:                              ;   in Loop: Header=BB111_6 Depth=1
	ds_store_b16 v20, v9
.LBB111_354:                            ;   in Loop: Header=BB111_6 Depth=1
	s_or_b32 exec_lo, exec_lo, s10
	v_and_b32_e32 v28, s14, v28
	v_or_b32_e32 v27, s13, v27
	s_cmp_eq_u32 s87, 0
	s_waitcnt lgkmcnt(0)
	s_barrier
	buffer_gl0_inv
	s_cbranch_scc1 .LBB111_363
; %bb.355:                              ;   in Loop: Header=BB111_6 Depth=1
	s_add_i32 s10, s87, s53
	s_mov_b32 s90, 0
	s_mul_hi_u32 s88, s10, s60
                                        ; implicit-def: $vgpr29
	s_delay_alu instid0(SALU_CYCLE_1) | instskip(NEXT) | instid1(SALU_CYCLE_1)
	s_mul_i32 s88, s88, s40
	s_sub_i32 s88, s10, s88
	s_delay_alu instid0(SALU_CYCLE_1) | instskip(SKIP_2) | instid1(SALU_CYCLE_1)
	s_sub_i32 s89, s88, s40
	s_cmp_ge_u32 s88, s40
	s_cselect_b32 s88, s89, s88
	s_sub_i32 s89, s88, s40
	s_cmp_ge_u32 s88, s40
	s_cselect_b32 s88, s89, s88
	s_delay_alu instid0(SALU_CYCLE_1)
	s_sub_i32 s89, s10, s88
	s_mov_b32 s88, exec_lo
	v_cmpx_gt_u32_e64 s89, v0
	s_cbranch_execz .LBB111_365
; %bb.356:                              ;   in Loop: Header=BB111_6 Depth=1
	v_mov_b32_e32 v1, v19
	v_mov_b32_e32 v3, v0
                                        ; implicit-def: $sgpr91
	s_branch .LBB111_358
.LBB111_357:                            ;   in Loop: Header=BB111_358 Depth=2
	s_or_b32 exec_lo, exec_lo, s10
	s_waitcnt lgkmcnt(0)
	s_barrier
	buffer_gl0_inv
	ds_load_b32 v4, v9 offset:3072
	v_add_nc_u32_e32 v3, s40, v3
	v_add_nc_u32_e32 v1, s64, v1
	s_waitcnt lgkmcnt(0)
	s_barrier
	buffer_gl0_inv
	v_cmp_le_u32_e32 vcc_lo, s89, v3
	v_and_b32_e32 v8, 0x7fff, v4
	s_delay_alu instid0(VALU_DEP_1) | instskip(NEXT) | instid1(VALU_DEP_1)
	v_cmp_ne_u16_e64 s10, 0, v8
	s_or_b32 s92, vcc_lo, s10
	s_delay_alu instid0(SALU_CYCLE_1) | instskip(NEXT) | instid1(SALU_CYCLE_1)
	s_and_b32 s92, exec_lo, s92
	s_or_b32 s90, s92, s90
	s_and_not1_b32 s91, s91, exec_lo
	s_and_b32 s10, s10, exec_lo
	s_delay_alu instid0(SALU_CYCLE_1)
	s_or_b32 s91, s91, s10
	s_and_not1_b32 exec_lo, exec_lo, s90
	s_cbranch_execz .LBB111_364
.LBB111_358:                            ;   Parent Loop BB111_6 Depth=1
                                        ; =>  This Inner Loop Header: Depth=2
	s_delay_alu instid0(VALU_DEP_1)
	v_cmp_gt_u32_e32 vcc_lo, s87, v3
	v_mov_b32_e32 v4, 0
	s_and_saveexec_b32 s10, vcc_lo
	s_cbranch_execz .LBB111_360
; %bb.359:                              ;   in Loop: Header=BB111_358 Depth=2
	ds_load_u16 v4, v1
.LBB111_360:                            ;   in Loop: Header=BB111_358 Depth=2
	s_or_b32 exec_lo, exec_lo, s10
	s_and_saveexec_b32 s10, vcc_lo
	s_cbranch_execz .LBB111_357
; %bb.361:                              ;   in Loop: Header=BB111_358 Depth=2
	s_waitcnt lgkmcnt(0)
	v_cmp_lt_i16_e32 vcc_lo, -1, v4
	v_and_b32_e32 v8, 0xffff, v4
	v_dual_cndmask_b32 v29, 0xffff, v26 :: v_dual_lshlrev_b32 v30, 16, v4
	s_delay_alu instid0(VALU_DEP_1) | instskip(NEXT) | instid1(VALU_DEP_2)
	v_cmp_o_f32_e32 vcc_lo, v30, v30
	v_xor_b32_e32 v8, v29, v8
	s_delay_alu instid0(VALU_DEP_1) | instskip(NEXT) | instid1(VALU_DEP_1)
	v_cndmask_b32_e32 v8, 0xffff, v8, vcc_lo
	v_and_b32_e32 v8, v8, v27
	s_delay_alu instid0(VALU_DEP_1)
	v_cmp_eq_u32_e32 vcc_lo, v8, v28
	s_and_b32 exec_lo, exec_lo, vcc_lo
	s_cbranch_execz .LBB111_357
; %bb.362:                              ;   in Loop: Header=BB111_358 Depth=2
	v_perm_b32 v4, v4, s66, 0x5040100
	ds_store_b32 v9, v4 offset:3072
	s_branch .LBB111_357
.LBB111_363:                            ;   in Loop: Header=BB111_6 Depth=1
	s_mov_b32 s10, -1
	s_mov_b32 s90, 0
                                        ; implicit-def: $sgpr87
                                        ; implicit-def: $vgpr29
	s_branch .LBB111_366
.LBB111_364:                            ;   in Loop: Header=BB111_6 Depth=1
	s_or_b32 exec_lo, exec_lo, s90
	v_lshrrev_b32_e32 v29, 16, v4
	s_and_b32 s90, s91, exec_lo
.LBB111_365:                            ;   in Loop: Header=BB111_6 Depth=1
	s_or_b32 exec_lo, exec_lo, s88
	s_mov_b32 s10, 0
	s_mov_b32 s87, -1
.LBB111_366:                            ;   in Loop: Header=BB111_6 Depth=1
	s_and_b32 vcc_lo, exec_lo, s10
	s_mov_b32 s88, s10
	s_cbranch_vccz .LBB111_377
; %bb.367:                              ;   in Loop: Header=BB111_6 Depth=1
	s_mov_b32 s90, 0
                                        ; implicit-def: $vgpr29
	s_and_saveexec_b32 s87, s9
	s_cbranch_execz .LBB111_376
; %bb.368:                              ;   in Loop: Header=BB111_6 Depth=1
	v_dual_mov_b32 v8, v7 :: v_dual_mov_b32 v1, v0
	s_mov_b32 s88, 0
                                        ; implicit-def: $sgpr89
	s_branch .LBB111_370
.LBB111_369:                            ;   in Loop: Header=BB111_370 Depth=2
	s_or_b32 exec_lo, exec_lo, s10
	s_waitcnt vmcnt(0) lgkmcnt(0)
	s_barrier
	buffer_gl0_inv
	ds_load_b32 v3, v9 offset:3072
	v_add_nc_u32_e32 v1, s40, v1
	v_add_nc_u32_e32 v8, s42, v8
	s_waitcnt lgkmcnt(0)
	s_barrier
	buffer_gl0_inv
	v_cmp_le_u32_e32 vcc_lo, s61, v1
	v_and_b32_e32 v4, 0x7fff, v3
	s_delay_alu instid0(VALU_DEP_1) | instskip(NEXT) | instid1(VALU_DEP_1)
	v_cmp_ne_u16_e64 s10, 0, v4
	s_or_b32 s90, vcc_lo, s10
	s_delay_alu instid0(SALU_CYCLE_1) | instskip(NEXT) | instid1(SALU_CYCLE_1)
	s_and_b32 s90, exec_lo, s90
	s_or_b32 s88, s90, s88
	s_and_not1_b32 s89, s89, exec_lo
	s_and_b32 s10, s10, exec_lo
	s_delay_alu instid0(SALU_CYCLE_1)
	s_or_b32 s89, s89, s10
	s_and_not1_b32 exec_lo, exec_lo, s88
	s_cbranch_execz .LBB111_375
.LBB111_370:                            ;   Parent Loop BB111_6 Depth=1
                                        ; =>  This Inner Loop Header: Depth=2
	s_delay_alu instid0(VALU_DEP_1)
	v_cmp_gt_u32_e32 vcc_lo, s24, v1
	v_mov_b32_e32 v3, 0
	s_and_saveexec_b32 s90, vcc_lo
	s_cbranch_execz .LBB111_372
; %bb.371:                              ;   in Loop: Header=BB111_370 Depth=2
	v_lshlrev_b64 v[3:4], 1, v[8:9]
	s_delay_alu instid0(VALU_DEP_1) | instskip(NEXT) | instid1(VALU_DEP_1)
	v_add_co_u32 v3, s10, s29, v3
	v_add_co_ci_u32_e64 v4, s10, s33, v4, s10
	global_load_u16 v3, v[3:4], off
.LBB111_372:                            ;   in Loop: Header=BB111_370 Depth=2
	s_or_b32 exec_lo, exec_lo, s90
	s_and_saveexec_b32 s10, vcc_lo
	s_cbranch_execz .LBB111_369
; %bb.373:                              ;   in Loop: Header=BB111_370 Depth=2
	s_waitcnt vmcnt(0)
	v_cmp_lt_i16_e32 vcc_lo, -1, v3
	v_and_b32_e32 v4, 0xffff, v3
	v_dual_cndmask_b32 v29, 0xffff, v26 :: v_dual_lshlrev_b32 v30, 16, v3
	s_delay_alu instid0(VALU_DEP_1) | instskip(NEXT) | instid1(VALU_DEP_2)
	v_cmp_o_f32_e32 vcc_lo, v30, v30
	v_xor_b32_e32 v4, v29, v4
	s_delay_alu instid0(VALU_DEP_1) | instskip(NEXT) | instid1(VALU_DEP_1)
	v_cndmask_b32_e32 v4, 0xffff, v4, vcc_lo
	v_and_b32_e32 v4, v4, v27
	s_delay_alu instid0(VALU_DEP_1)
	v_cmp_eq_u32_e32 vcc_lo, v4, v28
	s_and_b32 exec_lo, exec_lo, vcc_lo
	s_cbranch_execz .LBB111_369
; %bb.374:                              ;   in Loop: Header=BB111_370 Depth=2
	v_perm_b32 v3, v3, s66, 0x5040100
	ds_store_b32 v9, v3 offset:3072
	s_branch .LBB111_369
.LBB111_375:                            ;   in Loop: Header=BB111_6 Depth=1
	s_or_b32 exec_lo, exec_lo, s88
	v_lshrrev_b32_e32 v29, 16, v3
	s_and_b32 s90, s89, exec_lo
.LBB111_376:                            ;   in Loop: Header=BB111_6 Depth=1
	s_or_b32 exec_lo, exec_lo, s87
	s_mov_b32 s87, 0
	s_mov_b32 s10, -1
	s_mov_b32 s88, 0
.LBB111_377:                            ;   in Loop: Header=BB111_6 Depth=1
	s_or_not1_b32 s89, s90, exec_lo
.LBB111_378:                            ;   in Loop: Header=BB111_6 Depth=1
	s_or_b32 exec_lo, exec_lo, s86
	s_mov_b32 s90, 0
                                        ; implicit-def: $vgpr8
                                        ; implicit-def: $vgpr1
	s_and_saveexec_b32 s86, s89
	s_cbranch_execz .LBB111_390
; %bb.379:                              ;   in Loop: Header=BB111_6 Depth=1
	v_dual_mov_b32 v8, 1 :: v_dual_mov_b32 v1, 1
	s_xor_b32 s89, s17, -1
	s_delay_alu instid0(SALU_CYCLE_1)
	s_and_saveexec_b32 s17, s89
	s_cbranch_execz .LBB111_389
; %bb.380:                              ;   in Loop: Header=BB111_6 Depth=1
	s_mov_b32 s89, exec_lo
                                        ; implicit-def: $sgpr90
	v_cmpx_ge_u32_e64 s12, v2
	s_xor_b32 s89, exec_lo, s89
	s_cbranch_execz .LBB111_386
; %bb.381:                              ;   in Loop: Header=BB111_6 Depth=1
	ds_load_b32 v1, v9 offset:4096
	s_waitcnt lgkmcnt(0)
	v_cmp_ne_u32_e32 vcc_lo, 0, v1
	s_cbranch_vccnz .LBB111_385
; %bb.382:                              ;   in Loop: Header=BB111_6 Depth=1
	s_and_saveexec_b32 s90, s5
	s_cbranch_execz .LBB111_384
; %bb.383:                              ;   in Loop: Header=BB111_6 Depth=1
	v_mov_b32_e32 v1, s12
	ds_store_b32 v9, v1 offset:4100
.LBB111_384:                            ;   in Loop: Header=BB111_6 Depth=1
	s_or_b32 exec_lo, exec_lo, s90
	s_waitcnt lgkmcnt(0)
	s_barrier
	buffer_gl0_inv
.LBB111_385:                            ;   in Loop: Header=BB111_6 Depth=1
	v_and_b32_e32 v28, s14, v28
	v_or_b32_e32 v27, s13, v27
	s_mov_b32 s90, 5
.LBB111_386:                            ;   in Loop: Header=BB111_6 Depth=1
	s_or_saveexec_b32 s13, s89
	v_mov_b32_e32 v8, s90
	s_xor_b32 exec_lo, exec_lo, s13
; %bb.387:                              ;   in Loop: Header=BB111_6 Depth=1
	v_subrev_nc_u32_e32 v2, s12, v2
	v_mov_b32_e32 v8, 5
; %bb.388:                              ;   in Loop: Header=BB111_6 Depth=1
	s_or_b32 exec_lo, exec_lo, s13
	s_delay_alu instid0(VALU_DEP_2)
	v_mov_b32_e32 v1, v2
.LBB111_389:                            ;   in Loop: Header=BB111_6 Depth=1
	s_or_b32 exec_lo, exec_lo, s17
	s_delay_alu instid0(SALU_CYCLE_1)
	s_mov_b32 s90, exec_lo
.LBB111_390:                            ;   in Loop: Header=BB111_6 Depth=1
	s_or_b32 exec_lo, exec_lo, s86
	s_delay_alu instid0(VALU_DEP_1)
	v_mov_b32_e32 v2, v1
	s_or_not1_b32 s17, s90, exec_lo
.LBB111_391:                            ;   in Loop: Header=BB111_6 Depth=1
	s_or_b32 exec_lo, exec_lo, s16
	s_delay_alu instid0(SALU_CYCLE_1)
	s_and_not1_b32 s12, s82, exec_lo
	s_and_b32 s10, s10, exec_lo
	s_and_not1_b32 s13, s84, exec_lo
	s_or_b32 s82, s12, s10
	s_and_not1_b32 s10, s83, exec_lo
	s_and_b32 s12, s87, exec_lo
	s_and_b32 s14, s88, exec_lo
	v_mov_b32_e32 v1, v2
	s_or_b32 s83, s10, s12
	s_or_b32 s84, s13, s14
	s_and_b32 s87, s17, exec_lo
.LBB111_392:                            ;   in Loop: Header=BB111_6 Depth=1
	s_or_b32 exec_lo, exec_lo, s85
	s_delay_alu instid0(SALU_CYCLE_1)
	s_and_b32 s85, s82, exec_lo
	s_and_b32 s83, s83, exec_lo
	;; [unrolled: 1-line block ×3, first 2 shown]
	s_or_not1_b32 s10, s87, exec_lo
.LBB111_393:                            ;   in Loop: Header=BB111_6 Depth=1
	s_or_b32 exec_lo, exec_lo, s18
	s_delay_alu instid0(SALU_CYCLE_1)
	s_and_not1_b32 s12, s22, exec_lo
	s_and_b32 s13, s85, exec_lo
	s_and_not1_b32 s14, s80, exec_lo
	s_or_b32 s22, s12, s13
	s_and_not1_b32 s12, s79, exec_lo
	s_and_b32 s13, s83, exec_lo
	s_and_b32 s16, s82, exec_lo
	v_mov_b32_e32 v4, v1
	s_or_b32 s79, s12, s13
	s_or_b32 s80, s14, s16
	s_and_b32 s83, s10, exec_lo
.LBB111_394:                            ;   in Loop: Header=BB111_6 Depth=1
	s_or_b32 exec_lo, exec_lo, s81
	s_delay_alu instid0(SALU_CYCLE_1)
	s_and_b32 s81, s22, exec_lo
	s_and_b32 s79, s79, exec_lo
	;; [unrolled: 1-line block ×3, first 2 shown]
	s_or_not1_b32 s80, s83, exec_lo
.LBB111_395:                            ;   in Loop: Header=BB111_6 Depth=1
	s_or_b32 exec_lo, exec_lo, s19
	s_mov_b32 s10, s20
	s_mov_b32 s12, s11
	s_and_saveexec_b32 s13, s80
; %bb.396:                              ;   in Loop: Header=BB111_6 Depth=1
	v_cmp_eq_u32_e32 vcc_lo, 5, v8
	v_cmp_ne_u32_e64 s10, 5, v8
	s_and_not1_b32 s12, s11, exec_lo
	s_and_not1_b32 s14, s20, exec_lo
	;; [unrolled: 1-line block ×3, first 2 shown]
	s_and_b32 s16, vcc_lo, exec_lo
	s_and_b32 s10, s10, exec_lo
	s_and_not1_b32 s79, s79, exec_lo
	s_and_not1_b32 s22, s22, exec_lo
	s_or_b32 s12, s12, s10
	s_or_b32 s10, s14, s16
; %bb.397:                              ;   in Loop: Header=BB111_6 Depth=1
	s_or_b32 exec_lo, exec_lo, s13
	s_delay_alu instid0(SALU_CYCLE_1)
	s_and_not1_b32 s13, s23, exec_lo
	s_and_b32 s14, s81, exec_lo
	v_dual_mov_b32 v1, v28 :: v_dual_mov_b32 v2, v27
	s_or_b32 s23, s13, s14
	s_and_not1_b32 s13, s78, exec_lo
	s_and_b32 s14, s79, exec_lo
	v_mov_b32_e32 v3, v29
	s_and_not1_b32 s15, s15, exec_lo
	s_and_b32 s16, s22, exec_lo
	s_or_b32 s78, s13, s14
	s_and_not1_b32 s11, s11, exec_lo
	s_and_b32 s12, s12, exec_lo
	s_and_not1_b32 s13, s20, exec_lo
	s_and_b32 s10, s10, exec_lo
	s_or_b32 s15, s15, s16
	s_or_b32 s11, s11, s12
	;; [unrolled: 1-line block ×3, first 2 shown]
.LBB111_398:                            ;   in Loop: Header=BB111_6 Depth=1
	s_or_b32 exec_lo, exec_lo, s21
	s_mov_b32 s22, s15
	s_mov_b32 s21, s15
	s_and_saveexec_b32 s10, s20
.LBB111_399:                            ;   in Loop: Header=BB111_6 Depth=1
	v_mov_b32_e32 v8, 0
	s_and_not1_b32 s15, s15, exec_lo
	s_and_not1_b32 s23, s23, exec_lo
	;; [unrolled: 1-line block ×5, first 2 shown]
	s_or_b32 s11, s11, exec_lo
.LBB111_400:                            ;   in Loop: Header=BB111_6 Depth=1
	s_or_b32 exec_lo, exec_lo, s10
	s_delay_alu instid0(SALU_CYCLE_1)
	s_and_not1_b32 s10, s77, exec_lo
	s_and_b32 s13, s15, exec_lo
	s_and_not1_b32 s14, s74, exec_lo
	s_or_b32 s77, s10, s13
	s_and_not1_b32 s10, s76, exec_lo
	s_and_b32 s13, s23, exec_lo
	s_and_b32 s15, s78, exec_lo
	s_or_b32 s76, s10, s13
	s_or_b32 s74, s14, s15
	s_and_not1_b32 s10, s75, exec_lo
	s_and_b32 s13, s22, exec_lo
	s_and_not1_b32 s14, s73, exec_lo
	s_and_b32 s15, s21, exec_lo
	s_mov_b32 s12, -1
	s_or_b32 s75, s10, s13
	s_or_b32 s73, s14, s15
                                        ; implicit-def: $vgpr27
                                        ; implicit-def: $vgpr28
                                        ; implicit-def: $vgpr30
                                        ; implicit-def: $vgpr29
	s_and_saveexec_b32 s10, s11
	s_delay_alu instid0(SALU_CYCLE_1)
	s_xor_b32 s10, exec_lo, s10
	s_cbranch_execz .LBB111_5
; %bb.401:                              ;   in Loop: Header=BB111_6 Depth=1
	s_mov_b32 s11, -1
	s_mov_b32 s13, exec_lo
	v_cmpx_eq_u32_e32 0, v8
	s_cbranch_execz .LBB111_4
; %bb.402:                              ;   in Loop: Header=BB111_6 Depth=1
	s_xor_b32 s67, s67, 1
	s_add_i32 s14, s71, -2
	s_cmp_eq_u32 s71, 0
	s_mov_b32 s71, s14
	s_cselect_b32 s11, -1, 0
	s_xor_b32 s12, exec_lo, -1
	s_or_not1_b32 s11, s11, exec_lo
	s_branch .LBB111_4
.LBB111_403:
	s_or_b32 exec_lo, exec_lo, s41
	s_xor_b32 s7, s72, -1
	s_xor_b32 s12, s69, -1
	;; [unrolled: 1-line block ×5, first 2 shown]
	s_mov_b32 s9, 0
	s_and_saveexec_b32 s10, s8
	s_delay_alu instid0(SALU_CYCLE_1)
	s_xor_b32 s8, exec_lo, s10
	s_cbranch_execz .LBB111_464
; %bb.404:
	s_mov_b32 s10, 0
	s_and_saveexec_b32 s9, s11
	s_delay_alu instid0(SALU_CYCLE_1)
	s_xor_b32 s9, exec_lo, s9
	s_cbranch_execz .LBB111_462
; %bb.405:
	s_mov_b32 s11, 0
	s_and_saveexec_b32 s10, s12
	s_delay_alu instid0(SALU_CYCLE_1)
	s_xor_b32 s10, exec_lo, s10
	s_cbranch_execz .LBB111_460
; %bb.406:
	s_mov_b32 s12, 0
	s_and_saveexec_b32 s11, s7
	s_delay_alu instid0(SALU_CYCLE_1)
	s_xor_b32 s11, exec_lo, s11
	s_cbranch_execz .LBB111_458
; %bb.407:
	s_and_saveexec_b32 s7, s6
	s_delay_alu instid0(SALU_CYCLE_1)
	s_xor_b32 s6, exec_lo, s7
; %bb.408:
	v_and_b32_e32 v2, 0x8000, v1
	v_mov_b32_e32 v3, 0xffff
	s_delay_alu instid0(VALU_DEP_2) | instskip(NEXT) | instid1(VALU_DEP_2)
	v_cmp_eq_u32_e32 vcc_lo, 0, v2
	v_cndmask_b32_e32 v2, 0x8000, v3, vcc_lo
	s_delay_alu instid0(VALU_DEP_1)
	v_xor_b32_e32 v3, v2, v1
; %bb.409:
	s_or_b32 exec_lo, exec_lo, s6
	s_and_saveexec_b32 s6, s5
	s_cbranch_execz .LBB111_411
; %bb.410:
	v_mov_b32_e32 v1, 0
	ds_store_b32 v1, v1 offset:4108
.LBB111_411:
	s_or_b32 exec_lo, exec_lo, s6
	v_mov_b32_e32 v9, 0
	s_waitcnt lgkmcnt(0)
	s_barrier
	buffer_gl0_inv
	s_and_saveexec_b32 s5, s4
	s_cbranch_execz .LBB111_413
; %bb.412:
	global_load_u16 v9, v[5:6], off
.LBB111_413:
	s_or_b32 exec_lo, exec_lo, s5
	s_mul_i32 s6, s47, s45
	s_add_i32 s5, s24, 31
	s_sub_i32 s6, s43, s6
	s_and_not1_b32 s5, s5, 31
	s_add_i32 s7, s47, 1
	s_sub_i32 s12, s6, s45
	s_cmp_ge_u32 s6, s45
	v_mov_b32_e32 v8, 0x8000
	s_cselect_b32 s7, s7, s47
	s_cselect_b32 s6, s12, s6
	s_add_i32 s12, s7, 1
	s_cmp_ge_u32 s6, s45
	v_cmp_lt_i16_e32 vcc_lo, -1, v3
	s_cselect_b32 s6, s12, s7
	s_mul_i32 s12, s46, s44
	s_mul_i32 s7, s6, s45
	s_mul_i32 s6, s6, s38
	s_sub_i32 s7, s43, s7
	v_and_b32_e32 v1, 0xffff, v3
	s_mul_i32 s7, s7, s39
	v_dual_cndmask_b32 v2, 0xffff, v8 :: v_dual_lshlrev_b32 v3, 16, v3
	s_add_i32 s6, s6, s7
	s_sub_i32 s7, s43, s12
	s_add_i32 s12, s46, 1
	s_sub_i32 s13, s7, s44
	s_cmp_ge_u32 s7, s44
	v_xor_b32_e32 v1, v2, v1
	s_cselect_b32 s12, s12, s46
	s_cselect_b32 s7, s13, s7
	s_add_i32 s13, s12, 1
	s_cmp_ge_u32 s7, s44
	v_cmp_o_f32_e32 vcc_lo, v3, v3
	s_cselect_b32 s14, s13, s12
	s_clause 0x1
	s_load_b32 s12, s[0:1], 0x1c8
	s_load_b32 s13, s[0:1], 0x2a8
	s_mul_i32 s1, s14, s44
	s_mov_b32 s7, 0
	s_sub_i32 s1, s43, s1
	s_mul_i32 s16, s14, s36
	s_mul_i32 s1, s1, s37
	s_lshl_b64 s[14:15], s[6:7], 1
	s_add_i32 s16, s16, s1
	s_mov_b32 s17, s7
	s_add_u32 s6, s30, s14
	v_cndmask_b32_e32 v7, 0xffff, v1, vcc_lo
	s_addc_u32 s14, s31, s15
	s_lshl_b64 s[16:17], s[16:17], 3
	v_cmp_gt_u32_e32 vcc_lo, s5, v0
	s_add_u32 s15, s34, s16
	s_mov_b32 s0, -1
	s_addc_u32 s16, s35, s17
	s_mov_b32 s1, 0
	s_and_saveexec_b32 s17, vcc_lo
	s_cbranch_execz .LBB111_431
; %bb.414:
	v_dual_mov_b32 v2, 0 :: v_dual_add_nc_u32 v1, s40, v0
	v_mov_b32_e32 v3, v0
	s_mov_b32 s18, 0
                                        ; implicit-def: $sgpr19
                                        ; implicit-def: $vgpr11
	s_delay_alu instid0(VALU_DEP_2)
	v_mul_lo_u32 v1, s28, v1
	s_branch .LBB111_416
.LBB111_415:                            ;   in Loop: Header=BB111_416 Depth=1
	s_or_b32 exec_lo, exec_lo, s20
	s_xor_b32 s0, s22, -1
	s_and_b32 s1, exec_lo, s1
	v_mov_b32_e32 v3, v10
	s_or_b32 s18, s1, s18
	s_waitcnt vmcnt(0)
	v_mov_b32_e32 v9, v12
	s_and_not1_b32 s1, s19, exec_lo
	s_and_b32 s0, s0, exec_lo
	s_delay_alu instid0(SALU_CYCLE_1)
	s_or_b32 s19, s1, s0
	s_and_not1_b32 exec_lo, exec_lo, s18
	s_cbranch_execz .LBB111_430
.LBB111_416:                            ; =>This Inner Loop Header: Depth=1
	s_delay_alu instid0(VALU_DEP_2) | instskip(SKIP_2) | instid1(VALU_DEP_2)
	v_add_nc_u32_e32 v10, s40, v3
	v_mov_b32_e32 v12, 0
	s_mov_b32 s1, exec_lo
	v_cmpx_gt_u32_e64 s24, v10
	s_cbranch_execz .LBB111_418
; %bb.417:                              ;   in Loop: Header=BB111_416 Depth=1
	s_delay_alu instid0(VALU_DEP_4) | instskip(NEXT) | instid1(VALU_DEP_1)
	v_lshlrev_b64 v[12:13], 1, v[1:2]
	v_add_co_u32 v12, s0, s29, v12
	s_delay_alu instid0(VALU_DEP_1)
	v_add_co_ci_u32_e64 v13, s0, s33, v13, s0
	global_load_u16 v12, v[12:13], off
.LBB111_418:                            ;   in Loop: Header=BB111_416 Depth=1
	s_or_b32 exec_lo, exec_lo, s1
	s_mov_b32 s20, 0
	s_mov_b32 s1, exec_lo
	v_cmpx_gt_u32_e64 s24, v3
	s_cbranch_execz .LBB111_420
; %bb.419:                              ;   in Loop: Header=BB111_416 Depth=1
	s_waitcnt vmcnt(0)
	v_cmp_lt_i16_e64 s0, -1, v9
	v_and_b32_e32 v4, 0xffff, v9
	v_lshlrev_b32_e32 v15, 16, v9
	s_delay_alu instid0(VALU_DEP_3) | instskip(NEXT) | instid1(VALU_DEP_2)
	v_cndmask_b32_e64 v13, 0xffff, v8, s0
	v_cmp_o_f32_e64 s0, v15, v15
	s_delay_alu instid0(VALU_DEP_2) | instskip(NEXT) | instid1(VALU_DEP_1)
	v_xor_b32_e32 v4, v13, v4
	v_cndmask_b32_e64 v4, 0xffff, v4, s0
	s_delay_alu instid0(VALU_DEP_1) | instskip(NEXT) | instid1(VALU_DEP_1)
	v_cmp_gt_u32_e64 s0, v4, v7
	v_cndmask_b32_e64 v13, 0, 1, s0
	v_cmp_lt_u32_e64 s0, v4, v7
	s_delay_alu instid0(VALU_DEP_1) | instskip(NEXT) | instid1(VALU_DEP_1)
	v_cndmask_b32_e64 v4, 0, 1, s0
	v_cndmask_b32_e64 v4, v4, v13, s3
	s_delay_alu instid0(VALU_DEP_1) | instskip(NEXT) | instid1(VALU_DEP_1)
	v_and_b32_e32 v4, 1, v4
	v_cmp_eq_u32_e64 s0, 1, v4
	s_delay_alu instid0(VALU_DEP_1)
	s_and_b32 s20, s0, exec_lo
.LBB111_420:                            ;   in Loop: Header=BB111_416 Depth=1
	s_or_b32 exec_lo, exec_lo, s1
	v_cndmask_b32_e64 v4, 0, 1, s20
	s_delay_alu instid0(VALU_DEP_1) | instskip(NEXT) | instid1(VALU_DEP_1)
	v_cmp_ne_u32_e64 s0, 0, v4
	s_cmp_lg_u32 s0, 0
	s_cselect_b32 s1, -1, 0
	s_delay_alu instid0(SALU_CYCLE_1) | instskip(NEXT) | instid1(SALU_CYCLE_1)
	s_and_b32 s1, s2, s1
	s_and_saveexec_b32 s21, s1
	s_cbranch_execz .LBB111_424
; %bb.421:                              ;   in Loop: Header=BB111_416 Depth=1
	s_mov_b32 s26, exec_lo
	s_bcnt1_i32_b32 s22, s0
	v_mbcnt_lo_u32_b32 v4, s26, 0
	s_mov_b32 s23, exec_lo
                                        ; implicit-def: $vgpr11
	s_delay_alu instid0(VALU_DEP_1)
	v_cmpx_eq_u32_e32 0, v4
	s_cbranch_execz .LBB111_423
; %bb.422:                              ;   in Loop: Header=BB111_416 Depth=1
	s_bcnt1_i32_b32 s1, s26
	s_delay_alu instid0(SALU_CYCLE_1)
	s_mul_i32 s1, s22, s1
	s_waitcnt lgkmcnt(0)
	v_mov_b32_e32 v11, s1
	ds_add_rtn_u32 v11, v2, v11 offset:4108
.LBB111_423:                            ;   in Loop: Header=BB111_416 Depth=1
	s_or_b32 exec_lo, exec_lo, s23
	s_waitcnt lgkmcnt(0)
	v_readfirstlane_b32 s1, v11
	s_delay_alu instid0(VALU_DEP_1)
	v_mad_u32_u24 v11, s22, v4, s1
.LBB111_424:                            ;   in Loop: Header=BB111_416 Depth=1
	s_or_b32 exec_lo, exec_lo, s21
	s_waitcnt lgkmcnt(0)
	ds_bpermute_b32 v11, v2, v11
	s_mov_b32 s1, -1
	s_mov_b32 s23, -1
                                        ; implicit-def: $sgpr22
	s_and_saveexec_b32 s21, s20
	s_cbranch_execz .LBB111_428
; %bb.425:                              ;   in Loop: Header=BB111_416 Depth=1
	v_and_b32_e32 v4, s0, v14
	s_mov_b32 s20, 0
	s_mov_b32 s22, exec_lo
	s_waitcnt lgkmcnt(0)
	s_delay_alu instid0(VALU_DEP_1) | instskip(NEXT) | instid1(VALU_DEP_1)
	v_bcnt_u32_b32 v4, v4, v11
	v_cmpx_gt_u32_e64 s25, v4
	s_cbranch_execz .LBB111_427
; %bb.426:                              ;   in Loop: Header=BB111_416 Depth=1
	v_mul_lo_u32 v15, v4, s12
	v_mov_b32_e32 v16, v2
	v_mul_lo_u32 v17, v4, s13
	v_mov_b32_e32 v18, v2
	v_mov_b32_e32 v4, v2
	s_mov_b32 s20, exec_lo
	v_lshlrev_b64 v[15:16], 1, v[15:16]
	s_delay_alu instid0(VALU_DEP_3) | instskip(NEXT) | instid1(VALU_DEP_2)
	v_lshlrev_b64 v[17:18], 3, v[17:18]
	v_add_co_u32 v15, s0, s6, v15
	s_delay_alu instid0(VALU_DEP_1) | instskip(NEXT) | instid1(VALU_DEP_3)
	v_add_co_ci_u32_e64 v16, s0, s14, v16, s0
	v_add_co_u32 v17, s0, s15, v17
	s_delay_alu instid0(VALU_DEP_1)
	v_add_co_ci_u32_e64 v18, s0, s16, v18, s0
	s_waitcnt vmcnt(0)
	global_store_b16 v[15:16], v9, off
	global_store_b64 v[17:18], v[3:4], off
.LBB111_427:                            ;   in Loop: Header=BB111_416 Depth=1
	s_or_b32 exec_lo, exec_lo, s22
	s_mov_b32 s22, -1
	s_or_not1_b32 s23, s20, exec_lo
.LBB111_428:                            ;   in Loop: Header=BB111_416 Depth=1
	s_or_b32 exec_lo, exec_lo, s21
	s_and_saveexec_b32 s20, s23
	s_cbranch_execz .LBB111_415
; %bb.429:                              ;   in Loop: Header=BB111_416 Depth=1
	v_cmp_le_u32_e64 s0, s5, v10
	v_add_nc_u32_e32 v1, s42, v1
	s_and_not1_b32 s22, s22, exec_lo
	s_delay_alu instid0(VALU_DEP_2)
	s_or_not1_b32 s1, s0, exec_lo
	s_branch .LBB111_415
.LBB111_430:
	s_or_b32 exec_lo, exec_lo, s18
	s_delay_alu instid0(SALU_CYCLE_1)
	s_mov_b32 s1, exec_lo
	s_or_not1_b32 s0, s19, exec_lo
.LBB111_431:
	s_or_b32 exec_lo, exec_lo, s17
	s_and_saveexec_b32 s3, s0
	s_cbranch_execz .LBB111_456
; %bb.432:
	v_mov_b32_e32 v8, 0
	s_waitcnt vmcnt(0) lgkmcnt(0)
	s_waitcnt_vscnt null, 0x0
	s_barrier
	buffer_gl0_inv
	s_and_saveexec_b32 s0, s4
	s_cbranch_execz .LBB111_434
; %bb.433:
	global_load_u16 v8, v[5:6], off
.LBB111_434:
	s_or_b32 exec_lo, exec_lo, s0
	s_mov_b32 s0, 0
	s_and_saveexec_b32 s4, vcc_lo
	s_cbranch_execz .LBB111_455
; %bb.435:
	v_dual_mov_b32 v4, 0x8000 :: v_dual_add_nc_u32 v1, s40, v0
	v_mov_b32_e32 v3, 0
	s_mov_b32 s17, 0
                                        ; implicit-def: $sgpr7
                                        ; implicit-def: $vgpr5
	s_delay_alu instid0(VALU_DEP_2)
	v_mul_lo_u32 v2, s28, v1
	s_branch .LBB111_438
.LBB111_436:                            ;   in Loop: Header=BB111_438 Depth=1
	s_or_b32 exec_lo, exec_lo, s19
	s_waitcnt vmcnt(0)
	v_mov_b32_e32 v8, v9
	v_mov_b32_e32 v0, v6
	s_or_not1_b32 s20, s20, exec_lo
	s_or_not1_b32 s18, s18, exec_lo
.LBB111_437:                            ;   in Loop: Header=BB111_438 Depth=1
	s_or_b32 exec_lo, exec_lo, s0
	s_xor_b32 s0, s20, -1
	s_and_b32 s18, exec_lo, s18
	s_delay_alu instid0(SALU_CYCLE_1) | instskip(SKIP_2) | instid1(SALU_CYCLE_1)
	s_or_b32 s17, s18, s17
	s_and_not1_b32 s7, s7, exec_lo
	s_and_b32 s0, s0, exec_lo
	s_or_b32 s7, s7, s0
	s_and_not1_b32 exec_lo, exec_lo, s17
	s_cbranch_execz .LBB111_453
.LBB111_438:                            ; =>This Inner Loop Header: Depth=1
	s_waitcnt vmcnt(0)
	v_dual_mov_b32 v9, 0 :: v_dual_add_nc_u32 v6, s40, v0
	s_mov_b32 s0, exec_lo
	s_delay_alu instid0(VALU_DEP_1)
	v_cmpx_gt_u32_e64 s24, v6
	s_cbranch_execz .LBB111_440
; %bb.439:                              ;   in Loop: Header=BB111_438 Depth=1
	s_delay_alu instid0(VALU_DEP_3) | instskip(NEXT) | instid1(VALU_DEP_1)
	v_lshlrev_b64 v[9:10], 1, v[2:3]
	v_add_co_u32 v9, vcc_lo, s29, v9
	s_delay_alu instid0(VALU_DEP_2)
	v_add_co_ci_u32_e32 v10, vcc_lo, s33, v10, vcc_lo
	global_load_u16 v9, v[9:10], off
.LBB111_440:                            ;   in Loop: Header=BB111_438 Depth=1
	s_or_b32 exec_lo, exec_lo, s0
	s_mov_b32 s19, 0
	s_mov_b32 s0, exec_lo
	v_cmpx_gt_u32_e64 s24, v0
	s_cbranch_execz .LBB111_442
; %bb.441:                              ;   in Loop: Header=BB111_438 Depth=1
	s_waitcnt vmcnt(0)
	v_cmp_lt_i16_e32 vcc_lo, -1, v8
	v_and_b32_e32 v1, 0xffff, v8
	v_lshlrev_b32_e32 v11, 16, v8
	v_cndmask_b32_e32 v10, 0xffff, v4, vcc_lo
	s_delay_alu instid0(VALU_DEP_2) | instskip(NEXT) | instid1(VALU_DEP_2)
	v_cmp_o_f32_e32 vcc_lo, v11, v11
	v_xor_b32_e32 v1, v10, v1
	s_delay_alu instid0(VALU_DEP_1) | instskip(NEXT) | instid1(VALU_DEP_1)
	v_cndmask_b32_e32 v1, 0xffff, v1, vcc_lo
	v_cmp_eq_u32_e32 vcc_lo, v1, v7
	s_and_b32 s19, vcc_lo, exec_lo
.LBB111_442:                            ;   in Loop: Header=BB111_438 Depth=1
	s_or_b32 exec_lo, exec_lo, s0
	v_cndmask_b32_e64 v1, 0, 1, s19
	s_delay_alu instid0(VALU_DEP_1) | instskip(SKIP_2) | instid1(SALU_CYCLE_1)
	v_cmp_ne_u32_e32 vcc_lo, 0, v1
	s_cmp_lg_u32 vcc_lo, 0
	s_cselect_b32 s0, -1, 0
	s_and_b32 s0, s2, s0
	s_delay_alu instid0(SALU_CYCLE_1)
	s_and_saveexec_b32 s18, s0
	s_cbranch_execz .LBB111_446
; %bb.443:                              ;   in Loop: Header=BB111_438 Depth=1
	s_mov_b32 s22, exec_lo
	s_bcnt1_i32_b32 s20, vcc_lo
	v_mbcnt_lo_u32_b32 v1, s22, 0
	s_mov_b32 s21, exec_lo
                                        ; implicit-def: $vgpr5
	s_delay_alu instid0(VALU_DEP_1)
	v_cmpx_eq_u32_e32 0, v1
	s_cbranch_execz .LBB111_445
; %bb.444:                              ;   in Loop: Header=BB111_438 Depth=1
	s_bcnt1_i32_b32 s0, s22
	s_delay_alu instid0(SALU_CYCLE_1) | instskip(NEXT) | instid1(SALU_CYCLE_1)
	s_mul_i32 s0, s20, s0
	v_mov_b32_e32 v5, s0
	ds_add_rtn_u32 v5, v3, v5 offset:4108
.LBB111_445:                            ;   in Loop: Header=BB111_438 Depth=1
	s_or_b32 exec_lo, exec_lo, s21
	s_waitcnt lgkmcnt(0)
	v_readfirstlane_b32 s0, v5
	s_delay_alu instid0(VALU_DEP_1)
	v_mad_u32_u24 v5, s20, v1, s0
.LBB111_446:                            ;   in Loop: Header=BB111_438 Depth=1
	s_or_b32 exec_lo, exec_lo, s18
	ds_bpermute_b32 v5, v3, v5
	s_cmp_eq_u32 vcc_lo, 0
	s_mov_b32 s18, -1
	s_cselect_b32 s20, -1, 0
	s_waitcnt lgkmcnt(0)
	v_cmp_gt_u32_e64 s0, s25, v5
	s_delay_alu instid0(VALU_DEP_1)
	s_or_b32 s21, s20, s0
	s_mov_b32 s20, -1
	s_and_saveexec_b32 s0, s21
	s_cbranch_execz .LBB111_437
; %bb.447:                              ;   in Loop: Header=BB111_438 Depth=1
	v_and_b32_e32 v1, vcc_lo, v14
	v_sub_nc_u32_e32 v10, s25, v5
	s_mov_b32 s21, -1
	s_delay_alu instid0(VALU_DEP_2) | instskip(NEXT) | instid1(VALU_DEP_1)
	v_bcnt_u32_b32 v1, v1, 0
	v_bcnt_u32_b32 v1, 0, v1
	s_delay_alu instid0(VALU_DEP_1) | instskip(SKIP_1) | instid1(SALU_CYCLE_1)
	v_cmp_gt_u32_e32 vcc_lo, v10, v1
	s_and_b32 s22, s19, vcc_lo
	s_and_saveexec_b32 s19, s22
	s_cbranch_execz .LBB111_451
; %bb.448:                              ;   in Loop: Header=BB111_438 Depth=1
	v_add_nc_u32_e32 v1, v5, v1
	s_mov_b32 s21, 0
	s_mov_b32 s20, exec_lo
	s_delay_alu instid0(VALU_DEP_1)
	v_cmpx_gt_u32_e64 s25, v1
	s_cbranch_execz .LBB111_450
; %bb.449:                              ;   in Loop: Header=BB111_438 Depth=1
	v_mul_lo_u32 v10, v1, s12
	v_mov_b32_e32 v11, v3
	v_mul_lo_u32 v12, v1, s13
	v_mov_b32_e32 v13, v3
	v_mov_b32_e32 v1, v3
	s_mov_b32 s21, exec_lo
	v_lshlrev_b64 v[10:11], 1, v[10:11]
	s_delay_alu instid0(VALU_DEP_3) | instskip(NEXT) | instid1(VALU_DEP_2)
	v_lshlrev_b64 v[12:13], 3, v[12:13]
	v_add_co_u32 v10, vcc_lo, s6, v10
	s_delay_alu instid0(VALU_DEP_3) | instskip(NEXT) | instid1(VALU_DEP_3)
	v_add_co_ci_u32_e32 v11, vcc_lo, s14, v11, vcc_lo
	v_add_co_u32 v12, vcc_lo, s15, v12
	s_delay_alu instid0(VALU_DEP_4)
	v_add_co_ci_u32_e32 v13, vcc_lo, s16, v13, vcc_lo
	s_waitcnt vmcnt(0)
	global_store_b16 v[10:11], v8, off
	global_store_b64 v[12:13], v[0:1], off
.LBB111_450:                            ;   in Loop: Header=BB111_438 Depth=1
	s_or_b32 exec_lo, exec_lo, s20
	s_delay_alu instid0(SALU_CYCLE_1)
	s_xor_b32 s20, exec_lo, -1
	s_or_not1_b32 s21, s21, exec_lo
.LBB111_451:                            ;   in Loop: Header=BB111_438 Depth=1
	s_or_b32 exec_lo, exec_lo, s19
	s_and_saveexec_b32 s19, s21
	s_cbranch_execz .LBB111_436
; %bb.452:                              ;   in Loop: Header=BB111_438 Depth=1
	v_cmp_le_u32_e32 vcc_lo, s5, v6
	v_add_nc_u32_e32 v2, s42, v2
	s_or_b32 s20, s20, exec_lo
	s_or_not1_b32 s18, vcc_lo, exec_lo
	s_branch .LBB111_436
.LBB111_453:
	s_or_b32 exec_lo, exec_lo, s17
	s_mov_b32 s0, 0
	s_and_saveexec_b32 s2, s7
	s_delay_alu instid0(SALU_CYCLE_1)
	s_xor_b32 s2, exec_lo, s2
	s_cbranch_execnz .LBB111_488
.LBB111_454:
	s_or_b32 exec_lo, exec_lo, s2
	s_delay_alu instid0(SALU_CYCLE_1)
	s_and_b32 s0, s0, exec_lo
.LBB111_455:
	s_or_b32 exec_lo, exec_lo, s4
	s_delay_alu instid0(SALU_CYCLE_1)
	s_and_b32 s7, s0, exec_lo
	s_and_not1_b32 s1, s1, exec_lo
.LBB111_456:
	s_or_b32 exec_lo, exec_lo, s3
	s_and_saveexec_b32 s0, s1
	s_delay_alu instid0(SALU_CYCLE_1)
	s_xor_b32 s0, exec_lo, s0
	s_cbranch_execnz .LBB111_482
.LBB111_457:
	s_or_b32 exec_lo, exec_lo, s0
	s_waitcnt lgkmcnt(0)
	s_and_b32 s12, s7, exec_lo
.LBB111_458:
	s_and_not1_saveexec_b32 s0, s11
	s_cbranch_execnz .LBB111_478
.LBB111_459:
	s_or_b32 exec_lo, exec_lo, s0
	s_delay_alu instid0(SALU_CYCLE_1)
	s_and_b32 s11, s12, exec_lo
.LBB111_460:
	s_and_not1_saveexec_b32 s0, s10
	s_cbranch_execnz .LBB111_474
.LBB111_461:
	s_or_b32 exec_lo, exec_lo, s0
	s_delay_alu instid0(SALU_CYCLE_1)
	s_and_b32 s10, s11, exec_lo
.LBB111_462:
	s_and_not1_saveexec_b32 s0, s9
	s_cbranch_execnz .LBB111_470
.LBB111_463:
	s_or_b32 exec_lo, exec_lo, s0
	s_delay_alu instid0(SALU_CYCLE_1)
	s_and_b32 s9, s10, exec_lo
.LBB111_464:
	s_and_not1_saveexec_b32 s0, s8
	s_cbranch_execnz .LBB111_468
; %bb.465:
	s_or_b32 exec_lo, exec_lo, s0
	s_and_saveexec_b32 s0, s9
.LBB111_466:
	; divergent unreachable
.LBB111_467:
	s_nop 0
	s_sendmsg sendmsg(MSG_DEALLOC_VGPRS)
	s_endpgm
.LBB111_468:
	s_cbranch_execnz .LBB111_472
; %bb.469:
	s_or_b32 s9, s9, exec_lo
	s_or_b32 exec_lo, exec_lo, s0
	s_and_saveexec_b32 s0, s9
	s_cbranch_execnz .LBB111_466
	s_branch .LBB111_467
.LBB111_470:
	s_cbranch_execnz .LBB111_476
; %bb.471:
	s_or_b32 s10, s10, exec_lo
	s_branch .LBB111_463
.LBB111_472:
	s_trap 2
	s_sendmsg_rtn_b32 s0, sendmsg(MSG_RTN_GET_DOORBELL)
	s_mov_b32 ttmp2, m0
	s_waitcnt lgkmcnt(0)
	s_and_b32 s0, s0, 0x3ff
	s_delay_alu instid0(SALU_CYCLE_1) | instskip(NEXT) | instid1(SALU_CYCLE_1)
	s_bitset1_b32 s0, 10
	s_mov_b32 m0, s0
	s_sendmsg sendmsg(MSG_INTERRUPT)
	s_mov_b32 m0, ttmp2
.LBB111_473:                            ; =>This Inner Loop Header: Depth=1
	s_sethalt 5
	s_branch .LBB111_473
.LBB111_474:
	s_cbranch_execnz .LBB111_480
; %bb.475:
	s_or_b32 s11, s11, exec_lo
	s_branch .LBB111_461
.LBB111_476:
	s_trap 2
	s_sendmsg_rtn_b32 s0, sendmsg(MSG_RTN_GET_DOORBELL)
	s_mov_b32 ttmp2, m0
	s_waitcnt lgkmcnt(0)
	s_and_b32 s0, s0, 0x3ff
	s_delay_alu instid0(SALU_CYCLE_1) | instskip(NEXT) | instid1(SALU_CYCLE_1)
	s_bitset1_b32 s0, 10
	s_mov_b32 m0, s0
	s_sendmsg sendmsg(MSG_INTERRUPT)
	s_mov_b32 m0, ttmp2
.LBB111_477:                            ; =>This Inner Loop Header: Depth=1
	s_sethalt 5
	s_branch .LBB111_477
.LBB111_478:
	s_cbranch_execnz .LBB111_484
; %bb.479:
	s_or_b32 s12, s12, exec_lo
	s_branch .LBB111_459
.LBB111_480:
	s_trap 2
	s_sendmsg_rtn_b32 s0, sendmsg(MSG_RTN_GET_DOORBELL)
	s_mov_b32 ttmp2, m0
	s_waitcnt lgkmcnt(0)
	s_and_b32 s0, s0, 0x3ff
	s_delay_alu instid0(SALU_CYCLE_1) | instskip(NEXT) | instid1(SALU_CYCLE_1)
	s_bitset1_b32 s0, 10
	s_mov_b32 m0, s0
	s_sendmsg sendmsg(MSG_INTERRUPT)
	s_mov_b32 m0, ttmp2
.LBB111_481:                            ; =>This Inner Loop Header: Depth=1
	s_sethalt 5
	s_branch .LBB111_481
.LBB111_482:
	s_cbranch_execnz .LBB111_486
; %bb.483:
	s_or_b32 s7, s7, exec_lo
	s_branch .LBB111_457
.LBB111_484:
	s_trap 2
	s_sendmsg_rtn_b32 s0, sendmsg(MSG_RTN_GET_DOORBELL)
	s_mov_b32 ttmp2, m0
	s_waitcnt lgkmcnt(0)
	s_and_b32 s0, s0, 0x3ff
	s_delay_alu instid0(SALU_CYCLE_1) | instskip(NEXT) | instid1(SALU_CYCLE_1)
	s_bitset1_b32 s0, 10
	s_mov_b32 m0, s0
	s_sendmsg sendmsg(MSG_INTERRUPT)
	s_mov_b32 m0, ttmp2
.LBB111_485:                            ; =>This Inner Loop Header: Depth=1
	s_sethalt 5
	s_branch .LBB111_485
.LBB111_486:
	s_trap 2
	s_sendmsg_rtn_b32 s0, sendmsg(MSG_RTN_GET_DOORBELL)
	s_mov_b32 ttmp2, m0
	s_waitcnt lgkmcnt(0)
	s_and_b32 s0, s0, 0x3ff
	s_delay_alu instid0(SALU_CYCLE_1) | instskip(NEXT) | instid1(SALU_CYCLE_1)
	s_bitset1_b32 s0, 10
	s_mov_b32 m0, s0
	s_sendmsg sendmsg(MSG_INTERRUPT)
	s_mov_b32 m0, ttmp2
.LBB111_487:                            ; =>This Inner Loop Header: Depth=1
	s_sethalt 5
	s_branch .LBB111_487
.LBB111_488:
	s_cbranch_execnz .LBB111_490
; %bb.489:
	s_mov_b32 s0, exec_lo
	s_branch .LBB111_454
.LBB111_490:
	s_trap 2
	s_sendmsg_rtn_b32 s0, sendmsg(MSG_RTN_GET_DOORBELL)
	s_mov_b32 ttmp2, m0
	s_waitcnt lgkmcnt(0)
	s_and_b32 s0, s0, 0x3ff
	s_delay_alu instid0(SALU_CYCLE_1) | instskip(NEXT) | instid1(SALU_CYCLE_1)
	s_bitset1_b32 s0, 10
	s_mov_b32 m0, s0
	s_sendmsg sendmsg(MSG_INTERRUPT)
	s_mov_b32 m0, ttmp2
.LBB111_491:                            ; =>This Inner Loop Header: Depth=1
	s_sethalt 5
	s_branch .LBB111_491
	.section	.rodata,"a",@progbits
	.p2align	6, 0x0
	.amdhsa_kernel _ZN2at6native6sbtopk10gatherTopKIN3c108BFloat16EjLi2ELb0EEEvNS_4cuda6detail10TensorInfoIKT_T0_EESA_SA_bSA_SA_NS7_IS8_SA_EESA_NS7_IlSA_EESA_PS8_
		.amdhsa_group_segment_fixed_size 4112
		.amdhsa_private_segment_fixed_size 0
		.amdhsa_kernarg_size 952
		.amdhsa_user_sgpr_count 13
		.amdhsa_user_sgpr_dispatch_ptr 0
		.amdhsa_user_sgpr_queue_ptr 0
		.amdhsa_user_sgpr_kernarg_segment_ptr 1
		.amdhsa_user_sgpr_dispatch_id 0
		.amdhsa_user_sgpr_private_segment_size 0
		.amdhsa_wavefront_size32 1
		.amdhsa_uses_dynamic_stack 0
		.amdhsa_enable_private_segment 0
		.amdhsa_system_sgpr_workgroup_id_x 1
		.amdhsa_system_sgpr_workgroup_id_y 1
		.amdhsa_system_sgpr_workgroup_id_z 1
		.amdhsa_system_sgpr_workgroup_info 0
		.amdhsa_system_vgpr_workitem_id 0
		.amdhsa_next_free_vgpr 38
		.amdhsa_next_free_sgpr 97
		.amdhsa_reserve_vcc 1
		.amdhsa_float_round_mode_32 0
		.amdhsa_float_round_mode_16_64 0
		.amdhsa_float_denorm_mode_32 3
		.amdhsa_float_denorm_mode_16_64 3
		.amdhsa_dx10_clamp 1
		.amdhsa_ieee_mode 1
		.amdhsa_fp16_overflow 0
		.amdhsa_workgroup_processor_mode 1
		.amdhsa_memory_ordered 1
		.amdhsa_forward_progress 0
		.amdhsa_shared_vgpr_count 0
		.amdhsa_exception_fp_ieee_invalid_op 0
		.amdhsa_exception_fp_denorm_src 0
		.amdhsa_exception_fp_ieee_div_zero 0
		.amdhsa_exception_fp_ieee_overflow 0
		.amdhsa_exception_fp_ieee_underflow 0
		.amdhsa_exception_fp_ieee_inexact 0
		.amdhsa_exception_int_div_zero 0
	.end_amdhsa_kernel
	.section	.text._ZN2at6native6sbtopk10gatherTopKIN3c108BFloat16EjLi2ELb0EEEvNS_4cuda6detail10TensorInfoIKT_T0_EESA_SA_bSA_SA_NS7_IS8_SA_EESA_NS7_IlSA_EESA_PS8_,"axG",@progbits,_ZN2at6native6sbtopk10gatherTopKIN3c108BFloat16EjLi2ELb0EEEvNS_4cuda6detail10TensorInfoIKT_T0_EESA_SA_bSA_SA_NS7_IS8_SA_EESA_NS7_IlSA_EESA_PS8_,comdat
.Lfunc_end111:
	.size	_ZN2at6native6sbtopk10gatherTopKIN3c108BFloat16EjLi2ELb0EEEvNS_4cuda6detail10TensorInfoIKT_T0_EESA_SA_bSA_SA_NS7_IS8_SA_EESA_NS7_IlSA_EESA_PS8_, .Lfunc_end111-_ZN2at6native6sbtopk10gatherTopKIN3c108BFloat16EjLi2ELb0EEEvNS_4cuda6detail10TensorInfoIKT_T0_EESA_SA_bSA_SA_NS7_IS8_SA_EESA_NS7_IlSA_EESA_PS8_
                                        ; -- End function
	.section	.AMDGPU.csdata,"",@progbits
; Kernel info:
; codeLenInByte = 17176
; NumSgprs: 99
; NumVgprs: 38
; ScratchSize: 0
; MemoryBound: 0
; FloatMode: 240
; IeeeMode: 1
; LDSByteSize: 4112 bytes/workgroup (compile time only)
; SGPRBlocks: 12
; VGPRBlocks: 4
; NumSGPRsForWavesPerEU: 99
; NumVGPRsForWavesPerEU: 38
; Occupancy: 16
; WaveLimiterHint : 1
; COMPUTE_PGM_RSRC2:SCRATCH_EN: 0
; COMPUTE_PGM_RSRC2:USER_SGPR: 13
; COMPUTE_PGM_RSRC2:TRAP_HANDLER: 0
; COMPUTE_PGM_RSRC2:TGID_X_EN: 1
; COMPUTE_PGM_RSRC2:TGID_Y_EN: 1
; COMPUTE_PGM_RSRC2:TGID_Z_EN: 1
; COMPUTE_PGM_RSRC2:TIDIG_COMP_CNT: 0
	.section	.text._ZN2at6native6mbtopk23computeBlockDigitCountsIN3c108BFloat16EjjLi3EEEvNS_4cuda6detail10TensorInfoIKT_T0_EEjPjjSA_iijT1_PSD_Ps,"axG",@progbits,_ZN2at6native6mbtopk23computeBlockDigitCountsIN3c108BFloat16EjjLi3EEEvNS_4cuda6detail10TensorInfoIKT_T0_EEjPjjSA_iijT1_PSD_Ps,comdat
	.protected	_ZN2at6native6mbtopk23computeBlockDigitCountsIN3c108BFloat16EjjLi3EEEvNS_4cuda6detail10TensorInfoIKT_T0_EEjPjjSA_iijT1_PSD_Ps ; -- Begin function _ZN2at6native6mbtopk23computeBlockDigitCountsIN3c108BFloat16EjjLi3EEEvNS_4cuda6detail10TensorInfoIKT_T0_EEjPjjSA_iijT1_PSD_Ps
	.globl	_ZN2at6native6mbtopk23computeBlockDigitCountsIN3c108BFloat16EjjLi3EEEvNS_4cuda6detail10TensorInfoIKT_T0_EEjPjjSA_iijT1_PSD_Ps
	.p2align	8
	.type	_ZN2at6native6mbtopk23computeBlockDigitCountsIN3c108BFloat16EjjLi3EEEvNS_4cuda6detail10TensorInfoIKT_T0_EEjPjjSA_iijT1_PSD_Ps,@function
_ZN2at6native6mbtopk23computeBlockDigitCountsIN3c108BFloat16EjjLi3EEEvNS_4cuda6detail10TensorInfoIKT_T0_EEjPjjSA_iijT1_PSD_Ps: ; @_ZN2at6native6mbtopk23computeBlockDigitCountsIN3c108BFloat16EjjLi3EEEvNS_4cuda6detail10TensorInfoIKT_T0_EEjPjjSA_iijT1_PSD_Ps
; %bb.0:
	s_clause 0x2
	s_load_b64 s[2:3], s[0:1], 0xf8
	s_load_b128 s[8:11], s[0:1], 0xe8
	s_load_b64 s[4:5], s[0:1], 0x110
	s_waitcnt lgkmcnt(0)
	v_cvt_f32_u32_e32 v1, s2
	s_sub_i32 s7, 0, s2
	s_mul_i32 s5, s5, s15
	s_mov_b32 s15, 0
	s_add_i32 s5, s5, s14
	v_rcp_iflag_f32_e32 v1, v1
	s_mul_i32 s18, s5, s4
	s_delay_alu instid0(SALU_CYCLE_1) | instskip(SKIP_2) | instid1(VALU_DEP_1)
	s_add_i32 s18, s18, s13
	s_waitcnt_depctr 0xfff
	v_mul_f32_e32 v1, 0x4f7ffffe, v1
	v_cvt_u32_f32_e32 v1, v1
	s_delay_alu instid0(VALU_DEP_1) | instskip(NEXT) | instid1(VALU_DEP_1)
	v_readfirstlane_b32 s6, v1
	s_mul_i32 s7, s7, s6
	s_delay_alu instid0(SALU_CYCLE_1) | instskip(NEXT) | instid1(SALU_CYCLE_1)
	s_mul_hi_u32 s4, s6, s7
	s_add_i32 s6, s6, s4
	s_delay_alu instid0(SALU_CYCLE_1) | instskip(NEXT) | instid1(SALU_CYCLE_1)
	s_mul_hi_u32 s4, s18, s6
	s_mul_i32 s5, s4, s2
	s_add_i32 s6, s4, 1
	s_sub_i32 s5, s18, s5
	s_delay_alu instid0(SALU_CYCLE_1)
	s_sub_i32 s7, s5, s2
	s_cmp_ge_u32 s5, s2
	s_cselect_b32 s4, s6, s4
	s_cselect_b32 s5, s7, s5
	s_add_i32 s6, s4, 1
	s_cmp_ge_u32 s5, s2
	s_cselect_b32 s14, s6, s4
	s_delay_alu instid0(SALU_CYCLE_1)
	s_cmp_ge_u32 s14, s8
	s_cbranch_scc1 .LBB112_29
; %bb.1:
	s_clause 0x1
	s_load_b64 s[12:13], s[0:1], 0xc
	s_load_b128 s[4:7], s[0:1], 0x100
	s_lshl_b64 s[16:17], s[14:15], 2
	v_cmp_gt_u32_e32 vcc_lo, 0x100, v0
	v_lshlrev_b32_e32 v3, 2, v0
	s_waitcnt lgkmcnt(0)
	v_cvt_f32_u32_e32 v1, s13
	v_cvt_f32_u32_e32 v2, s12
	s_add_u32 s16, s4, s16
	s_addc_u32 s17, s5, s17
	s_sub_i32 s4, 0, s13
	v_rcp_iflag_f32_e32 v1, v1
	v_rcp_iflag_f32_e32 v2, v2
	s_waitcnt_depctr 0xfff
	v_mul_f32_e32 v1, 0x4f7ffffe, v1
	s_delay_alu instid0(VALU_DEP_1) | instskip(NEXT) | instid1(VALU_DEP_1)
	v_cvt_u32_f32_e32 v1, v1
	v_readfirstlane_b32 s8, v1
	v_mul_f32_e32 v1, 0x4f7ffffe, v2
	s_delay_alu instid0(VALU_DEP_2) | instskip(NEXT) | instid1(VALU_DEP_1)
	s_mul_i32 s4, s4, s8
	v_cvt_u32_f32_e32 v1, v1
	s_mul_hi_u32 s4, s8, s4
	s_delay_alu instid0(SALU_CYCLE_1) | instskip(NEXT) | instid1(VALU_DEP_1)
	s_add_i32 s8, s8, s4
	v_readfirstlane_b32 s19, v1
	s_mul_hi_u32 s4, s14, s8
	s_delay_alu instid0(SALU_CYCLE_1) | instskip(SKIP_2) | instid1(SALU_CYCLE_1)
	s_mul_i32 s5, s4, s13
	s_add_i32 s8, s4, 1
	s_sub_i32 s5, s14, s5
	s_sub_i32 s15, s5, s13
	s_cmp_ge_u32 s5, s13
	s_cselect_b32 s4, s8, s4
	s_cselect_b32 s5, s15, s5
	s_add_i32 s8, s4, 1
	s_cmp_ge_u32 s5, s13
	s_cselect_b32 s4, s8, s4
	s_and_saveexec_b32 s5, vcc_lo
	s_cbranch_execz .LBB112_3
; %bb.2:
	v_mov_b32_e32 v1, 0
	ds_store_b32 v3, v1
.LBB112_3:
	s_or_b32 exec_lo, exec_lo, s5
	s_load_b32 s8, s[0:1], 0xd8
	s_mul_i32 s5, s14, s2
	s_waitcnt lgkmcnt(0)
	s_sub_i32 s5, s18, s5
	s_barrier
	s_mul_i32 s15, s11, s5
	s_add_i32 s5, s5, 1
	s_lshl_b32 s15, s15, 8
	buffer_gl0_inv
	s_sub_i32 s20, s8, s15
	s_delay_alu instid0(SALU_CYCLE_1) | instskip(SKIP_4) | instid1(VALU_DEP_1)
	s_add_u32 s20, s20, 0xff
	s_addc_u32 s21, 0, 0
	s_cmp_lt_u32 s5, s2
	v_alignbit_b32 v1, s21, s20, 8
	s_mov_b32 s5, 0
	v_readfirstlane_b32 s20, v1
	s_delay_alu instid0(VALU_DEP_1) | instskip(NEXT) | instid1(SALU_CYCLE_1)
	s_cselect_b32 s11, s11, s20
	s_cmp_lt_i32 s11, 1
	s_cbranch_scc1 .LBB112_25
; %bb.4:
	s_sub_i32 s2, 0, s12
	s_clause 0x1
	s_load_b128 s[20:23], s[0:1], 0x6c
	s_load_b64 s[24:25], s[0:1], 0x0
	s_mul_i32 s2, s2, s19
	s_mul_i32 s13, s4, s13
	s_mul_hi_u32 s2, s19, s2
	s_sub_i32 s13, s14, s13
	s_add_i32 s19, s19, s2
	s_delay_alu instid0(SALU_CYCLE_1) | instskip(NEXT) | instid1(SALU_CYCLE_1)
	s_mul_hi_u32 s2, s4, s19
	s_mul_i32 s19, s2, s12
	s_delay_alu instid0(SALU_CYCLE_1)
	s_sub_i32 s14, s4, s19
	s_add_i32 s19, s2, 1
	s_waitcnt lgkmcnt(0)
	s_sub_i32 s23, s14, s12
	s_cmp_ge_u32 s14, s12
	s_cselect_b32 s0, s19, s2
	s_cselect_b32 s1, s23, s14
	s_add_i32 s2, s0, 1
	s_cmp_ge_u32 s1, s12
	s_load_b32 s1, s[16:17], 0x0
	s_cselect_b32 s0, s2, s0
	s_mul_i32 s13, s13, s22
	s_mul_i32 s2, s0, s12
	;; [unrolled: 1-line block ×3, first 2 shown]
	s_sub_i32 s2, s4, s2
	s_delay_alu instid0(SALU_CYCLE_1) | instskip(NEXT) | instid1(SALU_CYCLE_1)
	s_mul_i32 s2, s2, s21
	s_add_i32 s2, s2, s13
	s_delay_alu instid0(SALU_CYCLE_1) | instskip(NEXT) | instid1(SALU_CYCLE_1)
	s_add_i32 s4, s2, s0
	s_lshl_b64 s[12:13], s[4:5], 1
	s_delay_alu instid0(SALU_CYCLE_1)
	s_add_u32 s2, s24, s12
	s_addc_u32 s4, s25, s13
	s_and_b32 s10, s10, 0xff
	s_cmp_lt_u32 s11, 4
	s_cbranch_scc1 .LBB112_19
; %bb.5:
	v_dual_mov_b32 v10, 0x8000 :: v_dual_add_nc_u32 v1, s15, v0
	s_and_b32 s5, s11, 0x7ffffffc
	s_lshl_b32 s12, s9, 10
	s_mov_b32 s13, 0
	s_delay_alu instid0(VALU_DEP_1) | instskip(SKIP_2) | instid1(VALU_DEP_2)
	v_add_nc_u32_e32 v2, 0x200, v1
	s_mov_b32 s14, 0
	v_mov_b32_e32 v9, 1
	v_mul_lo_u32 v6, s9, v2
	v_mov_b32_e32 v2, 0
	v_add_nc_u32_e32 v4, 0x300, v1
	v_add_nc_u32_e32 v7, 0x100, v1
	v_mul_lo_u32 v8, s9, v1
	s_delay_alu instid0(VALU_DEP_3) | instskip(NEXT) | instid1(VALU_DEP_3)
	v_mul_lo_u32 v5, s9, v4
	v_mul_lo_u32 v7, s9, v7
	s_branch .LBB112_7
.LBB112_6:                              ;   in Loop: Header=BB112_7 Depth=1
	s_or_b32 exec_lo, exec_lo, s16
	v_add_nc_u32_e32 v4, 0x400, v4
	s_add_i32 s14, s14, 4
	s_add_i32 s13, s13, s12
	s_cmp_eq_u32 s5, s14
	s_cbranch_scc1 .LBB112_19
.LBB112_7:                              ; =>This Inner Loop Header: Depth=1
	v_add_nc_u32_e32 v1, 0xfffffd00, v4
	s_mov_b32 s16, exec_lo
	s_delay_alu instid0(VALU_DEP_1)
	v_cmpx_gt_u32_e64 s8, v1
	s_cbranch_execz .LBB112_10
; %bb.8:                                ;   in Loop: Header=BB112_7 Depth=1
	v_add_nc_u32_e32 v1, s13, v8
	s_delay_alu instid0(VALU_DEP_1) | instskip(NEXT) | instid1(VALU_DEP_1)
	v_lshlrev_b64 v[11:12], 1, v[1:2]
	v_add_co_u32 v11, s0, s2, v11
	s_delay_alu instid0(VALU_DEP_1)
	v_add_co_ci_u32_e64 v12, s0, s4, v12, s0
	global_load_u16 v1, v[11:12], off
	s_waitcnt vmcnt(0)
	v_cmp_lt_i16_e64 s0, -1, v1
	v_and_b32_e32 v11, 0xffff, v1
	v_lshlrev_b32_e32 v1, 16, v1
	s_delay_alu instid0(VALU_DEP_3) | instskip(NEXT) | instid1(VALU_DEP_2)
	v_cndmask_b32_e64 v12, 0xffff, v10, s0
	v_cmp_o_f32_e64 s0, v1, v1
	s_delay_alu instid0(VALU_DEP_2) | instskip(NEXT) | instid1(VALU_DEP_1)
	v_xor_b32_e32 v11, v12, v11
	v_cndmask_b32_e64 v1, 0xffff, v11, s0
	s_waitcnt lgkmcnt(0)
	s_delay_alu instid0(VALU_DEP_1) | instskip(NEXT) | instid1(VALU_DEP_1)
	v_xor_b32_e32 v11, s1, v1
	v_and_b32_e32 v11, s3, v11
	s_delay_alu instid0(VALU_DEP_1) | instskip(NEXT) | instid1(VALU_DEP_1)
	v_cmp_eq_u32_e64 s0, 0, v11
	s_and_b32 exec_lo, exec_lo, s0
	s_cbranch_execz .LBB112_10
; %bb.9:                                ;   in Loop: Header=BB112_7 Depth=1
	v_bfe_u32 v1, v1, s10, 8
	s_delay_alu instid0(VALU_DEP_1)
	v_lshlrev_b32_e32 v1, 2, v1
	ds_add_u32 v1, v9
.LBB112_10:                             ;   in Loop: Header=BB112_7 Depth=1
	s_or_b32 exec_lo, exec_lo, s16
	v_add_nc_u32_e32 v1, 0xfffffe00, v4
	s_mov_b32 s16, exec_lo
	s_delay_alu instid0(VALU_DEP_1)
	v_cmpx_gt_u32_e64 s8, v1
	s_cbranch_execz .LBB112_13
; %bb.11:                               ;   in Loop: Header=BB112_7 Depth=1
	v_add_nc_u32_e32 v1, s13, v7
	s_delay_alu instid0(VALU_DEP_1) | instskip(NEXT) | instid1(VALU_DEP_1)
	v_lshlrev_b64 v[11:12], 1, v[1:2]
	v_add_co_u32 v11, s0, s2, v11
	s_delay_alu instid0(VALU_DEP_1)
	v_add_co_ci_u32_e64 v12, s0, s4, v12, s0
	global_load_u16 v1, v[11:12], off
	s_waitcnt vmcnt(0)
	v_cmp_lt_i16_e64 s0, -1, v1
	v_and_b32_e32 v11, 0xffff, v1
	v_lshlrev_b32_e32 v1, 16, v1
	s_delay_alu instid0(VALU_DEP_3) | instskip(NEXT) | instid1(VALU_DEP_2)
	v_cndmask_b32_e64 v12, 0xffff, v10, s0
	v_cmp_o_f32_e64 s0, v1, v1
	s_delay_alu instid0(VALU_DEP_2) | instskip(NEXT) | instid1(VALU_DEP_1)
	v_xor_b32_e32 v11, v12, v11
	v_cndmask_b32_e64 v1, 0xffff, v11, s0
	s_waitcnt lgkmcnt(0)
	s_delay_alu instid0(VALU_DEP_1) | instskip(NEXT) | instid1(VALU_DEP_1)
	v_xor_b32_e32 v11, s1, v1
	v_and_b32_e32 v11, s3, v11
	s_delay_alu instid0(VALU_DEP_1) | instskip(NEXT) | instid1(VALU_DEP_1)
	v_cmp_eq_u32_e64 s0, 0, v11
	s_and_b32 exec_lo, exec_lo, s0
	s_cbranch_execz .LBB112_13
; %bb.12:                               ;   in Loop: Header=BB112_7 Depth=1
	v_bfe_u32 v1, v1, s10, 8
	s_delay_alu instid0(VALU_DEP_1)
	v_lshlrev_b32_e32 v1, 2, v1
	ds_add_u32 v1, v9
.LBB112_13:                             ;   in Loop: Header=BB112_7 Depth=1
	s_or_b32 exec_lo, exec_lo, s16
	v_add_nc_u32_e32 v1, 0xffffff00, v4
	s_mov_b32 s16, exec_lo
	s_delay_alu instid0(VALU_DEP_1)
	v_cmpx_gt_u32_e64 s8, v1
	s_cbranch_execz .LBB112_16
; %bb.14:                               ;   in Loop: Header=BB112_7 Depth=1
	v_add_nc_u32_e32 v1, s13, v6
	s_delay_alu instid0(VALU_DEP_1) | instskip(NEXT) | instid1(VALU_DEP_1)
	v_lshlrev_b64 v[11:12], 1, v[1:2]
	v_add_co_u32 v11, s0, s2, v11
	s_delay_alu instid0(VALU_DEP_1)
	v_add_co_ci_u32_e64 v12, s0, s4, v12, s0
	global_load_u16 v1, v[11:12], off
	s_waitcnt vmcnt(0)
	v_cmp_lt_i16_e64 s0, -1, v1
	v_and_b32_e32 v11, 0xffff, v1
	v_lshlrev_b32_e32 v1, 16, v1
	s_delay_alu instid0(VALU_DEP_3) | instskip(NEXT) | instid1(VALU_DEP_2)
	v_cndmask_b32_e64 v12, 0xffff, v10, s0
	v_cmp_o_f32_e64 s0, v1, v1
	s_delay_alu instid0(VALU_DEP_2) | instskip(NEXT) | instid1(VALU_DEP_1)
	v_xor_b32_e32 v11, v12, v11
	v_cndmask_b32_e64 v1, 0xffff, v11, s0
	s_waitcnt lgkmcnt(0)
	s_delay_alu instid0(VALU_DEP_1) | instskip(NEXT) | instid1(VALU_DEP_1)
	v_xor_b32_e32 v11, s1, v1
	v_and_b32_e32 v11, s3, v11
	s_delay_alu instid0(VALU_DEP_1) | instskip(NEXT) | instid1(VALU_DEP_1)
	v_cmp_eq_u32_e64 s0, 0, v11
	s_and_b32 exec_lo, exec_lo, s0
	s_cbranch_execz .LBB112_16
; %bb.15:                               ;   in Loop: Header=BB112_7 Depth=1
	v_bfe_u32 v1, v1, s10, 8
	s_delay_alu instid0(VALU_DEP_1)
	v_lshlrev_b32_e32 v1, 2, v1
	ds_add_u32 v1, v9
.LBB112_16:                             ;   in Loop: Header=BB112_7 Depth=1
	s_or_b32 exec_lo, exec_lo, s16
	s_delay_alu instid0(SALU_CYCLE_1)
	s_mov_b32 s16, exec_lo
	v_cmpx_gt_u32_e64 s8, v4
	s_cbranch_execz .LBB112_6
; %bb.17:                               ;   in Loop: Header=BB112_7 Depth=1
	v_add_nc_u32_e32 v1, s13, v5
	s_delay_alu instid0(VALU_DEP_1) | instskip(NEXT) | instid1(VALU_DEP_1)
	v_lshlrev_b64 v[11:12], 1, v[1:2]
	v_add_co_u32 v11, s0, s2, v11
	s_delay_alu instid0(VALU_DEP_1)
	v_add_co_ci_u32_e64 v12, s0, s4, v12, s0
	global_load_u16 v1, v[11:12], off
	s_waitcnt vmcnt(0)
	v_cmp_lt_i16_e64 s0, -1, v1
	v_and_b32_e32 v11, 0xffff, v1
	v_lshlrev_b32_e32 v1, 16, v1
	s_delay_alu instid0(VALU_DEP_3) | instskip(NEXT) | instid1(VALU_DEP_2)
	v_cndmask_b32_e64 v12, 0xffff, v10, s0
	v_cmp_o_f32_e64 s0, v1, v1
	s_delay_alu instid0(VALU_DEP_2) | instskip(NEXT) | instid1(VALU_DEP_1)
	v_xor_b32_e32 v11, v12, v11
	v_cndmask_b32_e64 v1, 0xffff, v11, s0
	s_waitcnt lgkmcnt(0)
	s_delay_alu instid0(VALU_DEP_1) | instskip(NEXT) | instid1(VALU_DEP_1)
	v_xor_b32_e32 v11, s1, v1
	v_and_b32_e32 v11, s3, v11
	s_delay_alu instid0(VALU_DEP_1) | instskip(NEXT) | instid1(VALU_DEP_1)
	v_cmp_eq_u32_e64 s0, 0, v11
	s_and_b32 exec_lo, exec_lo, s0
	s_cbranch_execz .LBB112_6
; %bb.18:                               ;   in Loop: Header=BB112_7 Depth=1
	v_bfe_u32 v1, v1, s10, 8
	s_delay_alu instid0(VALU_DEP_1)
	v_lshlrev_b32_e32 v1, 2, v1
	ds_add_u32 v1, v9
	s_branch .LBB112_6
.LBB112_19:
	s_and_b32 s11, s11, 3
	s_delay_alu instid0(SALU_CYCLE_1)
	s_cmp_eq_u32 s11, 0
	s_cbranch_scc1 .LBB112_25
; %bb.20:
	s_lshl_b32 s0, s5, 8
	v_dual_mov_b32 v2, 0 :: v_dual_mov_b32 v5, 1
	v_add3_u32 v4, s0, s15, v0
	v_mov_b32_e32 v6, 0x8000
	s_lshl_b32 s5, s9, 8
	s_delay_alu instid0(VALU_DEP_2)
	v_mul_lo_u32 v1, s9, v4
	s_set_inst_prefetch_distance 0x1
	s_branch .LBB112_22
	.p2align	6
.LBB112_21:                             ;   in Loop: Header=BB112_22 Depth=1
	s_or_b32 exec_lo, exec_lo, s9
	s_delay_alu instid0(VALU_DEP_2) | instskip(SKIP_2) | instid1(SALU_CYCLE_1)
	v_add_nc_u32_e32 v1, s5, v1
	v_add_nc_u32_e32 v4, 0x100, v4
	s_add_i32 s11, s11, -1
	s_cmp_lg_u32 s11, 0
	s_cbranch_scc0 .LBB112_25
.LBB112_22:                             ; =>This Inner Loop Header: Depth=1
	s_mov_b32 s9, exec_lo
	v_cmpx_gt_u32_e64 s8, v4
	s_cbranch_execz .LBB112_21
; %bb.23:                               ;   in Loop: Header=BB112_22 Depth=1
	s_delay_alu instid0(VALU_DEP_2) | instskip(NEXT) | instid1(VALU_DEP_1)
	v_lshlrev_b64 v[7:8], 1, v[1:2]
	v_add_co_u32 v7, s0, s2, v7
	s_delay_alu instid0(VALU_DEP_1)
	v_add_co_ci_u32_e64 v8, s0, s4, v8, s0
	global_load_u16 v7, v[7:8], off
	s_waitcnt vmcnt(0)
	v_cmp_lt_i16_e64 s0, -1, v7
	v_and_b32_e32 v8, 0xffff, v7
	v_lshlrev_b32_e32 v7, 16, v7
	s_delay_alu instid0(VALU_DEP_3) | instskip(NEXT) | instid1(VALU_DEP_2)
	v_cndmask_b32_e64 v9, 0xffff, v6, s0
	v_cmp_o_f32_e64 s0, v7, v7
	s_delay_alu instid0(VALU_DEP_2) | instskip(NEXT) | instid1(VALU_DEP_1)
	v_xor_b32_e32 v8, v9, v8
	v_cndmask_b32_e64 v7, 0xffff, v8, s0
	s_waitcnt lgkmcnt(0)
	s_delay_alu instid0(VALU_DEP_1) | instskip(NEXT) | instid1(VALU_DEP_1)
	v_xor_b32_e32 v8, s1, v7
	v_and_b32_e32 v8, s3, v8
	s_delay_alu instid0(VALU_DEP_1) | instskip(NEXT) | instid1(VALU_DEP_1)
	v_cmp_eq_u32_e64 s0, 0, v8
	s_and_b32 exec_lo, exec_lo, s0
	s_cbranch_execz .LBB112_21
; %bb.24:                               ;   in Loop: Header=BB112_22 Depth=1
	v_bfe_u32 v7, v7, s10, 8
	s_delay_alu instid0(VALU_DEP_1)
	v_lshlrev_b32_e32 v7, 2, v7
	ds_add_u32 v7, v5
	s_branch .LBB112_21
.LBB112_25:
	s_set_inst_prefetch_distance 0x2
	v_mov_b32_e32 v1, 0
	s_waitcnt lgkmcnt(0)
	s_barrier
	buffer_gl0_inv
	s_and_saveexec_b32 s0, vcc_lo
	s_cbranch_execz .LBB112_27
; %bb.26:
	ds_load_b32 v1, v3
.LBB112_27:
	s_or_b32 exec_lo, exec_lo, s0
	s_and_saveexec_b32 s0, vcc_lo
	s_cbranch_execz .LBB112_29
; %bb.28:
	v_lshl_or_b32 v2, s18, 8, v0
	v_mov_b32_e32 v3, 0
	s_delay_alu instid0(VALU_DEP_1) | instskip(NEXT) | instid1(VALU_DEP_1)
	v_lshlrev_b64 v[2:3], 1, v[2:3]
	v_add_co_u32 v2, vcc_lo, s6, v2
	s_delay_alu instid0(VALU_DEP_2)
	v_add_co_ci_u32_e32 v3, vcc_lo, s7, v3, vcc_lo
	s_waitcnt lgkmcnt(0)
	global_store_b16 v[2:3], v1, off
.LBB112_29:
	s_nop 0
	s_sendmsg sendmsg(MSG_DEALLOC_VGPRS)
	s_endpgm
	.section	.rodata,"a",@progbits
	.p2align	6, 0x0
	.amdhsa_kernel _ZN2at6native6mbtopk23computeBlockDigitCountsIN3c108BFloat16EjjLi3EEEvNS_4cuda6detail10TensorInfoIKT_T0_EEjPjjSA_iijT1_PSD_Ps
		.amdhsa_group_segment_fixed_size 1024
		.amdhsa_private_segment_fixed_size 0
		.amdhsa_kernarg_size 528
		.amdhsa_user_sgpr_count 13
		.amdhsa_user_sgpr_dispatch_ptr 0
		.amdhsa_user_sgpr_queue_ptr 0
		.amdhsa_user_sgpr_kernarg_segment_ptr 1
		.amdhsa_user_sgpr_dispatch_id 0
		.amdhsa_user_sgpr_private_segment_size 0
		.amdhsa_wavefront_size32 1
		.amdhsa_uses_dynamic_stack 0
		.amdhsa_enable_private_segment 0
		.amdhsa_system_sgpr_workgroup_id_x 1
		.amdhsa_system_sgpr_workgroup_id_y 1
		.amdhsa_system_sgpr_workgroup_id_z 1
		.amdhsa_system_sgpr_workgroup_info 0
		.amdhsa_system_vgpr_workitem_id 0
		.amdhsa_next_free_vgpr 13
		.amdhsa_next_free_sgpr 26
		.amdhsa_reserve_vcc 1
		.amdhsa_float_round_mode_32 0
		.amdhsa_float_round_mode_16_64 0
		.amdhsa_float_denorm_mode_32 3
		.amdhsa_float_denorm_mode_16_64 3
		.amdhsa_dx10_clamp 1
		.amdhsa_ieee_mode 1
		.amdhsa_fp16_overflow 0
		.amdhsa_workgroup_processor_mode 1
		.amdhsa_memory_ordered 1
		.amdhsa_forward_progress 0
		.amdhsa_shared_vgpr_count 0
		.amdhsa_exception_fp_ieee_invalid_op 0
		.amdhsa_exception_fp_denorm_src 0
		.amdhsa_exception_fp_ieee_div_zero 0
		.amdhsa_exception_fp_ieee_overflow 0
		.amdhsa_exception_fp_ieee_underflow 0
		.amdhsa_exception_fp_ieee_inexact 0
		.amdhsa_exception_int_div_zero 0
	.end_amdhsa_kernel
	.section	.text._ZN2at6native6mbtopk23computeBlockDigitCountsIN3c108BFloat16EjjLi3EEEvNS_4cuda6detail10TensorInfoIKT_T0_EEjPjjSA_iijT1_PSD_Ps,"axG",@progbits,_ZN2at6native6mbtopk23computeBlockDigitCountsIN3c108BFloat16EjjLi3EEEvNS_4cuda6detail10TensorInfoIKT_T0_EEjPjjSA_iijT1_PSD_Ps,comdat
.Lfunc_end112:
	.size	_ZN2at6native6mbtopk23computeBlockDigitCountsIN3c108BFloat16EjjLi3EEEvNS_4cuda6detail10TensorInfoIKT_T0_EEjPjjSA_iijT1_PSD_Ps, .Lfunc_end112-_ZN2at6native6mbtopk23computeBlockDigitCountsIN3c108BFloat16EjjLi3EEEvNS_4cuda6detail10TensorInfoIKT_T0_EEjPjjSA_iijT1_PSD_Ps
                                        ; -- End function
	.section	.AMDGPU.csdata,"",@progbits
; Kernel info:
; codeLenInByte = 1996
; NumSgprs: 28
; NumVgprs: 13
; ScratchSize: 0
; MemoryBound: 0
; FloatMode: 240
; IeeeMode: 1
; LDSByteSize: 1024 bytes/workgroup (compile time only)
; SGPRBlocks: 3
; VGPRBlocks: 1
; NumSGPRsForWavesPerEU: 28
; NumVGPRsForWavesPerEU: 13
; Occupancy: 16
; WaveLimiterHint : 1
; COMPUTE_PGM_RSRC2:SCRATCH_EN: 0
; COMPUTE_PGM_RSRC2:USER_SGPR: 13
; COMPUTE_PGM_RSRC2:TRAP_HANDLER: 0
; COMPUTE_PGM_RSRC2:TGID_X_EN: 1
; COMPUTE_PGM_RSRC2:TGID_Y_EN: 1
; COMPUTE_PGM_RSRC2:TGID_Z_EN: 1
; COMPUTE_PGM_RSRC2:TIDIG_COMP_CNT: 0
	.section	.text._ZN2at6native6mbtopk10gatherTopKIN3c108BFloat16EjLi3EEEvNS_4cuda6detail10TensorInfoIKT_T0_EESA_SA_bjSA_NS7_IS8_SA_EESA_NS7_IlSA_EESA_jjPS8_PjSF_j,"axG",@progbits,_ZN2at6native6mbtopk10gatherTopKIN3c108BFloat16EjLi3EEEvNS_4cuda6detail10TensorInfoIKT_T0_EESA_SA_bjSA_NS7_IS8_SA_EESA_NS7_IlSA_EESA_jjPS8_PjSF_j,comdat
	.protected	_ZN2at6native6mbtopk10gatherTopKIN3c108BFloat16EjLi3EEEvNS_4cuda6detail10TensorInfoIKT_T0_EESA_SA_bjSA_NS7_IS8_SA_EESA_NS7_IlSA_EESA_jjPS8_PjSF_j ; -- Begin function _ZN2at6native6mbtopk10gatherTopKIN3c108BFloat16EjLi3EEEvNS_4cuda6detail10TensorInfoIKT_T0_EESA_SA_bjSA_NS7_IS8_SA_EESA_NS7_IlSA_EESA_jjPS8_PjSF_j
	.globl	_ZN2at6native6mbtopk10gatherTopKIN3c108BFloat16EjLi3EEEvNS_4cuda6detail10TensorInfoIKT_T0_EESA_SA_bjSA_NS7_IS8_SA_EESA_NS7_IlSA_EESA_jjPS8_PjSF_j
	.p2align	8
	.type	_ZN2at6native6mbtopk10gatherTopKIN3c108BFloat16EjLi3EEEvNS_4cuda6detail10TensorInfoIKT_T0_EESA_SA_bjSA_NS7_IS8_SA_EESA_NS7_IlSA_EESA_jjPS8_PjSF_j,@function
_ZN2at6native6mbtopk10gatherTopKIN3c108BFloat16EjLi3EEEvNS_4cuda6detail10TensorInfoIKT_T0_EESA_SA_bjSA_NS7_IS8_SA_EESA_NS7_IlSA_EESA_jjPS8_PjSF_j: ; @_ZN2at6native6mbtopk10gatherTopKIN3c108BFloat16EjLi3EEEvNS_4cuda6detail10TensorInfoIKT_T0_EESA_SA_bjSA_NS7_IS8_SA_EESA_NS7_IlSA_EESA_jjPS8_PjSF_j
; %bb.0:
	s_clause 0x1
	s_load_b64 s[2:3], s[0:1], 0x2d8
	s_load_b32 s4, s[0:1], 0x2d0
	s_waitcnt lgkmcnt(0)
	s_mul_i32 s3, s3, s15
	s_delay_alu instid0(SALU_CYCLE_1) | instskip(NEXT) | instid1(SALU_CYCLE_1)
	s_add_i32 s3, s3, s14
	s_mul_i32 s2, s3, s2
	s_delay_alu instid0(SALU_CYCLE_1) | instskip(NEXT) | instid1(SALU_CYCLE_1)
	s_add_i32 s2, s2, s13
	s_cmp_ge_u32 s2, s4
	s_cbranch_scc1 .LBB113_40
; %bb.1:
	s_clause 0x3
	s_load_b256 s[4:11], s[0:1], 0x2a8
	s_load_b64 s[36:37], s[0:1], 0xc
	s_load_b64 s[34:35], s[0:1], 0xfc
	;; [unrolled: 1-line block ×3, first 2 shown]
	s_mov_b32 s39, 0
	s_load_b64 s[28:29], s[0:1], 0x1d0
	s_waitcnt lgkmcnt(0)
	v_cvt_f32_u32_e32 v1, s6
	v_cvt_f32_u32_e32 v2, s37
	s_sub_i32 s3, 0, s6
	v_cvt_f32_u32_e32 v3, s36
	v_cvt_f32_u32_e32 v4, s35
	v_rcp_iflag_f32_e32 v1, v1
	v_rcp_iflag_f32_e32 v2, v2
	v_cvt_f32_u32_e32 v5, s34
	v_rcp_iflag_f32_e32 v3, v3
	v_rcp_iflag_f32_e32 v4, v4
	v_cvt_f32_u32_e32 v6, s31
	s_delay_alu instid0(VALU_DEP_2) | instskip(NEXT) | instid1(VALU_DEP_1)
	v_rcp_iflag_f32_e32 v5, v5
	v_rcp_iflag_f32_e32 v6, v6
	v_dual_mul_f32 v1, 0x4f7ffffe, v1 :: v_dual_mul_f32 v2, 0x4f7ffffe, v2
	v_mul_f32_e32 v3, 0x4f7ffffe, v3
	s_delay_alu instid0(VALU_DEP_2) | instskip(NEXT) | instid1(VALU_DEP_3)
	v_cvt_u32_f32_e32 v1, v1
	v_cvt_u32_f32_e32 v2, v2
	s_delay_alu instid0(VALU_DEP_2) | instskip(NEXT) | instid1(VALU_DEP_2)
	v_readfirstlane_b32 s7, v1
	v_readfirstlane_b32 s14, v2
	v_mul_f32_e32 v2, 0x4f7ffffe, v4
	v_cvt_u32_f32_e32 v3, v3
	s_delay_alu instid0(TRANS32_DEP_1) | instskip(SKIP_1) | instid1(VALU_DEP_3)
	v_dual_mul_f32 v4, 0x4f7ffffe, v5 :: v_dual_mul_f32 v5, 0x4f7ffffe, v6
	s_mul_i32 s3, s3, s7
	v_cvt_u32_f32_e32 v2, v2
	s_mul_hi_u32 s3, s7, s3
	v_cvt_f32_u32_e32 v1, s30
	s_add_i32 s7, s7, s3
	s_delay_alu instid0(SALU_CYCLE_1) | instskip(NEXT) | instid1(SALU_CYCLE_1)
	s_mul_hi_u32 s3, s2, s7
	s_mul_i32 s7, s3, s6
	s_add_i32 s12, s3, 1
	s_sub_i32 s7, s2, s7
	v_rcp_iflag_f32_e32 v1, v1
	s_sub_i32 s13, s7, s6
	s_cmp_ge_u32 s7, s6
	s_cselect_b32 s3, s12, s3
	s_cselect_b32 s7, s13, s7
	s_add_i32 s12, s3, 1
	s_cmp_ge_u32 s7, s6
	s_cselect_b32 s38, s12, s3
	s_sub_i32 s3, 0, s37
	s_mul_i32 s24, s38, s6
	s_mul_i32 s3, s3, s14
	s_sub_i32 s7, s2, s24
	s_mul_hi_u32 s3, s14, s3
	s_waitcnt_depctr 0xfff
	v_mul_f32_e32 v1, 0x4f7ffffe, v1
	s_add_i32 s14, s14, s3
	s_delay_alu instid0(SALU_CYCLE_1)
	s_mul_hi_u32 s3, s38, s14
	v_readfirstlane_b32 s14, v2
	s_mul_i32 s12, s3, s37
	v_cvt_u32_f32_e32 v2, v4
	s_sub_i32 s2, s38, s12
	s_add_i32 s12, s3, 1
	s_sub_i32 s13, s2, s37
	s_cmp_ge_u32 s2, s37
	v_cvt_u32_f32_e32 v1, v1
	s_cselect_b32 s3, s12, s3
	s_cselect_b32 s2, s13, s2
	s_add_i32 s12, s3, 1
	s_cmp_ge_u32 s2, s37
	s_cselect_b32 s49, s12, s3
	s_sub_i32 s2, 0, s35
	v_readfirstlane_b32 s3, v3
	s_mul_i32 s2, s2, s14
	s_sub_i32 s12, 0, s36
	s_mul_hi_u32 s2, s14, s2
	v_cvt_u32_f32_e32 v3, v5
	s_add_i32 s14, s14, s2
	s_mul_i32 s12, s12, s3
	s_mul_hi_u32 s2, s38, s14
	s_mul_hi_u32 s12, s3, s12
	s_mul_i32 s13, s2, s35
	s_add_i32 s25, s3, s12
	s_sub_i32 s3, s38, s13
	s_add_i32 s12, s2, 1
	s_sub_i32 s13, s3, s35
	s_cmp_ge_u32 s3, s35
	v_readfirstlane_b32 s14, v3
	s_cselect_b32 s2, s12, s2
	s_cselect_b32 s3, s13, s3
	s_add_i32 s12, s2, 1
	s_cmp_ge_u32 s3, s35
	v_readfirstlane_b32 s3, v2
	s_cselect_b32 s48, s12, s2
	s_sub_i32 s2, 0, s31
	s_sub_i32 s12, 0, s34
	s_mul_i32 s2, s2, s14
	s_mul_i32 s12, s12, s3
	s_mul_hi_u32 s2, s14, s2
	s_mul_hi_u32 s12, s3, s12
	s_add_i32 s14, s14, s2
	s_add_i32 s26, s3, s12
	s_mul_hi_u32 s2, s38, s14
	v_readfirstlane_b32 s14, v1
	s_mul_i32 s13, s2, s31
	s_add_i32 s12, s2, 1
	s_sub_i32 s3, s38, s13
	v_mov_b32_e32 v1, 0
	s_sub_i32 s13, s3, s31
	s_cmp_ge_u32 s3, s31
	s_mul_hi_u32 s50, s49, s25
	s_cselect_b32 s2, s12, s2
	s_cselect_b32 s3, s13, s3
	s_add_i32 s12, s2, 1
	s_cmp_ge_u32 s3, s31
	s_cselect_b32 s33, s12, s2
	s_sub_i32 s2, 0, s30
	s_delay_alu instid0(SALU_CYCLE_1) | instskip(NEXT) | instid1(SALU_CYCLE_1)
	s_mul_i32 s2, s2, s14
	s_mul_hi_u32 s12, s14, s2
	s_lshl_b64 s[2:3], s[38:39], 1
	s_add_i32 s27, s14, s12
	s_add_u32 s2, s8, s2
	s_addc_u32 s3, s9, s3
	global_load_u16 v1, v1, s[2:3]
	s_clause 0x4
	s_load_b64 s[42:43], s[0:1], 0x0
	s_load_b128 s[16:19], s[0:1], 0x15c
	s_load_b128 s[12:15], s[0:1], 0x23c
	s_load_b64 s[40:41], s[0:1], 0xf0
	s_load_b128 s[20:23], s[0:1], 0x6c
	v_cmp_ne_u32_e64 s2, 0, v0
	v_cmp_eq_u32_e64 s3, 0, v0
	s_waitcnt lgkmcnt(0)
	s_mul_hi_u32 s23, s48, s26
	s_mul_hi_u32 s19, s33, s27
	s_waitcnt vmcnt(0)
	v_readfirstlane_b32 s15, v1
	s_and_saveexec_b32 s51, s3
	s_cbranch_execz .LBB113_17
; %bb.2:
	s_load_b64 s[8:9], s[0:1], 0x2c8
	s_mov_b32 s25, s39
	s_delay_alu instid0(SALU_CYCLE_1) | instskip(NEXT) | instid1(SALU_CYCLE_1)
	s_lshl_b64 s[44:45], s[24:25], 2
	s_add_u32 s24, s10, s44
	s_addc_u32 s25, s11, s45
	s_waitcnt lgkmcnt(0)
	s_add_u32 s26, s8, s44
	s_addc_u32 s27, s9, s45
	s_cmp_lt_u32 s6, 4
	s_cbranch_scc1 .LBB113_14
; %bb.3:
	s_mov_b32 s52, s39
	s_mov_b32 s53, s39
	;; [unrolled: 1-line block ×3, first 2 shown]
.LBB113_4:                              ; =>This Inner Loop Header: Depth=1
	s_add_u32 s24, s10, s44
	s_addc_u32 s25, s11, s45
	s_add_u32 s46, s8, s44
	s_load_b128 s[24:27], s[24:25], 0x0
	s_addc_u32 s47, s9, s45
	s_cmp_ge_u32 s54, s7
	s_cbranch_scc0 .LBB113_11
; %bb.5:                                ;   in Loop: Header=BB113_4 Depth=1
	s_add_i32 s55, s54, 1
	s_delay_alu instid0(SALU_CYCLE_1)
	s_cmp_ge_u32 s55, s7
	s_cbranch_scc0 .LBB113_12
.LBB113_6:                              ;   in Loop: Header=BB113_4 Depth=1
	s_add_i32 s55, s55, 1
	s_delay_alu instid0(SALU_CYCLE_1)
	s_cmp_ge_u32 s55, s7
	s_cbranch_scc0 .LBB113_13
.LBB113_7:                              ;   in Loop: Header=BB113_4 Depth=1
	s_add_i32 s55, s55, 1
	s_delay_alu instid0(SALU_CYCLE_1)
	s_cmp_ge_u32 s55, s7
	s_cbranch_scc1 .LBB113_9
.LBB113_8:                              ;   in Loop: Header=BB113_4 Depth=1
	s_load_b32 s46, s[46:47], 0xc
	s_waitcnt lgkmcnt(0)
	s_add_i32 s39, s39, s27
	s_add_i32 s52, s46, s52
.LBB113_9:                              ;   in Loop: Header=BB113_4 Depth=1
	s_waitcnt lgkmcnt(0)
	s_add_i32 s24, s24, s53
	s_delay_alu instid0(SALU_CYCLE_1) | instskip(NEXT) | instid1(SALU_CYCLE_1)
	s_add_i32 s24, s24, s25
	s_add_i32 s24, s24, s26
	s_delay_alu instid0(SALU_CYCLE_1)
	s_add_i32 s53, s24, s27
	s_add_u32 s10, s10, 16
	s_addc_u32 s11, s11, 0
	s_add_u32 s8, s8, 16
	s_addc_u32 s9, s9, 0
	s_add_i32 s47, s55, 4
	s_add_u32 s26, s8, s44
	s_addc_u32 s27, s9, s45
	s_add_u32 s24, s10, s44
	s_addc_u32 s25, s11, s45
	s_add_i32 s46, s55, 1
	s_cmp_ge_u32 s47, s6
	s_cbranch_scc1 .LBB113_15
; %bb.10:                               ;   in Loop: Header=BB113_4 Depth=1
	s_mov_b32 s54, s46
	s_branch .LBB113_4
.LBB113_11:                             ;   in Loop: Header=BB113_4 Depth=1
	s_load_b32 s55, s[46:47], 0x0
	s_waitcnt lgkmcnt(0)
	s_add_i32 s39, s24, s39
	s_add_i32 s52, s55, s52
	s_add_i32 s55, s54, 1
	s_delay_alu instid0(SALU_CYCLE_1)
	s_cmp_ge_u32 s55, s7
	s_cbranch_scc1 .LBB113_6
.LBB113_12:                             ;   in Loop: Header=BB113_4 Depth=1
	s_load_b32 s56, s[46:47], 0x4
	s_waitcnt lgkmcnt(0)
	s_add_i32 s39, s39, s25
	s_add_i32 s52, s56, s52
	;; [unrolled: 1-line block ×3, first 2 shown]
	s_delay_alu instid0(SALU_CYCLE_1)
	s_cmp_ge_u32 s55, s7
	s_cbranch_scc1 .LBB113_7
.LBB113_13:                             ;   in Loop: Header=BB113_4 Depth=1
	s_load_b32 s56, s[46:47], 0x8
	s_waitcnt lgkmcnt(0)
	s_add_i32 s39, s39, s26
	s_add_i32 s52, s56, s52
	;; [unrolled: 1-line block ×3, first 2 shown]
	s_delay_alu instid0(SALU_CYCLE_1)
	s_cmp_ge_u32 s55, s7
	s_cbranch_scc0 .LBB113_8
	s_branch .LBB113_9
.LBB113_14:
	s_mov_b32 s52, 0
	s_mov_b32 s53, 0
	s_mov_b32 s8, 0
	s_delay_alu instid0(SALU_CYCLE_1)
	s_cmp_ge_u32 s8, s6
	s_cbranch_scc0 .LBB113_38
	s_branch .LBB113_16
.LBB113_15:
	s_add_i32 s8, s54, 4
	s_delay_alu instid0(SALU_CYCLE_1)
	s_cmp_ge_u32 s8, s6
	s_cbranch_scc0 .LBB113_38
.LBB113_16:
	v_dual_mov_b32 v1, s52 :: v_dual_mov_b32 v2, s53
	v_dual_mov_b32 v3, s39 :: v_dual_mov_b32 v4, 0
	ds_store_b96 v4, v[1:3] offset:1056
.LBB113_17:
	s_or_b32 exec_lo, exec_lo, s51
	s_load_b128 s[8:11], s[0:1], 0xd8
	s_waitcnt lgkmcnt(0)
	s_mul_i32 s11, s5, s7
	s_add_i32 s7, s7, 1
	s_lshl_b32 s24, s11, 8
	s_barrier
	buffer_gl0_inv
	s_sub_i32 s11, s8, s24
	s_delay_alu instid0(SALU_CYCLE_1) | instskip(SKIP_4) | instid1(VALU_DEP_1)
	s_add_u32 s11, s11, 0xff
	s_addc_u32 s25, 0, 0
	s_cmp_lt_u32 s7, s6
	v_alignbit_b32 v1, s25, s11, 8
	s_mov_b32 s7, 0
	v_readfirstlane_b32 s11, v1
	s_delay_alu instid0(VALU_DEP_1) | instskip(NEXT) | instid1(SALU_CYCLE_1)
	s_cselect_b32 s5, s5, s11
	s_cmp_eq_u32 s5, 0
	s_cbranch_scc1 .LBB113_40
; %bb.18:
	s_mul_i32 s11, s50, s36
	s_mul_i32 s6, s49, s37
	s_sub_i32 s11, s49, s11
	s_sub_i32 s6, s38, s6
	s_add_i32 s25, s50, 1
	s_sub_i32 s26, s11, s36
	s_cmp_ge_u32 s11, s36
	s_mul_i32 s6, s6, s22
	s_cselect_b32 s25, s25, s50
	s_cselect_b32 s11, s26, s11
	s_add_i32 s26, s25, 1
	s_cmp_ge_u32 s11, s36
	s_mul_i32 s11, s48, s35
	s_cselect_b32 s25, s26, s25
	s_mul_i32 s26, s23, s34
	s_mul_i32 s27, s25, s36
	s_mul_i32 s25, s25, s20
	s_sub_i32 s22, s49, s27
	s_sub_i32 s20, s48, s26
	s_mul_i32 s21, s22, s21
	s_sub_i32 s11, s38, s11
	s_add_i32 s6, s21, s6
	s_add_i32 s21, s23, 1
	;; [unrolled: 1-line block ×3, first 2 shown]
	s_sub_i32 s22, s20, s34
	s_cmp_ge_u32 s20, s34
	s_mul_i32 s11, s11, s18
	s_cselect_b32 s21, s21, s23
	s_cselect_b32 s20, s22, s20
	s_add_i32 s22, s21, 1
	s_cmp_ge_u32 s20, s34
	s_mul_i32 s23, s19, s30
	s_cselect_b32 s20, s22, s21
	s_mul_i32 s21, s33, s31
	s_mul_i32 s22, s20, s34
	;; [unrolled: 1-line block ×3, first 2 shown]
	s_sub_i32 s22, s48, s22
	s_sub_i32 s18, s38, s21
	s_mul_i32 s17, s22, s17
	s_mul_i32 s18, s18, s14
	s_add_i32 s11, s17, s11
	s_add_i32 s17, s19, 1
	;; [unrolled: 1-line block ×3, first 2 shown]
	s_sub_i32 s11, s33, s23
	v_mov_b32_e32 v5, 0
	s_sub_i32 s20, s11, s30
	s_cmp_ge_u32 s11, s30
	v_lshrrev_b32_e32 v4, 5, v0
	s_cselect_b32 s17, s17, s19
	s_cselect_b32 s11, s20, s11
	s_add_i32 s19, s17, 1
	s_cmp_ge_u32 s11, s30
	ds_load_b96 v[1:3], v5 offset:1056
	s_cselect_b32 s11, s19, s17
	s_mov_b32 s17, s7
	s_mul_i32 s19, s11, s30
	s_mul_i32 s11, s11, s12
	s_sub_i32 s19, s33, s19
	v_add_nc_u32_e32 v9, -1, v0
	s_mul_i32 s13, s19, s13
	s_mov_b32 s19, s7
	s_add_i32 s14, s13, s18
	s_lshl_b64 s[12:13], s[6:7], 1
	s_add_i32 s18, s14, s11
	s_add_u32 s6, s42, s12
	s_addc_u32 s11, s43, s13
	s_lshl_b64 s[12:13], s[16:17], 1
	v_add_lshl_u32 v7, v4, v0, 2
	s_add_u32 s12, s40, s12
	s_addc_u32 s13, s41, s13
	s_lshl_b64 s[16:17], s[18:19], 3
	s_load_b32 s18, s[0:1], 0xe8
	s_add_u32 s7, s28, s16
	s_sext_i32_i16 s16, s15
	s_addc_u32 s14, s29, s17
	s_and_b32 s17, 0xffff, s15
	s_cmp_gt_i32 s16, -1
	s_mov_b32 s16, 0x8000
	s_waitcnt lgkmcnt(0)
	v_add_nc_u32_e32 v6, v1, v2
	s_cselect_b32 s16, s16, 0xffff
	s_lshl_b32 s15, s15, 16
	s_xor_b32 s16, s16, s17
	v_cmp_o_f32_e64 s15, s15, s15
	v_dual_mov_b32 v13, 0x8000 :: v_dual_lshlrev_b32 v2, 3, v0
	v_lshrrev_b32_e32 v4, 2, v0
	v_add_nc_u32_e32 v1, s24, v0
	s_delay_alu instid0(VALU_DEP_4)
	s_and_b32 s15, s15, exec_lo
	s_cselect_b32 s15, s16, 0xffff
	s_bitcmp1_b32 s10, 0
	s_load_b32 s10, s[0:1], 0x1c8
	v_lshrrev_b32_e32 v10, 5, v9
	v_mbcnt_lo_u32_b32 v8, -1, 0
	v_cmp_gt_u32_e64 s0, 32, v0
	v_add_lshl_u32 v0, v4, v2, 2
	v_mul_lo_u32 v4, s18, v1
	v_add_lshl_u32 v9, v10, v9, 2
	v_and_b32_e32 v10, 15, v8
	v_bfe_i32 v11, v8, 4, 1
	v_add_nc_u32_e32 v12, -1, v8
	s_cselect_b32 s1, -1, 0
	s_lshl_b32 s16, s18, 8
                                        ; implicit-def: $vgpr14
	s_branch .LBB113_21
.LBB113_19:                             ;   in Loop: Header=BB113_21 Depth=1
	s_or_b32 exec_lo, exec_lo, s17
	v_add_nc_u32_e32 v6, v17, v6
.LBB113_20:                             ;   in Loop: Header=BB113_21 Depth=1
	v_add_nc_u32_e32 v3, v16, v3
	v_add_nc_u32_e32 v4, s16, v4
	;; [unrolled: 1-line block ×3, first 2 shown]
	s_add_i32 s5, s5, -1
	s_delay_alu instid0(SALU_CYCLE_1)
	s_cmp_lg_u32 s5, 0
	s_cbranch_scc0 .LBB113_40
.LBB113_21:                             ; =>This Inner Loop Header: Depth=1
	v_dual_mov_b32 v2, 0 :: v_dual_mov_b32 v15, 0
	s_mov_b32 s17, exec_lo
	v_cmpx_gt_u32_e64 s8, v1
	s_cbranch_execz .LBB113_23
; %bb.22:                               ;   in Loop: Header=BB113_21 Depth=1
	v_lshlrev_b64 v[14:15], 1, v[4:5]
	s_delay_alu instid0(VALU_DEP_1) | instskip(NEXT) | instid1(VALU_DEP_2)
	v_add_co_u32 v14, vcc_lo, s6, v14
	v_add_co_ci_u32_e32 v15, vcc_lo, s11, v15, vcc_lo
	global_load_u16 v14, v[14:15], off
	s_waitcnt vmcnt(0)
	v_cmp_lt_i16_e32 vcc_lo, -1, v14
	v_and_b32_e32 v2, 0xffff, v14
	v_dual_cndmask_b32 v15, 0xffff, v13 :: v_dual_lshlrev_b32 v16, 16, v14
	s_delay_alu instid0(VALU_DEP_1) | instskip(NEXT) | instid1(VALU_DEP_2)
	v_cmp_o_f32_e32 vcc_lo, v16, v16
	v_xor_b32_e32 v2, v15, v2
	s_delay_alu instid0(VALU_DEP_1) | instskip(NEXT) | instid1(VALU_DEP_1)
	v_cndmask_b32_e32 v15, 0xffff, v2, vcc_lo
	v_cmp_lt_u32_e32 vcc_lo, s15, v15
	v_cndmask_b32_e64 v2, 0, 1, vcc_lo
	v_cmp_gt_u32_e32 vcc_lo, s15, v15
	v_cndmask_b32_e64 v16, 0, 1, vcc_lo
	v_cmp_eq_u32_e32 vcc_lo, s15, v15
	s_delay_alu instid0(VALU_DEP_2) | instskip(SKIP_1) | instid1(VALU_DEP_2)
	v_cndmask_b32_e64 v2, v16, v2, s1
	v_cndmask_b32_e64 v15, 0, 1, vcc_lo
	v_and_b32_e32 v2, 1, v2
.LBB113_23:                             ;   in Loop: Header=BB113_21 Depth=1
	s_or_b32 exec_lo, exec_lo, s17
	ds_store_b32 v7, v2
	s_waitcnt lgkmcnt(0)
	s_waitcnt_vscnt null, 0x0
	s_barrier
	buffer_gl0_inv
	s_and_saveexec_b32 s17, s0
	s_cbranch_execz .LBB113_25
; %bb.24:                               ;   in Loop: Header=BB113_21 Depth=1
	ds_load_2addr_b32 v[16:17], v0 offset1:1
	ds_load_2addr_b32 v[18:19], v0 offset0:2 offset1:3
	ds_load_2addr_b32 v[20:21], v0 offset0:4 offset1:5
	;; [unrolled: 1-line block ×3, first 2 shown]
	v_cmp_ne_u32_e32 vcc_lo, 0, v10
	; wave barrier
	s_waitcnt lgkmcnt(3)
	v_add_nc_u32_e32 v17, v17, v16
	s_waitcnt lgkmcnt(2)
	s_delay_alu instid0(VALU_DEP_1) | instskip(SKIP_1) | instid1(VALU_DEP_1)
	v_add3_u32 v17, v17, v18, v19
	s_waitcnt lgkmcnt(1)
	v_add3_u32 v17, v17, v20, v21
	s_waitcnt lgkmcnt(0)
	s_delay_alu instid0(VALU_DEP_1) | instskip(NEXT) | instid1(VALU_DEP_1)
	v_add3_u32 v17, v17, v22, v23
	v_mov_b32_dpp v18, v17 row_shr:1 row_mask:0xf bank_mask:0xf
	s_delay_alu instid0(VALU_DEP_1) | instskip(SKIP_1) | instid1(VALU_DEP_2)
	v_cndmask_b32_e32 v18, 0, v18, vcc_lo
	v_cmp_lt_u32_e32 vcc_lo, 1, v10
	v_add_nc_u32_e32 v17, v18, v17
	s_delay_alu instid0(VALU_DEP_1) | instskip(NEXT) | instid1(VALU_DEP_1)
	v_mov_b32_dpp v18, v17 row_shr:2 row_mask:0xf bank_mask:0xf
	v_cndmask_b32_e32 v18, 0, v18, vcc_lo
	v_cmp_lt_u32_e32 vcc_lo, 3, v10
	s_delay_alu instid0(VALU_DEP_2) | instskip(NEXT) | instid1(VALU_DEP_1)
	v_add_nc_u32_e32 v17, v17, v18
	v_mov_b32_dpp v18, v17 row_shr:4 row_mask:0xf bank_mask:0xf
	s_delay_alu instid0(VALU_DEP_1) | instskip(SKIP_1) | instid1(VALU_DEP_2)
	v_cndmask_b32_e32 v18, 0, v18, vcc_lo
	v_cmp_lt_u32_e32 vcc_lo, 7, v10
	v_add_nc_u32_e32 v17, v17, v18
	s_delay_alu instid0(VALU_DEP_1) | instskip(NEXT) | instid1(VALU_DEP_1)
	v_mov_b32_dpp v18, v17 row_shr:8 row_mask:0xf bank_mask:0xf
	v_cndmask_b32_e32 v18, 0, v18, vcc_lo
	v_cmp_gt_i32_e32 vcc_lo, 0, v12
	v_cndmask_b32_e32 v19, v12, v8, vcc_lo
	s_delay_alu instid0(VALU_DEP_1) | instskip(NEXT) | instid1(VALU_DEP_4)
	v_lshlrev_b32_e32 v19, 2, v19
	v_add_nc_u32_e32 v17, v17, v18
	ds_swizzle_b32 v18, v17 offset:swizzle(BROADCAST,32,15)
	s_waitcnt lgkmcnt(0)
	v_and_b32_e32 v18, v11, v18
	s_delay_alu instid0(VALU_DEP_1) | instskip(SKIP_3) | instid1(VALU_DEP_1)
	v_add_nc_u32_e32 v17, v17, v18
	ds_bpermute_b32 v17, v19, v17
	s_waitcnt lgkmcnt(0)
	v_add_nc_u32_e32 v16, v17, v16
	v_cndmask_b32_e64 v22, v16, v2, s3
	ds_store_b32 v0, v22
	; wave barrier
	ds_load_2addr_b32 v[16:17], v0 offset0:1 offset1:2
	ds_load_2addr_b32 v[18:19], v0 offset0:3 offset1:4
	;; [unrolled: 1-line block ×3, first 2 shown]
	ds_load_b32 v23, v0 offset:28
	s_waitcnt lgkmcnt(3)
	v_add_nc_u32_e32 v16, v16, v22
	s_delay_alu instid0(VALU_DEP_1) | instskip(SKIP_1) | instid1(VALU_DEP_1)
	v_add_nc_u32_e32 v17, v17, v16
	s_waitcnt lgkmcnt(2)
	v_add_nc_u32_e32 v18, v18, v17
	s_delay_alu instid0(VALU_DEP_1) | instskip(SKIP_1) | instid1(VALU_DEP_1)
	v_add_nc_u32_e32 v19, v19, v18
	;; [unrolled: 4-line block ×3, first 2 shown]
	s_waitcnt lgkmcnt(0)
	v_add_nc_u32_e32 v22, v23, v21
	ds_store_2addr_b32 v0, v16, v17 offset0:1 offset1:2
	ds_store_2addr_b32 v0, v18, v19 offset0:3 offset1:4
	;; [unrolled: 1-line block ×3, first 2 shown]
	ds_store_b32 v0, v22 offset:28
.LBB113_25:                             ;   in Loop: Header=BB113_21 Depth=1
	s_or_b32 exec_lo, exec_lo, s17
	v_mov_b32_e32 v17, 0
	s_waitcnt lgkmcnt(0)
	s_barrier
	buffer_gl0_inv
	s_and_saveexec_b32 s17, s2
	s_cbranch_execz .LBB113_27
; %bb.26:                               ;   in Loop: Header=BB113_21 Depth=1
	ds_load_b32 v17, v9
.LBB113_27:                             ;   in Loop: Header=BB113_21 Depth=1
	s_or_b32 exec_lo, exec_lo, s17
	ds_load_b32 v16, v5 offset:1048
	s_mov_b32 s17, exec_lo
	s_waitcnt lgkmcnt(0)
	s_barrier
	buffer_gl0_inv
	v_cmpx_ne_u32_e32 0, v2
	s_cbranch_execz .LBB113_29
; %bb.28:                               ;   in Loop: Header=BB113_21 Depth=1
	v_add_nc_u32_e32 v2, v17, v3
	v_mov_b32_e32 v18, v5
	v_mov_b32_e32 v20, v5
	s_delay_alu instid0(VALU_DEP_3) | instskip(SKIP_2) | instid1(VALU_DEP_3)
	v_mul_lo_u32 v17, v2, s10
	v_mul_lo_u32 v19, v2, s4
	v_mov_b32_e32 v2, v5
	v_lshlrev_b64 v[17:18], 1, v[17:18]
	s_delay_alu instid0(VALU_DEP_3) | instskip(NEXT) | instid1(VALU_DEP_2)
	v_lshlrev_b64 v[19:20], 3, v[19:20]
	v_add_co_u32 v17, vcc_lo, s12, v17
	s_delay_alu instid0(VALU_DEP_3) | instskip(NEXT) | instid1(VALU_DEP_3)
	v_add_co_ci_u32_e32 v18, vcc_lo, s13, v18, vcc_lo
	v_add_co_u32 v19, vcc_lo, s7, v19
	s_delay_alu instid0(VALU_DEP_4)
	v_add_co_ci_u32_e32 v20, vcc_lo, s14, v20, vcc_lo
	global_store_b16 v[17:18], v14, off
	global_store_b64 v[19:20], v[1:2], off
.LBB113_29:                             ;   in Loop: Header=BB113_21 Depth=1
	s_or_b32 exec_lo, exec_lo, s17
	v_cmp_le_u32_e32 vcc_lo, s9, v6
	s_cbranch_vccnz .LBB113_20
; %bb.30:                               ;   in Loop: Header=BB113_21 Depth=1
	ds_store_b32 v7, v15
	s_waitcnt lgkmcnt(0)
	s_waitcnt_vscnt null, 0x0
	s_barrier
	buffer_gl0_inv
	s_and_saveexec_b32 s17, s0
	s_cbranch_execz .LBB113_32
; %bb.31:                               ;   in Loop: Header=BB113_21 Depth=1
	ds_load_2addr_b32 v[17:18], v0 offset1:1
	ds_load_2addr_b32 v[19:20], v0 offset0:2 offset1:3
	ds_load_2addr_b32 v[21:22], v0 offset0:4 offset1:5
	;; [unrolled: 1-line block ×3, first 2 shown]
	v_cmp_ne_u32_e32 vcc_lo, 0, v10
	; wave barrier
	s_waitcnt lgkmcnt(3)
	v_add_nc_u32_e32 v2, v18, v17
	s_waitcnt lgkmcnt(2)
	s_delay_alu instid0(VALU_DEP_1) | instskip(SKIP_1) | instid1(VALU_DEP_1)
	v_add3_u32 v2, v2, v19, v20
	s_waitcnt lgkmcnt(1)
	v_add3_u32 v2, v2, v21, v22
	s_waitcnt lgkmcnt(0)
	s_delay_alu instid0(VALU_DEP_1) | instskip(NEXT) | instid1(VALU_DEP_1)
	v_add3_u32 v2, v2, v23, v24
	v_mov_b32_dpp v18, v2 row_shr:1 row_mask:0xf bank_mask:0xf
	s_delay_alu instid0(VALU_DEP_1) | instskip(SKIP_1) | instid1(VALU_DEP_2)
	v_cndmask_b32_e32 v18, 0, v18, vcc_lo
	v_cmp_lt_u32_e32 vcc_lo, 1, v10
	v_add_nc_u32_e32 v2, v18, v2
	s_delay_alu instid0(VALU_DEP_1) | instskip(NEXT) | instid1(VALU_DEP_1)
	v_mov_b32_dpp v18, v2 row_shr:2 row_mask:0xf bank_mask:0xf
	v_cndmask_b32_e32 v18, 0, v18, vcc_lo
	v_cmp_lt_u32_e32 vcc_lo, 3, v10
	s_delay_alu instid0(VALU_DEP_2) | instskip(NEXT) | instid1(VALU_DEP_1)
	v_add_nc_u32_e32 v2, v2, v18
	v_mov_b32_dpp v18, v2 row_shr:4 row_mask:0xf bank_mask:0xf
	s_delay_alu instid0(VALU_DEP_1) | instskip(SKIP_1) | instid1(VALU_DEP_2)
	v_cndmask_b32_e32 v18, 0, v18, vcc_lo
	v_cmp_lt_u32_e32 vcc_lo, 7, v10
	v_add_nc_u32_e32 v2, v2, v18
	s_delay_alu instid0(VALU_DEP_1) | instskip(NEXT) | instid1(VALU_DEP_1)
	v_mov_b32_dpp v18, v2 row_shr:8 row_mask:0xf bank_mask:0xf
	v_cndmask_b32_e32 v18, 0, v18, vcc_lo
	v_cmp_gt_i32_e32 vcc_lo, 0, v12
	s_delay_alu instid0(VALU_DEP_2) | instskip(SKIP_4) | instid1(VALU_DEP_1)
	v_dual_cndmask_b32 v19, v12, v8 :: v_dual_add_nc_u32 v2, v2, v18
	ds_swizzle_b32 v18, v2 offset:swizzle(BROADCAST,32,15)
	v_lshlrev_b32_e32 v19, 2, v19
	s_waitcnt lgkmcnt(0)
	v_and_b32_e32 v18, v11, v18
	v_add_nc_u32_e32 v2, v2, v18
	ds_bpermute_b32 v2, v19, v2
	s_waitcnt lgkmcnt(0)
	v_add_nc_u32_e32 v2, v2, v17
	s_delay_alu instid0(VALU_DEP_1)
	v_cndmask_b32_e64 v2, v2, v15, s3
	ds_store_b32 v0, v2
	; wave barrier
	ds_load_2addr_b32 v[17:18], v0 offset0:1 offset1:2
	ds_load_2addr_b32 v[19:20], v0 offset0:3 offset1:4
	ds_load_2addr_b32 v[21:22], v0 offset0:5 offset1:6
	ds_load_b32 v23, v0 offset:28
	s_waitcnt lgkmcnt(3)
	v_add_nc_u32_e32 v2, v17, v2
	s_delay_alu instid0(VALU_DEP_1) | instskip(SKIP_1) | instid1(VALU_DEP_1)
	v_add_nc_u32_e32 v17, v18, v2
	s_waitcnt lgkmcnt(2)
	v_add_nc_u32_e32 v18, v19, v17
	s_delay_alu instid0(VALU_DEP_1) | instskip(SKIP_1) | instid1(VALU_DEP_1)
	v_add_nc_u32_e32 v19, v20, v18
	;; [unrolled: 4-line block ×3, first 2 shown]
	s_waitcnt lgkmcnt(0)
	v_add_nc_u32_e32 v22, v23, v21
	ds_store_2addr_b32 v0, v2, v17 offset0:1 offset1:2
	ds_store_2addr_b32 v0, v18, v19 offset0:3 offset1:4
	;; [unrolled: 1-line block ×3, first 2 shown]
	ds_store_b32 v0, v22 offset:28
.LBB113_32:                             ;   in Loop: Header=BB113_21 Depth=1
	s_or_b32 exec_lo, exec_lo, s17
	v_mov_b32_e32 v2, 0
	s_waitcnt lgkmcnt(0)
	s_barrier
	buffer_gl0_inv
	s_and_saveexec_b32 s17, s2
	s_cbranch_execz .LBB113_34
; %bb.33:                               ;   in Loop: Header=BB113_21 Depth=1
	ds_load_b32 v2, v9
.LBB113_34:                             ;   in Loop: Header=BB113_21 Depth=1
	s_or_b32 exec_lo, exec_lo, s17
	ds_load_b32 v17, v5 offset:1048
	s_mov_b32 s17, exec_lo
	s_waitcnt lgkmcnt(0)
	s_barrier
	buffer_gl0_inv
	v_cmpx_ne_u32_e32 0, v15
	s_cbranch_execz .LBB113_19
; %bb.35:                               ;   in Loop: Header=BB113_21 Depth=1
	v_add_nc_u32_e32 v2, v2, v6
	s_delay_alu instid0(VALU_DEP_1)
	v_cmp_gt_u32_e32 vcc_lo, s9, v2
	s_and_b32 exec_lo, exec_lo, vcc_lo
	s_cbranch_execz .LBB113_19
; %bb.36:                               ;   in Loop: Header=BB113_21 Depth=1
	v_mul_lo_u32 v18, v2, s10
	v_mov_b32_e32 v19, v5
	v_mul_lo_u32 v20, v2, s4
	v_mov_b32_e32 v21, v5
	v_mov_b32_e32 v2, v5
	s_delay_alu instid0(VALU_DEP_4) | instskip(NEXT) | instid1(VALU_DEP_3)
	v_lshlrev_b64 v[18:19], 1, v[18:19]
	v_lshlrev_b64 v[20:21], 3, v[20:21]
	s_delay_alu instid0(VALU_DEP_2) | instskip(NEXT) | instid1(VALU_DEP_3)
	v_add_co_u32 v18, vcc_lo, s12, v18
	v_add_co_ci_u32_e32 v19, vcc_lo, s13, v19, vcc_lo
	s_delay_alu instid0(VALU_DEP_3) | instskip(NEXT) | instid1(VALU_DEP_4)
	v_add_co_u32 v20, vcc_lo, s7, v20
	v_add_co_ci_u32_e32 v21, vcc_lo, s14, v21, vcc_lo
	global_store_b16 v[18:19], v14, off
	global_store_b64 v[20:21], v[1:2], off
	s_branch .LBB113_19
	.p2align	6
.LBB113_37:                             ;   in Loop: Header=BB113_38 Depth=1
	s_add_u32 s24, s24, 4
	s_addc_u32 s25, s25, 0
	s_waitcnt lgkmcnt(0)
	s_add_i32 s53, s9, s53
	s_add_u32 s26, s26, 4
	s_addc_u32 s27, s27, 0
	s_add_i32 s8, s8, 1
	s_delay_alu instid0(SALU_CYCLE_1)
	s_cmp_lt_u32 s8, s6
	s_cbranch_scc0 .LBB113_16
.LBB113_38:                             ; =>This Inner Loop Header: Depth=1
	s_load_b32 s9, s[24:25], 0x0
	s_cmp_ge_u32 s8, s7
	s_cbranch_scc1 .LBB113_37
; %bb.39:                               ;   in Loop: Header=BB113_38 Depth=1
	s_load_b32 s10, s[26:27], 0x0
	s_waitcnt lgkmcnt(0)
	s_add_i32 s39, s9, s39
	s_add_i32 s52, s10, s52
	s_branch .LBB113_37
.LBB113_40:
	s_nop 0
	s_sendmsg sendmsg(MSG_DEALLOC_VGPRS)
	s_endpgm
	.section	.rodata,"a",@progbits
	.p2align	6, 0x0
	.amdhsa_kernel _ZN2at6native6mbtopk10gatherTopKIN3c108BFloat16EjLi3EEEvNS_4cuda6detail10TensorInfoIKT_T0_EESA_SA_bjSA_NS7_IS8_SA_EESA_NS7_IlSA_EESA_jjPS8_PjSF_j
		.amdhsa_group_segment_fixed_size 1068
		.amdhsa_private_segment_fixed_size 0
		.amdhsa_kernarg_size 984
		.amdhsa_user_sgpr_count 13
		.amdhsa_user_sgpr_dispatch_ptr 0
		.amdhsa_user_sgpr_queue_ptr 0
		.amdhsa_user_sgpr_kernarg_segment_ptr 1
		.amdhsa_user_sgpr_dispatch_id 0
		.amdhsa_user_sgpr_private_segment_size 0
		.amdhsa_wavefront_size32 1
		.amdhsa_uses_dynamic_stack 0
		.amdhsa_enable_private_segment 0
		.amdhsa_system_sgpr_workgroup_id_x 1
		.amdhsa_system_sgpr_workgroup_id_y 1
		.amdhsa_system_sgpr_workgroup_id_z 1
		.amdhsa_system_sgpr_workgroup_info 0
		.amdhsa_system_vgpr_workitem_id 0
		.amdhsa_next_free_vgpr 25
		.amdhsa_next_free_sgpr 57
		.amdhsa_reserve_vcc 1
		.amdhsa_float_round_mode_32 0
		.amdhsa_float_round_mode_16_64 0
		.amdhsa_float_denorm_mode_32 3
		.amdhsa_float_denorm_mode_16_64 3
		.amdhsa_dx10_clamp 1
		.amdhsa_ieee_mode 1
		.amdhsa_fp16_overflow 0
		.amdhsa_workgroup_processor_mode 1
		.amdhsa_memory_ordered 1
		.amdhsa_forward_progress 0
		.amdhsa_shared_vgpr_count 0
		.amdhsa_exception_fp_ieee_invalid_op 0
		.amdhsa_exception_fp_denorm_src 0
		.amdhsa_exception_fp_ieee_div_zero 0
		.amdhsa_exception_fp_ieee_overflow 0
		.amdhsa_exception_fp_ieee_underflow 0
		.amdhsa_exception_fp_ieee_inexact 0
		.amdhsa_exception_int_div_zero 0
	.end_amdhsa_kernel
	.section	.text._ZN2at6native6mbtopk10gatherTopKIN3c108BFloat16EjLi3EEEvNS_4cuda6detail10TensorInfoIKT_T0_EESA_SA_bjSA_NS7_IS8_SA_EESA_NS7_IlSA_EESA_jjPS8_PjSF_j,"axG",@progbits,_ZN2at6native6mbtopk10gatherTopKIN3c108BFloat16EjLi3EEEvNS_4cuda6detail10TensorInfoIKT_T0_EESA_SA_bjSA_NS7_IS8_SA_EESA_NS7_IlSA_EESA_jjPS8_PjSF_j,comdat
.Lfunc_end113:
	.size	_ZN2at6native6mbtopk10gatherTopKIN3c108BFloat16EjLi3EEEvNS_4cuda6detail10TensorInfoIKT_T0_EESA_SA_bjSA_NS7_IS8_SA_EESA_NS7_IlSA_EESA_jjPS8_PjSF_j, .Lfunc_end113-_ZN2at6native6mbtopk10gatherTopKIN3c108BFloat16EjLi3EEEvNS_4cuda6detail10TensorInfoIKT_T0_EESA_SA_bjSA_NS7_IS8_SA_EESA_NS7_IlSA_EESA_jjPS8_PjSF_j
                                        ; -- End function
	.section	.AMDGPU.csdata,"",@progbits
; Kernel info:
; codeLenInByte = 3232
; NumSgprs: 59
; NumVgprs: 25
; ScratchSize: 0
; MemoryBound: 0
; FloatMode: 240
; IeeeMode: 1
; LDSByteSize: 1068 bytes/workgroup (compile time only)
; SGPRBlocks: 7
; VGPRBlocks: 3
; NumSGPRsForWavesPerEU: 59
; NumVGPRsForWavesPerEU: 25
; Occupancy: 16
; WaveLimiterHint : 1
; COMPUTE_PGM_RSRC2:SCRATCH_EN: 0
; COMPUTE_PGM_RSRC2:USER_SGPR: 13
; COMPUTE_PGM_RSRC2:TRAP_HANDLER: 0
; COMPUTE_PGM_RSRC2:TGID_X_EN: 1
; COMPUTE_PGM_RSRC2:TGID_Y_EN: 1
; COMPUTE_PGM_RSRC2:TGID_Z_EN: 1
; COMPUTE_PGM_RSRC2:TIDIG_COMP_CNT: 0
	.section	.text._ZN2at6native6sbtopk10gatherTopKIN3c108BFloat16EjLi3ELb0EEEvNS_4cuda6detail10TensorInfoIKT_T0_EESA_SA_bSA_SA_NS7_IS8_SA_EESA_NS7_IlSA_EESA_PS8_,"axG",@progbits,_ZN2at6native6sbtopk10gatherTopKIN3c108BFloat16EjLi3ELb0EEEvNS_4cuda6detail10TensorInfoIKT_T0_EESA_SA_bSA_SA_NS7_IS8_SA_EESA_NS7_IlSA_EESA_PS8_,comdat
	.protected	_ZN2at6native6sbtopk10gatherTopKIN3c108BFloat16EjLi3ELb0EEEvNS_4cuda6detail10TensorInfoIKT_T0_EESA_SA_bSA_SA_NS7_IS8_SA_EESA_NS7_IlSA_EESA_PS8_ ; -- Begin function _ZN2at6native6sbtopk10gatherTopKIN3c108BFloat16EjLi3ELb0EEEvNS_4cuda6detail10TensorInfoIKT_T0_EESA_SA_bSA_SA_NS7_IS8_SA_EESA_NS7_IlSA_EESA_PS8_
	.globl	_ZN2at6native6sbtopk10gatherTopKIN3c108BFloat16EjLi3ELb0EEEvNS_4cuda6detail10TensorInfoIKT_T0_EESA_SA_bSA_SA_NS7_IS8_SA_EESA_NS7_IlSA_EESA_PS8_
	.p2align	8
	.type	_ZN2at6native6sbtopk10gatherTopKIN3c108BFloat16EjLi3ELb0EEEvNS_4cuda6detail10TensorInfoIKT_T0_EESA_SA_bSA_SA_NS7_IS8_SA_EESA_NS7_IlSA_EESA_PS8_,@function
_ZN2at6native6sbtopk10gatherTopKIN3c108BFloat16EjLi3ELb0EEEvNS_4cuda6detail10TensorInfoIKT_T0_EESA_SA_bSA_SA_NS7_IS8_SA_EESA_NS7_IlSA_EESA_PS8_: ; @_ZN2at6native6sbtopk10gatherTopKIN3c108BFloat16EjLi3ELb0EEEvNS_4cuda6detail10TensorInfoIKT_T0_EESA_SA_bSA_SA_NS7_IS8_SA_EESA_NS7_IlSA_EESA_PS8_
; %bb.0:
	s_clause 0x1
	s_load_b64 s[4:5], s[0:1], 0x2b8
	s_load_b128 s[24:27], s[0:1], 0xd8
	s_add_u32 s6, s0, 0x2b8
	s_addc_u32 s7, s1, 0
	s_waitcnt lgkmcnt(0)
	s_mul_i32 s2, s5, s15
	s_delay_alu instid0(SALU_CYCLE_1) | instskip(NEXT) | instid1(SALU_CYCLE_1)
	s_add_i32 s2, s2, s14
	s_mul_i32 s50, s2, s4
	s_delay_alu instid0(SALU_CYCLE_1) | instskip(NEXT) | instid1(SALU_CYCLE_1)
	s_add_i32 s50, s50, s13
	s_cmp_ge_u32 s50, s27
	s_cbranch_scc1 .LBB114_467
; %bb.1:
	s_clause 0x9
	s_load_b64 s[14:15], s[0:1], 0xc
	s_load_b64 s[46:47], s[0:1], 0xfc
	;; [unrolled: 1-line block ×4, first 2 shown]
	s_load_b128 s[28:31], s[0:1], 0x23c
	s_load_b64 s[40:41], s[0:1], 0x1d0
	s_load_b128 s[36:39], s[0:1], 0x15c
	s_load_b64 s[42:43], s[0:1], 0xf0
	s_load_b32 s34, s[0:1], 0xe8
	s_load_b128 s[8:11], s[0:1], 0x6c
	s_mov_b32 s49, 0
	s_waitcnt lgkmcnt(0)
	v_cvt_f32_u32_e32 v1, s15
	v_cvt_f32_u32_e32 v2, s14
	;; [unrolled: 1-line block ×4, first 2 shown]
	s_sub_i32 s11, 0, s15
	v_rcp_iflag_f32_e32 v1, v1
	v_rcp_iflag_f32_e32 v2, v2
	;; [unrolled: 1-line block ×4, first 2 shown]
	v_cvt_f32_u32_e32 v5, s45
	v_cvt_f32_u32_e32 v6, s44
	s_delay_alu instid0(VALU_DEP_2)
	v_rcp_iflag_f32_e32 v5, v5
	v_dual_mul_f32 v1, 0x4f7ffffe, v1 :: v_dual_mul_f32 v2, 0x4f7ffffe, v2
	s_waitcnt_depctr 0xfff
	v_dual_mul_f32 v3, 0x4f7ffffe, v3 :: v_dual_mul_f32 v4, 0x4f7ffffe, v4
	v_cvt_u32_f32_e32 v1, v1
	v_cvt_u32_f32_e32 v2, v2
	s_delay_alu instid0(VALU_DEP_3) | instskip(SKIP_1) | instid1(VALU_DEP_4)
	v_cvt_u32_f32_e32 v3, v3
	v_mul_f32_e32 v5, 0x4f7ffffe, v5
	v_readfirstlane_b32 s5, v1
	v_rcp_iflag_f32_e32 v1, v6
	s_delay_alu instid0(VALU_DEP_3) | instskip(SKIP_1) | instid1(VALU_DEP_3)
	v_readfirstlane_b32 s17, v3
	v_cvt_u32_f32_e32 v3, v4
	s_mul_i32 s11, s11, s5
	s_delay_alu instid0(SALU_CYCLE_1) | instskip(NEXT) | instid1(SALU_CYCLE_1)
	s_mul_hi_u32 s11, s5, s11
	s_add_i32 s5, s5, s11
	s_waitcnt_depctr 0xfff
	v_mul_f32_e32 v1, 0x4f7ffffe, v1
	s_mul_hi_u32 s5, s50, s5
	s_delay_alu instid0(SALU_CYCLE_1)
	s_mul_i32 s11, s5, s15
	s_add_i32 s12, s5, 1
	s_sub_i32 s11, s50, s11
	v_cvt_u32_f32_e32 v1, v1
	s_sub_i32 s16, s11, s15
	s_cmp_ge_u32 s11, s15
	s_cselect_b32 s5, s12, s5
	s_cselect_b32 s11, s16, s11
	s_add_i32 s12, s5, 1
	s_cmp_ge_u32 s11, s15
	v_readfirstlane_b32 s20, v1
	s_cselect_b32 s11, s12, s5
	s_sub_i32 s5, 0, s47
	v_readfirstlane_b32 s12, v2
	s_mul_i32 s5, s5, s17
	s_sub_i32 s16, 0, s14
	s_mul_hi_u32 s5, s17, s5
	v_cvt_u32_f32_e32 v2, v5
	s_add_i32 s17, s17, s5
	s_mul_i32 s16, s16, s12
	s_mul_hi_u32 s5, s50, s17
	s_mul_hi_u32 s16, s12, s16
	s_mul_i32 s17, s5, s47
	s_add_i32 s12, s12, s16
	s_sub_i32 s16, s50, s17
	s_add_i32 s17, s5, 1
	s_sub_i32 s18, s16, s47
	s_cmp_ge_u32 s16, s47
	v_readfirstlane_b32 s19, v2
	s_cselect_b32 s5, s17, s5
	s_cselect_b32 s16, s18, s16
	s_add_i32 s17, s5, 1
	s_cmp_ge_u32 s16, s47
	v_readfirstlane_b32 s16, v3
	s_cselect_b32 s52, s17, s5
	s_sub_i32 s5, 0, s45
	s_sub_i32 s17, 0, s46
	s_mul_i32 s5, s5, s19
	s_mul_i32 s17, s17, s16
	s_mul_hi_u32 s5, s19, s5
	s_mul_hi_u32 s17, s16, s17
	s_add_i32 s19, s19, s5
	s_add_i32 s16, s16, s17
	s_mul_hi_u32 s5, s50, s19
	s_mul_hi_u32 s12, s11, s12
	s_mul_i32 s18, s5, s45
	s_mul_hi_u32 s54, s52, s16
	s_sub_i32 s17, s50, s18
	s_add_i32 s18, s5, 1
	s_sub_i32 s19, s17, s45
	s_cmp_ge_u32 s17, s45
	s_cselect_b32 s5, s18, s5
	s_cselect_b32 s17, s19, s17
	s_add_i32 s18, s5, 1
	s_cmp_ge_u32 s17, s45
	s_cselect_b32 s51, s18, s5
	s_sub_i32 s5, 0, s44
	s_delay_alu instid0(SALU_CYCLE_1) | instskip(NEXT) | instid1(SALU_CYCLE_1)
	s_mul_i32 s5, s5, s20
	s_mul_hi_u32 s17, s20, s5
	v_cmp_eq_u32_e64 s5, 0, v0
	s_add_i32 s20, s20, s17
	s_delay_alu instid0(SALU_CYCLE_1) | instskip(NEXT) | instid1(VALU_DEP_1)
	s_mul_hi_u32 s53, s51, s20
	s_and_saveexec_b32 s16, s5
	s_cbranch_execz .LBB114_3
; %bb.2:
	v_dual_mov_b32 v1, 0 :: v_dual_mov_b32 v2, s24
	s_delay_alu instid0(VALU_DEP_1)
	v_mov_b32_e32 v3, v1
	ds_store_b96 v1, v[1:3] offset:4096
.LBB114_3:
	s_or_b32 exec_lo, exec_lo, s16
	s_mul_i32 s16, s12, s14
	s_mul_i32 s15, s11, s15
	s_sub_i32 s16, s11, s16
	s_sub_i32 s15, s50, s15
	s_add_i32 s17, s12, 1
	s_sub_i32 s18, s16, s14
	s_cmp_ge_u32 s16, s14
	s_waitcnt lgkmcnt(0)
	s_cselect_b32 s12, s17, s12
	s_cselect_b32 s16, s18, s16
	s_add_i32 s17, s12, 1
	s_cmp_ge_u32 s16, s14
	s_barrier
	buffer_gl0_inv
	s_load_b32 s16, s[6:7], 0xc
	s_cselect_b32 s12, s17, s12
	s_mul_i32 s15, s15, s10
	s_mul_i32 s14, s12, s14
	;; [unrolled: 1-line block ×3, first 2 shown]
	s_sub_i32 s11, s11, s14
	v_mbcnt_lo_u32_b32 v15, -1, 0
	s_mul_i32 s9, s11, s9
	v_cmp_gt_u32_e32 vcc_lo, 32, v0
	s_add_i32 s8, s9, s15
	v_dual_mov_b32 v9, 0 :: v_dual_lshlrev_b32 v16, 2, v0
	s_add_i32 s48, s8, s12
	v_mul_lo_u32 v7, v0, s34
	s_lshl_b64 s[8:9], s[48:49], 1
	v_dual_mov_b32 v26, 0x8000 :: v_dual_lshlrev_b32 v19, 1, v0
	s_add_u32 s31, s2, s8
	s_addc_u32 s33, s3, s9
	s_bitcmp1_b32 s26, 0
	v_cmp_gt_i32_e64 s2, 4, v15
	s_cselect_b32 s3, -1, 0
	s_waitcnt lgkmcnt(0)
	s_and_b32 s35, s16, 0xffff
	s_xor_b32 s48, s3, -1
	s_lshl_b32 s55, s35, 2
	s_bfe_u32 s8, s16, 0xb0005
	v_cvt_f32_u32_e32 v1, s55
	s_and_b32 s56, vcc_lo, s2
	s_cmpk_gt_u32 s24, 0x600
	v_cvt_f32_u32_e32 v3, s35
	s_cselect_b32 s57, -1, 0
	v_rcp_iflag_f32_e32 v1, v1
	s_cmp_gt_u32 s35, 31
	v_mad_u64_u32 v[12:13], null, s34, v16, s[34:35]
	s_cselect_b32 s58, -1, 0
	s_add_i32 s59, s35, -1
	v_mov_b32_e32 v8, v9
	s_add_i32 s9, s59, s24
	s_cmp_lt_u32 s13, s4
	v_rcp_iflag_f32_e32 v3, v3
	s_waitcnt_depctr 0xfff
	v_mul_f32_e32 v1, 0x4f7ffffe, v1
	s_cselect_b32 s2, 12, 18
	v_dual_mov_b32 v29, 0 :: v_dual_add_nc_u32 v20, 0xc00, v19
	s_add_u32 s26, s6, s2
	s_delay_alu instid0(VALU_DEP_2)
	v_cvt_u32_f32_e32 v1, v1
	s_addc_u32 s27, s7, 0
	s_add_i32 s2, s8, -1
	s_bfe_u32 s60, s35, 0x30005
	s_cmp_gt_u32 s2, 6
	v_readfirstlane_b32 s2, v1
	s_cselect_b32 s61, -1, 0
	s_and_b32 s62, s8, 0x7f8
	s_cmp_lg_u32 s60, 0
	v_lshlrev_b64 v[1:2], 1, v[7:8]
	s_cselect_b32 s63, -1, 0
	s_sub_i32 s4, 0, s55
	v_dual_mov_b32 v27, 0 :: v_dual_lshlrev_b32 v22, 2, v7
	s_mul_i32 s4, s4, s2
	s_delay_alu instid0(VALU_DEP_2)
	v_add_co_u32 v5, vcc_lo, s31, v1
	s_mul_hi_u32 s4, s2, s4
	v_add_co_ci_u32_e32 v6, vcc_lo, s33, v2, vcc_lo
	s_add_i32 s64, s2, s4
	v_lshrrev_b32_e32 v2, 3, v0
	s_mul_hi_u32 s4, s24, s64
	v_cmp_eq_u32_e64 s2, 0, v15
	s_mul_i32 s4, s4, s55
	v_lshlrev_b32_e32 v24, 3, v0
	s_sub_i32 s4, s24, s4
	v_dual_mov_b32 v30, s25 :: v_dual_and_b32 v17, 0x7c, v2
	s_sub_i32 s6, s4, s55
	s_cmp_ge_u32 s4, s55
	v_lshl_or_b32 v25, v15, 2, 0xc00
	s_cselect_b32 s6, s6, s4
	v_cmp_gt_u32_e64 s4, s24, v0
	s_sub_i32 s7, s6, s55
	s_cmp_ge_u32 s6, s55
	v_mov_b32_e32 v28, 0
	s_cselect_b32 s10, s7, s6
	s_sub_i32 s6, 0, s35
	s_sub_i32 s65, s24, s10
	s_delay_alu instid0(SALU_CYCLE_1) | instskip(SKIP_3) | instid1(VALU_DEP_2)
	v_dual_mul_f32 v1, 0x4f7ffffe, v3 :: v_dual_add_nc_u32 v18, s65, v0
	v_or_b32_e32 v3, 3, v16
	s_mul_i32 s39, s34, s35
	s_mov_b32 s77, 14
	v_cvt_u32_f32_e32 v1, v1
	v_mul_lo_u32 v8, v18, s34
	v_mul_lo_u32 v21, s34, v3
	s_movk_i32 s72, 0x3f80
	s_mov_b32 s73, 0
	v_readfirstlane_b32 s8, v1
	v_lshlrev_b64 v[1:2], v15, -1
                                        ; implicit-def: $sgpr71
                                        ; implicit-def: $sgpr76
                                        ; implicit-def: $sgpr75
                                        ; implicit-def: $sgpr78
                                        ; implicit-def: $sgpr74
                                        ; implicit-def: $sgpr79
                                        ; implicit-def: $sgpr81
                                        ; implicit-def: $sgpr80
                                        ; implicit-def: $sgpr82
                                        ; implicit-def: $sgpr83
	s_delay_alu instid0(VALU_DEP_2) | instskip(NEXT) | instid1(SALU_CYCLE_1)
	s_mul_i32 s6, s6, s8
	s_mul_hi_u32 s6, s8, s6
	s_delay_alu instid0(VALU_DEP_1) | instskip(SKIP_3) | instid1(SALU_CYCLE_1)
	v_not_b32_e32 v14, v1
	s_add_i32 s66, s8, s6
	v_lshlrev_b64 v[1:2], 1, v[8:9]
	s_mul_hi_u32 s6, s9, s66
	s_mul_i32 s7, s6, s35
	v_cmp_gt_u32_e64 s6, 2, v0
	s_sub_i32 s7, s9, s7
	s_delay_alu instid0(VALU_DEP_2)
	v_add_co_u32 v10, vcc_lo, s31, v1
	v_add3_u32 v1, s35, s24, v0
	s_sub_i32 s8, s7, s35
	s_cmp_ge_u32 s7, s35
	v_add_co_ci_u32_e32 v11, vcc_lo, s33, v2, vcc_lo
	s_cselect_b32 s8, s8, s7
	v_or_b32_e32 v2, 2, v16
	v_subrev_nc_u32_e32 v1, s10, v1
	s_sub_i32 s11, s8, s35
	s_cmp_ge_u32 s8, s35
	v_cmp_gt_u32_e64 s7, s65, v16
	s_cselect_b32 s11, s11, s8
	v_mul_lo_u32 v13, s34, v2
	v_mul_lo_u32 v23, s34, v1
	s_sub_i32 s67, s9, s11
	v_cmp_gt_u32_e64 s8, s24, v18
	v_cmp_gt_u32_e64 s9, s67, v0
	s_lshl_b32 s68, s39, 2
	s_lshl_b32 s69, s35, 3
	;; [unrolled: 1-line block ×3, first 2 shown]
	s_branch .LBB114_6
.LBB114_4:                              ;   in Loop: Header=BB114_6 Depth=1
	s_or_b32 exec_lo, exec_lo, s13
	v_dual_mov_b32 v27, v2 :: v_dual_mov_b32 v28, v1
	v_dual_mov_b32 v30, v4 :: v_dual_mov_b32 v29, v3
	s_and_not1_b32 s13, s83, exec_lo
	s_and_b32 s12, s12, exec_lo
	s_and_not1_b32 s82, s82, exec_lo
	s_or_b32 s83, s13, s12
	s_and_not1_b32 s80, s80, exec_lo
	s_and_not1_b32 s81, s81, exec_lo
	;; [unrolled: 1-line block ×3, first 2 shown]
	s_or_not1_b32 s12, s11, exec_lo
.LBB114_5:                              ;   in Loop: Header=BB114_6 Depth=1
	s_or_b32 exec_lo, exec_lo, s10
	s_delay_alu instid0(SALU_CYCLE_1) | instskip(NEXT) | instid1(SALU_CYCLE_1)
	s_and_b32 s10, exec_lo, s12
	s_or_b32 s49, s10, s49
	s_and_not1_b32 s10, s74, exec_lo
	s_and_b32 s11, s83, exec_lo
	s_and_not1_b32 s12, s78, exec_lo
	s_or_b32 s74, s10, s11
	s_and_b32 s10, s82, exec_lo
	s_and_not1_b32 s11, s75, exec_lo
	s_and_b32 s13, s80, exec_lo
	s_or_b32 s78, s12, s10
	s_or_b32 s75, s11, s13
	s_and_not1_b32 s10, s76, exec_lo
	s_and_b32 s11, s81, exec_lo
	s_and_not1_b32 s12, s71, exec_lo
	s_and_b32 s13, s79, exec_lo
	s_or_b32 s76, s10, s11
	s_or_b32 s71, s12, s13
	s_and_not1_b32 exec_lo, exec_lo, s49
	s_cbranch_execz .LBB114_403
.LBB114_6:                              ; =>This Loop Header: Depth=1
                                        ;     Child Loop BB114_11 Depth 2
                                        ;     Child Loop BB114_26 Depth 2
	;; [unrolled: 1-line block ×24, first 2 shown]
	ds_load_b64 v[1:2], v9 offset:4096
	s_waitcnt lgkmcnt(0)
	v_readfirstlane_b32 s84, v1
	s_delay_alu instid0(VALU_DEP_1)
	s_cmp_lg_u32 s84, 0
	s_cbranch_scc1 .LBB114_33
; %bb.7:                                ;   in Loop: Header=BB114_6 Depth=1
	s_and_b32 vcc_lo, exec_lo, s57
	s_cbranch_vccz .LBB114_19
; %bb.8:                                ;   in Loop: Header=BB114_6 Depth=1
	v_cmp_gt_u32_e32 vcc_lo, 0x601, v2
	s_mov_b32 s84, 0
	s_mov_b32 s10, 0
	s_cbranch_vccz .LBB114_20
; %bb.9:                                ;   in Loop: Header=BB114_6 Depth=1
	global_load_u16 v1, v9, s[26:27]
	global_load_u16 v4, v[5:6], off
	v_mov_b32_e32 v3, v0
	s_mov_b32 s12, 0
	s_waitcnt vmcnt(1)
	v_add_nc_u32_e32 v2, v0, v1
	s_delay_alu instid0(VALU_DEP_1)
	v_mul_lo_u32 v8, s34, v2
	v_mul_lo_u32 v2, s34, v1
	s_branch .LBB114_11
.LBB114_10:                             ;   in Loop: Header=BB114_11 Depth=2
	s_or_b32 exec_lo, exec_lo, s11
	v_add_nc_u32_e32 v8, v8, v2
	v_mov_b32_e32 v4, v31
	s_and_not1_b32 exec_lo, exec_lo, s12
	s_cbranch_execz .LBB114_84
.LBB114_11:                             ;   Parent Loop BB114_6 Depth=1
                                        ; =>  This Inner Loop Header: Depth=2
	s_waitcnt lgkmcnt(0)
	v_dual_mov_b32 v32, 0 :: v_dual_add_nc_u32 v3, v3, v1
	v_mov_b32_e32 v31, 0
	s_mov_b32 s11, exec_lo
	s_delay_alu instid0(VALU_DEP_2)
	v_cmp_le_u32_e32 vcc_lo, s24, v3
	v_cmpx_gt_u32_e64 s24, v3
	s_cbranch_execz .LBB114_13
; %bb.12:                               ;   in Loop: Header=BB114_11 Depth=2
	v_lshlrev_b64 v[33:34], 1, v[8:9]
	s_delay_alu instid0(VALU_DEP_1) | instskip(NEXT) | instid1(VALU_DEP_1)
	v_add_co_u32 v33, s10, s31, v33
	v_add_co_ci_u32_e64 v34, s10, s33, v34, s10
	global_load_u16 v31, v[33:34], off
.LBB114_13:                             ;   in Loop: Header=BB114_11 Depth=2
	s_or_b32 exec_lo, exec_lo, s11
	s_waitcnt vmcnt(0)
	v_cmp_lt_i16_e64 s10, -1, v4
	v_and_b32_e32 v33, 0xffff, v4
	v_lshlrev_b32_e32 v35, 16, v4
	s_delay_alu instid0(VALU_DEP_3) | instskip(NEXT) | instid1(VALU_DEP_2)
	v_cndmask_b32_e64 v34, 0xffff, v26, s10
	v_cmp_o_f32_e64 s10, v35, v35
	s_delay_alu instid0(VALU_DEP_2) | instskip(NEXT) | instid1(VALU_DEP_1)
	v_xor_b32_e32 v33, v34, v33
	v_cndmask_b32_e64 v33, 0xffff, v33, s10
	s_delay_alu instid0(VALU_DEP_1) | instskip(NEXT) | instid1(VALU_DEP_1)
	v_and_b32_e32 v33, v33, v27
	v_cmp_eq_u32_e64 s10, v33, v28
	s_delay_alu instid0(VALU_DEP_1) | instskip(SKIP_1) | instid1(SALU_CYCLE_1)
	s_cmp_lg_u32 s10, 0
	s_cselect_b32 s11, -1, 0
	s_and_b32 s11, s2, s11
	s_delay_alu instid0(SALU_CYCLE_1)
	s_and_saveexec_b32 s13, s11
	s_cbranch_execz .LBB114_17
; %bb.14:                               ;   in Loop: Header=BB114_11 Depth=2
	s_mov_b32 s16, exec_lo
	s_bcnt1_i32_b32 s14, s10
	v_mbcnt_lo_u32_b32 v32, s16, 0
	s_mov_b32 s15, exec_lo
                                        ; implicit-def: $vgpr33
	s_delay_alu instid0(VALU_DEP_1)
	v_cmpx_eq_u32_e32 0, v32
	s_cbranch_execz .LBB114_16
; %bb.15:                               ;   in Loop: Header=BB114_11 Depth=2
	s_bcnt1_i32_b32 s11, s16
	s_delay_alu instid0(SALU_CYCLE_1) | instskip(NEXT) | instid1(SALU_CYCLE_1)
	s_mul_i32 s11, s14, s11
	v_mov_b32_e32 v33, s11
	ds_add_rtn_u32 v33, v9, v33 offset:4104
.LBB114_16:                             ;   in Loop: Header=BB114_11 Depth=2
	s_or_b32 exec_lo, exec_lo, s15
	s_waitcnt lgkmcnt(0)
	v_readfirstlane_b32 s11, v33
	s_delay_alu instid0(VALU_DEP_1)
	v_mad_u32_u24 v32, s14, v32, s11
.LBB114_17:                             ;   in Loop: Header=BB114_11 Depth=2
	s_or_b32 exec_lo, exec_lo, s13
	ds_bpermute_b32 v32, v9, v32
	s_and_b32 s11, exec_lo, vcc_lo
	s_delay_alu instid0(SALU_CYCLE_1)
	s_or_b32 s12, s11, s12
	s_and_saveexec_b32 s11, s10
	s_cbranch_execz .LBB114_10
; %bb.18:                               ;   in Loop: Header=BB114_11 Depth=2
	v_and_b32_e32 v33, s10, v14
	s_delay_alu instid0(VALU_DEP_1) | instskip(NEXT) | instid1(VALU_DEP_1)
	v_bcnt_u32_b32 v33, v33, 0
	v_lshlrev_b32_e32 v33, 1, v33
	s_waitcnt lgkmcnt(0)
	s_delay_alu instid0(VALU_DEP_1)
	v_lshl_add_u32 v32, v32, 1, v33
	ds_store_b16 v32, v4
	s_branch .LBB114_10
.LBB114_19:                             ;   in Loop: Header=BB114_6 Depth=1
	s_mov_b32 s84, -1
	s_mov_b32 s10, 0
.LBB114_20:                             ;   in Loop: Header=BB114_6 Depth=1
	s_and_b32 vcc_lo, exec_lo, s84
	s_cbranch_vccz .LBB114_31
.LBB114_21:                             ;   in Loop: Header=BB114_6 Depth=1
	v_mov_b32_e32 v1, 0
	s_and_saveexec_b32 s10, s4
	s_cbranch_execz .LBB114_23
; %bb.22:                               ;   in Loop: Header=BB114_6 Depth=1
	global_load_u16 v1, v[5:6], off
.LBB114_23:                             ;   in Loop: Header=BB114_6 Depth=1
	s_or_b32 exec_lo, exec_lo, s10
	s_and_saveexec_b32 s11, s4
	s_cbranch_execz .LBB114_28
; %bb.24:                               ;   in Loop: Header=BB114_6 Depth=1
	global_load_u16 v2, v9, s[26:27]
	v_mov_b32_e32 v32, v0
	s_mov_b32 s12, 0
	v_mov_b32_e32 v31, v19
	s_waitcnt vmcnt(0)
	v_add_nc_u32_e32 v3, v0, v2
	v_lshlrev_b32_e32 v4, 1, v2
	s_delay_alu instid0(VALU_DEP_2)
	v_mul_lo_u32 v8, s34, v3
	v_mul_lo_u32 v3, s34, v2
	s_set_inst_prefetch_distance 0x1
	s_branch .LBB114_26
	.p2align	6
.LBB114_25:                             ;   in Loop: Header=BB114_26 Depth=2
	s_or_b32 exec_lo, exec_lo, s13
	ds_store_b16 v31, v1
	v_add_nc_u32_e32 v31, v31, v4
	s_waitcnt vmcnt(0)
	v_dual_mov_b32 v1, v33 :: v_dual_add_nc_u32 v8, v8, v3
	s_and_b32 s10, exec_lo, vcc_lo
	s_delay_alu instid0(SALU_CYCLE_1) | instskip(NEXT) | instid1(SALU_CYCLE_1)
	s_or_b32 s12, s10, s12
	s_and_not1_b32 exec_lo, exec_lo, s12
	s_cbranch_execz .LBB114_28
.LBB114_26:                             ;   Parent Loop BB114_6 Depth=1
                                        ; =>  This Inner Loop Header: Depth=2
	v_dual_mov_b32 v33, 0 :: v_dual_add_nc_u32 v32, v32, v2
	s_mov_b32 s13, exec_lo
	s_delay_alu instid0(VALU_DEP_1)
	v_cmp_le_u32_e32 vcc_lo, s24, v32
	v_cmpx_gt_u32_e64 s24, v32
	s_cbranch_execz .LBB114_25
; %bb.27:                               ;   in Loop: Header=BB114_26 Depth=2
	v_lshlrev_b64 v[33:34], 1, v[8:9]
	s_delay_alu instid0(VALU_DEP_1) | instskip(NEXT) | instid1(VALU_DEP_1)
	v_add_co_u32 v33, s10, s31, v33
	v_add_co_ci_u32_e64 v34, s10, s33, v34, s10
	global_load_u16 v33, v[33:34], off
	s_branch .LBB114_25
.LBB114_28:                             ;   in Loop: Header=BB114_6 Depth=1
	s_set_inst_prefetch_distance 0x2
	s_or_b32 exec_lo, exec_lo, s11
	s_waitcnt vmcnt(0) lgkmcnt(0)
	s_barrier
	buffer_gl0_inv
	s_and_saveexec_b32 s10, s5
	s_cbranch_execz .LBB114_30
; %bb.29:                               ;   in Loop: Header=BB114_6 Depth=1
	v_mov_b32_e32 v1, s24
	ds_store_b32 v9, v1 offset:4096
.LBB114_30:                             ;   in Loop: Header=BB114_6 Depth=1
	s_or_b32 exec_lo, exec_lo, s10
	s_mov_b32 s10, -1
	s_waitcnt lgkmcnt(0)
	s_barrier
                                        ; implicit-def: $sgpr84
.LBB114_31:                             ;   in Loop: Header=BB114_6 Depth=1
	s_and_b32 vcc_lo, exec_lo, s10
	s_cbranch_vccz .LBB114_33
; %bb.32:                               ;   in Loop: Header=BB114_6 Depth=1
	buffer_gl0_inv
	ds_load_b32 v1, v9 offset:4096
	s_waitcnt lgkmcnt(0)
	v_readfirstlane_b32 s84, v1
.LBB114_33:                             ;   in Loop: Header=BB114_6 Depth=1
	s_delay_alu instid0(VALU_DEP_1)
	s_cmp_lt_i32 s84, 1
	s_cbranch_scc0 .LBB114_37
; %bb.34:                               ;   in Loop: Header=BB114_6 Depth=1
	v_dual_mov_b32 v1, 0 :: v_dual_mov_b32 v2, 0
	v_dual_mov_b32 v3, 0 :: v_dual_mov_b32 v4, 0
	s_mov_b32 s22, 0
	s_and_saveexec_b32 s21, s7
	s_cbranch_execnz .LBB114_38
; %bb.35:                               ;   in Loop: Header=BB114_6 Depth=1
	s_or_b32 exec_lo, exec_lo, s21
	v_mov_b32_e32 v32, 0
	s_and_saveexec_b32 s10, s8
	s_cbranch_execnz .LBB114_41
.LBB114_36:                             ;   in Loop: Header=BB114_6 Depth=1
	s_or_b32 exec_lo, exec_lo, s10
	s_and_saveexec_b32 s14, s8
	s_cbranch_execnz .LBB114_42
	s_branch .LBB114_47
.LBB114_37:                             ;   in Loop: Header=BB114_6 Depth=1
                                        ; implicit-def: $vgpr4
	s_cbranch_execnz .LBB114_48
	s_branch .LBB114_57
.LBB114_38:                             ;   in Loop: Header=BB114_6 Depth=1
	v_mov_b32_e32 v31, v16
	s_and_b32 s23, s77, 0xfe
	s_mov_b32 s85, 0
	s_mov_b32 s86, 0
	;; [unrolled: 1-line block ×5, first 2 shown]
.LBB114_39:                             ;   Parent Loop BB114_6 Depth=1
                                        ; =>  This Inner Loop Header: Depth=2
	v_add_nc_u32_e32 v8, s85, v22
	s_delay_alu instid0(VALU_DEP_1) | instskip(SKIP_1) | instid1(VALU_DEP_1)
	v_lshlrev_b64 v[1:2], 1, v[8:9]
	v_add_nc_u32_e32 v8, s85, v12
	v_lshlrev_b64 v[3:4], 1, v[8:9]
	s_delay_alu instid0(VALU_DEP_3) | instskip(SKIP_2) | instid1(VALU_DEP_4)
	v_add_co_u32 v1, vcc_lo, s31, v1
	v_add_nc_u32_e32 v8, s85, v13
	v_add_co_ci_u32_e32 v2, vcc_lo, s33, v2, vcc_lo
	v_add_co_u32 v3, vcc_lo, s31, v3
	s_delay_alu instid0(VALU_DEP_3)
	v_lshlrev_b64 v[32:33], 1, v[8:9]
	v_add_nc_u32_e32 v8, s85, v21
	v_add_co_ci_u32_e32 v4, vcc_lo, s33, v4, vcc_lo
	global_load_u16 v34, v[1:2], off
	s_add_i32 s85, s85, s68
	v_lshlrev_b64 v[1:2], 1, v[8:9]
	global_load_u16 v8, v[3:4], off
	v_add_co_u32 v3, vcc_lo, s31, v32
	v_add_co_ci_u32_e32 v4, vcc_lo, s33, v33, vcc_lo
	v_add_co_u32 v1, vcc_lo, s31, v1
	v_add_co_ci_u32_e32 v2, vcc_lo, s33, v2, vcc_lo
	s_clause 0x1
	global_load_u16 v3, v[3:4], off
	global_load_u16 v1, v[1:2], off
	s_waitcnt vmcnt(3)
	v_cmp_lt_i16_e64 s10, -1, v34
	v_and_b32_e32 v2, 0xffff, v34
	v_lshlrev_b32_e32 v32, 16, v34
	s_waitcnt vmcnt(2)
	v_and_b32_e32 v33, 0xffff, v8
	v_cndmask_b32_e64 v4, 0xffff, v26, s10
	v_cmp_lt_i16_e64 s10, -1, v8
	s_delay_alu instid0(VALU_DEP_2) | instskip(NEXT) | instid1(VALU_DEP_2)
	v_xor_b32_e32 v2, v4, v2
	v_cndmask_b32_e64 v34, 0xffff, v26, s10
	v_cmp_o_f32_e64 s10, v32, v32
	v_lshlrev_b32_e32 v4, 16, v8
	s_waitcnt vmcnt(1)
	v_cmp_lt_i16_e64 s11, -1, v3
	v_and_b32_e32 v32, 0xffff, v3
	v_xor_b32_e32 v8, v34, v33
	v_cndmask_b32_e64 v2, 0xffff, v2, s10
	v_cmp_o_f32_e64 s10, v4, v4
	v_cndmask_b32_e64 v33, 0xffff, v26, s11
	v_lshlrev_b32_e32 v3, 16, v3
	s_delay_alu instid0(VALU_DEP_4) | instskip(NEXT) | instid1(VALU_DEP_4)
	v_and_b32_e32 v34, v2, v27
	v_cndmask_b32_e64 v4, 0xffff, v8, s10
	s_waitcnt vmcnt(0)
	v_cmp_lt_i16_e64 s10, -1, v1
	v_xor_b32_e32 v8, v33, v32
	v_bfe_u32 v2, v2, s23, 2
	v_and_b32_e32 v32, 0xffff, v1
	v_lshlrev_b32_e32 v1, 16, v1
	v_cndmask_b32_e64 v33, 0xffff, v26, s10
	v_cmp_o_f32_e64 s10, v3, v3
	v_cmp_eq_u32_e64 s11, 0, v2
	v_cmp_eq_u32_e64 s12, 1, v2
	v_cmp_o_f32_e64 s15, v1, v1
	v_cmp_eq_u32_e64 s13, 2, v2
	v_cndmask_b32_e64 v3, 0xffff, v8, s10
	v_cmp_eq_u32_e64 s10, v34, v28
	v_xor_b32_e32 v8, v33, v32
	v_and_b32_e32 v32, v4, v27
	v_bfe_u32 v4, v4, s23, 2
	v_cmp_eq_u32_e64 s14, 3, v2
	v_and_b32_e32 v2, v3, v27
	v_bfe_u32 v3, v3, s23, 2
	s_and_b32 s11, s10, s11
	v_cndmask_b32_e64 v1, 0xffff, v8, s15
	v_cmp_eq_u32_e64 s15, v32, v28
	v_cmp_eq_u32_e64 s16, 0, v4
	v_cndmask_b32_e64 v8, 0, 1, s11
	v_cmp_eq_u32_e64 s11, 1, v4
	s_and_b32 s12, s10, s12
	s_and_b32 s13, s10, s13
	;; [unrolled: 1-line block ×3, first 2 shown]
	v_cndmask_b32_e64 v32, 0, 1, s12
	v_cmp_eq_u32_e64 s12, 2, v4
	v_cndmask_b32_e64 v33, 0, 1, s13
	v_cmp_eq_u32_e64 s13, 3, v4
	;; [unrolled: 2-line block ×3, first 2 shown]
	v_cmp_eq_u32_e64 s14, 0, v3
	v_and_b32_e32 v2, v1, v27
	v_bfe_u32 v1, v1, s23, 2
	s_and_b32 s16, s15, s16
	s_and_b32 s11, s15, s11
	v_cmp_ne_u32_e64 s17, 0, v8
	v_cndmask_b32_e64 v8, 0, 1, s16
	v_cmp_eq_u32_e64 s16, 1, v3
	v_cmp_ne_u32_e64 s18, 0, v32
	v_cndmask_b32_e64 v32, 0, 1, s11
	v_cmp_eq_u32_e64 s11, 2, v3
	s_and_b32 s12, s15, s12
	s_and_b32 s13, s15, s13
	;; [unrolled: 1-line block ×3, first 2 shown]
	v_cmp_ne_u32_e64 s19, 0, v33
	v_cndmask_b32_e64 v33, 0, 1, s12
	v_cmp_eq_u32_e64 s12, 3, v3
	v_cndmask_b32_e64 v3, 0, 1, s13
	v_cmp_eq_u32_e64 s13, v2, v28
	;; [unrolled: 2-line block ×3, first 2 shown]
	v_cmp_ne_u32_e64 s20, 0, v4
	v_cmp_eq_u32_e64 s15, 0, v1
	s_and_b32 s16, s10, s16
	s_and_b32 s11, s10, s11
	s_bcnt1_i32_b32 s90, s17
	v_cmp_ne_u32_e64 s17, 0, v8
	v_cndmask_b32_e64 v4, 0, 1, s16
	v_cmp_eq_u32_e64 s16, 2, v1
	v_cndmask_b32_e64 v8, 0, 1, s11
	v_cmp_eq_u32_e64 s11, 3, v1
	s_and_b32 s10, s10, s12
	s_and_b32 s14, s13, s14
	s_bcnt1_i32_b32 s93, s20
	v_cmp_ne_u32_e64 s20, 0, v3
	v_cndmask_b32_e64 v1, 0, 1, s10
	v_cndmask_b32_e64 v3, 0, 1, s14
	s_bcnt1_i32_b32 s91, s18
	v_cmp_ne_u32_e64 s18, 0, v32
	s_and_b32 s12, s13, s15
	v_cmp_ne_u32_e64 s10, 0, v2
	v_cndmask_b32_e64 v2, 0, 1, s12
	v_cmp_ne_u32_e64 s12, 0, v4
	s_and_b32 s15, s13, s16
	s_and_b32 s11, s13, s11
	v_cndmask_b32_e64 v4, 0, 1, s15
	v_cmp_ne_u32_e64 s15, 0, v1
	v_cndmask_b32_e64 v1, 0, 1, s11
	v_cmp_ne_u32_e64 s11, 0, v3
	s_bcnt1_i32_b32 s92, s19
	v_cmp_ne_u32_e64 s19, 0, v33
	s_add_i32 s88, s91, s88
	s_add_i32 s86, s93, s86
	s_bcnt1_i32_b32 s18, s18
	s_bcnt1_i32_b32 s16, s20
	v_cmp_ne_u32_e64 s14, 0, v8
	s_add_i32 s18, s88, s18
	s_add_i32 s16, s86, s16
	s_bcnt1_i32_b32 s86, s12
	s_bcnt1_i32_b32 s20, s10
	v_cmp_ne_u32_e64 s10, 0, v2
	v_cmp_ne_u32_e64 s12, 0, v4
	;; [unrolled: 1-line block ×3, first 2 shown]
	s_add_i32 s18, s18, s86
	s_bcnt1_i32_b32 s11, s11
	s_add_i32 s89, s90, s89
	s_add_i32 s87, s92, s87
	s_bcnt1_i32_b32 s17, s17
	s_bcnt1_i32_b32 s19, s19
	s_add_i32 s88, s18, s11
	s_delay_alu instid0(SALU_CYCLE_1)
	v_dual_mov_b32 v2, s88 :: v_dual_add_nc_u32 v31, s55, v31
	s_add_i32 s17, s89, s17
	s_add_i32 s19, s87, s19
	s_bcnt1_i32_b32 s14, s14
	s_bcnt1_i32_b32 s15, s15
	s_add_i32 s17, s17, s20
	s_add_i32 s14, s19, s14
	;; [unrolled: 1-line block ×3, first 2 shown]
	s_bcnt1_i32_b32 s10, s10
	s_bcnt1_i32_b32 s12, s12
	;; [unrolled: 1-line block ×3, first 2 shown]
	v_cmp_le_u32_e32 vcc_lo, s65, v31
	s_add_i32 s89, s17, s10
	s_add_i32 s87, s14, s12
	;; [unrolled: 1-line block ×3, first 2 shown]
	v_mov_b32_e32 v1, s89
	v_dual_mov_b32 v3, s87 :: v_dual_mov_b32 v4, s86
	s_or_b32 s22, vcc_lo, s22
	s_delay_alu instid0(SALU_CYCLE_1)
	s_and_not1_b32 exec_lo, exec_lo, s22
	s_cbranch_execnz .LBB114_39
; %bb.40:                               ;   in Loop: Header=BB114_6 Depth=1
	s_or_b32 exec_lo, exec_lo, s22
	s_delay_alu instid0(SALU_CYCLE_1)
	s_or_b32 exec_lo, exec_lo, s21
	v_mov_b32_e32 v32, 0
	s_and_saveexec_b32 s10, s8
	s_cbranch_execz .LBB114_36
.LBB114_41:                             ;   in Loop: Header=BB114_6 Depth=1
	global_load_u16 v32, v[10:11], off
	s_or_b32 exec_lo, exec_lo, s10
	s_and_saveexec_b32 s14, s8
	s_cbranch_execz .LBB114_47
.LBB114_42:                             ;   in Loop: Header=BB114_6 Depth=1
	v_dual_mov_b32 v8, v23 :: v_dual_mov_b32 v31, v18
	s_and_b32 s16, s77, 0xfe
	s_mov_b32 s15, 0
	s_branch .LBB114_44
.LBB114_43:                             ;   in Loop: Header=BB114_44 Depth=2
	s_or_b32 exec_lo, exec_lo, s11
	s_waitcnt vmcnt(0)
	v_cmp_lt_i16_e64 s10, -1, v32
	v_and_b32_e32 v34, 0xffff, v32
	v_lshlrev_b32_e32 v32, 16, v32
	s_and_b32 s11, exec_lo, vcc_lo
	v_add_nc_u32_e32 v8, s39, v8
	v_cndmask_b32_e64 v35, 0xffff, v26, s10
	s_or_b32 s15, s11, s15
	v_cmp_o_f32_e64 s10, v32, v32
	s_delay_alu instid0(VALU_DEP_2) | instskip(NEXT) | instid1(VALU_DEP_1)
	v_xor_b32_e32 v34, v35, v34
	v_cndmask_b32_e64 v32, 0xffff, v34, s10
	s_delay_alu instid0(VALU_DEP_1) | instskip(SKIP_1) | instid1(VALU_DEP_2)
	v_and_b32_e32 v34, v32, v27
	v_bfe_u32 v32, v32, s16, 2
	v_cmp_eq_u32_e32 vcc_lo, v34, v28
	s_delay_alu instid0(VALU_DEP_2) | instskip(SKIP_3) | instid1(VALU_DEP_4)
	v_cmp_eq_u32_e64 s10, 0, v32
	v_cmp_eq_u32_e64 s11, 1, v32
	;; [unrolled: 1-line block ×4, first 2 shown]
	s_and_b32 s10, vcc_lo, s10
	s_delay_alu instid0(SALU_CYCLE_1) | instskip(SKIP_1) | instid1(SALU_CYCLE_1)
	v_cndmask_b32_e64 v32, 0, 1, s10
	s_and_b32 s10, vcc_lo, s11
	v_cndmask_b32_e64 v34, 0, 1, s10
	s_and_b32 s10, vcc_lo, s12
	s_delay_alu instid0(SALU_CYCLE_1)
	v_cndmask_b32_e64 v35, 0, 1, s10
	s_and_b32 s10, vcc_lo, s13
	v_cmp_ne_u32_e32 vcc_lo, 0, v32
	v_cndmask_b32_e64 v36, 0, 1, s10
	v_cmp_ne_u32_e64 s10, 0, v34
	v_cmp_ne_u32_e64 s11, 0, v35
	v_mov_b32_e32 v32, v33
	s_bcnt1_i32_b32 s13, vcc_lo
	v_cmp_ne_u32_e64 s12, 0, v36
	s_bcnt1_i32_b32 s10, s10
	s_bcnt1_i32_b32 s11, s11
	v_add_nc_u32_e32 v1, s13, v1
	v_add_nc_u32_e32 v2, s10, v2
	s_bcnt1_i32_b32 s12, s12
	v_add_nc_u32_e32 v3, s11, v3
	v_add_nc_u32_e32 v4, s12, v4
	s_and_not1_b32 exec_lo, exec_lo, s15
	s_cbranch_execz .LBB114_46
.LBB114_44:                             ;   Parent Loop BB114_6 Depth=1
                                        ; =>  This Inner Loop Header: Depth=2
	s_delay_alu instid0(VALU_DEP_1) | instskip(SKIP_2) | instid1(VALU_DEP_2)
	v_add_nc_u32_e32 v31, s35, v31
	v_mov_b32_e32 v33, 0
	s_mov_b32 s11, exec_lo
	v_cmp_le_u32_e32 vcc_lo, s24, v31
	v_cmpx_gt_u32_e64 s24, v31
	s_cbranch_execz .LBB114_43
; %bb.45:                               ;   in Loop: Header=BB114_44 Depth=2
	v_lshlrev_b64 v[33:34], 1, v[8:9]
	s_delay_alu instid0(VALU_DEP_1) | instskip(NEXT) | instid1(VALU_DEP_1)
	v_add_co_u32 v33, s10, s31, v33
	v_add_co_ci_u32_e64 v34, s10, s33, v34, s10
	global_load_u16 v33, v[33:34], off
	s_branch .LBB114_43
.LBB114_46:                             ;   in Loop: Header=BB114_6 Depth=1
	s_or_b32 exec_lo, exec_lo, s15
.LBB114_47:                             ;   in Loop: Header=BB114_6 Depth=1
	s_delay_alu instid0(SALU_CYCLE_1)
	s_or_b32 exec_lo, exec_lo, s14
	s_branch .LBB114_57
.LBB114_48:                             ;   in Loop: Header=BB114_6 Depth=1
	s_mul_hi_u32 s10, s84, s64
	v_dual_mov_b32 v1, 0 :: v_dual_mov_b32 v2, 0
	s_mul_i32 s10, s10, s55
	v_dual_mov_b32 v3, 0 :: v_dual_mov_b32 v4, 0
	s_sub_i32 s10, s84, s10
	s_mov_b32 s87, 0
	s_sub_i32 s11, s10, s55
	s_cmp_ge_u32 s10, s55
	s_mov_b32 s86, exec_lo
	s_cselect_b32 s10, s11, s10
	s_delay_alu instid0(SALU_CYCLE_1) | instskip(SKIP_2) | instid1(SALU_CYCLE_1)
	s_sub_i32 s11, s10, s55
	s_cmp_ge_u32 s10, s55
	s_cselect_b32 s10, s11, s10
	s_sub_i32 s85, s84, s10
	s_delay_alu instid0(SALU_CYCLE_1)
	v_cmpx_gt_u32_e64 s85, v16
	s_cbranch_execz .LBB114_52
; %bb.49:                               ;   in Loop: Header=BB114_6 Depth=1
	v_mov_b32_e32 v8, v24
	v_mov_b32_e32 v31, v16
	s_and_b32 s88, s77, 0xfe
	s_mov_b32 s89, 0
	s_mov_b32 s90, 0
	;; [unrolled: 1-line block ×4, first 2 shown]
.LBB114_50:                             ;   Parent Loop BB114_6 Depth=1
                                        ; =>  This Inner Loop Header: Depth=2
	ds_load_b64 v[1:2], v8
	s_waitcnt lgkmcnt(0)
	v_cmp_lt_i16_e64 s10, -1, v1
	v_lshrrev_b32_e32 v4, 16, v2
	v_lshrrev_b32_e32 v3, 16, v1
	s_waitcnt vmcnt(0)
	v_and_b32_e32 v32, 0xffff, v1
	v_lshlrev_b32_e32 v34, 16, v1
	v_cndmask_b32_e64 v33, 0xffff, v26, s10
	v_cmp_lt_i16_e64 s10, -1, v2
	v_and_b32_e32 v35, 0xffff, v2
	v_cmp_lt_i16_e64 s11, -1, v4
	v_lshlrev_b32_e32 v37, 16, v2
	v_xor_b32_e32 v32, v33, v32
	v_cndmask_b32_e64 v36, 0xffff, v26, s10
	v_cmp_lt_i16_e64 s10, -1, v3
	v_and_b32_e32 v1, 0xffff0000, v1
	v_and_b32_e32 v2, 0xffff0000, v2
	s_delay_alu instid0(VALU_DEP_4) | instskip(SKIP_4) | instid1(VALU_DEP_4)
	v_xor_b32_e32 v35, v36, v35
	v_cndmask_b32_e64 v36, 0xffff, v26, s11
	v_cmp_o_f32_e64 s11, v34, v34
	v_cndmask_b32_e64 v33, 0xffff, v26, s10
	v_cmp_o_f32_e64 s10, v37, v37
	v_xor_b32_e32 v4, v36, v4
	s_delay_alu instid0(VALU_DEP_4) | instskip(NEXT) | instid1(VALU_DEP_4)
	v_cndmask_b32_e64 v32, 0xffff, v32, s11
	v_xor_b32_e32 v3, v33, v3
	s_delay_alu instid0(VALU_DEP_4) | instskip(SKIP_4) | instid1(VALU_DEP_3)
	v_cndmask_b32_e64 v33, 0xffff, v35, s10
	v_cmp_o_f32_e64 s10, v2, v2
	v_cmp_o_f32_e64 s11, v1, v1
	v_and_b32_e32 v2, v32, v27
	v_bfe_u32 v32, v32, s88, 2
	v_cndmask_b32_e64 v1, 0xffff, v3, s11
	v_cndmask_b32_e64 v3, 0xffff, v4, s10
	v_and_b32_e32 v4, v33, v27
	v_bfe_u32 v33, v33, s88, 2
	v_cmp_eq_u32_e64 s10, v2, v28
	v_cmp_eq_u32_e64 s12, 0, v32
	v_and_b32_e32 v2, v1, v27
	v_cmp_eq_u32_e64 s11, v4, v28
	v_cmp_eq_u32_e64 s13, 0, v33
	v_and_b32_e32 v4, v3, v27
	v_bfe_u32 v1, v1, s88, 2
	v_bfe_u32 v3, v3, s88, 2
	v_cmp_eq_u32_e64 s14, 1, v32
	v_cmp_eq_u32_e64 s16, 2, v32
	s_and_b32 s12, s10, s12
	v_cmp_eq_u32_e64 s15, 1, v33
	v_cmp_eq_u32_e64 s17, 2, v33
	v_cmp_eq_u32_e64 s18, 3, v32
	v_cmp_eq_u32_e64 s20, v2, v28
	v_cndmask_b32_e64 v2, 0, 1, s12
	s_and_b32 s12, s11, s13
	v_cmp_eq_u32_e64 s19, 3, v33
	v_cmp_eq_u32_e64 s21, v4, v28
	;; [unrolled: 1-line block ×4, first 2 shown]
	v_cndmask_b32_e64 v4, 0, 1, s12
	v_cmp_eq_u32_e64 s12, 1, v1
	s_and_b32 s14, s10, s14
	s_and_b32 s16, s10, s16
	v_cndmask_b32_e64 v32, 0, 1, s14
	s_and_b32 s14, s11, s15
	v_cndmask_b32_e64 v34, 0, 1, s16
	s_and_b32 s16, s11, s17
	s_and_b32 s10, s10, s18
	v_cmp_eq_u32_e64 s13, 1, v3
	v_cndmask_b32_e64 v33, 0, 1, s14
	v_cmp_eq_u32_e64 s14, 2, v1
	v_cmp_eq_u32_e64 s15, 2, v3
	v_cndmask_b32_e64 v35, 0, 1, s16
	v_cmp_eq_u32_e64 s16, 3, v1
	v_cmp_eq_u32_e64 s17, 3, v3
	v_cndmask_b32_e64 v1, 0, 1, s10
	s_and_b32 s10, s11, s19
	s_and_b32 s11, s20, s22
	;; [unrolled: 1-line block ×4, first 2 shown]
	v_cndmask_b32_e64 v3, 0, 1, s10
	v_cmp_ne_u32_e64 s10, 0, v2
	v_cndmask_b32_e64 v2, 0, 1, s11
	v_cmp_ne_u32_e64 s11, 0, v4
	;; [unrolled: 2-line block ×3, first 2 shown]
	v_cndmask_b32_e64 v32, 0, 1, s12
	s_and_b32 s13, s21, s13
	s_and_b32 s14, s20, s14
	;; [unrolled: 1-line block ×5, first 2 shown]
	v_cmp_ne_u32_e64 s12, 0, v33
	v_cndmask_b32_e64 v33, 0, 1, s13
	v_cmp_ne_u32_e64 s13, 0, v34
	v_cndmask_b32_e64 v34, 0, 1, s14
	;; [unrolled: 2-line block ×5, first 2 shown]
	v_cmp_ne_u32_e64 s17, 0, v32
	s_bcnt1_i32_b32 s18, s18
	s_bcnt1_i32_b32 s21, s12
	v_cmp_ne_u32_e64 s12, 0, v33
	s_bcnt1_i32_b32 s19, s10
	v_cmp_ne_u32_e64 s10, 0, v2
	;; [unrolled: 2-line block ×4, first 2 shown]
	s_add_i32 s18, s18, s91
	s_bcnt1_i32_b32 s17, s17
	s_bcnt1_i32_b32 s20, s11
	s_add_i32 s17, s18, s17
	v_cmp_ne_u32_e64 s11, 0, v4
	s_bcnt1_i32_b32 s23, s14
	v_cmp_ne_u32_e64 s14, 0, v35
	s_bcnt1_i32_b32 s94, s16
	;; [unrolled: 2-line block ×3, first 2 shown]
	s_add_i32 s17, s17, s21
	s_add_i32 s19, s19, s92
	;; [unrolled: 1-line block ×4, first 2 shown]
	s_bcnt1_i32_b32 s10, s10
	s_bcnt1_i32_b32 s13, s13
	;; [unrolled: 1-line block ×3, first 2 shown]
	s_add_i32 s91, s17, s12
	s_delay_alu instid0(SALU_CYCLE_1)
	v_dual_mov_b32 v2, s91 :: v_dual_add_nc_u32 v31, s55, v31
	s_add_i32 s10, s19, s10
	s_add_i32 s13, s22, s13
	;; [unrolled: 1-line block ×3, first 2 shown]
	s_bcnt1_i32_b32 s11, s11
	s_bcnt1_i32_b32 s14, s14
	;; [unrolled: 1-line block ×3, first 2 shown]
	s_add_i32 s10, s10, s20
	s_add_i32 s13, s13, s23
	;; [unrolled: 1-line block ×3, first 2 shown]
	v_cmp_le_u32_e32 vcc_lo, s85, v31
	s_add_i32 s92, s10, s11
	s_add_i32 s90, s13, s14
	;; [unrolled: 1-line block ×3, first 2 shown]
	v_dual_mov_b32 v1, s92 :: v_dual_add_nc_u32 v8, s69, v8
	v_dual_mov_b32 v3, s90 :: v_dual_mov_b32 v4, s89
	s_or_b32 s87, vcc_lo, s87
	s_delay_alu instid0(SALU_CYCLE_1)
	s_and_not1_b32 exec_lo, exec_lo, s87
	s_cbranch_execnz .LBB114_50
; %bb.51:                               ;   in Loop: Header=BB114_6 Depth=1
	s_or_b32 exec_lo, exec_lo, s87
.LBB114_52:                             ;   in Loop: Header=BB114_6 Depth=1
	s_delay_alu instid0(SALU_CYCLE_1) | instskip(SKIP_2) | instid1(VALU_DEP_1)
	s_or_b32 exec_lo, exec_lo, s86
	v_add_nc_u32_e32 v8, s85, v0
	s_mov_b32 s15, exec_lo
	v_cmpx_gt_u32_e64 s84, v8
	s_cbranch_execz .LBB114_56
; %bb.53:                               ;   in Loop: Header=BB114_6 Depth=1
	v_lshlrev_b32_e32 v31, 1, v8
	s_and_b32 s17, s77, 0xfe
	s_mov_b32 s16, 0
.LBB114_54:                             ;   Parent Loop BB114_6 Depth=1
                                        ; =>  This Inner Loop Header: Depth=2
	s_waitcnt vmcnt(0)
	ds_load_u16 v32, v31
	v_add_nc_u32_e32 v8, s35, v8
	v_add_nc_u32_e32 v31, s70, v31
	s_delay_alu instid0(VALU_DEP_2) | instskip(SKIP_4) | instid1(VALU_DEP_3)
	v_cmp_le_u32_e32 vcc_lo, s84, v8
	s_waitcnt lgkmcnt(0)
	v_cmp_lt_i16_e64 s10, -1, v32
	v_and_b32_e32 v33, 0xffff, v32
	v_lshlrev_b32_e32 v32, 16, v32
	v_cndmask_b32_e64 v34, 0xffff, v26, s10
	s_delay_alu instid0(VALU_DEP_2) | instskip(NEXT) | instid1(VALU_DEP_2)
	v_cmp_o_f32_e64 s10, v32, v32
	v_xor_b32_e32 v33, v34, v33
	s_delay_alu instid0(VALU_DEP_1) | instskip(NEXT) | instid1(VALU_DEP_1)
	v_cndmask_b32_e64 v32, 0xffff, v33, s10
	v_and_b32_e32 v33, v32, v27
	v_bfe_u32 v32, v32, s17, 2
	s_delay_alu instid0(VALU_DEP_2) | instskip(NEXT) | instid1(VALU_DEP_2)
	v_cmp_eq_u32_e64 s10, v33, v28
	v_cmp_eq_u32_e64 s11, 0, v32
	;; [unrolled: 1-line block ×5, first 2 shown]
	s_delay_alu instid0(VALU_DEP_4) | instskip(NEXT) | instid1(SALU_CYCLE_1)
	s_and_b32 s11, s10, s11
	v_cndmask_b32_e64 v32, 0, 1, s11
	s_and_b32 s11, s10, s12
	s_delay_alu instid0(SALU_CYCLE_1)
	v_cndmask_b32_e64 v33, 0, 1, s11
	s_and_b32 s11, s10, s13
	s_and_b32 s10, s10, s14
	v_cndmask_b32_e64 v34, 0, 1, s11
	v_cndmask_b32_e64 v35, 0, 1, s10
	v_cmp_ne_u32_e64 s10, 0, v32
	v_cmp_ne_u32_e64 s11, 0, v33
	s_delay_alu instid0(VALU_DEP_4) | instskip(NEXT) | instid1(VALU_DEP_4)
	v_cmp_ne_u32_e64 s12, 0, v34
	v_cmp_ne_u32_e64 s13, 0, v35
	s_delay_alu instid0(VALU_DEP_4) | instskip(NEXT) | instid1(VALU_DEP_3)
	s_bcnt1_i32_b32 s10, s10
	s_bcnt1_i32_b32 s11, s11
	v_add_nc_u32_e32 v1, s10, v1
	s_bcnt1_i32_b32 s12, s12
	s_bcnt1_i32_b32 s13, s13
	v_add_nc_u32_e32 v2, s11, v2
	v_add_nc_u32_e32 v3, s12, v3
	;; [unrolled: 1-line block ×3, first 2 shown]
	s_or_b32 s16, vcc_lo, s16
	s_delay_alu instid0(SALU_CYCLE_1)
	s_and_not1_b32 exec_lo, exec_lo, s16
	s_cbranch_execnz .LBB114_54
; %bb.55:                               ;   in Loop: Header=BB114_6 Depth=1
	s_or_b32 exec_lo, exec_lo, s16
.LBB114_56:                             ;   in Loop: Header=BB114_6 Depth=1
	s_delay_alu instid0(SALU_CYCLE_1)
	s_or_b32 exec_lo, exec_lo, s15
.LBB114_57:                             ;   in Loop: Header=BB114_6 Depth=1
	s_lshl_b32 s10, s73, 7
	s_and_saveexec_b32 s11, s2
	s_cbranch_execz .LBB114_59
; %bb.58:                               ;   in Loop: Header=BB114_6 Depth=1
	v_or_b32_e32 v8, s10, v17
	s_delay_alu instid0(VALU_DEP_1)
	v_lshlrev_b32_e32 v8, 2, v8
	ds_store_b128 v8, v[1:4] offset:3072
.LBB114_59:                             ;   in Loop: Header=BB114_6 Depth=1
	s_or_b32 exec_lo, exec_lo, s11
	s_waitcnt vmcnt(0) lgkmcnt(0)
	s_barrier
	buffer_gl0_inv
	s_and_saveexec_b32 s11, s56
	s_cbranch_execz .LBB114_69
; %bb.60:                               ;   in Loop: Header=BB114_6 Depth=1
	v_mov_b32_e32 v1, 0
	s_and_not1_b32 vcc_lo, exec_lo, s58
	s_cbranch_vccnz .LBB114_68
; %bb.61:                               ;   in Loop: Header=BB114_6 Depth=1
	v_mov_b32_e32 v1, 0
	s_and_not1_b32 vcc_lo, exec_lo, s61
	s_mov_b32 s12, 0
	s_cbranch_vccnz .LBB114_65
; %bb.62:                               ;   in Loop: Header=BB114_6 Depth=1
	v_lshl_add_u32 v2, s73, 9, v25
	v_mov_b32_e32 v1, 0
	.p2align	6
.LBB114_63:                             ;   Parent Loop BB114_6 Depth=1
                                        ; =>  This Inner Loop Header: Depth=2
	ds_load_2addr_b32 v[3:4], v2 offset1:4
	ds_load_2addr_b32 v[31:32], v2 offset0:8 offset1:12
	ds_load_2addr_b32 v[33:34], v2 offset0:16 offset1:20
	;; [unrolled: 1-line block ×3, first 2 shown]
	v_add_nc_u32_e32 v2, 0x80, v2
	s_add_i32 s12, s12, 8
	s_delay_alu instid0(SALU_CYCLE_1) | instskip(SKIP_3) | instid1(VALU_DEP_1)
	s_cmp_eq_u32 s62, s12
	s_waitcnt lgkmcnt(3)
	v_add3_u32 v1, v3, v1, v4
	s_waitcnt lgkmcnt(2)
	v_add3_u32 v1, v31, v1, v32
	s_waitcnt lgkmcnt(1)
	s_delay_alu instid0(VALU_DEP_1) | instskip(SKIP_1) | instid1(VALU_DEP_1)
	v_add3_u32 v1, v33, v1, v34
	s_waitcnt lgkmcnt(0)
	v_add3_u32 v1, v35, v1, v36
	s_cbranch_scc0 .LBB114_63
; %bb.64:                               ;   in Loop: Header=BB114_6 Depth=1
	s_mov_b32 s12, s62
.LBB114_65:                             ;   in Loop: Header=BB114_6 Depth=1
	s_and_not1_b32 vcc_lo, exec_lo, s63
	s_cbranch_vccnz .LBB114_68
; %bb.66:                               ;   in Loop: Header=BB114_6 Depth=1
	s_lshl_b32 s13, s73, 9
	s_lshl_b32 s12, s12, 4
	s_delay_alu instid0(SALU_CYCLE_1)
	v_add3_u32 v2, s13, s12, v25
	s_mov_b32 s12, s60
.LBB114_67:                             ;   Parent Loop BB114_6 Depth=1
                                        ; =>  This Inner Loop Header: Depth=2
	ds_load_b32 v3, v2
	v_add_nc_u32_e32 v2, 16, v2
	s_add_i32 s12, s12, -1
	s_delay_alu instid0(SALU_CYCLE_1)
	s_cmp_lg_u32 s12, 0
	s_waitcnt lgkmcnt(0)
	v_add_nc_u32_e32 v1, v3, v1
	s_cbranch_scc1 .LBB114_67
.LBB114_68:                             ;   in Loop: Header=BB114_6 Depth=1
	v_add_lshl_u32 v2, s10, v15, 2
	ds_store_b32 v2, v1 offset:3072
.LBB114_69:                             ;   in Loop: Header=BB114_6 Depth=1
	s_or_b32 exec_lo, exec_lo, s11
	s_lshl_b32 s10, s10, 2
	s_waitcnt lgkmcnt(0)
	v_mov_b32_e32 v1, s10
	s_barrier
	buffer_gl0_inv
	s_and_b32 s17, s77, 0xfe
	v_cmp_eq_u32_e64 s10, 1, v30
	ds_load_b128 v[1:4], v1 offset:3072
	s_lshl_b32 s13, 3, s17
	s_and_not1_b32 vcc_lo, exec_lo, s48
	s_not_b32 s14, s13
	s_waitcnt lgkmcnt(0)
	v_readfirstlane_b32 s12, v1
	v_readfirstlane_b32 s16, v2
	;; [unrolled: 1-line block ×4, first 2 shown]
	s_cbranch_vccnz .LBB114_82
; %bb.70:                               ;   in Loop: Header=BB114_6 Depth=1
	s_cmp_eq_u32 s12, 1
	v_dual_mov_b32 v1, v28 :: v_dual_mov_b32 v2, v27
	v_mov_b32_e32 v3, v29
	s_cselect_b32 s11, -1, 0
	s_mov_b32 s86, -1
	s_and_b32 s85, s11, s10
                                        ; implicit-def: $sgpr15
                                        ; implicit-def: $sgpr22
                                        ; implicit-def: $sgpr21
	s_delay_alu instid0(SALU_CYCLE_1)
	s_and_saveexec_b32 s20, s85
	s_cbranch_execz .LBB114_101
; %bb.71:                               ;   in Loop: Header=BB114_6 Depth=1
	ds_load_b32 v1, v9 offset:4096
	s_waitcnt lgkmcnt(0)
	s_barrier
	buffer_gl0_inv
	v_readfirstlane_b32 s15, v1
	s_and_saveexec_b32 s11, s6
	s_cbranch_execz .LBB114_73
; %bb.72:                               ;   in Loop: Header=BB114_6 Depth=1
	ds_store_b16 v20, v9
.LBB114_73:                             ;   in Loop: Header=BB114_6 Depth=1
	s_or_b32 exec_lo, exec_lo, s11
	v_and_b32_e32 v1, s14, v28
	v_or_b32_e32 v2, s13, v27
	s_cmp_eq_u32 s15, 0
	s_waitcnt lgkmcnt(0)
	s_barrier
	buffer_gl0_inv
	s_cbranch_scc1 .LBB114_87
; %bb.74:                               ;   in Loop: Header=BB114_6 Depth=1
	s_add_i32 s11, s15, s59
                                        ; implicit-def: $vgpr3
	s_delay_alu instid0(SALU_CYCLE_1) | instskip(NEXT) | instid1(SALU_CYCLE_1)
	s_mul_hi_u32 s21, s11, s66
	s_mul_i32 s21, s21, s35
	s_delay_alu instid0(SALU_CYCLE_1) | instskip(NEXT) | instid1(SALU_CYCLE_1)
	s_sub_i32 s21, s11, s21
	s_sub_i32 s22, s21, s35
	s_cmp_ge_u32 s21, s35
	s_cselect_b32 s21, s22, s21
	s_delay_alu instid0(SALU_CYCLE_1) | instskip(SKIP_2) | instid1(SALU_CYCLE_1)
	s_sub_i32 s22, s21, s35
	s_cmp_ge_u32 s21, s35
	s_cselect_b32 s21, s22, s21
	s_sub_i32 s22, s11, s21
	s_mov_b32 s11, 0
	s_mov_b32 s21, exec_lo
	v_cmpx_gt_u32_e64 s22, v0
	s_cbranch_execz .LBB114_89
; %bb.75:                               ;   in Loop: Header=BB114_6 Depth=1
	v_dual_mov_b32 v3, v19 :: v_dual_mov_b32 v4, v0
	s_mov_b32 s23, 0
                                        ; implicit-def: $sgpr84
	s_branch .LBB114_77
.LBB114_76:                             ;   in Loop: Header=BB114_77 Depth=2
	s_or_b32 exec_lo, exec_lo, s11
	s_waitcnt lgkmcnt(0)
	s_barrier
	buffer_gl0_inv
	ds_load_b32 v8, v9 offset:3072
	v_add_nc_u32_e32 v4, s35, v4
	v_add_nc_u32_e32 v3, s70, v3
	s_waitcnt lgkmcnt(0)
	s_barrier
	buffer_gl0_inv
	v_cmp_le_u32_e32 vcc_lo, s22, v4
	v_and_b32_e32 v31, 0x7fff, v8
	s_delay_alu instid0(VALU_DEP_1) | instskip(NEXT) | instid1(VALU_DEP_1)
	v_cmp_ne_u16_e64 s11, 0, v31
	s_or_b32 s86, vcc_lo, s11
	s_delay_alu instid0(SALU_CYCLE_1) | instskip(NEXT) | instid1(SALU_CYCLE_1)
	s_and_b32 s86, exec_lo, s86
	s_or_b32 s23, s86, s23
	s_and_not1_b32 s84, s84, exec_lo
	s_and_b32 s11, s11, exec_lo
	s_delay_alu instid0(SALU_CYCLE_1)
	s_or_b32 s84, s84, s11
	s_and_not1_b32 exec_lo, exec_lo, s23
	s_cbranch_execz .LBB114_88
.LBB114_77:                             ;   Parent Loop BB114_6 Depth=1
                                        ; =>  This Inner Loop Header: Depth=2
	s_delay_alu instid0(VALU_DEP_1)
	v_cmp_gt_u32_e32 vcc_lo, s15, v4
	v_mov_b32_e32 v8, 0
	s_and_saveexec_b32 s11, vcc_lo
	s_cbranch_execz .LBB114_79
; %bb.78:                               ;   in Loop: Header=BB114_77 Depth=2
	ds_load_u16 v8, v3
.LBB114_79:                             ;   in Loop: Header=BB114_77 Depth=2
	s_or_b32 exec_lo, exec_lo, s11
	s_and_saveexec_b32 s11, vcc_lo
	s_cbranch_execz .LBB114_76
; %bb.80:                               ;   in Loop: Header=BB114_77 Depth=2
	s_waitcnt lgkmcnt(0)
	v_cmp_lt_i16_e32 vcc_lo, -1, v8
	v_and_b32_e32 v31, 0xffff, v8
	v_dual_cndmask_b32 v32, 0xffff, v26 :: v_dual_lshlrev_b32 v33, 16, v8
	s_delay_alu instid0(VALU_DEP_1) | instskip(NEXT) | instid1(VALU_DEP_2)
	v_cmp_o_f32_e32 vcc_lo, v33, v33
	v_xor_b32_e32 v31, v32, v31
	s_delay_alu instid0(VALU_DEP_1) | instskip(NEXT) | instid1(VALU_DEP_1)
	v_cndmask_b32_e32 v31, 0xffff, v31, vcc_lo
	v_and_b32_e32 v31, v31, v2
	s_delay_alu instid0(VALU_DEP_1)
	v_cmp_eq_u32_e32 vcc_lo, v31, v1
	s_and_b32 exec_lo, exec_lo, vcc_lo
	s_cbranch_execz .LBB114_76
; %bb.81:                               ;   in Loop: Header=BB114_77 Depth=2
	v_perm_b32 v8, v8, s72, 0x5040100
	ds_store_b32 v9, v8 offset:3072
	s_branch .LBB114_76
.LBB114_82:                             ;   in Loop: Header=BB114_6 Depth=1
	s_mov_b32 s20, 0
	s_mov_b32 s11, 0
                                        ; implicit-def: $sgpr21
                                        ; implicit-def: $sgpr22
                                        ; implicit-def: $sgpr15
                                        ; implicit-def: $vgpr8
                                        ; implicit-def: $vgpr4
                                        ; implicit-def: $vgpr1
                                        ; implicit-def: $vgpr2
                                        ; implicit-def: $vgpr3
	s_cbranch_execnz .LBB114_237
.LBB114_83:                             ;   in Loop: Header=BB114_6 Depth=1
	s_mov_b32 s23, s15
	s_mov_b32 s84, s15
	s_and_saveexec_b32 s10, s20
	s_cbranch_execnz .LBB114_399
	s_branch .LBB114_400
.LBB114_84:                             ;   in Loop: Header=BB114_6 Depth=1
	s_or_b32 exec_lo, exec_lo, s12
	s_waitcnt lgkmcnt(0)
	s_barrier
	buffer_gl0_inv
	s_and_saveexec_b32 s10, s5
	s_cbranch_execz .LBB114_86
; %bb.85:                               ;   in Loop: Header=BB114_6 Depth=1
	ds_load_b32 v1, v9 offset:4104
	s_waitcnt lgkmcnt(0)
	ds_store_b32 v9, v1 offset:4096
.LBB114_86:                             ;   in Loop: Header=BB114_6 Depth=1
	s_or_b32 exec_lo, exec_lo, s10
	s_waitcnt lgkmcnt(0)
	s_mov_b32 s10, -1
	s_barrier
	s_and_b32 vcc_lo, exec_lo, s84
	s_cbranch_vccnz .LBB114_21
	s_branch .LBB114_31
.LBB114_87:                             ;   in Loop: Header=BB114_6 Depth=1
	s_mov_b32 s15, -1
	s_mov_b32 s11, 0
                                        ; implicit-def: $sgpr21
                                        ; implicit-def: $vgpr3
	s_mov_b32 s22, s15
	s_cbranch_execnz .LBB114_90
	s_branch .LBB114_100
.LBB114_88:                             ;   in Loop: Header=BB114_6 Depth=1
	s_or_b32 exec_lo, exec_lo, s23
	v_lshrrev_b32_e32 v3, 16, v8
	s_and_b32 s11, s84, exec_lo
.LBB114_89:                             ;   in Loop: Header=BB114_6 Depth=1
	s_or_b32 exec_lo, exec_lo, s21
	s_mov_b32 s21, -1
	s_mov_b32 s15, 0
	s_delay_alu instid0(SALU_CYCLE_1)
	s_mov_b32 s22, s15
	s_branch .LBB114_100
.LBB114_90:                             ;   in Loop: Header=BB114_6 Depth=1
	s_mov_b32 s11, 0
                                        ; implicit-def: $vgpr3
	s_and_saveexec_b32 s15, s9
	s_cbranch_execz .LBB114_99
; %bb.91:                               ;   in Loop: Header=BB114_6 Depth=1
	v_dual_mov_b32 v8, v7 :: v_dual_mov_b32 v3, v0
	s_mov_b32 s21, 0
                                        ; implicit-def: $sgpr22
	s_branch .LBB114_93
.LBB114_92:                             ;   in Loop: Header=BB114_93 Depth=2
	s_or_b32 exec_lo, exec_lo, s11
	s_waitcnt vmcnt(0) lgkmcnt(0)
	s_barrier
	buffer_gl0_inv
	ds_load_b32 v4, v9 offset:3072
	v_add_nc_u32_e32 v3, s35, v3
	v_add_nc_u32_e32 v8, s39, v8
	s_waitcnt lgkmcnt(0)
	s_barrier
	buffer_gl0_inv
	v_cmp_le_u32_e32 vcc_lo, s67, v3
	v_and_b32_e32 v31, 0x7fff, v4
	s_delay_alu instid0(VALU_DEP_1) | instskip(NEXT) | instid1(VALU_DEP_1)
	v_cmp_ne_u16_e64 s11, 0, v31
	s_or_b32 s23, vcc_lo, s11
	s_delay_alu instid0(SALU_CYCLE_1) | instskip(NEXT) | instid1(SALU_CYCLE_1)
	s_and_b32 s23, exec_lo, s23
	s_or_b32 s21, s23, s21
	s_and_not1_b32 s22, s22, exec_lo
	s_and_b32 s11, s11, exec_lo
	s_delay_alu instid0(SALU_CYCLE_1)
	s_or_b32 s22, s22, s11
	s_and_not1_b32 exec_lo, exec_lo, s21
	s_cbranch_execz .LBB114_98
.LBB114_93:                             ;   Parent Loop BB114_6 Depth=1
                                        ; =>  This Inner Loop Header: Depth=2
	s_delay_alu instid0(VALU_DEP_1)
	v_cmp_gt_u32_e32 vcc_lo, s24, v3
	v_mov_b32_e32 v4, 0
	s_and_saveexec_b32 s23, vcc_lo
	s_cbranch_execz .LBB114_95
; %bb.94:                               ;   in Loop: Header=BB114_93 Depth=2
	v_lshlrev_b64 v[31:32], 1, v[8:9]
	s_delay_alu instid0(VALU_DEP_1) | instskip(NEXT) | instid1(VALU_DEP_1)
	v_add_co_u32 v31, s11, s31, v31
	v_add_co_ci_u32_e64 v32, s11, s33, v32, s11
	global_load_u16 v4, v[31:32], off
.LBB114_95:                             ;   in Loop: Header=BB114_93 Depth=2
	s_or_b32 exec_lo, exec_lo, s23
	s_and_saveexec_b32 s11, vcc_lo
	s_cbranch_execz .LBB114_92
; %bb.96:                               ;   in Loop: Header=BB114_93 Depth=2
	s_waitcnt vmcnt(0)
	v_cmp_lt_i16_e32 vcc_lo, -1, v4
	v_and_b32_e32 v31, 0xffff, v4
	v_dual_cndmask_b32 v32, 0xffff, v26 :: v_dual_lshlrev_b32 v33, 16, v4
	s_delay_alu instid0(VALU_DEP_1) | instskip(NEXT) | instid1(VALU_DEP_2)
	v_cmp_o_f32_e32 vcc_lo, v33, v33
	v_xor_b32_e32 v31, v32, v31
	s_delay_alu instid0(VALU_DEP_1) | instskip(NEXT) | instid1(VALU_DEP_1)
	v_cndmask_b32_e32 v31, 0xffff, v31, vcc_lo
	v_and_b32_e32 v31, v31, v2
	s_delay_alu instid0(VALU_DEP_1)
	v_cmp_eq_u32_e32 vcc_lo, v31, v1
	s_and_b32 exec_lo, exec_lo, vcc_lo
	s_cbranch_execz .LBB114_92
; %bb.97:                               ;   in Loop: Header=BB114_93 Depth=2
	v_perm_b32 v4, v4, s72, 0x5040100
	ds_store_b32 v9, v4 offset:3072
	s_branch .LBB114_92
.LBB114_98:                             ;   in Loop: Header=BB114_6 Depth=1
	s_or_b32 exec_lo, exec_lo, s21
	v_lshrrev_b32_e32 v3, 16, v4
	s_and_b32 s11, s22, exec_lo
.LBB114_99:                             ;   in Loop: Header=BB114_6 Depth=1
	s_or_b32 exec_lo, exec_lo, s15
	s_mov_b32 s22, -1
	s_mov_b32 s15, 0
	s_mov_b32 s21, 0
.LBB114_100:                            ;   in Loop: Header=BB114_6 Depth=1
	s_or_not1_b32 s86, s11, exec_lo
.LBB114_101:                            ;   in Loop: Header=BB114_6 Depth=1
	s_or_b32 exec_lo, exec_lo, s20
	s_mov_b32 s23, 0
	s_mov_b32 s20, 0
	s_mov_b32 s11, 0
                                        ; implicit-def: $vgpr8
                                        ; implicit-def: $vgpr4
	s_and_saveexec_b32 s84, s86
	s_cbranch_execz .LBB114_236
; %bb.102:                              ;   in Loop: Header=BB114_6 Depth=1
	v_mov_b32_e32 v4, 1
	v_mov_b32_e32 v8, 1
	s_xor_b32 s85, s85, -1
	s_delay_alu instid0(SALU_CYCLE_1)
	s_and_saveexec_b32 s11, s85
	s_cbranch_execz .LBB114_112
; %bb.103:                              ;   in Loop: Header=BB114_6 Depth=1
	s_mov_b32 s85, exec_lo
                                        ; implicit-def: $sgpr86
                                        ; implicit-def: $sgpr20
	v_cmpx_ge_u32_e64 s12, v30
	s_xor_b32 s85, exec_lo, s85
	s_cbranch_execz .LBB114_109
; %bb.104:                              ;   in Loop: Header=BB114_6 Depth=1
	ds_load_b32 v4, v9 offset:4096
	s_waitcnt lgkmcnt(0)
	v_cmp_ne_u32_e32 vcc_lo, 0, v4
	s_cbranch_vccnz .LBB114_108
; %bb.105:                              ;   in Loop: Header=BB114_6 Depth=1
	s_and_saveexec_b32 s20, s5
	s_cbranch_execz .LBB114_107
; %bb.106:                              ;   in Loop: Header=BB114_6 Depth=1
	v_mov_b32_e32 v4, s12
	ds_store_b32 v9, v4 offset:4100
.LBB114_107:                            ;   in Loop: Header=BB114_6 Depth=1
	s_or_b32 exec_lo, exec_lo, s20
	s_waitcnt lgkmcnt(0)
	s_barrier
	buffer_gl0_inv
.LBB114_108:                            ;   in Loop: Header=BB114_6 Depth=1
	v_and_b32_e32 v1, s14, v1
	v_or_b32_e32 v2, s13, v2
	s_mov_b32 s20, 0
	s_mov_b32 s86, 8
.LBB114_109:                            ;   in Loop: Header=BB114_6 Depth=1
	s_or_saveexec_b32 s85, s85
	v_mov_b32_e32 v8, s86
	v_mov_b32_e32 v4, v30
	s_xor_b32 exec_lo, exec_lo, s85
; %bb.110:                              ;   in Loop: Header=BB114_6 Depth=1
	v_subrev_nc_u32_e32 v4, s12, v30
	v_mov_b32_e32 v8, 0
	s_or_b32 s20, s20, exec_lo
; %bb.111:                              ;   in Loop: Header=BB114_6 Depth=1
	s_or_b32 exec_lo, exec_lo, s85
	s_delay_alu instid0(SALU_CYCLE_1)
	s_and_b32 s20, s20, exec_lo
.LBB114_112:                            ;   in Loop: Header=BB114_6 Depth=1
	s_or_b32 exec_lo, exec_lo, s11
	s_mov_b32 s11, -1
                                        ; implicit-def: $sgpr85
                                        ; implicit-def: $sgpr87
                                        ; implicit-def: $sgpr88
	s_and_saveexec_b32 s86, s20
	s_delay_alu instid0(SALU_CYCLE_1)
	s_xor_b32 s20, exec_lo, s86
	s_cbranch_execz .LBB114_233
; %bb.113:                              ;   in Loop: Header=BB114_6 Depth=1
	v_cmp_eq_u32_e32 vcc_lo, 1, v4
	s_cmp_eq_u32 s16, 1
                                        ; implicit-def: $sgpr85
                                        ; implicit-def: $sgpr87
                                        ; implicit-def: $sgpr86
	s_cselect_b32 s11, -1, 0
	s_delay_alu instid0(SALU_CYCLE_1)
	s_and_b32 s89, s11, vcc_lo
	s_mov_b32 s11, -1
	s_and_saveexec_b32 s88, s89
	s_cbranch_execz .LBB114_139
; %bb.114:                              ;   in Loop: Header=BB114_6 Depth=1
	ds_load_b32 v3, v9 offset:4096
	s_waitcnt lgkmcnt(0)
	s_barrier
	buffer_gl0_inv
	v_readfirstlane_b32 s85, v3
	s_and_saveexec_b32 s11, s6
	s_cbranch_execz .LBB114_116
; %bb.115:                              ;   in Loop: Header=BB114_6 Depth=1
	ds_store_b16 v20, v9
.LBB114_116:                            ;   in Loop: Header=BB114_6 Depth=1
	s_or_b32 exec_lo, exec_lo, s11
	s_lshl_b32 s11, 1, s17
	v_or_b32_e32 v2, s13, v2
	v_and_or_b32 v1, v1, s14, s11
	s_cmp_eq_u32 s85, 0
	s_waitcnt lgkmcnt(0)
	s_barrier
	buffer_gl0_inv
	s_cbranch_scc1 .LBB114_125
; %bb.117:                              ;   in Loop: Header=BB114_6 Depth=1
	s_add_i32 s11, s85, s59
                                        ; implicit-def: $vgpr3
	s_delay_alu instid0(SALU_CYCLE_1) | instskip(NEXT) | instid1(SALU_CYCLE_1)
	s_mul_hi_u32 s86, s11, s66
	s_mul_i32 s86, s86, s35
	s_delay_alu instid0(SALU_CYCLE_1) | instskip(NEXT) | instid1(SALU_CYCLE_1)
	s_sub_i32 s86, s11, s86
	s_sub_i32 s87, s86, s35
	s_cmp_ge_u32 s86, s35
	s_cselect_b32 s86, s87, s86
	s_delay_alu instid0(SALU_CYCLE_1) | instskip(SKIP_2) | instid1(SALU_CYCLE_1)
	s_sub_i32 s87, s86, s35
	s_cmp_ge_u32 s86, s35
	s_cselect_b32 s86, s87, s86
	s_sub_i32 s87, s11, s86
	s_mov_b32 s11, 0
	s_mov_b32 s86, exec_lo
	v_cmpx_gt_u32_e64 s87, v0
	s_cbranch_execz .LBB114_127
; %bb.118:                              ;   in Loop: Header=BB114_6 Depth=1
	v_dual_mov_b32 v3, v19 :: v_dual_mov_b32 v8, v0
	s_mov_b32 s90, 0
                                        ; implicit-def: $sgpr91
	s_branch .LBB114_120
.LBB114_119:                            ;   in Loop: Header=BB114_120 Depth=2
	s_or_b32 exec_lo, exec_lo, s11
	s_waitcnt lgkmcnt(0)
	s_barrier
	buffer_gl0_inv
	ds_load_b32 v31, v9 offset:3072
	v_add_nc_u32_e32 v8, s35, v8
	v_add_nc_u32_e32 v3, s70, v3
	s_waitcnt lgkmcnt(0)
	s_barrier
	buffer_gl0_inv
	v_cmp_le_u32_e32 vcc_lo, s87, v8
	v_and_b32_e32 v32, 0x7fff, v31
	s_delay_alu instid0(VALU_DEP_1) | instskip(NEXT) | instid1(VALU_DEP_1)
	v_cmp_ne_u16_e64 s11, 0, v32
	s_or_b32 s92, vcc_lo, s11
	s_delay_alu instid0(SALU_CYCLE_1) | instskip(NEXT) | instid1(SALU_CYCLE_1)
	s_and_b32 s92, exec_lo, s92
	s_or_b32 s90, s92, s90
	s_and_not1_b32 s91, s91, exec_lo
	s_and_b32 s11, s11, exec_lo
	s_delay_alu instid0(SALU_CYCLE_1)
	s_or_b32 s91, s91, s11
	s_and_not1_b32 exec_lo, exec_lo, s90
	s_cbranch_execz .LBB114_126
.LBB114_120:                            ;   Parent Loop BB114_6 Depth=1
                                        ; =>  This Inner Loop Header: Depth=2
	s_delay_alu instid0(VALU_DEP_1)
	v_cmp_gt_u32_e32 vcc_lo, s85, v8
	v_mov_b32_e32 v31, 0
	s_and_saveexec_b32 s11, vcc_lo
	s_cbranch_execz .LBB114_122
; %bb.121:                              ;   in Loop: Header=BB114_120 Depth=2
	ds_load_u16 v31, v3
.LBB114_122:                            ;   in Loop: Header=BB114_120 Depth=2
	s_or_b32 exec_lo, exec_lo, s11
	s_and_saveexec_b32 s11, vcc_lo
	s_cbranch_execz .LBB114_119
; %bb.123:                              ;   in Loop: Header=BB114_120 Depth=2
	s_waitcnt lgkmcnt(0)
	v_cmp_lt_i16_e32 vcc_lo, -1, v31
	v_and_b32_e32 v32, 0xffff, v31
	v_dual_cndmask_b32 v33, 0xffff, v26 :: v_dual_lshlrev_b32 v34, 16, v31
	s_delay_alu instid0(VALU_DEP_1) | instskip(NEXT) | instid1(VALU_DEP_2)
	v_cmp_o_f32_e32 vcc_lo, v34, v34
	v_xor_b32_e32 v32, v33, v32
	s_delay_alu instid0(VALU_DEP_1) | instskip(NEXT) | instid1(VALU_DEP_1)
	v_cndmask_b32_e32 v32, 0xffff, v32, vcc_lo
	v_and_b32_e32 v32, v32, v2
	s_delay_alu instid0(VALU_DEP_1)
	v_cmp_eq_u32_e32 vcc_lo, v32, v1
	s_and_b32 exec_lo, exec_lo, vcc_lo
	s_cbranch_execz .LBB114_119
; %bb.124:                              ;   in Loop: Header=BB114_120 Depth=2
	v_perm_b32 v31, v31, s72, 0x5040100
	ds_store_b32 v9, v31 offset:3072
	s_branch .LBB114_119
.LBB114_125:                            ;   in Loop: Header=BB114_6 Depth=1
	s_mov_b32 s85, -1
	s_mov_b32 s11, 0
                                        ; implicit-def: $sgpr86
                                        ; implicit-def: $vgpr3
	s_mov_b32 s87, s85
	s_cbranch_execnz .LBB114_128
	s_branch .LBB114_138
.LBB114_126:                            ;   in Loop: Header=BB114_6 Depth=1
	s_or_b32 exec_lo, exec_lo, s90
	v_lshrrev_b32_e32 v3, 16, v31
	s_and_b32 s11, s91, exec_lo
.LBB114_127:                            ;   in Loop: Header=BB114_6 Depth=1
	s_or_b32 exec_lo, exec_lo, s86
	s_mov_b32 s86, -1
	s_mov_b32 s85, 0
	s_delay_alu instid0(SALU_CYCLE_1)
	s_mov_b32 s87, s85
	s_branch .LBB114_138
.LBB114_128:                            ;   in Loop: Header=BB114_6 Depth=1
	s_mov_b32 s11, 0
                                        ; implicit-def: $vgpr3
	s_and_saveexec_b32 s85, s9
	s_cbranch_execz .LBB114_137
; %bb.129:                              ;   in Loop: Header=BB114_6 Depth=1
	v_dual_mov_b32 v8, v7 :: v_dual_mov_b32 v3, v0
	s_mov_b32 s86, 0
                                        ; implicit-def: $sgpr87
	s_branch .LBB114_131
.LBB114_130:                            ;   in Loop: Header=BB114_131 Depth=2
	s_or_b32 exec_lo, exec_lo, s11
	s_waitcnt vmcnt(0) lgkmcnt(0)
	s_barrier
	buffer_gl0_inv
	ds_load_b32 v31, v9 offset:3072
	v_add_nc_u32_e32 v3, s35, v3
	v_add_nc_u32_e32 v8, s39, v8
	s_waitcnt lgkmcnt(0)
	s_barrier
	buffer_gl0_inv
	v_cmp_le_u32_e32 vcc_lo, s67, v3
	v_and_b32_e32 v32, 0x7fff, v31
	s_delay_alu instid0(VALU_DEP_1) | instskip(NEXT) | instid1(VALU_DEP_1)
	v_cmp_ne_u16_e64 s11, 0, v32
	s_or_b32 s90, vcc_lo, s11
	s_delay_alu instid0(SALU_CYCLE_1) | instskip(NEXT) | instid1(SALU_CYCLE_1)
	s_and_b32 s90, exec_lo, s90
	s_or_b32 s86, s90, s86
	s_and_not1_b32 s87, s87, exec_lo
	s_and_b32 s11, s11, exec_lo
	s_delay_alu instid0(SALU_CYCLE_1)
	s_or_b32 s87, s87, s11
	s_and_not1_b32 exec_lo, exec_lo, s86
	s_cbranch_execz .LBB114_136
.LBB114_131:                            ;   Parent Loop BB114_6 Depth=1
                                        ; =>  This Inner Loop Header: Depth=2
	s_delay_alu instid0(VALU_DEP_1)
	v_cmp_gt_u32_e32 vcc_lo, s24, v3
	v_mov_b32_e32 v31, 0
	s_and_saveexec_b32 s90, vcc_lo
	s_cbranch_execz .LBB114_133
; %bb.132:                              ;   in Loop: Header=BB114_131 Depth=2
	v_lshlrev_b64 v[31:32], 1, v[8:9]
	s_delay_alu instid0(VALU_DEP_1) | instskip(NEXT) | instid1(VALU_DEP_1)
	v_add_co_u32 v31, s11, s31, v31
	v_add_co_ci_u32_e64 v32, s11, s33, v32, s11
	global_load_u16 v31, v[31:32], off
.LBB114_133:                            ;   in Loop: Header=BB114_131 Depth=2
	s_or_b32 exec_lo, exec_lo, s90
	s_and_saveexec_b32 s11, vcc_lo
	s_cbranch_execz .LBB114_130
; %bb.134:                              ;   in Loop: Header=BB114_131 Depth=2
	s_waitcnt vmcnt(0)
	v_cmp_lt_i16_e32 vcc_lo, -1, v31
	v_and_b32_e32 v32, 0xffff, v31
	v_dual_cndmask_b32 v33, 0xffff, v26 :: v_dual_lshlrev_b32 v34, 16, v31
	s_delay_alu instid0(VALU_DEP_1) | instskip(NEXT) | instid1(VALU_DEP_2)
	v_cmp_o_f32_e32 vcc_lo, v34, v34
	v_xor_b32_e32 v32, v33, v32
	s_delay_alu instid0(VALU_DEP_1) | instskip(NEXT) | instid1(VALU_DEP_1)
	v_cndmask_b32_e32 v32, 0xffff, v32, vcc_lo
	v_and_b32_e32 v32, v32, v2
	s_delay_alu instid0(VALU_DEP_1)
	v_cmp_eq_u32_e32 vcc_lo, v32, v1
	s_and_b32 exec_lo, exec_lo, vcc_lo
	s_cbranch_execz .LBB114_130
; %bb.135:                              ;   in Loop: Header=BB114_131 Depth=2
	v_perm_b32 v31, v31, s72, 0x5040100
	ds_store_b32 v9, v31 offset:3072
	s_branch .LBB114_130
.LBB114_136:                            ;   in Loop: Header=BB114_6 Depth=1
	s_or_b32 exec_lo, exec_lo, s86
	v_lshrrev_b32_e32 v3, 16, v31
	s_and_b32 s11, s87, exec_lo
.LBB114_137:                            ;   in Loop: Header=BB114_6 Depth=1
	s_or_b32 exec_lo, exec_lo, s85
	s_mov_b32 s87, -1
	s_mov_b32 s85, 0
	s_mov_b32 s86, 0
.LBB114_138:                            ;   in Loop: Header=BB114_6 Depth=1
	s_or_not1_b32 s11, s11, exec_lo
.LBB114_139:                            ;   in Loop: Header=BB114_6 Depth=1
	s_or_b32 exec_lo, exec_lo, s88
	s_mov_b32 s90, 0
                                        ; implicit-def: $vgpr8
	s_and_saveexec_b32 s88, s11
	s_cbranch_execz .LBB114_232
; %bb.140:                              ;   in Loop: Header=BB114_6 Depth=1
	v_dual_mov_b32 v31, 1 :: v_dual_mov_b32 v8, 1
	s_xor_b32 s89, s89, -1
	s_mov_b32 s91, 0
	s_and_saveexec_b32 s11, s89
	s_cbranch_execz .LBB114_150
; %bb.141:                              ;   in Loop: Header=BB114_6 Depth=1
	s_mov_b32 s90, exec_lo
                                        ; implicit-def: $sgpr91
                                        ; implicit-def: $sgpr89
	v_cmpx_ge_u32_e64 s16, v4
	s_xor_b32 s90, exec_lo, s90
	s_cbranch_execz .LBB114_147
; %bb.142:                              ;   in Loop: Header=BB114_6 Depth=1
	ds_load_b32 v8, v9 offset:4096
	s_waitcnt lgkmcnt(0)
	v_cmp_ne_u32_e32 vcc_lo, 0, v8
	s_cbranch_vccnz .LBB114_146
; %bb.143:                              ;   in Loop: Header=BB114_6 Depth=1
	s_and_saveexec_b32 s89, s5
	s_cbranch_execz .LBB114_145
; %bb.144:                              ;   in Loop: Header=BB114_6 Depth=1
	v_mov_b32_e32 v8, s16
	ds_store_b32 v9, v8 offset:4100
.LBB114_145:                            ;   in Loop: Header=BB114_6 Depth=1
	s_or_b32 exec_lo, exec_lo, s89
	s_waitcnt lgkmcnt(0)
	s_barrier
	buffer_gl0_inv
.LBB114_146:                            ;   in Loop: Header=BB114_6 Depth=1
	s_lshl_b32 s89, 1, s17
	v_or_b32_e32 v2, s13, v2
	v_and_or_b32 v1, v1, s14, s89
	s_mov_b32 s89, 0
	s_mov_b32 s91, 8
.LBB114_147:                            ;   in Loop: Header=BB114_6 Depth=1
	s_or_saveexec_b32 s90, s90
	v_mov_b32_e32 v8, s91
	s_xor_b32 exec_lo, exec_lo, s90
; %bb.148:                              ;   in Loop: Header=BB114_6 Depth=1
	v_subrev_nc_u32_e32 v4, s16, v4
	v_mov_b32_e32 v8, 0
	s_or_b32 s89, s89, exec_lo
; %bb.149:                              ;   in Loop: Header=BB114_6 Depth=1
	s_or_b32 exec_lo, exec_lo, s90
	s_delay_alu instid0(VALU_DEP_2)
	v_mov_b32_e32 v31, v4
	s_and_b32 s91, s89, exec_lo
.LBB114_150:                            ;   in Loop: Header=BB114_6 Depth=1
	s_or_b32 exec_lo, exec_lo, s11
	s_mov_b32 s11, -1
                                        ; implicit-def: $sgpr90
                                        ; implicit-def: $sgpr92
                                        ; implicit-def: $sgpr93
	s_and_saveexec_b32 s89, s91
	s_cbranch_execz .LBB114_231
; %bb.151:                              ;   in Loop: Header=BB114_6 Depth=1
	v_cmp_eq_u32_e32 vcc_lo, 1, v31
	s_cmp_eq_u32 s18, 1
                                        ; implicit-def: $sgpr90
                                        ; implicit-def: $sgpr92
                                        ; implicit-def: $sgpr91
	s_cselect_b32 s11, -1, 0
	s_delay_alu instid0(SALU_CYCLE_1)
	s_and_b32 s94, s11, vcc_lo
	s_mov_b32 s11, -1
	s_and_saveexec_b32 s93, s94
	s_cbranch_execz .LBB114_177
; %bb.152:                              ;   in Loop: Header=BB114_6 Depth=1
	ds_load_b32 v3, v9 offset:4096
	s_waitcnt lgkmcnt(0)
	s_barrier
	buffer_gl0_inv
	v_readfirstlane_b32 s90, v3
	s_and_saveexec_b32 s11, s6
	s_cbranch_execz .LBB114_154
; %bb.153:                              ;   in Loop: Header=BB114_6 Depth=1
	ds_store_b16 v20, v9
.LBB114_154:                            ;   in Loop: Header=BB114_6 Depth=1
	s_or_b32 exec_lo, exec_lo, s11
	s_lshl_b32 s11, 2, s17
	v_or_b32_e32 v2, s13, v2
	v_and_or_b32 v1, v1, s14, s11
	s_cmp_eq_u32 s90, 0
	s_waitcnt lgkmcnt(0)
	s_barrier
	buffer_gl0_inv
	s_cbranch_scc1 .LBB114_163
; %bb.155:                              ;   in Loop: Header=BB114_6 Depth=1
	s_add_i32 s11, s90, s59
                                        ; implicit-def: $vgpr3
	s_delay_alu instid0(SALU_CYCLE_1) | instskip(NEXT) | instid1(SALU_CYCLE_1)
	s_mul_hi_u32 s91, s11, s66
	s_mul_i32 s91, s91, s35
	s_delay_alu instid0(SALU_CYCLE_1) | instskip(NEXT) | instid1(SALU_CYCLE_1)
	s_sub_i32 s91, s11, s91
	s_sub_i32 s92, s91, s35
	s_cmp_ge_u32 s91, s35
	s_cselect_b32 s91, s92, s91
	s_delay_alu instid0(SALU_CYCLE_1) | instskip(SKIP_2) | instid1(SALU_CYCLE_1)
	s_sub_i32 s92, s91, s35
	s_cmp_ge_u32 s91, s35
	s_cselect_b32 s91, s92, s91
	s_sub_i32 s92, s11, s91
	s_mov_b32 s11, 0
	s_mov_b32 s91, exec_lo
	v_cmpx_gt_u32_e64 s92, v0
	s_cbranch_execz .LBB114_165
; %bb.156:                              ;   in Loop: Header=BB114_6 Depth=1
	v_dual_mov_b32 v3, v19 :: v_dual_mov_b32 v4, v0
	s_mov_b32 s95, 0
                                        ; implicit-def: $sgpr96
	s_branch .LBB114_158
.LBB114_157:                            ;   in Loop: Header=BB114_158 Depth=2
	s_or_b32 exec_lo, exec_lo, s11
	s_waitcnt lgkmcnt(0)
	s_barrier
	buffer_gl0_inv
	ds_load_b32 v8, v9 offset:3072
	v_add_nc_u32_e32 v4, s35, v4
	v_add_nc_u32_e32 v3, s70, v3
	s_waitcnt lgkmcnt(0)
	s_barrier
	buffer_gl0_inv
	v_cmp_le_u32_e32 vcc_lo, s92, v4
	v_and_b32_e32 v32, 0x7fff, v8
	s_delay_alu instid0(VALU_DEP_1) | instskip(NEXT) | instid1(VALU_DEP_1)
	v_cmp_ne_u16_e64 s11, 0, v32
	s_or_b32 s97, vcc_lo, s11
	s_delay_alu instid0(SALU_CYCLE_1) | instskip(NEXT) | instid1(SALU_CYCLE_1)
	s_and_b32 s97, exec_lo, s97
	s_or_b32 s95, s97, s95
	s_and_not1_b32 s96, s96, exec_lo
	s_and_b32 s11, s11, exec_lo
	s_delay_alu instid0(SALU_CYCLE_1)
	s_or_b32 s96, s96, s11
	s_and_not1_b32 exec_lo, exec_lo, s95
	s_cbranch_execz .LBB114_164
.LBB114_158:                            ;   Parent Loop BB114_6 Depth=1
                                        ; =>  This Inner Loop Header: Depth=2
	s_delay_alu instid0(VALU_DEP_1)
	v_cmp_gt_u32_e32 vcc_lo, s90, v4
	v_mov_b32_e32 v8, 0
	s_and_saveexec_b32 s11, vcc_lo
	s_cbranch_execz .LBB114_160
; %bb.159:                              ;   in Loop: Header=BB114_158 Depth=2
	ds_load_u16 v8, v3
.LBB114_160:                            ;   in Loop: Header=BB114_158 Depth=2
	s_or_b32 exec_lo, exec_lo, s11
	s_and_saveexec_b32 s11, vcc_lo
	s_cbranch_execz .LBB114_157
; %bb.161:                              ;   in Loop: Header=BB114_158 Depth=2
	s_waitcnt lgkmcnt(0)
	v_cmp_lt_i16_e32 vcc_lo, -1, v8
	v_and_b32_e32 v32, 0xffff, v8
	v_dual_cndmask_b32 v33, 0xffff, v26 :: v_dual_lshlrev_b32 v34, 16, v8
	s_delay_alu instid0(VALU_DEP_1) | instskip(NEXT) | instid1(VALU_DEP_2)
	v_cmp_o_f32_e32 vcc_lo, v34, v34
	v_xor_b32_e32 v32, v33, v32
	s_delay_alu instid0(VALU_DEP_1) | instskip(NEXT) | instid1(VALU_DEP_1)
	v_cndmask_b32_e32 v32, 0xffff, v32, vcc_lo
	v_and_b32_e32 v32, v32, v2
	s_delay_alu instid0(VALU_DEP_1)
	v_cmp_eq_u32_e32 vcc_lo, v32, v1
	s_and_b32 exec_lo, exec_lo, vcc_lo
	s_cbranch_execz .LBB114_157
; %bb.162:                              ;   in Loop: Header=BB114_158 Depth=2
	v_perm_b32 v8, v8, s72, 0x5040100
	ds_store_b32 v9, v8 offset:3072
	s_branch .LBB114_157
.LBB114_163:                            ;   in Loop: Header=BB114_6 Depth=1
	s_mov_b32 s90, -1
	s_mov_b32 s11, 0
                                        ; implicit-def: $sgpr91
                                        ; implicit-def: $vgpr3
	s_mov_b32 s92, s90
	s_cbranch_execnz .LBB114_166
	s_branch .LBB114_176
.LBB114_164:                            ;   in Loop: Header=BB114_6 Depth=1
	s_or_b32 exec_lo, exec_lo, s95
	v_lshrrev_b32_e32 v3, 16, v8
	s_and_b32 s11, s96, exec_lo
.LBB114_165:                            ;   in Loop: Header=BB114_6 Depth=1
	s_or_b32 exec_lo, exec_lo, s91
	s_mov_b32 s91, -1
	s_mov_b32 s90, 0
	s_delay_alu instid0(SALU_CYCLE_1)
	s_mov_b32 s92, s90
	s_branch .LBB114_176
.LBB114_166:                            ;   in Loop: Header=BB114_6 Depth=1
	s_mov_b32 s11, 0
                                        ; implicit-def: $vgpr3
	s_and_saveexec_b32 s90, s9
	s_cbranch_execz .LBB114_175
; %bb.167:                              ;   in Loop: Header=BB114_6 Depth=1
	v_dual_mov_b32 v8, v7 :: v_dual_mov_b32 v3, v0
	s_mov_b32 s91, 0
                                        ; implicit-def: $sgpr92
	s_branch .LBB114_169
.LBB114_168:                            ;   in Loop: Header=BB114_169 Depth=2
	s_or_b32 exec_lo, exec_lo, s11
	s_waitcnt vmcnt(0) lgkmcnt(0)
	s_barrier
	buffer_gl0_inv
	ds_load_b32 v4, v9 offset:3072
	v_add_nc_u32_e32 v3, s35, v3
	v_add_nc_u32_e32 v8, s39, v8
	s_waitcnt lgkmcnt(0)
	s_barrier
	buffer_gl0_inv
	v_cmp_le_u32_e32 vcc_lo, s67, v3
	v_and_b32_e32 v32, 0x7fff, v4
	s_delay_alu instid0(VALU_DEP_1) | instskip(NEXT) | instid1(VALU_DEP_1)
	v_cmp_ne_u16_e64 s11, 0, v32
	s_or_b32 s95, vcc_lo, s11
	s_delay_alu instid0(SALU_CYCLE_1) | instskip(NEXT) | instid1(SALU_CYCLE_1)
	s_and_b32 s95, exec_lo, s95
	s_or_b32 s91, s95, s91
	s_and_not1_b32 s92, s92, exec_lo
	s_and_b32 s11, s11, exec_lo
	s_delay_alu instid0(SALU_CYCLE_1)
	s_or_b32 s92, s92, s11
	s_and_not1_b32 exec_lo, exec_lo, s91
	s_cbranch_execz .LBB114_174
.LBB114_169:                            ;   Parent Loop BB114_6 Depth=1
                                        ; =>  This Inner Loop Header: Depth=2
	s_delay_alu instid0(VALU_DEP_1)
	v_cmp_gt_u32_e32 vcc_lo, s24, v3
	v_mov_b32_e32 v4, 0
	s_and_saveexec_b32 s95, vcc_lo
	s_cbranch_execz .LBB114_171
; %bb.170:                              ;   in Loop: Header=BB114_169 Depth=2
	v_lshlrev_b64 v[32:33], 1, v[8:9]
	s_delay_alu instid0(VALU_DEP_1) | instskip(NEXT) | instid1(VALU_DEP_1)
	v_add_co_u32 v32, s11, s31, v32
	v_add_co_ci_u32_e64 v33, s11, s33, v33, s11
	global_load_u16 v4, v[32:33], off
.LBB114_171:                            ;   in Loop: Header=BB114_169 Depth=2
	s_or_b32 exec_lo, exec_lo, s95
	s_and_saveexec_b32 s11, vcc_lo
	s_cbranch_execz .LBB114_168
; %bb.172:                              ;   in Loop: Header=BB114_169 Depth=2
	s_waitcnt vmcnt(0)
	v_cmp_lt_i16_e32 vcc_lo, -1, v4
	v_and_b32_e32 v32, 0xffff, v4
	v_dual_cndmask_b32 v33, 0xffff, v26 :: v_dual_lshlrev_b32 v34, 16, v4
	s_delay_alu instid0(VALU_DEP_1) | instskip(NEXT) | instid1(VALU_DEP_2)
	v_cmp_o_f32_e32 vcc_lo, v34, v34
	v_xor_b32_e32 v32, v33, v32
	s_delay_alu instid0(VALU_DEP_1) | instskip(NEXT) | instid1(VALU_DEP_1)
	v_cndmask_b32_e32 v32, 0xffff, v32, vcc_lo
	v_and_b32_e32 v32, v32, v2
	s_delay_alu instid0(VALU_DEP_1)
	v_cmp_eq_u32_e32 vcc_lo, v32, v1
	s_and_b32 exec_lo, exec_lo, vcc_lo
	s_cbranch_execz .LBB114_168
; %bb.173:                              ;   in Loop: Header=BB114_169 Depth=2
	v_perm_b32 v4, v4, s72, 0x5040100
	ds_store_b32 v9, v4 offset:3072
	s_branch .LBB114_168
.LBB114_174:                            ;   in Loop: Header=BB114_6 Depth=1
	s_or_b32 exec_lo, exec_lo, s91
	v_lshrrev_b32_e32 v3, 16, v4
	s_and_b32 s11, s92, exec_lo
.LBB114_175:                            ;   in Loop: Header=BB114_6 Depth=1
	s_or_b32 exec_lo, exec_lo, s90
	s_mov_b32 s92, -1
	s_mov_b32 s90, 0
	s_mov_b32 s91, 0
.LBB114_176:                            ;   in Loop: Header=BB114_6 Depth=1
	s_or_not1_b32 s11, s11, exec_lo
.LBB114_177:                            ;   in Loop: Header=BB114_6 Depth=1
	s_or_b32 exec_lo, exec_lo, s93
	s_mov_b32 s95, 0
                                        ; implicit-def: $vgpr8
	s_and_saveexec_b32 s93, s11
	s_cbranch_execz .LBB114_230
; %bb.178:                              ;   in Loop: Header=BB114_6 Depth=1
	v_mov_b32_e32 v4, 1
	v_mov_b32_e32 v8, 1
	s_xor_b32 s94, s94, -1
	s_mov_b32 s96, 0
	s_and_saveexec_b32 s11, s94
	s_cbranch_execz .LBB114_188
; %bb.179:                              ;   in Loop: Header=BB114_6 Depth=1
	s_mov_b32 s95, exec_lo
                                        ; implicit-def: $sgpr96
                                        ; implicit-def: $sgpr94
	v_cmpx_ge_u32_e64 s18, v31
	s_xor_b32 s95, exec_lo, s95
	s_cbranch_execz .LBB114_185
; %bb.180:                              ;   in Loop: Header=BB114_6 Depth=1
	ds_load_b32 v4, v9 offset:4096
	s_waitcnt lgkmcnt(0)
	v_cmp_ne_u32_e32 vcc_lo, 0, v4
	s_cbranch_vccnz .LBB114_184
; %bb.181:                              ;   in Loop: Header=BB114_6 Depth=1
	s_and_saveexec_b32 s94, s5
	s_cbranch_execz .LBB114_183
; %bb.182:                              ;   in Loop: Header=BB114_6 Depth=1
	v_mov_b32_e32 v4, s18
	ds_store_b32 v9, v4 offset:4100
.LBB114_183:                            ;   in Loop: Header=BB114_6 Depth=1
	s_or_b32 exec_lo, exec_lo, s94
	s_waitcnt lgkmcnt(0)
	s_barrier
	buffer_gl0_inv
.LBB114_184:                            ;   in Loop: Header=BB114_6 Depth=1
	s_lshl_b32 s94, 2, s17
	v_or_b32_e32 v2, s13, v2
	v_and_or_b32 v1, v1, s14, s94
	s_mov_b32 s94, 0
	s_mov_b32 s96, 8
.LBB114_185:                            ;   in Loop: Header=BB114_6 Depth=1
	s_or_saveexec_b32 s95, s95
	v_mov_b32_e32 v8, s96
	s_xor_b32 exec_lo, exec_lo, s95
; %bb.186:                              ;   in Loop: Header=BB114_6 Depth=1
	v_subrev_nc_u32_e32 v31, s18, v31
	v_mov_b32_e32 v8, 0
	s_or_b32 s94, s94, exec_lo
; %bb.187:                              ;   in Loop: Header=BB114_6 Depth=1
	s_or_b32 exec_lo, exec_lo, s95
	s_delay_alu instid0(VALU_DEP_2)
	v_mov_b32_e32 v4, v31
	s_and_b32 s96, s94, exec_lo
.LBB114_188:                            ;   in Loop: Header=BB114_6 Depth=1
	s_or_b32 exec_lo, exec_lo, s11
	s_mov_b32 s95, -1
                                        ; implicit-def: $sgpr11
                                        ; implicit-def: $sgpr98
                                        ; implicit-def: $sgpr97
	s_and_saveexec_b32 s94, s96
	s_cbranch_execz .LBB114_229
; %bb.189:                              ;   in Loop: Header=BB114_6 Depth=1
	v_cmp_eq_u32_e32 vcc_lo, 1, v4
	s_cmp_eq_u32 s19, 1
	s_mov_b32 s99, -1
	s_cselect_b32 s11, -1, 0
                                        ; implicit-def: $sgpr98
                                        ; implicit-def: $sgpr97
	s_delay_alu instid0(SALU_CYCLE_1) | instskip(NEXT) | instid1(SALU_CYCLE_1)
	s_and_b32 s95, s11, vcc_lo
                                        ; implicit-def: $sgpr11
	s_and_saveexec_b32 s96, s95
	s_cbranch_execz .LBB114_216
; %bb.190:                              ;   in Loop: Header=BB114_6 Depth=1
	ds_load_b32 v3, v9 offset:4096
	s_waitcnt lgkmcnt(0)
	s_barrier
	buffer_gl0_inv
	v_readfirstlane_b32 s97, v3
	s_and_saveexec_b32 s11, s6
	s_cbranch_execz .LBB114_192
; %bb.191:                              ;   in Loop: Header=BB114_6 Depth=1
	ds_store_b16 v20, v9
.LBB114_192:                            ;   in Loop: Header=BB114_6 Depth=1
	s_or_b32 exec_lo, exec_lo, s11
	v_or_b32_e32 v1, s13, v1
	v_or_b32_e32 v2, s13, v2
	s_cmp_eq_u32 s97, 0
	s_waitcnt lgkmcnt(0)
	s_barrier
	buffer_gl0_inv
	s_cbranch_scc1 .LBB114_201
; %bb.193:                              ;   in Loop: Header=BB114_6 Depth=1
	s_add_i32 s11, s97, s59
	s_mov_b32 s100, 0
	s_mul_hi_u32 s98, s11, s66
                                        ; implicit-def: $vgpr3
	s_delay_alu instid0(SALU_CYCLE_1) | instskip(NEXT) | instid1(SALU_CYCLE_1)
	s_mul_i32 s98, s98, s35
	s_sub_i32 s98, s11, s98
	s_delay_alu instid0(SALU_CYCLE_1) | instskip(SKIP_2) | instid1(SALU_CYCLE_1)
	s_sub_i32 s99, s98, s35
	s_cmp_ge_u32 s98, s35
	s_cselect_b32 s98, s99, s98
	s_sub_i32 s99, s98, s35
	s_cmp_ge_u32 s98, s35
	s_cselect_b32 s98, s99, s98
	s_delay_alu instid0(SALU_CYCLE_1)
	s_sub_i32 s99, s11, s98
	s_mov_b32 s98, exec_lo
	v_cmpx_gt_u32_e64 s99, v0
	s_cbranch_execz .LBB114_203
; %bb.194:                              ;   in Loop: Header=BB114_6 Depth=1
	v_dual_mov_b32 v3, v19 :: v_dual_mov_b32 v8, v0
                                        ; implicit-def: $sgpr101
	s_branch .LBB114_196
.LBB114_195:                            ;   in Loop: Header=BB114_196 Depth=2
	s_or_b32 exec_lo, exec_lo, s11
	s_waitcnt lgkmcnt(0)
	s_barrier
	buffer_gl0_inv
	ds_load_b32 v31, v9 offset:3072
	v_add_nc_u32_e32 v8, s35, v8
	v_add_nc_u32_e32 v3, s70, v3
	s_waitcnt lgkmcnt(0)
	s_barrier
	buffer_gl0_inv
	v_cmp_le_u32_e32 vcc_lo, s99, v8
	v_and_b32_e32 v32, 0x7fff, v31
	s_delay_alu instid0(VALU_DEP_1) | instskip(NEXT) | instid1(VALU_DEP_1)
	v_cmp_ne_u16_e64 s11, 0, v32
	s_or_b32 s102, vcc_lo, s11
	s_delay_alu instid0(SALU_CYCLE_1) | instskip(NEXT) | instid1(SALU_CYCLE_1)
	s_and_b32 s102, exec_lo, s102
	s_or_b32 s100, s102, s100
	s_and_not1_b32 s101, s101, exec_lo
	s_and_b32 s11, s11, exec_lo
	s_delay_alu instid0(SALU_CYCLE_1)
	s_or_b32 s101, s101, s11
	s_and_not1_b32 exec_lo, exec_lo, s100
	s_cbranch_execz .LBB114_202
.LBB114_196:                            ;   Parent Loop BB114_6 Depth=1
                                        ; =>  This Inner Loop Header: Depth=2
	s_delay_alu instid0(VALU_DEP_1)
	v_cmp_gt_u32_e32 vcc_lo, s97, v8
	v_mov_b32_e32 v31, 0
	s_and_saveexec_b32 s11, vcc_lo
	s_cbranch_execz .LBB114_198
; %bb.197:                              ;   in Loop: Header=BB114_196 Depth=2
	ds_load_u16 v31, v3
.LBB114_198:                            ;   in Loop: Header=BB114_196 Depth=2
	s_or_b32 exec_lo, exec_lo, s11
	s_and_saveexec_b32 s11, vcc_lo
	s_cbranch_execz .LBB114_195
; %bb.199:                              ;   in Loop: Header=BB114_196 Depth=2
	s_waitcnt lgkmcnt(0)
	v_cmp_lt_i16_e32 vcc_lo, -1, v31
	v_and_b32_e32 v32, 0xffff, v31
	v_dual_cndmask_b32 v33, 0xffff, v26 :: v_dual_lshlrev_b32 v34, 16, v31
	s_delay_alu instid0(VALU_DEP_1) | instskip(NEXT) | instid1(VALU_DEP_2)
	v_cmp_o_f32_e32 vcc_lo, v34, v34
	v_xor_b32_e32 v32, v33, v32
	s_delay_alu instid0(VALU_DEP_1) | instskip(NEXT) | instid1(VALU_DEP_1)
	v_cndmask_b32_e32 v32, 0xffff, v32, vcc_lo
	v_and_b32_e32 v32, v32, v2
	s_delay_alu instid0(VALU_DEP_1)
	v_cmp_eq_u32_e32 vcc_lo, v32, v1
	s_and_b32 exec_lo, exec_lo, vcc_lo
	s_cbranch_execz .LBB114_195
; %bb.200:                              ;   in Loop: Header=BB114_196 Depth=2
	v_perm_b32 v31, v31, s72, 0x5040100
	ds_store_b32 v9, v31 offset:3072
	s_branch .LBB114_195
.LBB114_201:                            ;   in Loop: Header=BB114_6 Depth=1
	s_mov_b32 s11, -1
	s_mov_b32 s100, 0
                                        ; implicit-def: $sgpr97
                                        ; implicit-def: $vgpr3
	s_branch .LBB114_204
.LBB114_202:                            ;   in Loop: Header=BB114_6 Depth=1
	s_or_b32 exec_lo, exec_lo, s100
	v_lshrrev_b32_e32 v3, 16, v31
	s_and_b32 s100, s101, exec_lo
.LBB114_203:                            ;   in Loop: Header=BB114_6 Depth=1
	s_or_b32 exec_lo, exec_lo, s98
	s_mov_b32 s97, -1
	s_mov_b32 s11, 0
.LBB114_204:                            ;   in Loop: Header=BB114_6 Depth=1
	s_delay_alu instid0(SALU_CYCLE_1)
	s_and_b32 vcc_lo, exec_lo, s11
	s_mov_b32 s98, s11
	s_cbranch_vccz .LBB114_215
; %bb.205:                              ;   in Loop: Header=BB114_6 Depth=1
	s_mov_b32 s100, 0
                                        ; implicit-def: $vgpr3
	s_and_saveexec_b32 s97, s9
	s_cbranch_execz .LBB114_214
; %bb.206:                              ;   in Loop: Header=BB114_6 Depth=1
	v_dual_mov_b32 v8, v7 :: v_dual_mov_b32 v3, v0
	s_mov_b32 s98, 0
                                        ; implicit-def: $sgpr99
	s_branch .LBB114_208
.LBB114_207:                            ;   in Loop: Header=BB114_208 Depth=2
	s_or_b32 exec_lo, exec_lo, s11
	s_waitcnt vmcnt(0) lgkmcnt(0)
	s_barrier
	buffer_gl0_inv
	ds_load_b32 v31, v9 offset:3072
	v_add_nc_u32_e32 v3, s35, v3
	v_add_nc_u32_e32 v8, s39, v8
	s_waitcnt lgkmcnt(0)
	s_barrier
	buffer_gl0_inv
	v_cmp_le_u32_e32 vcc_lo, s67, v3
	v_and_b32_e32 v32, 0x7fff, v31
	s_delay_alu instid0(VALU_DEP_1) | instskip(NEXT) | instid1(VALU_DEP_1)
	v_cmp_ne_u16_e64 s11, 0, v32
	s_or_b32 s100, vcc_lo, s11
	s_delay_alu instid0(SALU_CYCLE_1) | instskip(NEXT) | instid1(SALU_CYCLE_1)
	s_and_b32 s100, exec_lo, s100
	s_or_b32 s98, s100, s98
	s_and_not1_b32 s99, s99, exec_lo
	s_and_b32 s11, s11, exec_lo
	s_delay_alu instid0(SALU_CYCLE_1)
	s_or_b32 s99, s99, s11
	s_and_not1_b32 exec_lo, exec_lo, s98
	s_cbranch_execz .LBB114_213
.LBB114_208:                            ;   Parent Loop BB114_6 Depth=1
                                        ; =>  This Inner Loop Header: Depth=2
	s_delay_alu instid0(VALU_DEP_1)
	v_cmp_gt_u32_e32 vcc_lo, s24, v3
	v_mov_b32_e32 v31, 0
	s_and_saveexec_b32 s100, vcc_lo
	s_cbranch_execz .LBB114_210
; %bb.209:                              ;   in Loop: Header=BB114_208 Depth=2
	v_lshlrev_b64 v[31:32], 1, v[8:9]
	s_delay_alu instid0(VALU_DEP_1) | instskip(NEXT) | instid1(VALU_DEP_1)
	v_add_co_u32 v31, s11, s31, v31
	v_add_co_ci_u32_e64 v32, s11, s33, v32, s11
	global_load_u16 v31, v[31:32], off
.LBB114_210:                            ;   in Loop: Header=BB114_208 Depth=2
	s_or_b32 exec_lo, exec_lo, s100
	s_and_saveexec_b32 s11, vcc_lo
	s_cbranch_execz .LBB114_207
; %bb.211:                              ;   in Loop: Header=BB114_208 Depth=2
	s_waitcnt vmcnt(0)
	v_cmp_lt_i16_e32 vcc_lo, -1, v31
	v_and_b32_e32 v32, 0xffff, v31
	v_dual_cndmask_b32 v33, 0xffff, v26 :: v_dual_lshlrev_b32 v34, 16, v31
	s_delay_alu instid0(VALU_DEP_1) | instskip(NEXT) | instid1(VALU_DEP_2)
	v_cmp_o_f32_e32 vcc_lo, v34, v34
	v_xor_b32_e32 v32, v33, v32
	s_delay_alu instid0(VALU_DEP_1) | instskip(NEXT) | instid1(VALU_DEP_1)
	v_cndmask_b32_e32 v32, 0xffff, v32, vcc_lo
	v_and_b32_e32 v32, v32, v2
	s_delay_alu instid0(VALU_DEP_1)
	v_cmp_eq_u32_e32 vcc_lo, v32, v1
	s_and_b32 exec_lo, exec_lo, vcc_lo
	s_cbranch_execz .LBB114_207
; %bb.212:                              ;   in Loop: Header=BB114_208 Depth=2
	v_perm_b32 v31, v31, s72, 0x5040100
	ds_store_b32 v9, v31 offset:3072
	s_branch .LBB114_207
.LBB114_213:                            ;   in Loop: Header=BB114_6 Depth=1
	s_or_b32 exec_lo, exec_lo, s98
	v_lshrrev_b32_e32 v3, 16, v31
	s_and_b32 s100, s99, exec_lo
.LBB114_214:                            ;   in Loop: Header=BB114_6 Depth=1
	s_or_b32 exec_lo, exec_lo, s97
	s_mov_b32 s98, -1
	s_mov_b32 s11, 0
	s_mov_b32 s97, 0
.LBB114_215:                            ;   in Loop: Header=BB114_6 Depth=1
	s_or_not1_b32 s99, s100, exec_lo
.LBB114_216:                            ;   in Loop: Header=BB114_6 Depth=1
	s_or_b32 exec_lo, exec_lo, s96
	s_mov_b32 s100, 0
                                        ; implicit-def: $vgpr8
                                        ; implicit-def: $vgpr31
	s_and_saveexec_b32 s96, s99
	s_cbranch_execz .LBB114_228
; %bb.217:                              ;   in Loop: Header=BB114_6 Depth=1
	v_dual_mov_b32 v8, 1 :: v_dual_mov_b32 v31, 1
	s_xor_b32 s99, s95, -1
	s_delay_alu instid0(SALU_CYCLE_1)
	s_and_saveexec_b32 s95, s99
	s_cbranch_execz .LBB114_227
; %bb.218:                              ;   in Loop: Header=BB114_6 Depth=1
	s_mov_b32 s99, exec_lo
                                        ; implicit-def: $sgpr100
	v_cmpx_ge_u32_e64 s19, v4
	s_xor_b32 s99, exec_lo, s99
	s_cbranch_execz .LBB114_224
; %bb.219:                              ;   in Loop: Header=BB114_6 Depth=1
	ds_load_b32 v8, v9 offset:4096
	s_waitcnt lgkmcnt(0)
	v_cmp_ne_u32_e32 vcc_lo, 0, v8
	s_cbranch_vccnz .LBB114_223
; %bb.220:                              ;   in Loop: Header=BB114_6 Depth=1
	s_and_saveexec_b32 s100, s5
	s_cbranch_execz .LBB114_222
; %bb.221:                              ;   in Loop: Header=BB114_6 Depth=1
	v_mov_b32_e32 v8, s19
	ds_store_b32 v9, v8 offset:4100
.LBB114_222:                            ;   in Loop: Header=BB114_6 Depth=1
	s_or_b32 exec_lo, exec_lo, s100
	s_waitcnt lgkmcnt(0)
	s_barrier
	buffer_gl0_inv
.LBB114_223:                            ;   in Loop: Header=BB114_6 Depth=1
	v_or_b32_e32 v1, s13, v1
	v_or_b32_e32 v2, s13, v2
	s_mov_b32 s100, 8
.LBB114_224:                            ;   in Loop: Header=BB114_6 Depth=1
	s_or_saveexec_b32 s99, s99
	v_mov_b32_e32 v8, s100
	s_xor_b32 exec_lo, exec_lo, s99
; %bb.225:                              ;   in Loop: Header=BB114_6 Depth=1
	v_subrev_nc_u32_e32 v4, s19, v4
	v_mov_b32_e32 v8, 8
; %bb.226:                              ;   in Loop: Header=BB114_6 Depth=1
	s_or_b32 exec_lo, exec_lo, s99
	s_delay_alu instid0(VALU_DEP_2)
	v_mov_b32_e32 v31, v4
.LBB114_227:                            ;   in Loop: Header=BB114_6 Depth=1
	s_or_b32 exec_lo, exec_lo, s95
	s_delay_alu instid0(SALU_CYCLE_1)
	s_mov_b32 s100, exec_lo
.LBB114_228:                            ;   in Loop: Header=BB114_6 Depth=1
	s_or_b32 exec_lo, exec_lo, s96
	s_delay_alu instid0(VALU_DEP_1)
	v_mov_b32_e32 v4, v31
	s_or_not1_b32 s95, s100, exec_lo
.LBB114_229:                            ;   in Loop: Header=BB114_6 Depth=1
	s_or_b32 exec_lo, exec_lo, s94
	s_delay_alu instid0(SALU_CYCLE_1)
	s_and_not1_b32 s90, s90, exec_lo
	s_and_b32 s11, s11, exec_lo
	v_mov_b32_e32 v31, v4
	s_or_b32 s90, s90, s11
	s_and_not1_b32 s11, s92, exec_lo
	s_and_b32 s92, s98, exec_lo
	s_and_not1_b32 s91, s91, exec_lo
	s_and_b32 s94, s97, exec_lo
	s_or_b32 s92, s11, s92
	s_or_b32 s91, s91, s94
	s_and_b32 s95, s95, exec_lo
.LBB114_230:                            ;   in Loop: Header=BB114_6 Depth=1
	s_or_b32 exec_lo, exec_lo, s93
	s_delay_alu instid0(SALU_CYCLE_1)
	s_and_b32 s93, s90, exec_lo
	s_and_b32 s92, s92, exec_lo
	;; [unrolled: 1-line block ×3, first 2 shown]
	s_or_not1_b32 s11, s95, exec_lo
.LBB114_231:                            ;   in Loop: Header=BB114_6 Depth=1
	s_or_b32 exec_lo, exec_lo, s89
	s_delay_alu instid0(SALU_CYCLE_1)
	s_and_not1_b32 s85, s85, exec_lo
	s_and_b32 s89, s93, exec_lo
	v_mov_b32_e32 v4, v31
	s_or_b32 s85, s85, s89
	s_and_not1_b32 s87, s87, exec_lo
	s_and_b32 s89, s92, exec_lo
	s_and_not1_b32 s86, s86, exec_lo
	s_and_b32 s90, s90, exec_lo
	s_or_b32 s87, s87, s89
	s_or_b32 s86, s86, s90
	s_and_b32 s90, s11, exec_lo
.LBB114_232:                            ;   in Loop: Header=BB114_6 Depth=1
	s_or_b32 exec_lo, exec_lo, s88
	s_delay_alu instid0(SALU_CYCLE_1)
	s_and_b32 s88, s85, exec_lo
	s_and_b32 s87, s87, exec_lo
	;; [unrolled: 1-line block ×3, first 2 shown]
	s_or_not1_b32 s11, s90, exec_lo
.LBB114_233:                            ;   in Loop: Header=BB114_6 Depth=1
	s_or_b32 exec_lo, exec_lo, s20
	s_mov_b32 s20, 0
	s_mov_b32 s86, 0
	s_and_saveexec_b32 s89, s11
	s_delay_alu instid0(SALU_CYCLE_1)
	s_xor_b32 s89, exec_lo, s89
; %bb.234:                              ;   in Loop: Header=BB114_6 Depth=1
	v_cmp_ne_u32_e32 vcc_lo, 8, v8
	v_cmp_eq_u32_e64 s11, 8, v8
	s_and_not1_b32 s88, s88, exec_lo
	s_and_not1_b32 s87, s87, exec_lo
	s_and_not1_b32 s85, s85, exec_lo
	s_and_b32 s86, vcc_lo, exec_lo
	s_and_b32 s20, s11, exec_lo
; %bb.235:                              ;   in Loop: Header=BB114_6 Depth=1
	s_or_b32 exec_lo, exec_lo, s89
	s_delay_alu instid0(SALU_CYCLE_1)
	s_and_not1_b32 s11, s15, exec_lo
	s_and_b32 s15, s88, exec_lo
	s_and_not1_b32 s21, s21, exec_lo
	s_or_b32 s15, s11, s15
	s_and_not1_b32 s11, s22, exec_lo
	s_and_b32 s22, s87, exec_lo
	s_and_b32 s85, s85, exec_lo
	s_or_b32 s22, s11, s22
	s_or_b32 s21, s21, s85
	s_and_b32 s11, s86, exec_lo
	s_and_b32 s20, s20, exec_lo
.LBB114_236:                            ;   in Loop: Header=BB114_6 Depth=1
	s_or_b32 exec_lo, exec_lo, s84
	s_delay_alu instid0(SALU_CYCLE_1)
	s_and_b32 vcc_lo, exec_lo, s23
	s_cbranch_vccz .LBB114_83
.LBB114_237:                            ;   in Loop: Header=BB114_6 Depth=1
	s_cmp_eq_u32 s19, 1
                                        ; implicit-def: $sgpr23
                                        ; implicit-def: $sgpr84
	s_cselect_b32 s15, -1, 0
	s_delay_alu instid0(SALU_CYCLE_1)
	s_and_b32 s22, s15, s10
	s_mov_b32 s10, -1
                                        ; implicit-def: $sgpr15
	s_and_saveexec_b32 s21, s22
	s_cbranch_execz .LBB114_263
; %bb.238:                              ;   in Loop: Header=BB114_6 Depth=1
	ds_load_b32 v1, v9 offset:4096
	s_waitcnt lgkmcnt(0)
	s_barrier
	buffer_gl0_inv
	v_readfirstlane_b32 s15, v1
	s_and_saveexec_b32 s10, s6
	s_cbranch_execz .LBB114_240
; %bb.239:                              ;   in Loop: Header=BB114_6 Depth=1
	ds_store_b16 v20, v9
.LBB114_240:                            ;   in Loop: Header=BB114_6 Depth=1
	s_or_b32 exec_lo, exec_lo, s10
	v_or_b32_e32 v28, s13, v28
	v_or_b32_e32 v27, s13, v27
	s_cmp_eq_u32 s15, 0
	s_waitcnt lgkmcnt(0)
	s_barrier
	buffer_gl0_inv
	s_cbranch_scc1 .LBB114_249
; %bb.241:                              ;   in Loop: Header=BB114_6 Depth=1
	s_add_i32 s10, s15, s59
                                        ; implicit-def: $vgpr29
	s_delay_alu instid0(SALU_CYCLE_1) | instskip(NEXT) | instid1(SALU_CYCLE_1)
	s_mul_hi_u32 s23, s10, s66
	s_mul_i32 s23, s23, s35
	s_delay_alu instid0(SALU_CYCLE_1) | instskip(NEXT) | instid1(SALU_CYCLE_1)
	s_sub_i32 s23, s10, s23
	s_sub_i32 s84, s23, s35
	s_cmp_ge_u32 s23, s35
	s_cselect_b32 s23, s84, s23
	s_delay_alu instid0(SALU_CYCLE_1) | instskip(SKIP_2) | instid1(SALU_CYCLE_1)
	s_sub_i32 s84, s23, s35
	s_cmp_ge_u32 s23, s35
	s_cselect_b32 s23, s84, s23
	s_sub_i32 s84, s10, s23
	s_mov_b32 s10, 0
	s_mov_b32 s23, exec_lo
	v_cmpx_gt_u32_e64 s84, v0
	s_cbranch_execz .LBB114_251
; %bb.242:                              ;   in Loop: Header=BB114_6 Depth=1
	v_dual_mov_b32 v1, v19 :: v_dual_mov_b32 v2, v0
	s_mov_b32 s85, 0
                                        ; implicit-def: $sgpr86
	s_branch .LBB114_244
.LBB114_243:                            ;   in Loop: Header=BB114_244 Depth=2
	s_or_b32 exec_lo, exec_lo, s10
	s_waitcnt lgkmcnt(0)
	s_barrier
	buffer_gl0_inv
	ds_load_b32 v3, v9 offset:3072
	v_add_nc_u32_e32 v2, s35, v2
	v_add_nc_u32_e32 v1, s70, v1
	s_waitcnt lgkmcnt(0)
	s_barrier
	buffer_gl0_inv
	v_cmp_le_u32_e32 vcc_lo, s84, v2
	v_and_b32_e32 v4, 0x7fff, v3
	s_delay_alu instid0(VALU_DEP_1) | instskip(NEXT) | instid1(VALU_DEP_1)
	v_cmp_ne_u16_e64 s10, 0, v4
	s_or_b32 s87, vcc_lo, s10
	s_delay_alu instid0(SALU_CYCLE_1) | instskip(NEXT) | instid1(SALU_CYCLE_1)
	s_and_b32 s87, exec_lo, s87
	s_or_b32 s85, s87, s85
	s_and_not1_b32 s86, s86, exec_lo
	s_and_b32 s10, s10, exec_lo
	s_delay_alu instid0(SALU_CYCLE_1)
	s_or_b32 s86, s86, s10
	s_and_not1_b32 exec_lo, exec_lo, s85
	s_cbranch_execz .LBB114_250
.LBB114_244:                            ;   Parent Loop BB114_6 Depth=1
                                        ; =>  This Inner Loop Header: Depth=2
	s_delay_alu instid0(VALU_DEP_1)
	v_cmp_gt_u32_e32 vcc_lo, s15, v2
	v_mov_b32_e32 v3, 0
	s_and_saveexec_b32 s10, vcc_lo
	s_cbranch_execz .LBB114_246
; %bb.245:                              ;   in Loop: Header=BB114_244 Depth=2
	ds_load_u16 v3, v1
.LBB114_246:                            ;   in Loop: Header=BB114_244 Depth=2
	s_or_b32 exec_lo, exec_lo, s10
	s_and_saveexec_b32 s10, vcc_lo
	s_cbranch_execz .LBB114_243
; %bb.247:                              ;   in Loop: Header=BB114_244 Depth=2
	s_waitcnt lgkmcnt(0)
	v_cmp_lt_i16_e32 vcc_lo, -1, v3
	v_and_b32_e32 v4, 0xffff, v3
	v_dual_cndmask_b32 v8, 0xffff, v26 :: v_dual_lshlrev_b32 v29, 16, v3
	s_delay_alu instid0(VALU_DEP_1) | instskip(NEXT) | instid1(VALU_DEP_2)
	v_cmp_o_f32_e32 vcc_lo, v29, v29
	v_xor_b32_e32 v4, v8, v4
	s_delay_alu instid0(VALU_DEP_1) | instskip(NEXT) | instid1(VALU_DEP_1)
	v_cndmask_b32_e32 v4, 0xffff, v4, vcc_lo
	v_and_b32_e32 v4, v4, v27
	s_delay_alu instid0(VALU_DEP_1)
	v_cmp_eq_u32_e32 vcc_lo, v4, v28
	s_and_b32 exec_lo, exec_lo, vcc_lo
	s_cbranch_execz .LBB114_243
; %bb.248:                              ;   in Loop: Header=BB114_244 Depth=2
	v_perm_b32 v3, v3, s72, 0x5040100
	ds_store_b32 v9, v3 offset:3072
	s_branch .LBB114_243
.LBB114_249:                            ;   in Loop: Header=BB114_6 Depth=1
	s_mov_b32 s23, -1
	s_mov_b32 s10, 0
                                        ; implicit-def: $sgpr84
                                        ; implicit-def: $vgpr29
	s_mov_b32 s15, s23
	s_cbranch_execnz .LBB114_252
	s_branch .LBB114_262
.LBB114_250:                            ;   in Loop: Header=BB114_6 Depth=1
	s_or_b32 exec_lo, exec_lo, s85
	v_lshrrev_b32_e32 v29, 16, v3
	s_and_b32 s10, s86, exec_lo
.LBB114_251:                            ;   in Loop: Header=BB114_6 Depth=1
	s_or_b32 exec_lo, exec_lo, s23
	s_mov_b32 s23, 0
	s_mov_b32 s84, -1
	s_mov_b32 s15, s23
	s_branch .LBB114_262
.LBB114_252:                            ;   in Loop: Header=BB114_6 Depth=1
	s_mov_b32 s10, 0
                                        ; implicit-def: $vgpr29
	s_and_saveexec_b32 s15, s9
	s_cbranch_execz .LBB114_261
; %bb.253:                              ;   in Loop: Header=BB114_6 Depth=1
	v_dual_mov_b32 v8, v7 :: v_dual_mov_b32 v1, v0
	s_mov_b32 s23, 0
                                        ; implicit-def: $sgpr84
	s_branch .LBB114_255
.LBB114_254:                            ;   in Loop: Header=BB114_255 Depth=2
	s_or_b32 exec_lo, exec_lo, s10
	s_waitcnt vmcnt(0) lgkmcnt(0)
	s_barrier
	buffer_gl0_inv
	ds_load_b32 v2, v9 offset:3072
	v_add_nc_u32_e32 v1, s35, v1
	v_add_nc_u32_e32 v8, s39, v8
	s_waitcnt lgkmcnt(0)
	s_barrier
	buffer_gl0_inv
	v_cmp_le_u32_e32 vcc_lo, s67, v1
	v_and_b32_e32 v3, 0x7fff, v2
	s_delay_alu instid0(VALU_DEP_1) | instskip(NEXT) | instid1(VALU_DEP_1)
	v_cmp_ne_u16_e64 s10, 0, v3
	s_or_b32 s85, vcc_lo, s10
	s_delay_alu instid0(SALU_CYCLE_1) | instskip(NEXT) | instid1(SALU_CYCLE_1)
	s_and_b32 s85, exec_lo, s85
	s_or_b32 s23, s85, s23
	s_and_not1_b32 s84, s84, exec_lo
	s_and_b32 s10, s10, exec_lo
	s_delay_alu instid0(SALU_CYCLE_1)
	s_or_b32 s84, s84, s10
	s_and_not1_b32 exec_lo, exec_lo, s23
	s_cbranch_execz .LBB114_260
.LBB114_255:                            ;   Parent Loop BB114_6 Depth=1
                                        ; =>  This Inner Loop Header: Depth=2
	s_delay_alu instid0(VALU_DEP_1)
	v_cmp_gt_u32_e32 vcc_lo, s24, v1
	v_mov_b32_e32 v2, 0
	s_and_saveexec_b32 s85, vcc_lo
	s_cbranch_execz .LBB114_257
; %bb.256:                              ;   in Loop: Header=BB114_255 Depth=2
	v_lshlrev_b64 v[2:3], 1, v[8:9]
	s_delay_alu instid0(VALU_DEP_1) | instskip(NEXT) | instid1(VALU_DEP_1)
	v_add_co_u32 v2, s10, s31, v2
	v_add_co_ci_u32_e64 v3, s10, s33, v3, s10
	global_load_u16 v2, v[2:3], off
.LBB114_257:                            ;   in Loop: Header=BB114_255 Depth=2
	s_or_b32 exec_lo, exec_lo, s85
	s_and_saveexec_b32 s10, vcc_lo
	s_cbranch_execz .LBB114_254
; %bb.258:                              ;   in Loop: Header=BB114_255 Depth=2
	s_waitcnt vmcnt(0)
	v_cmp_lt_i16_e32 vcc_lo, -1, v2
	v_and_b32_e32 v3, 0xffff, v2
	v_lshlrev_b32_e32 v29, 16, v2
	v_cndmask_b32_e32 v4, 0xffff, v26, vcc_lo
	s_delay_alu instid0(VALU_DEP_2) | instskip(NEXT) | instid1(VALU_DEP_2)
	v_cmp_o_f32_e32 vcc_lo, v29, v29
	v_xor_b32_e32 v3, v4, v3
	s_delay_alu instid0(VALU_DEP_1) | instskip(NEXT) | instid1(VALU_DEP_1)
	v_cndmask_b32_e32 v3, 0xffff, v3, vcc_lo
	v_and_b32_e32 v3, v3, v27
	s_delay_alu instid0(VALU_DEP_1)
	v_cmp_eq_u32_e32 vcc_lo, v3, v28
	s_and_b32 exec_lo, exec_lo, vcc_lo
	s_cbranch_execz .LBB114_254
; %bb.259:                              ;   in Loop: Header=BB114_255 Depth=2
	v_perm_b32 v2, v2, s72, 0x5040100
	ds_store_b32 v9, v2 offset:3072
	s_branch .LBB114_254
.LBB114_260:                            ;   in Loop: Header=BB114_6 Depth=1
	s_or_b32 exec_lo, exec_lo, s23
	v_lshrrev_b32_e32 v29, 16, v2
	s_and_b32 s10, s84, exec_lo
.LBB114_261:                            ;   in Loop: Header=BB114_6 Depth=1
	s_or_b32 exec_lo, exec_lo, s15
	s_mov_b32 s84, 0
	s_mov_b32 s23, -1
	s_mov_b32 s15, 0
.LBB114_262:                            ;   in Loop: Header=BB114_6 Depth=1
	s_or_not1_b32 s10, s10, exec_lo
.LBB114_263:                            ;   in Loop: Header=BB114_6 Depth=1
	s_or_b32 exec_lo, exec_lo, s21
                                        ; implicit-def: $vgpr8
                                        ; implicit-def: $vgpr4
                                        ; implicit-def: $vgpr1
                                        ; implicit-def: $vgpr2
                                        ; implicit-def: $vgpr3
	s_and_saveexec_b32 s21, s10
	s_cbranch_execz .LBB114_398
; %bb.264:                              ;   in Loop: Header=BB114_6 Depth=1
	v_mov_b32_e32 v4, 1
	v_mov_b32_e32 v8, 1
	s_xor_b32 s22, s22, -1
	s_mov_b32 s88, 0
	s_and_saveexec_b32 s10, s22
	s_cbranch_execz .LBB114_274
; %bb.265:                              ;   in Loop: Header=BB114_6 Depth=1
	s_mov_b32 s85, exec_lo
                                        ; implicit-def: $sgpr86
                                        ; implicit-def: $sgpr22
	v_cmpx_ge_u32_e64 s19, v30
	s_xor_b32 s85, exec_lo, s85
	s_cbranch_execz .LBB114_271
; %bb.266:                              ;   in Loop: Header=BB114_6 Depth=1
	ds_load_b32 v1, v9 offset:4096
	s_waitcnt lgkmcnt(0)
	v_cmp_ne_u32_e32 vcc_lo, 0, v1
	s_cbranch_vccnz .LBB114_270
; %bb.267:                              ;   in Loop: Header=BB114_6 Depth=1
	s_and_saveexec_b32 s22, s5
	s_cbranch_execz .LBB114_269
; %bb.268:                              ;   in Loop: Header=BB114_6 Depth=1
	v_mov_b32_e32 v1, s19
	ds_store_b32 v9, v1 offset:4100
.LBB114_269:                            ;   in Loop: Header=BB114_6 Depth=1
	s_or_b32 exec_lo, exec_lo, s22
	s_waitcnt lgkmcnt(0)
	s_barrier
	buffer_gl0_inv
.LBB114_270:                            ;   in Loop: Header=BB114_6 Depth=1
	v_or_b32_e32 v28, s13, v28
	v_or_b32_e32 v27, s13, v27
	s_mov_b32 s22, 0
	s_mov_b32 s86, 5
.LBB114_271:                            ;   in Loop: Header=BB114_6 Depth=1
	s_or_saveexec_b32 s85, s85
	v_mov_b32_e32 v8, s86
	s_xor_b32 exec_lo, exec_lo, s85
; %bb.272:                              ;   in Loop: Header=BB114_6 Depth=1
	v_subrev_nc_u32_e32 v30, s19, v30
	v_mov_b32_e32 v8, 0
	s_or_b32 s22, s22, exec_lo
; %bb.273:                              ;   in Loop: Header=BB114_6 Depth=1
	s_or_b32 exec_lo, exec_lo, s85
	s_delay_alu instid0(VALU_DEP_2)
	v_mov_b32_e32 v4, v30
	s_and_b32 s88, s22, exec_lo
.LBB114_274:                            ;   in Loop: Header=BB114_6 Depth=1
	s_or_b32 exec_lo, exec_lo, s10
	s_mov_b32 s86, -1
                                        ; implicit-def: $sgpr22
                                        ; implicit-def: $sgpr85
                                        ; implicit-def: $sgpr87
	s_and_saveexec_b32 s10, s88
	s_delay_alu instid0(SALU_CYCLE_1)
	s_xor_b32 s19, exec_lo, s10
	s_cbranch_execz .LBB114_395
; %bb.275:                              ;   in Loop: Header=BB114_6 Depth=1
	v_cmp_eq_u32_e32 vcc_lo, 1, v4
	s_cmp_eq_u32 s18, 1
                                        ; implicit-def: $sgpr22
                                        ; implicit-def: $sgpr85
                                        ; implicit-def: $sgpr86
	s_cselect_b32 s10, -1, 0
	s_delay_alu instid0(SALU_CYCLE_1)
	s_and_b32 s88, s10, vcc_lo
	s_mov_b32 s10, -1
	s_and_saveexec_b32 s87, s88
	s_cbranch_execz .LBB114_301
; %bb.276:                              ;   in Loop: Header=BB114_6 Depth=1
	ds_load_b32 v1, v9 offset:4096
	s_waitcnt lgkmcnt(0)
	s_barrier
	buffer_gl0_inv
	v_readfirstlane_b32 s22, v1
	s_and_saveexec_b32 s10, s6
	s_cbranch_execz .LBB114_278
; %bb.277:                              ;   in Loop: Header=BB114_6 Depth=1
	ds_store_b16 v20, v9
.LBB114_278:                            ;   in Loop: Header=BB114_6 Depth=1
	s_or_b32 exec_lo, exec_lo, s10
	s_lshl_b32 s10, 2, s17
	v_or_b32_e32 v27, s13, v27
	v_and_or_b32 v28, v28, s14, s10
	s_cmp_eq_u32 s22, 0
	s_waitcnt lgkmcnt(0)
	s_barrier
	buffer_gl0_inv
	s_cbranch_scc1 .LBB114_287
; %bb.279:                              ;   in Loop: Header=BB114_6 Depth=1
	s_add_i32 s10, s22, s59
                                        ; implicit-def: $vgpr29
	s_delay_alu instid0(SALU_CYCLE_1) | instskip(NEXT) | instid1(SALU_CYCLE_1)
	s_mul_hi_u32 s85, s10, s66
	s_mul_i32 s85, s85, s35
	s_delay_alu instid0(SALU_CYCLE_1) | instskip(NEXT) | instid1(SALU_CYCLE_1)
	s_sub_i32 s85, s10, s85
	s_sub_i32 s86, s85, s35
	s_cmp_ge_u32 s85, s35
	s_cselect_b32 s85, s86, s85
	s_delay_alu instid0(SALU_CYCLE_1) | instskip(SKIP_2) | instid1(SALU_CYCLE_1)
	s_sub_i32 s86, s85, s35
	s_cmp_ge_u32 s85, s35
	s_cselect_b32 s85, s86, s85
	s_sub_i32 s86, s10, s85
	s_mov_b32 s10, 0
	s_mov_b32 s85, exec_lo
	v_cmpx_gt_u32_e64 s86, v0
	s_cbranch_execz .LBB114_289
; %bb.280:                              ;   in Loop: Header=BB114_6 Depth=1
	v_dual_mov_b32 v1, v19 :: v_dual_mov_b32 v2, v0
	s_mov_b32 s89, 0
                                        ; implicit-def: $sgpr90
	s_branch .LBB114_282
.LBB114_281:                            ;   in Loop: Header=BB114_282 Depth=2
	s_or_b32 exec_lo, exec_lo, s10
	s_waitcnt lgkmcnt(0)
	s_barrier
	buffer_gl0_inv
	ds_load_b32 v3, v9 offset:3072
	v_add_nc_u32_e32 v2, s35, v2
	v_add_nc_u32_e32 v1, s70, v1
	s_waitcnt lgkmcnt(0)
	s_barrier
	buffer_gl0_inv
	v_cmp_le_u32_e32 vcc_lo, s86, v2
	v_and_b32_e32 v8, 0x7fff, v3
	s_delay_alu instid0(VALU_DEP_1) | instskip(NEXT) | instid1(VALU_DEP_1)
	v_cmp_ne_u16_e64 s10, 0, v8
	s_or_b32 s91, vcc_lo, s10
	s_delay_alu instid0(SALU_CYCLE_1) | instskip(NEXT) | instid1(SALU_CYCLE_1)
	s_and_b32 s91, exec_lo, s91
	s_or_b32 s89, s91, s89
	s_and_not1_b32 s90, s90, exec_lo
	s_and_b32 s10, s10, exec_lo
	s_delay_alu instid0(SALU_CYCLE_1)
	s_or_b32 s90, s90, s10
	s_and_not1_b32 exec_lo, exec_lo, s89
	s_cbranch_execz .LBB114_288
.LBB114_282:                            ;   Parent Loop BB114_6 Depth=1
                                        ; =>  This Inner Loop Header: Depth=2
	s_delay_alu instid0(VALU_DEP_1)
	v_cmp_gt_u32_e32 vcc_lo, s22, v2
	v_mov_b32_e32 v3, 0
	s_and_saveexec_b32 s10, vcc_lo
	s_cbranch_execz .LBB114_284
; %bb.283:                              ;   in Loop: Header=BB114_282 Depth=2
	ds_load_u16 v3, v1
.LBB114_284:                            ;   in Loop: Header=BB114_282 Depth=2
	s_or_b32 exec_lo, exec_lo, s10
	s_and_saveexec_b32 s10, vcc_lo
	s_cbranch_execz .LBB114_281
; %bb.285:                              ;   in Loop: Header=BB114_282 Depth=2
	s_waitcnt lgkmcnt(0)
	v_cmp_lt_i16_e32 vcc_lo, -1, v3
	v_and_b32_e32 v8, 0xffff, v3
	v_dual_cndmask_b32 v29, 0xffff, v26 :: v_dual_lshlrev_b32 v30, 16, v3
	s_delay_alu instid0(VALU_DEP_1) | instskip(NEXT) | instid1(VALU_DEP_2)
	v_cmp_o_f32_e32 vcc_lo, v30, v30
	v_xor_b32_e32 v8, v29, v8
	s_delay_alu instid0(VALU_DEP_1) | instskip(NEXT) | instid1(VALU_DEP_1)
	v_cndmask_b32_e32 v8, 0xffff, v8, vcc_lo
	v_and_b32_e32 v8, v8, v27
	s_delay_alu instid0(VALU_DEP_1)
	v_cmp_eq_u32_e32 vcc_lo, v8, v28
	s_and_b32 exec_lo, exec_lo, vcc_lo
	s_cbranch_execz .LBB114_281
; %bb.286:                              ;   in Loop: Header=BB114_282 Depth=2
	v_perm_b32 v3, v3, s72, 0x5040100
	ds_store_b32 v9, v3 offset:3072
	s_branch .LBB114_281
.LBB114_287:                            ;   in Loop: Header=BB114_6 Depth=1
	s_mov_b32 s22, -1
	s_mov_b32 s10, 0
                                        ; implicit-def: $sgpr85
                                        ; implicit-def: $vgpr29
	s_mov_b32 s86, s22
	s_cbranch_execnz .LBB114_290
	s_branch .LBB114_300
.LBB114_288:                            ;   in Loop: Header=BB114_6 Depth=1
	s_or_b32 exec_lo, exec_lo, s89
	v_lshrrev_b32_e32 v29, 16, v3
	s_and_b32 s10, s90, exec_lo
.LBB114_289:                            ;   in Loop: Header=BB114_6 Depth=1
	s_or_b32 exec_lo, exec_lo, s85
	s_mov_b32 s22, 0
	s_mov_b32 s85, -1
	s_mov_b32 s86, s22
	s_branch .LBB114_300
.LBB114_290:                            ;   in Loop: Header=BB114_6 Depth=1
	s_mov_b32 s10, 0
                                        ; implicit-def: $vgpr29
	s_and_saveexec_b32 s22, s9
	s_cbranch_execz .LBB114_299
; %bb.291:                              ;   in Loop: Header=BB114_6 Depth=1
	v_dual_mov_b32 v8, v7 :: v_dual_mov_b32 v1, v0
	s_mov_b32 s85, 0
                                        ; implicit-def: $sgpr86
	s_branch .LBB114_293
.LBB114_292:                            ;   in Loop: Header=BB114_293 Depth=2
	s_or_b32 exec_lo, exec_lo, s10
	s_waitcnt vmcnt(0) lgkmcnt(0)
	s_barrier
	buffer_gl0_inv
	ds_load_b32 v2, v9 offset:3072
	v_add_nc_u32_e32 v1, s35, v1
	v_add_nc_u32_e32 v8, s39, v8
	s_waitcnt lgkmcnt(0)
	s_barrier
	buffer_gl0_inv
	v_cmp_le_u32_e32 vcc_lo, s67, v1
	v_and_b32_e32 v3, 0x7fff, v2
	s_delay_alu instid0(VALU_DEP_1) | instskip(NEXT) | instid1(VALU_DEP_1)
	v_cmp_ne_u16_e64 s10, 0, v3
	s_or_b32 s89, vcc_lo, s10
	s_delay_alu instid0(SALU_CYCLE_1) | instskip(NEXT) | instid1(SALU_CYCLE_1)
	s_and_b32 s89, exec_lo, s89
	s_or_b32 s85, s89, s85
	s_and_not1_b32 s86, s86, exec_lo
	s_and_b32 s10, s10, exec_lo
	s_delay_alu instid0(SALU_CYCLE_1)
	s_or_b32 s86, s86, s10
	s_and_not1_b32 exec_lo, exec_lo, s85
	s_cbranch_execz .LBB114_298
.LBB114_293:                            ;   Parent Loop BB114_6 Depth=1
                                        ; =>  This Inner Loop Header: Depth=2
	s_delay_alu instid0(VALU_DEP_1)
	v_cmp_gt_u32_e32 vcc_lo, s24, v1
	v_mov_b32_e32 v2, 0
	s_and_saveexec_b32 s89, vcc_lo
	s_cbranch_execz .LBB114_295
; %bb.294:                              ;   in Loop: Header=BB114_293 Depth=2
	v_lshlrev_b64 v[2:3], 1, v[8:9]
	s_delay_alu instid0(VALU_DEP_1) | instskip(NEXT) | instid1(VALU_DEP_1)
	v_add_co_u32 v2, s10, s31, v2
	v_add_co_ci_u32_e64 v3, s10, s33, v3, s10
	global_load_u16 v2, v[2:3], off
.LBB114_295:                            ;   in Loop: Header=BB114_293 Depth=2
	s_or_b32 exec_lo, exec_lo, s89
	s_and_saveexec_b32 s10, vcc_lo
	s_cbranch_execz .LBB114_292
; %bb.296:                              ;   in Loop: Header=BB114_293 Depth=2
	s_waitcnt vmcnt(0)
	v_cmp_lt_i16_e32 vcc_lo, -1, v2
	v_and_b32_e32 v3, 0xffff, v2
	v_cndmask_b32_e32 v29, 0xffff, v26, vcc_lo
	s_delay_alu instid0(VALU_DEP_1) | instskip(SKIP_1) | instid1(VALU_DEP_1)
	v_xor_b32_e32 v3, v29, v3
	v_lshlrev_b32_e32 v30, 16, v2
	v_cmp_o_f32_e32 vcc_lo, v30, v30
	s_delay_alu instid0(VALU_DEP_3) | instskip(NEXT) | instid1(VALU_DEP_1)
	v_cndmask_b32_e32 v3, 0xffff, v3, vcc_lo
	v_and_b32_e32 v3, v3, v27
	s_delay_alu instid0(VALU_DEP_1)
	v_cmp_eq_u32_e32 vcc_lo, v3, v28
	s_and_b32 exec_lo, exec_lo, vcc_lo
	s_cbranch_execz .LBB114_292
; %bb.297:                              ;   in Loop: Header=BB114_293 Depth=2
	v_perm_b32 v2, v2, s72, 0x5040100
	ds_store_b32 v9, v2 offset:3072
	s_branch .LBB114_292
.LBB114_298:                            ;   in Loop: Header=BB114_6 Depth=1
	s_or_b32 exec_lo, exec_lo, s85
	v_lshrrev_b32_e32 v29, 16, v2
	s_and_b32 s10, s86, exec_lo
.LBB114_299:                            ;   in Loop: Header=BB114_6 Depth=1
	s_or_b32 exec_lo, exec_lo, s22
	s_mov_b32 s85, 0
	s_mov_b32 s22, -1
	s_mov_b32 s86, 0
.LBB114_300:                            ;   in Loop: Header=BB114_6 Depth=1
	s_or_not1_b32 s10, s10, exec_lo
.LBB114_301:                            ;   in Loop: Header=BB114_6 Depth=1
	s_or_b32 exec_lo, exec_lo, s87
	s_mov_b32 s89, 0
                                        ; implicit-def: $vgpr8
	s_and_saveexec_b32 s87, s10
	s_cbranch_execz .LBB114_394
; %bb.302:                              ;   in Loop: Header=BB114_6 Depth=1
	v_dual_mov_b32 v1, 1 :: v_dual_mov_b32 v8, 1
	s_xor_b32 s88, s88, -1
	s_mov_b32 s90, 0
	s_and_saveexec_b32 s10, s88
	s_cbranch_execz .LBB114_312
; %bb.303:                              ;   in Loop: Header=BB114_6 Depth=1
	s_mov_b32 s89, exec_lo
                                        ; implicit-def: $sgpr90
                                        ; implicit-def: $sgpr88
	v_cmpx_ge_u32_e64 s18, v4
	s_xor_b32 s89, exec_lo, s89
	s_cbranch_execz .LBB114_309
; %bb.304:                              ;   in Loop: Header=BB114_6 Depth=1
	ds_load_b32 v1, v9 offset:4096
	s_waitcnt lgkmcnt(0)
	v_cmp_ne_u32_e32 vcc_lo, 0, v1
	s_cbranch_vccnz .LBB114_308
; %bb.305:                              ;   in Loop: Header=BB114_6 Depth=1
	s_and_saveexec_b32 s88, s5
	s_cbranch_execz .LBB114_307
; %bb.306:                              ;   in Loop: Header=BB114_6 Depth=1
	v_mov_b32_e32 v1, s18
	ds_store_b32 v9, v1 offset:4100
.LBB114_307:                            ;   in Loop: Header=BB114_6 Depth=1
	s_or_b32 exec_lo, exec_lo, s88
	s_waitcnt lgkmcnt(0)
	s_barrier
	buffer_gl0_inv
.LBB114_308:                            ;   in Loop: Header=BB114_6 Depth=1
	s_lshl_b32 s88, 2, s17
	v_or_b32_e32 v27, s13, v27
	v_and_or_b32 v28, v28, s14, s88
	s_mov_b32 s88, 0
	s_mov_b32 s90, 5
.LBB114_309:                            ;   in Loop: Header=BB114_6 Depth=1
	s_or_saveexec_b32 s89, s89
	v_mov_b32_e32 v8, s90
	s_xor_b32 exec_lo, exec_lo, s89
; %bb.310:                              ;   in Loop: Header=BB114_6 Depth=1
	v_subrev_nc_u32_e32 v4, s18, v4
	v_mov_b32_e32 v8, 0
	s_or_b32 s88, s88, exec_lo
; %bb.311:                              ;   in Loop: Header=BB114_6 Depth=1
	s_or_b32 exec_lo, exec_lo, s89
	s_delay_alu instid0(VALU_DEP_2)
	v_mov_b32_e32 v1, v4
	s_and_b32 s90, s88, exec_lo
.LBB114_312:                            ;   in Loop: Header=BB114_6 Depth=1
	s_or_b32 exec_lo, exec_lo, s10
	s_mov_b32 s10, -1
                                        ; implicit-def: $sgpr88
                                        ; implicit-def: $sgpr89
                                        ; implicit-def: $sgpr91
	s_and_saveexec_b32 s18, s90
	s_cbranch_execz .LBB114_393
; %bb.313:                              ;   in Loop: Header=BB114_6 Depth=1
	v_cmp_eq_u32_e32 vcc_lo, 1, v1
	s_cmp_eq_u32 s16, 1
                                        ; implicit-def: $sgpr88
                                        ; implicit-def: $sgpr89
                                        ; implicit-def: $sgpr90
	s_cselect_b32 s10, -1, 0
	s_delay_alu instid0(SALU_CYCLE_1)
	s_and_b32 s92, s10, vcc_lo
	s_mov_b32 s10, -1
	s_and_saveexec_b32 s91, s92
	s_cbranch_execz .LBB114_339
; %bb.314:                              ;   in Loop: Header=BB114_6 Depth=1
	ds_load_b32 v2, v9 offset:4096
	s_waitcnt lgkmcnt(0)
	s_barrier
	buffer_gl0_inv
	v_readfirstlane_b32 s88, v2
	s_and_saveexec_b32 s10, s6
	s_cbranch_execz .LBB114_316
; %bb.315:                              ;   in Loop: Header=BB114_6 Depth=1
	ds_store_b16 v20, v9
.LBB114_316:                            ;   in Loop: Header=BB114_6 Depth=1
	s_or_b32 exec_lo, exec_lo, s10
	s_lshl_b32 s10, 1, s17
	v_or_b32_e32 v27, s13, v27
	v_and_or_b32 v28, v28, s14, s10
	s_cmp_eq_u32 s88, 0
	s_waitcnt lgkmcnt(0)
	s_barrier
	buffer_gl0_inv
	s_cbranch_scc1 .LBB114_325
; %bb.317:                              ;   in Loop: Header=BB114_6 Depth=1
	s_add_i32 s10, s88, s59
                                        ; implicit-def: $vgpr29
	s_delay_alu instid0(SALU_CYCLE_1) | instskip(NEXT) | instid1(SALU_CYCLE_1)
	s_mul_hi_u32 s89, s10, s66
	s_mul_i32 s89, s89, s35
	s_delay_alu instid0(SALU_CYCLE_1) | instskip(NEXT) | instid1(SALU_CYCLE_1)
	s_sub_i32 s89, s10, s89
	s_sub_i32 s90, s89, s35
	s_cmp_ge_u32 s89, s35
	s_cselect_b32 s89, s90, s89
	s_delay_alu instid0(SALU_CYCLE_1) | instskip(SKIP_2) | instid1(SALU_CYCLE_1)
	s_sub_i32 s90, s89, s35
	s_cmp_ge_u32 s89, s35
	s_cselect_b32 s89, s90, s89
	s_sub_i32 s90, s10, s89
	s_mov_b32 s10, 0
	s_mov_b32 s89, exec_lo
	v_cmpx_gt_u32_e64 s90, v0
	s_cbranch_execz .LBB114_327
; %bb.318:                              ;   in Loop: Header=BB114_6 Depth=1
	v_dual_mov_b32 v2, v19 :: v_dual_mov_b32 v3, v0
	s_mov_b32 s93, 0
                                        ; implicit-def: $sgpr94
	s_branch .LBB114_320
.LBB114_319:                            ;   in Loop: Header=BB114_320 Depth=2
	s_or_b32 exec_lo, exec_lo, s10
	s_waitcnt lgkmcnt(0)
	s_barrier
	buffer_gl0_inv
	ds_load_b32 v4, v9 offset:3072
	v_add_nc_u32_e32 v3, s35, v3
	v_add_nc_u32_e32 v2, s70, v2
	s_waitcnt lgkmcnt(0)
	s_barrier
	buffer_gl0_inv
	v_cmp_le_u32_e32 vcc_lo, s90, v3
	v_and_b32_e32 v8, 0x7fff, v4
	s_delay_alu instid0(VALU_DEP_1) | instskip(NEXT) | instid1(VALU_DEP_1)
	v_cmp_ne_u16_e64 s10, 0, v8
	s_or_b32 s95, vcc_lo, s10
	s_delay_alu instid0(SALU_CYCLE_1) | instskip(NEXT) | instid1(SALU_CYCLE_1)
	s_and_b32 s95, exec_lo, s95
	s_or_b32 s93, s95, s93
	s_and_not1_b32 s94, s94, exec_lo
	s_and_b32 s10, s10, exec_lo
	s_delay_alu instid0(SALU_CYCLE_1)
	s_or_b32 s94, s94, s10
	s_and_not1_b32 exec_lo, exec_lo, s93
	s_cbranch_execz .LBB114_326
.LBB114_320:                            ;   Parent Loop BB114_6 Depth=1
                                        ; =>  This Inner Loop Header: Depth=2
	s_delay_alu instid0(VALU_DEP_1)
	v_cmp_gt_u32_e32 vcc_lo, s88, v3
	v_mov_b32_e32 v4, 0
	s_and_saveexec_b32 s10, vcc_lo
	s_cbranch_execz .LBB114_322
; %bb.321:                              ;   in Loop: Header=BB114_320 Depth=2
	ds_load_u16 v4, v2
.LBB114_322:                            ;   in Loop: Header=BB114_320 Depth=2
	s_or_b32 exec_lo, exec_lo, s10
	s_and_saveexec_b32 s10, vcc_lo
	s_cbranch_execz .LBB114_319
; %bb.323:                              ;   in Loop: Header=BB114_320 Depth=2
	s_waitcnt lgkmcnt(0)
	v_cmp_lt_i16_e32 vcc_lo, -1, v4
	v_and_b32_e32 v8, 0xffff, v4
	v_dual_cndmask_b32 v29, 0xffff, v26 :: v_dual_lshlrev_b32 v30, 16, v4
	s_delay_alu instid0(VALU_DEP_1) | instskip(NEXT) | instid1(VALU_DEP_2)
	v_cmp_o_f32_e32 vcc_lo, v30, v30
	v_xor_b32_e32 v8, v29, v8
	s_delay_alu instid0(VALU_DEP_1) | instskip(NEXT) | instid1(VALU_DEP_1)
	v_cndmask_b32_e32 v8, 0xffff, v8, vcc_lo
	v_and_b32_e32 v8, v8, v27
	s_delay_alu instid0(VALU_DEP_1)
	v_cmp_eq_u32_e32 vcc_lo, v8, v28
	s_and_b32 exec_lo, exec_lo, vcc_lo
	s_cbranch_execz .LBB114_319
; %bb.324:                              ;   in Loop: Header=BB114_320 Depth=2
	v_perm_b32 v4, v4, s72, 0x5040100
	ds_store_b32 v9, v4 offset:3072
	s_branch .LBB114_319
.LBB114_325:                            ;   in Loop: Header=BB114_6 Depth=1
	s_mov_b32 s88, -1
	s_mov_b32 s10, 0
                                        ; implicit-def: $sgpr89
                                        ; implicit-def: $vgpr29
	s_mov_b32 s90, s88
	s_cbranch_execnz .LBB114_328
	s_branch .LBB114_338
.LBB114_326:                            ;   in Loop: Header=BB114_6 Depth=1
	s_or_b32 exec_lo, exec_lo, s93
	v_lshrrev_b32_e32 v29, 16, v4
	s_and_b32 s10, s94, exec_lo
.LBB114_327:                            ;   in Loop: Header=BB114_6 Depth=1
	s_or_b32 exec_lo, exec_lo, s89
	s_mov_b32 s88, 0
	s_mov_b32 s89, -1
	s_mov_b32 s90, s88
	s_branch .LBB114_338
.LBB114_328:                            ;   in Loop: Header=BB114_6 Depth=1
	s_mov_b32 s10, 0
                                        ; implicit-def: $vgpr29
	s_and_saveexec_b32 s88, s9
	s_cbranch_execz .LBB114_337
; %bb.329:                              ;   in Loop: Header=BB114_6 Depth=1
	v_mov_b32_e32 v8, v7
	v_mov_b32_e32 v2, v0
	s_mov_b32 s89, 0
                                        ; implicit-def: $sgpr90
	s_branch .LBB114_331
.LBB114_330:                            ;   in Loop: Header=BB114_331 Depth=2
	s_or_b32 exec_lo, exec_lo, s10
	s_waitcnt vmcnt(0) lgkmcnt(0)
	s_barrier
	buffer_gl0_inv
	ds_load_b32 v3, v9 offset:3072
	v_add_nc_u32_e32 v2, s35, v2
	v_add_nc_u32_e32 v8, s39, v8
	s_waitcnt lgkmcnt(0)
	s_barrier
	buffer_gl0_inv
	v_cmp_le_u32_e32 vcc_lo, s67, v2
	v_and_b32_e32 v4, 0x7fff, v3
	s_delay_alu instid0(VALU_DEP_1) | instskip(NEXT) | instid1(VALU_DEP_1)
	v_cmp_ne_u16_e64 s10, 0, v4
	s_or_b32 s93, vcc_lo, s10
	s_delay_alu instid0(SALU_CYCLE_1) | instskip(NEXT) | instid1(SALU_CYCLE_1)
	s_and_b32 s93, exec_lo, s93
	s_or_b32 s89, s93, s89
	s_and_not1_b32 s90, s90, exec_lo
	s_and_b32 s10, s10, exec_lo
	s_delay_alu instid0(SALU_CYCLE_1)
	s_or_b32 s90, s90, s10
	s_and_not1_b32 exec_lo, exec_lo, s89
	s_cbranch_execz .LBB114_336
.LBB114_331:                            ;   Parent Loop BB114_6 Depth=1
                                        ; =>  This Inner Loop Header: Depth=2
	s_delay_alu instid0(VALU_DEP_1)
	v_cmp_gt_u32_e32 vcc_lo, s24, v2
	v_mov_b32_e32 v3, 0
	s_and_saveexec_b32 s93, vcc_lo
	s_cbranch_execz .LBB114_333
; %bb.332:                              ;   in Loop: Header=BB114_331 Depth=2
	v_lshlrev_b64 v[3:4], 1, v[8:9]
	s_delay_alu instid0(VALU_DEP_1) | instskip(NEXT) | instid1(VALU_DEP_1)
	v_add_co_u32 v3, s10, s31, v3
	v_add_co_ci_u32_e64 v4, s10, s33, v4, s10
	global_load_u16 v3, v[3:4], off
.LBB114_333:                            ;   in Loop: Header=BB114_331 Depth=2
	s_or_b32 exec_lo, exec_lo, s93
	s_and_saveexec_b32 s10, vcc_lo
	s_cbranch_execz .LBB114_330
; %bb.334:                              ;   in Loop: Header=BB114_331 Depth=2
	s_waitcnt vmcnt(0)
	v_cmp_lt_i16_e32 vcc_lo, -1, v3
	v_and_b32_e32 v4, 0xffff, v3
	v_dual_cndmask_b32 v29, 0xffff, v26 :: v_dual_lshlrev_b32 v30, 16, v3
	s_delay_alu instid0(VALU_DEP_1) | instskip(NEXT) | instid1(VALU_DEP_2)
	v_cmp_o_f32_e32 vcc_lo, v30, v30
	v_xor_b32_e32 v4, v29, v4
	s_delay_alu instid0(VALU_DEP_1) | instskip(NEXT) | instid1(VALU_DEP_1)
	v_cndmask_b32_e32 v4, 0xffff, v4, vcc_lo
	v_and_b32_e32 v4, v4, v27
	s_delay_alu instid0(VALU_DEP_1)
	v_cmp_eq_u32_e32 vcc_lo, v4, v28
	s_and_b32 exec_lo, exec_lo, vcc_lo
	s_cbranch_execz .LBB114_330
; %bb.335:                              ;   in Loop: Header=BB114_331 Depth=2
	v_perm_b32 v3, v3, s72, 0x5040100
	ds_store_b32 v9, v3 offset:3072
	s_branch .LBB114_330
.LBB114_336:                            ;   in Loop: Header=BB114_6 Depth=1
	s_or_b32 exec_lo, exec_lo, s89
	v_lshrrev_b32_e32 v29, 16, v3
	s_and_b32 s10, s90, exec_lo
.LBB114_337:                            ;   in Loop: Header=BB114_6 Depth=1
	s_or_b32 exec_lo, exec_lo, s88
	s_mov_b32 s89, 0
	s_mov_b32 s88, -1
	s_mov_b32 s90, 0
.LBB114_338:                            ;   in Loop: Header=BB114_6 Depth=1
	s_or_not1_b32 s10, s10, exec_lo
.LBB114_339:                            ;   in Loop: Header=BB114_6 Depth=1
	s_or_b32 exec_lo, exec_lo, s91
	s_mov_b32 s93, 0
                                        ; implicit-def: $vgpr8
	s_and_saveexec_b32 s91, s10
	s_cbranch_execz .LBB114_392
; %bb.340:                              ;   in Loop: Header=BB114_6 Depth=1
	v_mov_b32_e32 v2, 1
	v_mov_b32_e32 v8, 1
	s_xor_b32 s93, s92, -1
	s_mov_b32 s92, 0
	s_and_saveexec_b32 s10, s93
	s_cbranch_execz .LBB114_350
; %bb.341:                              ;   in Loop: Header=BB114_6 Depth=1
	s_mov_b32 s93, exec_lo
                                        ; implicit-def: $sgpr94
                                        ; implicit-def: $sgpr92
	v_cmpx_ge_u32_e64 s16, v1
	s_xor_b32 s93, exec_lo, s93
	s_cbranch_execz .LBB114_347
; %bb.342:                              ;   in Loop: Header=BB114_6 Depth=1
	ds_load_b32 v2, v9 offset:4096
	s_waitcnt lgkmcnt(0)
	v_cmp_ne_u32_e32 vcc_lo, 0, v2
	s_cbranch_vccnz .LBB114_346
; %bb.343:                              ;   in Loop: Header=BB114_6 Depth=1
	s_and_saveexec_b32 s92, s5
	s_cbranch_execz .LBB114_345
; %bb.344:                              ;   in Loop: Header=BB114_6 Depth=1
	v_mov_b32_e32 v2, s16
	ds_store_b32 v9, v2 offset:4100
.LBB114_345:                            ;   in Loop: Header=BB114_6 Depth=1
	s_or_b32 exec_lo, exec_lo, s92
	s_waitcnt lgkmcnt(0)
	s_barrier
	buffer_gl0_inv
.LBB114_346:                            ;   in Loop: Header=BB114_6 Depth=1
	s_lshl_b32 s17, 1, s17
	v_or_b32_e32 v27, s13, v27
	v_and_or_b32 v28, v28, s14, s17
	s_mov_b32 s92, 0
	s_mov_b32 s94, 5
.LBB114_347:                            ;   in Loop: Header=BB114_6 Depth=1
	s_or_saveexec_b32 s17, s93
	v_mov_b32_e32 v8, s94
	s_xor_b32 exec_lo, exec_lo, s17
; %bb.348:                              ;   in Loop: Header=BB114_6 Depth=1
	v_subrev_nc_u32_e32 v1, s16, v1
	v_mov_b32_e32 v8, 0
	s_or_b32 s92, s92, exec_lo
; %bb.349:                              ;   in Loop: Header=BB114_6 Depth=1
	s_or_b32 exec_lo, exec_lo, s17
	s_delay_alu instid0(VALU_DEP_2)
	v_mov_b32_e32 v2, v1
	s_and_b32 s92, s92, exec_lo
.LBB114_350:                            ;   in Loop: Header=BB114_6 Depth=1
	s_or_b32 exec_lo, exec_lo, s10
	s_mov_b32 s17, -1
                                        ; implicit-def: $sgpr10
                                        ; implicit-def: $sgpr93
                                        ; implicit-def: $sgpr94
	s_and_saveexec_b32 s16, s92
	s_cbranch_execz .LBB114_391
; %bb.351:                              ;   in Loop: Header=BB114_6 Depth=1
	v_cmp_eq_u32_e32 vcc_lo, 1, v2
	s_cmp_eq_u32 s12, 1
	s_mov_b32 s95, -1
	s_cselect_b32 s10, -1, 0
                                        ; implicit-def: $sgpr93
                                        ; implicit-def: $sgpr94
	s_delay_alu instid0(SALU_CYCLE_1) | instskip(NEXT) | instid1(SALU_CYCLE_1)
	s_and_b32 s17, s10, vcc_lo
                                        ; implicit-def: $sgpr10
	s_and_saveexec_b32 s92, s17
	s_cbranch_execz .LBB114_378
; %bb.352:                              ;   in Loop: Header=BB114_6 Depth=1
	ds_load_b32 v1, v9 offset:4096
	s_waitcnt lgkmcnt(0)
	s_barrier
	buffer_gl0_inv
	v_readfirstlane_b32 s93, v1
	s_and_saveexec_b32 s10, s6
	s_cbranch_execz .LBB114_354
; %bb.353:                              ;   in Loop: Header=BB114_6 Depth=1
	ds_store_b16 v20, v9
.LBB114_354:                            ;   in Loop: Header=BB114_6 Depth=1
	s_or_b32 exec_lo, exec_lo, s10
	v_and_b32_e32 v28, s14, v28
	v_or_b32_e32 v27, s13, v27
	s_cmp_eq_u32 s93, 0
	s_waitcnt lgkmcnt(0)
	s_barrier
	buffer_gl0_inv
	s_cbranch_scc1 .LBB114_363
; %bb.355:                              ;   in Loop: Header=BB114_6 Depth=1
	s_add_i32 s10, s93, s59
	s_mov_b32 s96, 0
	s_mul_hi_u32 s94, s10, s66
                                        ; implicit-def: $vgpr29
	s_delay_alu instid0(SALU_CYCLE_1) | instskip(NEXT) | instid1(SALU_CYCLE_1)
	s_mul_i32 s94, s94, s35
	s_sub_i32 s94, s10, s94
	s_delay_alu instid0(SALU_CYCLE_1) | instskip(SKIP_2) | instid1(SALU_CYCLE_1)
	s_sub_i32 s95, s94, s35
	s_cmp_ge_u32 s94, s35
	s_cselect_b32 s94, s95, s94
	s_sub_i32 s95, s94, s35
	s_cmp_ge_u32 s94, s35
	s_cselect_b32 s94, s95, s94
	s_delay_alu instid0(SALU_CYCLE_1)
	s_sub_i32 s95, s10, s94
	s_mov_b32 s94, exec_lo
	v_cmpx_gt_u32_e64 s95, v0
	s_cbranch_execz .LBB114_365
; %bb.356:                              ;   in Loop: Header=BB114_6 Depth=1
	v_mov_b32_e32 v1, v19
	v_mov_b32_e32 v3, v0
                                        ; implicit-def: $sgpr97
	s_branch .LBB114_358
.LBB114_357:                            ;   in Loop: Header=BB114_358 Depth=2
	s_or_b32 exec_lo, exec_lo, s10
	s_waitcnt lgkmcnt(0)
	s_barrier
	buffer_gl0_inv
	ds_load_b32 v4, v9 offset:3072
	v_add_nc_u32_e32 v3, s35, v3
	v_add_nc_u32_e32 v1, s70, v1
	s_waitcnt lgkmcnt(0)
	s_barrier
	buffer_gl0_inv
	v_cmp_le_u32_e32 vcc_lo, s95, v3
	v_and_b32_e32 v8, 0x7fff, v4
	s_delay_alu instid0(VALU_DEP_1) | instskip(NEXT) | instid1(VALU_DEP_1)
	v_cmp_ne_u16_e64 s10, 0, v8
	s_or_b32 s98, vcc_lo, s10
	s_delay_alu instid0(SALU_CYCLE_1) | instskip(NEXT) | instid1(SALU_CYCLE_1)
	s_and_b32 s98, exec_lo, s98
	s_or_b32 s96, s98, s96
	s_and_not1_b32 s97, s97, exec_lo
	s_and_b32 s10, s10, exec_lo
	s_delay_alu instid0(SALU_CYCLE_1)
	s_or_b32 s97, s97, s10
	s_and_not1_b32 exec_lo, exec_lo, s96
	s_cbranch_execz .LBB114_364
.LBB114_358:                            ;   Parent Loop BB114_6 Depth=1
                                        ; =>  This Inner Loop Header: Depth=2
	s_delay_alu instid0(VALU_DEP_1)
	v_cmp_gt_u32_e32 vcc_lo, s93, v3
	v_mov_b32_e32 v4, 0
	s_and_saveexec_b32 s10, vcc_lo
	s_cbranch_execz .LBB114_360
; %bb.359:                              ;   in Loop: Header=BB114_358 Depth=2
	ds_load_u16 v4, v1
.LBB114_360:                            ;   in Loop: Header=BB114_358 Depth=2
	s_or_b32 exec_lo, exec_lo, s10
	s_and_saveexec_b32 s10, vcc_lo
	s_cbranch_execz .LBB114_357
; %bb.361:                              ;   in Loop: Header=BB114_358 Depth=2
	s_waitcnt lgkmcnt(0)
	v_cmp_lt_i16_e32 vcc_lo, -1, v4
	v_and_b32_e32 v8, 0xffff, v4
	v_dual_cndmask_b32 v29, 0xffff, v26 :: v_dual_lshlrev_b32 v30, 16, v4
	s_delay_alu instid0(VALU_DEP_1) | instskip(NEXT) | instid1(VALU_DEP_2)
	v_cmp_o_f32_e32 vcc_lo, v30, v30
	v_xor_b32_e32 v8, v29, v8
	s_delay_alu instid0(VALU_DEP_1) | instskip(NEXT) | instid1(VALU_DEP_1)
	v_cndmask_b32_e32 v8, 0xffff, v8, vcc_lo
	v_and_b32_e32 v8, v8, v27
	s_delay_alu instid0(VALU_DEP_1)
	v_cmp_eq_u32_e32 vcc_lo, v8, v28
	s_and_b32 exec_lo, exec_lo, vcc_lo
	s_cbranch_execz .LBB114_357
; %bb.362:                              ;   in Loop: Header=BB114_358 Depth=2
	v_perm_b32 v4, v4, s72, 0x5040100
	ds_store_b32 v9, v4 offset:3072
	s_branch .LBB114_357
.LBB114_363:                            ;   in Loop: Header=BB114_6 Depth=1
	s_mov_b32 s10, -1
	s_mov_b32 s96, 0
                                        ; implicit-def: $sgpr93
                                        ; implicit-def: $vgpr29
	s_branch .LBB114_366
.LBB114_364:                            ;   in Loop: Header=BB114_6 Depth=1
	s_or_b32 exec_lo, exec_lo, s96
	v_lshrrev_b32_e32 v29, 16, v4
	s_and_b32 s96, s97, exec_lo
.LBB114_365:                            ;   in Loop: Header=BB114_6 Depth=1
	s_or_b32 exec_lo, exec_lo, s94
	s_mov_b32 s10, 0
	s_mov_b32 s93, -1
.LBB114_366:                            ;   in Loop: Header=BB114_6 Depth=1
	s_and_b32 vcc_lo, exec_lo, s10
	s_mov_b32 s94, s10
	s_cbranch_vccz .LBB114_377
; %bb.367:                              ;   in Loop: Header=BB114_6 Depth=1
	s_mov_b32 s96, 0
                                        ; implicit-def: $vgpr29
	s_and_saveexec_b32 s93, s9
	s_cbranch_execz .LBB114_376
; %bb.368:                              ;   in Loop: Header=BB114_6 Depth=1
	v_dual_mov_b32 v8, v7 :: v_dual_mov_b32 v1, v0
	s_mov_b32 s94, 0
                                        ; implicit-def: $sgpr95
	s_branch .LBB114_370
.LBB114_369:                            ;   in Loop: Header=BB114_370 Depth=2
	s_or_b32 exec_lo, exec_lo, s10
	s_waitcnt vmcnt(0) lgkmcnt(0)
	s_barrier
	buffer_gl0_inv
	ds_load_b32 v3, v9 offset:3072
	v_add_nc_u32_e32 v1, s35, v1
	v_add_nc_u32_e32 v8, s39, v8
	s_waitcnt lgkmcnt(0)
	s_barrier
	buffer_gl0_inv
	v_cmp_le_u32_e32 vcc_lo, s67, v1
	v_and_b32_e32 v4, 0x7fff, v3
	s_delay_alu instid0(VALU_DEP_1) | instskip(NEXT) | instid1(VALU_DEP_1)
	v_cmp_ne_u16_e64 s10, 0, v4
	s_or_b32 s96, vcc_lo, s10
	s_delay_alu instid0(SALU_CYCLE_1) | instskip(NEXT) | instid1(SALU_CYCLE_1)
	s_and_b32 s96, exec_lo, s96
	s_or_b32 s94, s96, s94
	s_and_not1_b32 s95, s95, exec_lo
	s_and_b32 s10, s10, exec_lo
	s_delay_alu instid0(SALU_CYCLE_1)
	s_or_b32 s95, s95, s10
	s_and_not1_b32 exec_lo, exec_lo, s94
	s_cbranch_execz .LBB114_375
.LBB114_370:                            ;   Parent Loop BB114_6 Depth=1
                                        ; =>  This Inner Loop Header: Depth=2
	s_delay_alu instid0(VALU_DEP_1)
	v_cmp_gt_u32_e32 vcc_lo, s24, v1
	v_mov_b32_e32 v3, 0
	s_and_saveexec_b32 s96, vcc_lo
	s_cbranch_execz .LBB114_372
; %bb.371:                              ;   in Loop: Header=BB114_370 Depth=2
	v_lshlrev_b64 v[3:4], 1, v[8:9]
	s_delay_alu instid0(VALU_DEP_1) | instskip(NEXT) | instid1(VALU_DEP_1)
	v_add_co_u32 v3, s10, s31, v3
	v_add_co_ci_u32_e64 v4, s10, s33, v4, s10
	global_load_u16 v3, v[3:4], off
.LBB114_372:                            ;   in Loop: Header=BB114_370 Depth=2
	s_or_b32 exec_lo, exec_lo, s96
	s_and_saveexec_b32 s10, vcc_lo
	s_cbranch_execz .LBB114_369
; %bb.373:                              ;   in Loop: Header=BB114_370 Depth=2
	s_waitcnt vmcnt(0)
	v_cmp_lt_i16_e32 vcc_lo, -1, v3
	v_and_b32_e32 v4, 0xffff, v3
	v_dual_cndmask_b32 v29, 0xffff, v26 :: v_dual_lshlrev_b32 v30, 16, v3
	s_delay_alu instid0(VALU_DEP_1) | instskip(NEXT) | instid1(VALU_DEP_2)
	v_cmp_o_f32_e32 vcc_lo, v30, v30
	v_xor_b32_e32 v4, v29, v4
	s_delay_alu instid0(VALU_DEP_1) | instskip(NEXT) | instid1(VALU_DEP_1)
	v_cndmask_b32_e32 v4, 0xffff, v4, vcc_lo
	v_and_b32_e32 v4, v4, v27
	s_delay_alu instid0(VALU_DEP_1)
	v_cmp_eq_u32_e32 vcc_lo, v4, v28
	s_and_b32 exec_lo, exec_lo, vcc_lo
	s_cbranch_execz .LBB114_369
; %bb.374:                              ;   in Loop: Header=BB114_370 Depth=2
	v_perm_b32 v3, v3, s72, 0x5040100
	ds_store_b32 v9, v3 offset:3072
	s_branch .LBB114_369
.LBB114_375:                            ;   in Loop: Header=BB114_6 Depth=1
	s_or_b32 exec_lo, exec_lo, s94
	v_lshrrev_b32_e32 v29, 16, v3
	s_and_b32 s96, s95, exec_lo
.LBB114_376:                            ;   in Loop: Header=BB114_6 Depth=1
	s_or_b32 exec_lo, exec_lo, s93
	s_mov_b32 s93, 0
	s_mov_b32 s10, -1
	s_mov_b32 s94, 0
.LBB114_377:                            ;   in Loop: Header=BB114_6 Depth=1
	s_or_not1_b32 s95, s96, exec_lo
.LBB114_378:                            ;   in Loop: Header=BB114_6 Depth=1
	s_or_b32 exec_lo, exec_lo, s92
	s_mov_b32 s96, 0
                                        ; implicit-def: $vgpr8
                                        ; implicit-def: $vgpr1
	s_and_saveexec_b32 s92, s95
	s_cbranch_execz .LBB114_390
; %bb.379:                              ;   in Loop: Header=BB114_6 Depth=1
	v_dual_mov_b32 v8, 1 :: v_dual_mov_b32 v1, 1
	s_xor_b32 s95, s17, -1
	s_delay_alu instid0(SALU_CYCLE_1)
	s_and_saveexec_b32 s17, s95
	s_cbranch_execz .LBB114_389
; %bb.380:                              ;   in Loop: Header=BB114_6 Depth=1
	s_mov_b32 s95, exec_lo
                                        ; implicit-def: $sgpr96
	v_cmpx_ge_u32_e64 s12, v2
	s_xor_b32 s95, exec_lo, s95
	s_cbranch_execz .LBB114_386
; %bb.381:                              ;   in Loop: Header=BB114_6 Depth=1
	ds_load_b32 v1, v9 offset:4096
	s_waitcnt lgkmcnt(0)
	v_cmp_ne_u32_e32 vcc_lo, 0, v1
	s_cbranch_vccnz .LBB114_385
; %bb.382:                              ;   in Loop: Header=BB114_6 Depth=1
	s_and_saveexec_b32 s96, s5
	s_cbranch_execz .LBB114_384
; %bb.383:                              ;   in Loop: Header=BB114_6 Depth=1
	v_mov_b32_e32 v1, s12
	ds_store_b32 v9, v1 offset:4100
.LBB114_384:                            ;   in Loop: Header=BB114_6 Depth=1
	s_or_b32 exec_lo, exec_lo, s96
	s_waitcnt lgkmcnt(0)
	s_barrier
	buffer_gl0_inv
.LBB114_385:                            ;   in Loop: Header=BB114_6 Depth=1
	v_and_b32_e32 v28, s14, v28
	v_or_b32_e32 v27, s13, v27
	s_mov_b32 s96, 5
.LBB114_386:                            ;   in Loop: Header=BB114_6 Depth=1
	s_or_saveexec_b32 s13, s95
	v_mov_b32_e32 v8, s96
	s_xor_b32 exec_lo, exec_lo, s13
; %bb.387:                              ;   in Loop: Header=BB114_6 Depth=1
	v_subrev_nc_u32_e32 v2, s12, v2
	v_mov_b32_e32 v8, 5
; %bb.388:                              ;   in Loop: Header=BB114_6 Depth=1
	s_or_b32 exec_lo, exec_lo, s13
	s_delay_alu instid0(VALU_DEP_2)
	v_mov_b32_e32 v1, v2
.LBB114_389:                            ;   in Loop: Header=BB114_6 Depth=1
	s_or_b32 exec_lo, exec_lo, s17
	s_delay_alu instid0(SALU_CYCLE_1)
	s_mov_b32 s96, exec_lo
.LBB114_390:                            ;   in Loop: Header=BB114_6 Depth=1
	s_or_b32 exec_lo, exec_lo, s92
	s_delay_alu instid0(VALU_DEP_1)
	v_mov_b32_e32 v2, v1
	s_or_not1_b32 s17, s96, exec_lo
.LBB114_391:                            ;   in Loop: Header=BB114_6 Depth=1
	s_or_b32 exec_lo, exec_lo, s16
	s_delay_alu instid0(SALU_CYCLE_1)
	s_and_not1_b32 s12, s88, exec_lo
	s_and_b32 s10, s10, exec_lo
	s_and_not1_b32 s13, s90, exec_lo
	s_or_b32 s88, s12, s10
	s_and_not1_b32 s10, s89, exec_lo
	s_and_b32 s12, s93, exec_lo
	s_and_b32 s14, s94, exec_lo
	v_mov_b32_e32 v1, v2
	s_or_b32 s89, s10, s12
	s_or_b32 s90, s13, s14
	s_and_b32 s93, s17, exec_lo
.LBB114_392:                            ;   in Loop: Header=BB114_6 Depth=1
	s_or_b32 exec_lo, exec_lo, s91
	s_delay_alu instid0(SALU_CYCLE_1)
	s_and_b32 s91, s88, exec_lo
	s_and_b32 s89, s89, exec_lo
	;; [unrolled: 1-line block ×3, first 2 shown]
	s_or_not1_b32 s10, s93, exec_lo
.LBB114_393:                            ;   in Loop: Header=BB114_6 Depth=1
	s_or_b32 exec_lo, exec_lo, s18
	s_delay_alu instid0(SALU_CYCLE_1)
	s_and_not1_b32 s12, s22, exec_lo
	s_and_b32 s13, s91, exec_lo
	s_and_not1_b32 s14, s86, exec_lo
	s_or_b32 s22, s12, s13
	s_and_not1_b32 s12, s85, exec_lo
	s_and_b32 s13, s89, exec_lo
	s_and_b32 s16, s88, exec_lo
	v_mov_b32_e32 v4, v1
	s_or_b32 s85, s12, s13
	s_or_b32 s86, s14, s16
	s_and_b32 s89, s10, exec_lo
.LBB114_394:                            ;   in Loop: Header=BB114_6 Depth=1
	s_or_b32 exec_lo, exec_lo, s87
	s_delay_alu instid0(SALU_CYCLE_1)
	s_and_b32 s87, s22, exec_lo
	s_and_b32 s85, s85, exec_lo
	;; [unrolled: 1-line block ×3, first 2 shown]
	s_or_not1_b32 s86, s89, exec_lo
.LBB114_395:                            ;   in Loop: Header=BB114_6 Depth=1
	s_or_b32 exec_lo, exec_lo, s19
	s_mov_b32 s10, s20
	s_mov_b32 s12, s11
	s_and_saveexec_b32 s13, s86
; %bb.396:                              ;   in Loop: Header=BB114_6 Depth=1
	v_cmp_eq_u32_e32 vcc_lo, 5, v8
	v_cmp_ne_u32_e64 s10, 5, v8
	s_and_not1_b32 s12, s11, exec_lo
	s_and_not1_b32 s14, s20, exec_lo
	;; [unrolled: 1-line block ×3, first 2 shown]
	s_and_b32 s16, vcc_lo, exec_lo
	s_and_b32 s10, s10, exec_lo
	s_and_not1_b32 s85, s85, exec_lo
	s_and_not1_b32 s22, s22, exec_lo
	s_or_b32 s12, s12, s10
	s_or_b32 s10, s14, s16
; %bb.397:                              ;   in Loop: Header=BB114_6 Depth=1
	s_or_b32 exec_lo, exec_lo, s13
	s_delay_alu instid0(SALU_CYCLE_1)
	s_and_not1_b32 s13, s23, exec_lo
	s_and_b32 s14, s87, exec_lo
	v_dual_mov_b32 v1, v28 :: v_dual_mov_b32 v2, v27
	s_or_b32 s23, s13, s14
	s_and_not1_b32 s13, s84, exec_lo
	s_and_b32 s14, s85, exec_lo
	v_mov_b32_e32 v3, v29
	s_and_not1_b32 s15, s15, exec_lo
	s_and_b32 s16, s22, exec_lo
	s_or_b32 s84, s13, s14
	s_and_not1_b32 s11, s11, exec_lo
	s_and_b32 s12, s12, exec_lo
	s_and_not1_b32 s13, s20, exec_lo
	s_and_b32 s10, s10, exec_lo
	s_or_b32 s15, s15, s16
	s_or_b32 s11, s11, s12
	;; [unrolled: 1-line block ×3, first 2 shown]
.LBB114_398:                            ;   in Loop: Header=BB114_6 Depth=1
	s_or_b32 exec_lo, exec_lo, s21
	s_mov_b32 s22, s15
	s_mov_b32 s21, s15
	s_and_saveexec_b32 s10, s20
.LBB114_399:                            ;   in Loop: Header=BB114_6 Depth=1
	v_mov_b32_e32 v8, 0
	s_and_not1_b32 s15, s15, exec_lo
	s_and_not1_b32 s23, s23, exec_lo
	;; [unrolled: 1-line block ×5, first 2 shown]
	s_or_b32 s11, s11, exec_lo
.LBB114_400:                            ;   in Loop: Header=BB114_6 Depth=1
	s_or_b32 exec_lo, exec_lo, s10
	s_delay_alu instid0(SALU_CYCLE_1)
	s_and_not1_b32 s10, s83, exec_lo
	s_and_b32 s13, s15, exec_lo
	s_and_not1_b32 s14, s80, exec_lo
	s_or_b32 s83, s10, s13
	s_and_not1_b32 s10, s82, exec_lo
	s_and_b32 s13, s23, exec_lo
	s_and_b32 s15, s84, exec_lo
	s_or_b32 s82, s10, s13
	s_or_b32 s80, s14, s15
	s_and_not1_b32 s10, s81, exec_lo
	s_and_b32 s13, s22, exec_lo
	s_and_not1_b32 s14, s79, exec_lo
	s_and_b32 s15, s21, exec_lo
	s_mov_b32 s12, -1
	s_or_b32 s81, s10, s13
	s_or_b32 s79, s14, s15
                                        ; implicit-def: $vgpr27
                                        ; implicit-def: $vgpr28
                                        ; implicit-def: $vgpr30
                                        ; implicit-def: $vgpr29
	s_and_saveexec_b32 s10, s11
	s_delay_alu instid0(SALU_CYCLE_1)
	s_xor_b32 s10, exec_lo, s10
	s_cbranch_execz .LBB114_5
; %bb.401:                              ;   in Loop: Header=BB114_6 Depth=1
	s_mov_b32 s11, -1
	s_mov_b32 s13, exec_lo
	v_cmpx_eq_u32_e32 0, v8
	s_cbranch_execz .LBB114_4
; %bb.402:                              ;   in Loop: Header=BB114_6 Depth=1
	s_xor_b32 s73, s73, 1
	s_add_i32 s14, s77, -2
	s_cmp_eq_u32 s77, 0
	s_mov_b32 s77, s14
	s_cselect_b32 s11, -1, 0
	s_xor_b32 s12, exec_lo, -1
	s_or_not1_b32 s11, s11, exec_lo
	s_branch .LBB114_4
.LBB114_403:
	s_or_b32 exec_lo, exec_lo, s49
	s_xor_b32 s7, s78, -1
	s_xor_b32 s12, s75, -1
	;; [unrolled: 1-line block ×5, first 2 shown]
	s_mov_b32 s9, 0
	s_and_saveexec_b32 s10, s8
	s_delay_alu instid0(SALU_CYCLE_1)
	s_xor_b32 s8, exec_lo, s10
	s_cbranch_execz .LBB114_464
; %bb.404:
	s_mov_b32 s10, 0
	s_and_saveexec_b32 s9, s11
	s_delay_alu instid0(SALU_CYCLE_1)
	s_xor_b32 s9, exec_lo, s9
	s_cbranch_execz .LBB114_462
; %bb.405:
	;; [unrolled: 6-line block ×4, first 2 shown]
	s_and_saveexec_b32 s7, s6
	s_delay_alu instid0(SALU_CYCLE_1)
	s_xor_b32 s6, exec_lo, s7
; %bb.408:
	v_and_b32_e32 v2, 0x8000, v1
	v_mov_b32_e32 v3, 0xffff
	s_delay_alu instid0(VALU_DEP_2) | instskip(NEXT) | instid1(VALU_DEP_2)
	v_cmp_eq_u32_e32 vcc_lo, 0, v2
	v_cndmask_b32_e32 v2, 0x8000, v3, vcc_lo
	s_delay_alu instid0(VALU_DEP_1)
	v_xor_b32_e32 v3, v2, v1
; %bb.409:
	s_or_b32 exec_lo, exec_lo, s6
	s_and_saveexec_b32 s6, s5
	s_cbranch_execz .LBB114_411
; %bb.410:
	v_mov_b32_e32 v1, 0
	ds_store_b32 v1, v1 offset:4108
.LBB114_411:
	s_or_b32 exec_lo, exec_lo, s6
	v_mov_b32_e32 v9, 0
	s_waitcnt lgkmcnt(0)
	s_barrier
	buffer_gl0_inv
	s_and_saveexec_b32 s5, s4
	s_cbranch_execz .LBB114_413
; %bb.412:
	global_load_u16 v9, v[5:6], off
.LBB114_413:
	s_or_b32 exec_lo, exec_lo, s5
	s_mul_i32 s7, s54, s46
	s_add_i32 s5, s24, 31
	s_mul_i32 s6, s52, s47
	s_sub_i32 s7, s52, s7
	s_and_not1_b32 s5, s5, 31
	s_sub_i32 s6, s50, s6
	s_add_i32 s12, s54, 1
	s_sub_i32 s13, s7, s46
	s_cmp_ge_u32 s7, s46
	s_mul_i32 s6, s6, s38
	s_cselect_b32 s12, s12, s54
	s_cselect_b32 s7, s13, s7
	s_add_i32 s13, s12, 1
	s_cmp_ge_u32 s7, s46
	v_mov_b32_e32 v8, 0x8000
	s_cselect_b32 s7, s13, s12
	s_add_i32 s13, s53, 1
	s_mul_i32 s12, s7, s46
	s_mul_i32 s7, s7, s36
	s_sub_i32 s12, s52, s12
	v_cmp_lt_i16_e32 vcc_lo, -1, v3
	s_mul_i32 s12, s12, s37
	v_and_b32_e32 v1, 0xffff, v3
	s_add_i32 s6, s12, s6
	s_mul_i32 s12, s53, s44
	s_add_i32 s6, s6, s7
	s_mul_i32 s7, s51, s45
	s_sub_i32 s12, s51, s12
	s_sub_i32 s7, s50, s7
	s_sub_i32 s14, s12, s44
	s_cmp_ge_u32 s12, s44
	v_dual_cndmask_b32 v2, 0xffff, v8 :: v_dual_lshlrev_b32 v3, 16, v3
	s_cselect_b32 s13, s13, s53
	s_cselect_b32 s12, s14, s12
	s_add_i32 s14, s13, 1
	s_cmp_ge_u32 s12, s44
	s_mul_i32 s7, s7, s30
	s_cselect_b32 s14, s14, s13
	s_clause 0x1
	s_load_b32 s12, s[0:1], 0x1c8
	s_load_b32 s13, s[0:1], 0x2a8
	s_mul_i32 s15, s14, s44
	v_xor_b32_e32 v1, v2, v1
	s_sub_i32 s0, s51, s15
	v_cmp_o_f32_e32 vcc_lo, v3, v3
	s_mul_i32 s0, s0, s29
	s_mul_i32 s14, s14, s28
	s_add_i32 s15, s0, s7
	s_mov_b32 s7, 0
	s_add_i32 s16, s15, s14
	s_lshl_b64 s[0:1], s[6:7], 1
	s_mov_b32 s17, s7
	s_add_u32 s6, s42, s0
	v_cndmask_b32_e32 v7, 0xffff, v1, vcc_lo
	s_addc_u32 s14, s43, s1
	s_lshl_b64 s[0:1], s[16:17], 3
	v_cmp_gt_u32_e32 vcc_lo, s5, v0
	s_add_u32 s15, s40, s0
	s_mov_b32 s18, -1
	s_addc_u32 s16, s41, s1
	s_mov_b32 s1, 0
	s_and_saveexec_b32 s17, vcc_lo
	s_cbranch_execz .LBB114_431
; %bb.414:
	v_dual_mov_b32 v2, 0 :: v_dual_add_nc_u32 v1, s35, v0
	v_mov_b32_e32 v3, v0
	s_mov_b32 s18, 0
                                        ; implicit-def: $sgpr19
                                        ; implicit-def: $vgpr11
	s_delay_alu instid0(VALU_DEP_2)
	v_mul_lo_u32 v1, s34, v1
	s_branch .LBB114_416
.LBB114_415:                            ;   in Loop: Header=BB114_416 Depth=1
	s_or_b32 exec_lo, exec_lo, s20
	s_xor_b32 s0, s22, -1
	s_and_b32 s1, exec_lo, s1
	v_mov_b32_e32 v3, v10
	s_or_b32 s18, s1, s18
	s_waitcnt vmcnt(0)
	v_mov_b32_e32 v9, v12
	s_and_not1_b32 s1, s19, exec_lo
	s_and_b32 s0, s0, exec_lo
	s_delay_alu instid0(SALU_CYCLE_1)
	s_or_b32 s19, s1, s0
	s_and_not1_b32 exec_lo, exec_lo, s18
	s_cbranch_execz .LBB114_430
.LBB114_416:                            ; =>This Inner Loop Header: Depth=1
	s_delay_alu instid0(VALU_DEP_2) | instskip(SKIP_2) | instid1(VALU_DEP_2)
	v_add_nc_u32_e32 v10, s35, v3
	v_mov_b32_e32 v12, 0
	s_mov_b32 s1, exec_lo
	v_cmpx_gt_u32_e64 s24, v10
	s_cbranch_execz .LBB114_418
; %bb.417:                              ;   in Loop: Header=BB114_416 Depth=1
	s_delay_alu instid0(VALU_DEP_4) | instskip(NEXT) | instid1(VALU_DEP_1)
	v_lshlrev_b64 v[12:13], 1, v[1:2]
	v_add_co_u32 v12, s0, s31, v12
	s_delay_alu instid0(VALU_DEP_1)
	v_add_co_ci_u32_e64 v13, s0, s33, v13, s0
	global_load_u16 v12, v[12:13], off
.LBB114_418:                            ;   in Loop: Header=BB114_416 Depth=1
	s_or_b32 exec_lo, exec_lo, s1
	s_mov_b32 s20, 0
	s_mov_b32 s1, exec_lo
	v_cmpx_gt_u32_e64 s24, v3
	s_cbranch_execz .LBB114_420
; %bb.419:                              ;   in Loop: Header=BB114_416 Depth=1
	s_waitcnt vmcnt(0)
	v_cmp_lt_i16_e64 s0, -1, v9
	v_and_b32_e32 v4, 0xffff, v9
	v_lshlrev_b32_e32 v15, 16, v9
	s_delay_alu instid0(VALU_DEP_3) | instskip(NEXT) | instid1(VALU_DEP_2)
	v_cndmask_b32_e64 v13, 0xffff, v8, s0
	v_cmp_o_f32_e64 s0, v15, v15
	s_delay_alu instid0(VALU_DEP_2) | instskip(NEXT) | instid1(VALU_DEP_1)
	v_xor_b32_e32 v4, v13, v4
	v_cndmask_b32_e64 v4, 0xffff, v4, s0
	s_delay_alu instid0(VALU_DEP_1) | instskip(NEXT) | instid1(VALU_DEP_1)
	v_cmp_gt_u32_e64 s0, v4, v7
	v_cndmask_b32_e64 v13, 0, 1, s0
	v_cmp_lt_u32_e64 s0, v4, v7
	s_delay_alu instid0(VALU_DEP_1) | instskip(NEXT) | instid1(VALU_DEP_1)
	v_cndmask_b32_e64 v4, 0, 1, s0
	v_cndmask_b32_e64 v4, v4, v13, s3
	s_delay_alu instid0(VALU_DEP_1) | instskip(NEXT) | instid1(VALU_DEP_1)
	v_and_b32_e32 v4, 1, v4
	v_cmp_eq_u32_e64 s0, 1, v4
	s_delay_alu instid0(VALU_DEP_1)
	s_and_b32 s20, s0, exec_lo
.LBB114_420:                            ;   in Loop: Header=BB114_416 Depth=1
	s_or_b32 exec_lo, exec_lo, s1
	v_cndmask_b32_e64 v4, 0, 1, s20
	s_delay_alu instid0(VALU_DEP_1) | instskip(NEXT) | instid1(VALU_DEP_1)
	v_cmp_ne_u32_e64 s0, 0, v4
	s_cmp_lg_u32 s0, 0
	s_cselect_b32 s1, -1, 0
	s_delay_alu instid0(SALU_CYCLE_1) | instskip(NEXT) | instid1(SALU_CYCLE_1)
	s_and_b32 s1, s2, s1
	s_and_saveexec_b32 s21, s1
	s_cbranch_execz .LBB114_424
; %bb.421:                              ;   in Loop: Header=BB114_416 Depth=1
	s_mov_b32 s26, exec_lo
	s_bcnt1_i32_b32 s22, s0
	v_mbcnt_lo_u32_b32 v4, s26, 0
	s_mov_b32 s23, exec_lo
                                        ; implicit-def: $vgpr11
	s_delay_alu instid0(VALU_DEP_1)
	v_cmpx_eq_u32_e32 0, v4
	s_cbranch_execz .LBB114_423
; %bb.422:                              ;   in Loop: Header=BB114_416 Depth=1
	s_bcnt1_i32_b32 s1, s26
	s_delay_alu instid0(SALU_CYCLE_1)
	s_mul_i32 s1, s22, s1
	s_waitcnt lgkmcnt(0)
	v_mov_b32_e32 v11, s1
	ds_add_rtn_u32 v11, v2, v11 offset:4108
.LBB114_423:                            ;   in Loop: Header=BB114_416 Depth=1
	s_or_b32 exec_lo, exec_lo, s23
	s_waitcnt lgkmcnt(0)
	v_readfirstlane_b32 s1, v11
	s_delay_alu instid0(VALU_DEP_1)
	v_mad_u32_u24 v11, s22, v4, s1
.LBB114_424:                            ;   in Loop: Header=BB114_416 Depth=1
	s_or_b32 exec_lo, exec_lo, s21
	s_waitcnt lgkmcnt(0)
	ds_bpermute_b32 v11, v2, v11
	s_mov_b32 s1, -1
	s_mov_b32 s23, -1
                                        ; implicit-def: $sgpr22
	s_and_saveexec_b32 s21, s20
	s_cbranch_execz .LBB114_428
; %bb.425:                              ;   in Loop: Header=BB114_416 Depth=1
	v_and_b32_e32 v4, s0, v14
	s_mov_b32 s20, 0
	s_mov_b32 s22, exec_lo
	s_waitcnt lgkmcnt(0)
	s_delay_alu instid0(VALU_DEP_1) | instskip(NEXT) | instid1(VALU_DEP_1)
	v_bcnt_u32_b32 v4, v4, v11
	v_cmpx_gt_u32_e64 s25, v4
	s_cbranch_execz .LBB114_427
; %bb.426:                              ;   in Loop: Header=BB114_416 Depth=1
	v_mul_lo_u32 v15, v4, s12
	v_mov_b32_e32 v16, v2
	v_mul_lo_u32 v17, v4, s13
	v_mov_b32_e32 v18, v2
	v_mov_b32_e32 v4, v2
	s_mov_b32 s20, exec_lo
	v_lshlrev_b64 v[15:16], 1, v[15:16]
	s_delay_alu instid0(VALU_DEP_3) | instskip(NEXT) | instid1(VALU_DEP_2)
	v_lshlrev_b64 v[17:18], 3, v[17:18]
	v_add_co_u32 v15, s0, s6, v15
	s_delay_alu instid0(VALU_DEP_1) | instskip(NEXT) | instid1(VALU_DEP_3)
	v_add_co_ci_u32_e64 v16, s0, s14, v16, s0
	v_add_co_u32 v17, s0, s15, v17
	s_delay_alu instid0(VALU_DEP_1)
	v_add_co_ci_u32_e64 v18, s0, s16, v18, s0
	s_waitcnt vmcnt(0)
	global_store_b16 v[15:16], v9, off
	global_store_b64 v[17:18], v[3:4], off
.LBB114_427:                            ;   in Loop: Header=BB114_416 Depth=1
	s_or_b32 exec_lo, exec_lo, s22
	s_mov_b32 s22, -1
	s_or_not1_b32 s23, s20, exec_lo
.LBB114_428:                            ;   in Loop: Header=BB114_416 Depth=1
	s_or_b32 exec_lo, exec_lo, s21
	s_and_saveexec_b32 s20, s23
	s_cbranch_execz .LBB114_415
; %bb.429:                              ;   in Loop: Header=BB114_416 Depth=1
	v_cmp_le_u32_e64 s0, s5, v10
	v_add_nc_u32_e32 v1, s39, v1
	s_and_not1_b32 s22, s22, exec_lo
	s_delay_alu instid0(VALU_DEP_2)
	s_or_not1_b32 s1, s0, exec_lo
	s_branch .LBB114_415
.LBB114_430:
	s_or_b32 exec_lo, exec_lo, s18
	s_delay_alu instid0(SALU_CYCLE_1)
	s_mov_b32 s1, exec_lo
	s_or_not1_b32 s18, s19, exec_lo
.LBB114_431:
	s_or_b32 exec_lo, exec_lo, s17
	s_and_saveexec_b32 s3, s18
	s_cbranch_execz .LBB114_456
; %bb.432:
	v_mov_b32_e32 v8, 0
	s_waitcnt vmcnt(0) lgkmcnt(0)
	s_waitcnt_vscnt null, 0x0
	s_barrier
	buffer_gl0_inv
	s_and_saveexec_b32 s0, s4
	s_cbranch_execz .LBB114_434
; %bb.433:
	global_load_u16 v8, v[5:6], off
.LBB114_434:
	s_or_b32 exec_lo, exec_lo, s0
	s_mov_b32 s0, 0
	s_and_saveexec_b32 s4, vcc_lo
	s_cbranch_execz .LBB114_455
; %bb.435:
	v_dual_mov_b32 v4, 0x8000 :: v_dual_add_nc_u32 v1, s35, v0
	v_mov_b32_e32 v3, 0
	s_mov_b32 s17, 0
                                        ; implicit-def: $sgpr7
                                        ; implicit-def: $vgpr5
	s_delay_alu instid0(VALU_DEP_2)
	v_mul_lo_u32 v2, s34, v1
	s_branch .LBB114_438
.LBB114_436:                            ;   in Loop: Header=BB114_438 Depth=1
	s_or_b32 exec_lo, exec_lo, s19
	s_waitcnt vmcnt(0)
	v_mov_b32_e32 v8, v9
	v_mov_b32_e32 v0, v6
	s_or_not1_b32 s20, s20, exec_lo
	s_or_not1_b32 s18, s18, exec_lo
.LBB114_437:                            ;   in Loop: Header=BB114_438 Depth=1
	s_or_b32 exec_lo, exec_lo, s0
	s_xor_b32 s0, s20, -1
	s_and_b32 s18, exec_lo, s18
	s_delay_alu instid0(SALU_CYCLE_1) | instskip(SKIP_2) | instid1(SALU_CYCLE_1)
	s_or_b32 s17, s18, s17
	s_and_not1_b32 s7, s7, exec_lo
	s_and_b32 s0, s0, exec_lo
	s_or_b32 s7, s7, s0
	s_and_not1_b32 exec_lo, exec_lo, s17
	s_cbranch_execz .LBB114_453
.LBB114_438:                            ; =>This Inner Loop Header: Depth=1
	s_waitcnt vmcnt(0)
	v_dual_mov_b32 v9, 0 :: v_dual_add_nc_u32 v6, s35, v0
	s_mov_b32 s0, exec_lo
	s_delay_alu instid0(VALU_DEP_1)
	v_cmpx_gt_u32_e64 s24, v6
	s_cbranch_execz .LBB114_440
; %bb.439:                              ;   in Loop: Header=BB114_438 Depth=1
	s_delay_alu instid0(VALU_DEP_3) | instskip(NEXT) | instid1(VALU_DEP_1)
	v_lshlrev_b64 v[9:10], 1, v[2:3]
	v_add_co_u32 v9, vcc_lo, s31, v9
	s_delay_alu instid0(VALU_DEP_2)
	v_add_co_ci_u32_e32 v10, vcc_lo, s33, v10, vcc_lo
	global_load_u16 v9, v[9:10], off
.LBB114_440:                            ;   in Loop: Header=BB114_438 Depth=1
	s_or_b32 exec_lo, exec_lo, s0
	s_mov_b32 s19, 0
	s_mov_b32 s0, exec_lo
	v_cmpx_gt_u32_e64 s24, v0
	s_cbranch_execz .LBB114_442
; %bb.441:                              ;   in Loop: Header=BB114_438 Depth=1
	s_waitcnt vmcnt(0)
	v_cmp_lt_i16_e32 vcc_lo, -1, v8
	v_and_b32_e32 v1, 0xffff, v8
	v_lshlrev_b32_e32 v11, 16, v8
	v_cndmask_b32_e32 v10, 0xffff, v4, vcc_lo
	s_delay_alu instid0(VALU_DEP_2) | instskip(NEXT) | instid1(VALU_DEP_2)
	v_cmp_o_f32_e32 vcc_lo, v11, v11
	v_xor_b32_e32 v1, v10, v1
	s_delay_alu instid0(VALU_DEP_1) | instskip(NEXT) | instid1(VALU_DEP_1)
	v_cndmask_b32_e32 v1, 0xffff, v1, vcc_lo
	v_cmp_eq_u32_e32 vcc_lo, v1, v7
	s_and_b32 s19, vcc_lo, exec_lo
.LBB114_442:                            ;   in Loop: Header=BB114_438 Depth=1
	s_or_b32 exec_lo, exec_lo, s0
	v_cndmask_b32_e64 v1, 0, 1, s19
	s_delay_alu instid0(VALU_DEP_1) | instskip(SKIP_2) | instid1(SALU_CYCLE_1)
	v_cmp_ne_u32_e32 vcc_lo, 0, v1
	s_cmp_lg_u32 vcc_lo, 0
	s_cselect_b32 s0, -1, 0
	s_and_b32 s0, s2, s0
	s_delay_alu instid0(SALU_CYCLE_1)
	s_and_saveexec_b32 s18, s0
	s_cbranch_execz .LBB114_446
; %bb.443:                              ;   in Loop: Header=BB114_438 Depth=1
	s_mov_b32 s22, exec_lo
	s_bcnt1_i32_b32 s20, vcc_lo
	v_mbcnt_lo_u32_b32 v1, s22, 0
	s_mov_b32 s21, exec_lo
                                        ; implicit-def: $vgpr5
	s_delay_alu instid0(VALU_DEP_1)
	v_cmpx_eq_u32_e32 0, v1
	s_cbranch_execz .LBB114_445
; %bb.444:                              ;   in Loop: Header=BB114_438 Depth=1
	s_bcnt1_i32_b32 s0, s22
	s_delay_alu instid0(SALU_CYCLE_1) | instskip(NEXT) | instid1(SALU_CYCLE_1)
	s_mul_i32 s0, s20, s0
	v_mov_b32_e32 v5, s0
	ds_add_rtn_u32 v5, v3, v5 offset:4108
.LBB114_445:                            ;   in Loop: Header=BB114_438 Depth=1
	s_or_b32 exec_lo, exec_lo, s21
	s_waitcnt lgkmcnt(0)
	v_readfirstlane_b32 s0, v5
	s_delay_alu instid0(VALU_DEP_1)
	v_mad_u32_u24 v5, s20, v1, s0
.LBB114_446:                            ;   in Loop: Header=BB114_438 Depth=1
	s_or_b32 exec_lo, exec_lo, s18
	ds_bpermute_b32 v5, v3, v5
	s_cmp_eq_u32 vcc_lo, 0
	s_mov_b32 s18, -1
	s_cselect_b32 s20, -1, 0
	s_waitcnt lgkmcnt(0)
	v_cmp_gt_u32_e64 s0, s25, v5
	s_delay_alu instid0(VALU_DEP_1)
	s_or_b32 s21, s20, s0
	s_mov_b32 s20, -1
	s_and_saveexec_b32 s0, s21
	s_cbranch_execz .LBB114_437
; %bb.447:                              ;   in Loop: Header=BB114_438 Depth=1
	v_and_b32_e32 v1, vcc_lo, v14
	v_sub_nc_u32_e32 v10, s25, v5
	s_mov_b32 s21, -1
	s_delay_alu instid0(VALU_DEP_2) | instskip(NEXT) | instid1(VALU_DEP_1)
	v_bcnt_u32_b32 v1, v1, 0
	v_bcnt_u32_b32 v1, 0, v1
	s_delay_alu instid0(VALU_DEP_1) | instskip(SKIP_1) | instid1(SALU_CYCLE_1)
	v_cmp_gt_u32_e32 vcc_lo, v10, v1
	s_and_b32 s22, s19, vcc_lo
	s_and_saveexec_b32 s19, s22
	s_cbranch_execz .LBB114_451
; %bb.448:                              ;   in Loop: Header=BB114_438 Depth=1
	v_add_nc_u32_e32 v1, v5, v1
	s_mov_b32 s21, 0
	s_mov_b32 s20, exec_lo
	s_delay_alu instid0(VALU_DEP_1)
	v_cmpx_gt_u32_e64 s25, v1
	s_cbranch_execz .LBB114_450
; %bb.449:                              ;   in Loop: Header=BB114_438 Depth=1
	v_mul_lo_u32 v10, v1, s12
	v_mov_b32_e32 v11, v3
	v_mul_lo_u32 v12, v1, s13
	v_mov_b32_e32 v13, v3
	v_mov_b32_e32 v1, v3
	s_mov_b32 s21, exec_lo
	v_lshlrev_b64 v[10:11], 1, v[10:11]
	s_delay_alu instid0(VALU_DEP_3) | instskip(NEXT) | instid1(VALU_DEP_2)
	v_lshlrev_b64 v[12:13], 3, v[12:13]
	v_add_co_u32 v10, vcc_lo, s6, v10
	s_delay_alu instid0(VALU_DEP_3) | instskip(NEXT) | instid1(VALU_DEP_3)
	v_add_co_ci_u32_e32 v11, vcc_lo, s14, v11, vcc_lo
	v_add_co_u32 v12, vcc_lo, s15, v12
	s_delay_alu instid0(VALU_DEP_4)
	v_add_co_ci_u32_e32 v13, vcc_lo, s16, v13, vcc_lo
	s_waitcnt vmcnt(0)
	global_store_b16 v[10:11], v8, off
	global_store_b64 v[12:13], v[0:1], off
.LBB114_450:                            ;   in Loop: Header=BB114_438 Depth=1
	s_or_b32 exec_lo, exec_lo, s20
	s_delay_alu instid0(SALU_CYCLE_1)
	s_xor_b32 s20, exec_lo, -1
	s_or_not1_b32 s21, s21, exec_lo
.LBB114_451:                            ;   in Loop: Header=BB114_438 Depth=1
	s_or_b32 exec_lo, exec_lo, s19
	s_and_saveexec_b32 s19, s21
	s_cbranch_execz .LBB114_436
; %bb.452:                              ;   in Loop: Header=BB114_438 Depth=1
	v_cmp_le_u32_e32 vcc_lo, s5, v6
	v_add_nc_u32_e32 v2, s39, v2
	s_or_b32 s20, s20, exec_lo
	s_or_not1_b32 s18, vcc_lo, exec_lo
	s_branch .LBB114_436
.LBB114_453:
	s_or_b32 exec_lo, exec_lo, s17
	s_mov_b32 s0, 0
	s_and_saveexec_b32 s2, s7
	s_delay_alu instid0(SALU_CYCLE_1)
	s_xor_b32 s2, exec_lo, s2
	s_cbranch_execnz .LBB114_488
.LBB114_454:
	s_or_b32 exec_lo, exec_lo, s2
	s_delay_alu instid0(SALU_CYCLE_1)
	s_and_b32 s0, s0, exec_lo
.LBB114_455:
	s_or_b32 exec_lo, exec_lo, s4
	s_delay_alu instid0(SALU_CYCLE_1)
	s_and_b32 s7, s0, exec_lo
	s_and_not1_b32 s1, s1, exec_lo
.LBB114_456:
	s_or_b32 exec_lo, exec_lo, s3
	s_and_saveexec_b32 s0, s1
	s_delay_alu instid0(SALU_CYCLE_1)
	s_xor_b32 s0, exec_lo, s0
	s_cbranch_execnz .LBB114_482
.LBB114_457:
	s_or_b32 exec_lo, exec_lo, s0
	s_waitcnt lgkmcnt(0)
	s_and_b32 s12, s7, exec_lo
.LBB114_458:
	s_and_not1_saveexec_b32 s0, s11
	s_cbranch_execnz .LBB114_478
.LBB114_459:
	s_or_b32 exec_lo, exec_lo, s0
	s_delay_alu instid0(SALU_CYCLE_1)
	s_and_b32 s11, s12, exec_lo
.LBB114_460:
	s_and_not1_saveexec_b32 s0, s10
	s_cbranch_execnz .LBB114_474
.LBB114_461:
	s_or_b32 exec_lo, exec_lo, s0
	s_delay_alu instid0(SALU_CYCLE_1)
	s_and_b32 s10, s11, exec_lo
.LBB114_462:
	s_and_not1_saveexec_b32 s0, s9
	s_cbranch_execnz .LBB114_470
.LBB114_463:
	s_or_b32 exec_lo, exec_lo, s0
	s_delay_alu instid0(SALU_CYCLE_1)
	s_and_b32 s9, s10, exec_lo
.LBB114_464:
	s_and_not1_saveexec_b32 s0, s8
	s_cbranch_execnz .LBB114_468
; %bb.465:
	s_or_b32 exec_lo, exec_lo, s0
	s_and_saveexec_b32 s0, s9
.LBB114_466:
	; divergent unreachable
.LBB114_467:
	s_nop 0
	s_sendmsg sendmsg(MSG_DEALLOC_VGPRS)
	s_endpgm
.LBB114_468:
	s_cbranch_execnz .LBB114_472
; %bb.469:
	s_or_b32 s9, s9, exec_lo
	s_or_b32 exec_lo, exec_lo, s0
	s_and_saveexec_b32 s0, s9
	s_cbranch_execnz .LBB114_466
	s_branch .LBB114_467
.LBB114_470:
	s_cbranch_execnz .LBB114_476
; %bb.471:
	s_or_b32 s10, s10, exec_lo
	s_branch .LBB114_463
.LBB114_472:
	s_trap 2
	s_sendmsg_rtn_b32 s0, sendmsg(MSG_RTN_GET_DOORBELL)
	s_mov_b32 ttmp2, m0
	s_waitcnt lgkmcnt(0)
	s_and_b32 s0, s0, 0x3ff
	s_delay_alu instid0(SALU_CYCLE_1) | instskip(NEXT) | instid1(SALU_CYCLE_1)
	s_bitset1_b32 s0, 10
	s_mov_b32 m0, s0
	s_sendmsg sendmsg(MSG_INTERRUPT)
	s_mov_b32 m0, ttmp2
.LBB114_473:                            ; =>This Inner Loop Header: Depth=1
	s_sethalt 5
	s_branch .LBB114_473
.LBB114_474:
	s_cbranch_execnz .LBB114_480
; %bb.475:
	s_or_b32 s11, s11, exec_lo
	s_branch .LBB114_461
.LBB114_476:
	s_trap 2
	s_sendmsg_rtn_b32 s0, sendmsg(MSG_RTN_GET_DOORBELL)
	s_mov_b32 ttmp2, m0
	s_waitcnt lgkmcnt(0)
	s_and_b32 s0, s0, 0x3ff
	s_delay_alu instid0(SALU_CYCLE_1) | instskip(NEXT) | instid1(SALU_CYCLE_1)
	s_bitset1_b32 s0, 10
	s_mov_b32 m0, s0
	s_sendmsg sendmsg(MSG_INTERRUPT)
	s_mov_b32 m0, ttmp2
.LBB114_477:                            ; =>This Inner Loop Header: Depth=1
	s_sethalt 5
	s_branch .LBB114_477
.LBB114_478:
	s_cbranch_execnz .LBB114_484
; %bb.479:
	s_or_b32 s12, s12, exec_lo
	s_branch .LBB114_459
.LBB114_480:
	s_trap 2
	s_sendmsg_rtn_b32 s0, sendmsg(MSG_RTN_GET_DOORBELL)
	s_mov_b32 ttmp2, m0
	s_waitcnt lgkmcnt(0)
	s_and_b32 s0, s0, 0x3ff
	s_delay_alu instid0(SALU_CYCLE_1) | instskip(NEXT) | instid1(SALU_CYCLE_1)
	s_bitset1_b32 s0, 10
	s_mov_b32 m0, s0
	s_sendmsg sendmsg(MSG_INTERRUPT)
	s_mov_b32 m0, ttmp2
.LBB114_481:                            ; =>This Inner Loop Header: Depth=1
	s_sethalt 5
	s_branch .LBB114_481
.LBB114_482:
	s_cbranch_execnz .LBB114_486
; %bb.483:
	s_or_b32 s7, s7, exec_lo
	s_branch .LBB114_457
.LBB114_484:
	s_trap 2
	s_sendmsg_rtn_b32 s0, sendmsg(MSG_RTN_GET_DOORBELL)
	s_mov_b32 ttmp2, m0
	s_waitcnt lgkmcnt(0)
	s_and_b32 s0, s0, 0x3ff
	s_delay_alu instid0(SALU_CYCLE_1) | instskip(NEXT) | instid1(SALU_CYCLE_1)
	s_bitset1_b32 s0, 10
	s_mov_b32 m0, s0
	s_sendmsg sendmsg(MSG_INTERRUPT)
	s_mov_b32 m0, ttmp2
.LBB114_485:                            ; =>This Inner Loop Header: Depth=1
	s_sethalt 5
	s_branch .LBB114_485
.LBB114_486:
	s_trap 2
	s_sendmsg_rtn_b32 s0, sendmsg(MSG_RTN_GET_DOORBELL)
	s_mov_b32 ttmp2, m0
	s_waitcnt lgkmcnt(0)
	s_and_b32 s0, s0, 0x3ff
	s_delay_alu instid0(SALU_CYCLE_1) | instskip(NEXT) | instid1(SALU_CYCLE_1)
	s_bitset1_b32 s0, 10
	s_mov_b32 m0, s0
	s_sendmsg sendmsg(MSG_INTERRUPT)
	s_mov_b32 m0, ttmp2
.LBB114_487:                            ; =>This Inner Loop Header: Depth=1
	s_sethalt 5
	s_branch .LBB114_487
.LBB114_488:
	s_cbranch_execnz .LBB114_490
; %bb.489:
	s_mov_b32 s0, exec_lo
	s_branch .LBB114_454
.LBB114_490:
	s_trap 2
	s_sendmsg_rtn_b32 s0, sendmsg(MSG_RTN_GET_DOORBELL)
	s_mov_b32 ttmp2, m0
	s_waitcnt lgkmcnt(0)
	s_and_b32 s0, s0, 0x3ff
	s_delay_alu instid0(SALU_CYCLE_1) | instskip(NEXT) | instid1(SALU_CYCLE_1)
	s_bitset1_b32 s0, 10
	s_mov_b32 m0, s0
	s_sendmsg sendmsg(MSG_INTERRUPT)
	s_mov_b32 m0, ttmp2
.LBB114_491:                            ; =>This Inner Loop Header: Depth=1
	s_sethalt 5
	s_branch .LBB114_491
	.section	.rodata,"a",@progbits
	.p2align	6, 0x0
	.amdhsa_kernel _ZN2at6native6sbtopk10gatherTopKIN3c108BFloat16EjLi3ELb0EEEvNS_4cuda6detail10TensorInfoIKT_T0_EESA_SA_bSA_SA_NS7_IS8_SA_EESA_NS7_IlSA_EESA_PS8_
		.amdhsa_group_segment_fixed_size 4112
		.amdhsa_private_segment_fixed_size 0
		.amdhsa_kernarg_size 952
		.amdhsa_user_sgpr_count 13
		.amdhsa_user_sgpr_dispatch_ptr 0
		.amdhsa_user_sgpr_queue_ptr 0
		.amdhsa_user_sgpr_kernarg_segment_ptr 1
		.amdhsa_user_sgpr_dispatch_id 0
		.amdhsa_user_sgpr_private_segment_size 0
		.amdhsa_wavefront_size32 1
		.amdhsa_uses_dynamic_stack 0
		.amdhsa_enable_private_segment 0
		.amdhsa_system_sgpr_workgroup_id_x 1
		.amdhsa_system_sgpr_workgroup_id_y 1
		.amdhsa_system_sgpr_workgroup_id_z 1
		.amdhsa_system_sgpr_workgroup_info 0
		.amdhsa_system_vgpr_workitem_id 0
		.amdhsa_next_free_vgpr 38
		.amdhsa_next_free_sgpr 103
		.amdhsa_reserve_vcc 1
		.amdhsa_float_round_mode_32 0
		.amdhsa_float_round_mode_16_64 0
		.amdhsa_float_denorm_mode_32 3
		.amdhsa_float_denorm_mode_16_64 3
		.amdhsa_dx10_clamp 1
		.amdhsa_ieee_mode 1
		.amdhsa_fp16_overflow 0
		.amdhsa_workgroup_processor_mode 1
		.amdhsa_memory_ordered 1
		.amdhsa_forward_progress 0
		.amdhsa_shared_vgpr_count 0
		.amdhsa_exception_fp_ieee_invalid_op 0
		.amdhsa_exception_fp_denorm_src 0
		.amdhsa_exception_fp_ieee_div_zero 0
		.amdhsa_exception_fp_ieee_overflow 0
		.amdhsa_exception_fp_ieee_underflow 0
		.amdhsa_exception_fp_ieee_inexact 0
		.amdhsa_exception_int_div_zero 0
	.end_amdhsa_kernel
	.section	.text._ZN2at6native6sbtopk10gatherTopKIN3c108BFloat16EjLi3ELb0EEEvNS_4cuda6detail10TensorInfoIKT_T0_EESA_SA_bSA_SA_NS7_IS8_SA_EESA_NS7_IlSA_EESA_PS8_,"axG",@progbits,_ZN2at6native6sbtopk10gatherTopKIN3c108BFloat16EjLi3ELb0EEEvNS_4cuda6detail10TensorInfoIKT_T0_EESA_SA_bSA_SA_NS7_IS8_SA_EESA_NS7_IlSA_EESA_PS8_,comdat
.Lfunc_end114:
	.size	_ZN2at6native6sbtopk10gatherTopKIN3c108BFloat16EjLi3ELb0EEEvNS_4cuda6detail10TensorInfoIKT_T0_EESA_SA_bSA_SA_NS7_IS8_SA_EESA_NS7_IlSA_EESA_PS8_, .Lfunc_end114-_ZN2at6native6sbtopk10gatherTopKIN3c108BFloat16EjLi3ELb0EEEvNS_4cuda6detail10TensorInfoIKT_T0_EESA_SA_bSA_SA_NS7_IS8_SA_EESA_NS7_IlSA_EESA_PS8_
                                        ; -- End function
	.section	.AMDGPU.csdata,"",@progbits
; Kernel info:
; codeLenInByte = 17488
; NumSgprs: 105
; NumVgprs: 38
; ScratchSize: 0
; MemoryBound: 0
; FloatMode: 240
; IeeeMode: 1
; LDSByteSize: 4112 bytes/workgroup (compile time only)
; SGPRBlocks: 13
; VGPRBlocks: 4
; NumSGPRsForWavesPerEU: 105
; NumVGPRsForWavesPerEU: 38
; Occupancy: 16
; WaveLimiterHint : 1
; COMPUTE_PGM_RSRC2:SCRATCH_EN: 0
; COMPUTE_PGM_RSRC2:USER_SGPR: 13
; COMPUTE_PGM_RSRC2:TRAP_HANDLER: 0
; COMPUTE_PGM_RSRC2:TGID_X_EN: 1
; COMPUTE_PGM_RSRC2:TGID_Y_EN: 1
; COMPUTE_PGM_RSRC2:TGID_Z_EN: 1
; COMPUTE_PGM_RSRC2:TIDIG_COMP_CNT: 0
	.section	.text._ZN2at6native6mbtopk23computeBlockDigitCountsIN3c108BFloat16EjjLin1EEEvNS_4cuda6detail10TensorInfoIKT_T0_EEjPjjSA_iijT1_PSD_Ps,"axG",@progbits,_ZN2at6native6mbtopk23computeBlockDigitCountsIN3c108BFloat16EjjLin1EEEvNS_4cuda6detail10TensorInfoIKT_T0_EEjPjjSA_iijT1_PSD_Ps,comdat
	.protected	_ZN2at6native6mbtopk23computeBlockDigitCountsIN3c108BFloat16EjjLin1EEEvNS_4cuda6detail10TensorInfoIKT_T0_EEjPjjSA_iijT1_PSD_Ps ; -- Begin function _ZN2at6native6mbtopk23computeBlockDigitCountsIN3c108BFloat16EjjLin1EEEvNS_4cuda6detail10TensorInfoIKT_T0_EEjPjjSA_iijT1_PSD_Ps
	.globl	_ZN2at6native6mbtopk23computeBlockDigitCountsIN3c108BFloat16EjjLin1EEEvNS_4cuda6detail10TensorInfoIKT_T0_EEjPjjSA_iijT1_PSD_Ps
	.p2align	8
	.type	_ZN2at6native6mbtopk23computeBlockDigitCountsIN3c108BFloat16EjjLin1EEEvNS_4cuda6detail10TensorInfoIKT_T0_EEjPjjSA_iijT1_PSD_Ps,@function
_ZN2at6native6mbtopk23computeBlockDigitCountsIN3c108BFloat16EjjLin1EEEvNS_4cuda6detail10TensorInfoIKT_T0_EEjPjjSA_iijT1_PSD_Ps: ; @_ZN2at6native6mbtopk23computeBlockDigitCountsIN3c108BFloat16EjjLin1EEEvNS_4cuda6detail10TensorInfoIKT_T0_EEjPjjSA_iijT1_PSD_Ps
; %bb.0:
	s_clause 0x2
	s_load_b64 s[2:3], s[0:1], 0xf8
	s_load_b128 s[8:11], s[0:1], 0xe8
	s_load_b64 s[4:5], s[0:1], 0x110
	s_waitcnt lgkmcnt(0)
	v_cvt_f32_u32_e32 v1, s2
	s_sub_i32 s7, 0, s2
	s_mul_i32 s5, s5, s15
	s_delay_alu instid0(SALU_CYCLE_1) | instskip(NEXT) | instid1(VALU_DEP_1)
	s_add_i32 s5, s5, s14
	v_rcp_iflag_f32_e32 v1, v1
	s_mul_i32 s16, s5, s4
	s_delay_alu instid0(SALU_CYCLE_1) | instskip(SKIP_3) | instid1(VALU_DEP_1)
	s_add_i32 s16, s16, s13
	s_mov_b32 s13, 0
	s_waitcnt_depctr 0xfff
	v_mul_f32_e32 v1, 0x4f7ffffe, v1
	v_cvt_u32_f32_e32 v1, v1
	s_delay_alu instid0(VALU_DEP_1) | instskip(NEXT) | instid1(VALU_DEP_1)
	v_readfirstlane_b32 s6, v1
	s_mul_i32 s7, s7, s6
	s_delay_alu instid0(SALU_CYCLE_1) | instskip(NEXT) | instid1(SALU_CYCLE_1)
	s_mul_hi_u32 s4, s6, s7
	s_add_i32 s6, s6, s4
	s_delay_alu instid0(SALU_CYCLE_1) | instskip(NEXT) | instid1(SALU_CYCLE_1)
	s_mul_hi_u32 s4, s16, s6
	s_mul_i32 s5, s4, s2
	s_add_i32 s6, s4, 1
	s_sub_i32 s5, s16, s5
	s_delay_alu instid0(SALU_CYCLE_1)
	s_sub_i32 s7, s5, s2
	s_cmp_ge_u32 s5, s2
	s_cselect_b32 s4, s6, s4
	s_cselect_b32 s5, s7, s5
	s_add_i32 s6, s4, 1
	s_cmp_ge_u32 s5, s2
	s_cselect_b32 s12, s6, s4
	s_delay_alu instid0(SALU_CYCLE_1)
	s_cmp_ge_u32 s12, s8
	s_cbranch_scc1 .LBB115_32
; %bb.1:
	s_clause 0x1
	s_load_b128 s[4:7], s[0:1], 0x100
	s_load_b32 s8, s[0:1], 0xd0
	s_lshl_b64 s[14:15], s[12:13], 2
	s_mov_b32 s17, s12
	s_waitcnt lgkmcnt(0)
	s_add_u32 s4, s4, s14
	s_addc_u32 s5, s5, s15
	s_cmp_lt_i32 s8, 2
	s_cbranch_scc1 .LBB115_4
; %bb.2:
	s_add_i32 s18, s8, -1
	s_mov_b32 s19, 0
	s_add_i32 s8, s8, 1
	s_lshl_b64 s[14:15], s[18:19], 2
	s_mov_b32 s17, s12
	s_add_u32 s13, s14, s0
	s_addc_u32 s15, s15, s1
	s_add_u32 s14, s13, 8
	s_addc_u32 s15, s15, 0
	s_mov_b32 s13, s19
	s_set_inst_prefetch_distance 0x1
	.p2align	6
.LBB115_3:                              ; =>This Inner Loop Header: Depth=1
	s_clause 0x1
	s_load_b32 s18, s[14:15], 0x0
	s_load_b32 s19, s[14:15], 0x64
	s_mov_b32 s22, s17
	s_waitcnt lgkmcnt(0)
	v_cvt_f32_u32_e32 v1, s18
	s_sub_i32 s21, 0, s18
	s_waitcnt_depctr 0xfff
	v_rcp_iflag_f32_e32 v1, v1
	s_waitcnt_depctr 0xfff
	v_mul_f32_e32 v1, 0x4f7ffffe, v1
	s_delay_alu instid0(VALU_DEP_1) | instskip(NEXT) | instid1(VALU_DEP_1)
	v_cvt_u32_f32_e32 v1, v1
	v_readfirstlane_b32 s20, v1
	s_delay_alu instid0(VALU_DEP_1) | instskip(NEXT) | instid1(SALU_CYCLE_1)
	s_mul_i32 s21, s21, s20
	s_mul_hi_u32 s21, s20, s21
	s_delay_alu instid0(SALU_CYCLE_1) | instskip(NEXT) | instid1(SALU_CYCLE_1)
	s_add_i32 s20, s20, s21
	s_mul_hi_u32 s17, s17, s20
	s_delay_alu instid0(SALU_CYCLE_1) | instskip(SKIP_2) | instid1(SALU_CYCLE_1)
	s_mul_i32 s20, s17, s18
	s_add_i32 s21, s17, 1
	s_sub_i32 s20, s22, s20
	s_sub_i32 s23, s20, s18
	s_cmp_ge_u32 s20, s18
	s_cselect_b32 s17, s21, s17
	s_cselect_b32 s20, s23, s20
	s_add_i32 s21, s17, 1
	s_cmp_ge_u32 s20, s18
	s_cselect_b32 s17, s21, s17
	s_add_i32 s8, s8, -1
	s_mul_i32 s18, s17, s18
	s_delay_alu instid0(SALU_CYCLE_1) | instskip(NEXT) | instid1(SALU_CYCLE_1)
	s_sub_i32 s18, s22, s18
	s_mul_i32 s18, s19, s18
	s_delay_alu instid0(SALU_CYCLE_1)
	s_add_i32 s13, s18, s13
	s_add_u32 s14, s14, -4
	s_addc_u32 s15, s15, -1
	s_cmp_gt_u32 s8, 2
	s_cbranch_scc1 .LBB115_3
.LBB115_4:
	s_set_inst_prefetch_distance 0x2
	s_load_b32 s8, s[4:5], 0x0
	v_cmp_gt_u32_e32 vcc_lo, 0x100, v0
	v_lshlrev_b32_e32 v3, 2, v0
	s_and_saveexec_b32 s4, vcc_lo
	s_cbranch_execz .LBB115_6
; %bb.5:
	v_mov_b32_e32 v1, 0
	ds_store_b32 v3, v1
.LBB115_6:
	s_or_b32 exec_lo, exec_lo, s4
	s_load_b32 s14, s[0:1], 0xd8
	s_mul_i32 s4, s12, s2
	s_waitcnt lgkmcnt(0)
	s_sub_i32 s4, s16, s4
	s_barrier
	s_mul_i32 s5, s11, s4
	s_add_i32 s4, s4, 1
	s_lshl_b32 s12, s5, 8
	buffer_gl0_inv
	s_sub_i32 s5, s14, s12
	s_delay_alu instid0(SALU_CYCLE_1) | instskip(SKIP_3) | instid1(VALU_DEP_1)
	s_add_u32 s5, s5, 0xff
	s_addc_u32 s15, 0, 0
	s_cmp_lt_u32 s4, s2
	v_alignbit_b32 v1, s15, s5, 8
	v_readfirstlane_b32 s5, v1
	s_delay_alu instid0(VALU_DEP_1)
	s_cselect_b32 s11, s11, s5
	s_mov_b32 s5, 0
	s_cmp_lt_i32 s11, 1
	s_cbranch_scc1 .LBB115_28
; %bb.7:
	s_clause 0x1
	s_load_b32 s2, s[0:1], 0x6c
	s_load_b64 s[18:19], s[0:1], 0x0
	s_waitcnt lgkmcnt(0)
	s_mul_i32 s0, s2, s17
	s_delay_alu instid0(SALU_CYCLE_1) | instskip(NEXT) | instid1(SALU_CYCLE_1)
	s_add_i32 s4, s0, s13
	s_lshl_b64 s[20:21], s[4:5], 1
	s_delay_alu instid0(SALU_CYCLE_1)
	s_add_u32 s1, s18, s20
	s_addc_u32 s2, s19, s21
	s_and_b32 s4, s10, 0xff
	s_cmp_lt_u32 s11, 4
	s_cbranch_scc1 .LBB115_22
; %bb.8:
	v_dual_mov_b32 v10, 0x8000 :: v_dual_add_nc_u32 v1, s12, v0
	s_and_b32 s5, s11, 0x7ffffffc
	s_lshl_b32 s10, s9, 10
	s_mov_b32 s13, 0
	s_delay_alu instid0(VALU_DEP_1) | instskip(SKIP_2) | instid1(VALU_DEP_2)
	v_add_nc_u32_e32 v2, 0x200, v1
	s_mov_b32 s15, 0
	v_mov_b32_e32 v9, 1
	v_mul_lo_u32 v6, s9, v2
	v_mov_b32_e32 v2, 0
	v_add_nc_u32_e32 v4, 0x300, v1
	v_add_nc_u32_e32 v7, 0x100, v1
	v_mul_lo_u32 v8, s9, v1
	s_delay_alu instid0(VALU_DEP_3) | instskip(NEXT) | instid1(VALU_DEP_3)
	v_mul_lo_u32 v5, s9, v4
	v_mul_lo_u32 v7, s9, v7
	s_branch .LBB115_10
.LBB115_9:                              ;   in Loop: Header=BB115_10 Depth=1
	s_or_b32 exec_lo, exec_lo, s17
	v_add_nc_u32_e32 v4, 0x400, v4
	s_add_i32 s15, s15, 4
	s_add_i32 s13, s13, s10
	s_cmp_eq_u32 s5, s15
	s_cbranch_scc1 .LBB115_22
.LBB115_10:                             ; =>This Inner Loop Header: Depth=1
	v_add_nc_u32_e32 v1, 0xfffffd00, v4
	s_mov_b32 s17, exec_lo
	s_delay_alu instid0(VALU_DEP_1)
	v_cmpx_gt_u32_e64 s14, v1
	s_cbranch_execz .LBB115_13
; %bb.11:                               ;   in Loop: Header=BB115_10 Depth=1
	v_add_nc_u32_e32 v1, s13, v8
	s_delay_alu instid0(VALU_DEP_1) | instskip(NEXT) | instid1(VALU_DEP_1)
	v_lshlrev_b64 v[11:12], 1, v[1:2]
	v_add_co_u32 v11, s0, s1, v11
	s_delay_alu instid0(VALU_DEP_1)
	v_add_co_ci_u32_e64 v12, s0, s2, v12, s0
	global_load_u16 v1, v[11:12], off
	s_waitcnt vmcnt(0)
	v_cmp_lt_i16_e64 s0, -1, v1
	v_and_b32_e32 v11, 0xffff, v1
	v_lshlrev_b32_e32 v1, 16, v1
	s_delay_alu instid0(VALU_DEP_3) | instskip(NEXT) | instid1(VALU_DEP_2)
	v_cndmask_b32_e64 v12, 0xffff, v10, s0
	v_cmp_o_f32_e64 s0, v1, v1
	s_delay_alu instid0(VALU_DEP_2) | instskip(NEXT) | instid1(VALU_DEP_1)
	v_xor_b32_e32 v11, v12, v11
	v_cndmask_b32_e64 v1, 0xffff, v11, s0
	s_delay_alu instid0(VALU_DEP_1) | instskip(NEXT) | instid1(VALU_DEP_1)
	v_xor_b32_e32 v11, s8, v1
	v_and_b32_e32 v11, s3, v11
	s_delay_alu instid0(VALU_DEP_1) | instskip(NEXT) | instid1(VALU_DEP_1)
	v_cmp_eq_u32_e64 s0, 0, v11
	s_and_b32 exec_lo, exec_lo, s0
	s_cbranch_execz .LBB115_13
; %bb.12:                               ;   in Loop: Header=BB115_10 Depth=1
	v_bfe_u32 v1, v1, s4, 8
	s_delay_alu instid0(VALU_DEP_1)
	v_lshlrev_b32_e32 v1, 2, v1
	ds_add_u32 v1, v9
.LBB115_13:                             ;   in Loop: Header=BB115_10 Depth=1
	s_or_b32 exec_lo, exec_lo, s17
	v_add_nc_u32_e32 v1, 0xfffffe00, v4
	s_mov_b32 s17, exec_lo
	s_delay_alu instid0(VALU_DEP_1)
	v_cmpx_gt_u32_e64 s14, v1
	s_cbranch_execz .LBB115_16
; %bb.14:                               ;   in Loop: Header=BB115_10 Depth=1
	v_add_nc_u32_e32 v1, s13, v7
	s_delay_alu instid0(VALU_DEP_1) | instskip(NEXT) | instid1(VALU_DEP_1)
	v_lshlrev_b64 v[11:12], 1, v[1:2]
	v_add_co_u32 v11, s0, s1, v11
	s_delay_alu instid0(VALU_DEP_1)
	v_add_co_ci_u32_e64 v12, s0, s2, v12, s0
	global_load_u16 v1, v[11:12], off
	s_waitcnt vmcnt(0)
	v_cmp_lt_i16_e64 s0, -1, v1
	v_and_b32_e32 v11, 0xffff, v1
	v_lshlrev_b32_e32 v1, 16, v1
	s_delay_alu instid0(VALU_DEP_3) | instskip(NEXT) | instid1(VALU_DEP_2)
	v_cndmask_b32_e64 v12, 0xffff, v10, s0
	v_cmp_o_f32_e64 s0, v1, v1
	s_delay_alu instid0(VALU_DEP_2) | instskip(NEXT) | instid1(VALU_DEP_1)
	v_xor_b32_e32 v11, v12, v11
	v_cndmask_b32_e64 v1, 0xffff, v11, s0
	s_delay_alu instid0(VALU_DEP_1) | instskip(NEXT) | instid1(VALU_DEP_1)
	v_xor_b32_e32 v11, s8, v1
	v_and_b32_e32 v11, s3, v11
	s_delay_alu instid0(VALU_DEP_1) | instskip(NEXT) | instid1(VALU_DEP_1)
	v_cmp_eq_u32_e64 s0, 0, v11
	s_and_b32 exec_lo, exec_lo, s0
	s_cbranch_execz .LBB115_16
; %bb.15:                               ;   in Loop: Header=BB115_10 Depth=1
	v_bfe_u32 v1, v1, s4, 8
	s_delay_alu instid0(VALU_DEP_1)
	v_lshlrev_b32_e32 v1, 2, v1
	ds_add_u32 v1, v9
.LBB115_16:                             ;   in Loop: Header=BB115_10 Depth=1
	s_or_b32 exec_lo, exec_lo, s17
	;; [unrolled: 37-line block ×3, first 2 shown]
	s_delay_alu instid0(SALU_CYCLE_1)
	s_mov_b32 s17, exec_lo
	v_cmpx_gt_u32_e64 s14, v4
	s_cbranch_execz .LBB115_9
; %bb.20:                               ;   in Loop: Header=BB115_10 Depth=1
	v_add_nc_u32_e32 v1, s13, v5
	s_delay_alu instid0(VALU_DEP_1) | instskip(NEXT) | instid1(VALU_DEP_1)
	v_lshlrev_b64 v[11:12], 1, v[1:2]
	v_add_co_u32 v11, s0, s1, v11
	s_delay_alu instid0(VALU_DEP_1)
	v_add_co_ci_u32_e64 v12, s0, s2, v12, s0
	global_load_u16 v1, v[11:12], off
	s_waitcnt vmcnt(0)
	v_cmp_lt_i16_e64 s0, -1, v1
	v_and_b32_e32 v11, 0xffff, v1
	v_lshlrev_b32_e32 v1, 16, v1
	s_delay_alu instid0(VALU_DEP_3) | instskip(NEXT) | instid1(VALU_DEP_2)
	v_cndmask_b32_e64 v12, 0xffff, v10, s0
	v_cmp_o_f32_e64 s0, v1, v1
	s_delay_alu instid0(VALU_DEP_2) | instskip(NEXT) | instid1(VALU_DEP_1)
	v_xor_b32_e32 v11, v12, v11
	v_cndmask_b32_e64 v1, 0xffff, v11, s0
	s_delay_alu instid0(VALU_DEP_1) | instskip(NEXT) | instid1(VALU_DEP_1)
	v_xor_b32_e32 v11, s8, v1
	v_and_b32_e32 v11, s3, v11
	s_delay_alu instid0(VALU_DEP_1) | instskip(NEXT) | instid1(VALU_DEP_1)
	v_cmp_eq_u32_e64 s0, 0, v11
	s_and_b32 exec_lo, exec_lo, s0
	s_cbranch_execz .LBB115_9
; %bb.21:                               ;   in Loop: Header=BB115_10 Depth=1
	v_bfe_u32 v1, v1, s4, 8
	s_delay_alu instid0(VALU_DEP_1)
	v_lshlrev_b32_e32 v1, 2, v1
	ds_add_u32 v1, v9
	s_branch .LBB115_9
.LBB115_22:
	s_and_b32 s10, s11, 3
	s_delay_alu instid0(SALU_CYCLE_1)
	s_cmp_eq_u32 s10, 0
	s_cbranch_scc1 .LBB115_28
; %bb.23:
	s_lshl_b32 s0, s5, 8
	v_dual_mov_b32 v2, 0 :: v_dual_mov_b32 v5, 1
	v_add3_u32 v4, s0, s12, v0
	v_mov_b32_e32 v6, 0x8000
	s_lshl_b32 s5, s9, 8
	s_delay_alu instid0(VALU_DEP_2)
	v_mul_lo_u32 v1, s9, v4
	s_set_inst_prefetch_distance 0x1
	s_branch .LBB115_25
	.p2align	6
.LBB115_24:                             ;   in Loop: Header=BB115_25 Depth=1
	s_or_b32 exec_lo, exec_lo, s9
	s_delay_alu instid0(VALU_DEP_2) | instskip(SKIP_2) | instid1(SALU_CYCLE_1)
	v_add_nc_u32_e32 v1, s5, v1
	v_add_nc_u32_e32 v4, 0x100, v4
	s_add_i32 s10, s10, -1
	s_cmp_lg_u32 s10, 0
	s_cbranch_scc0 .LBB115_28
.LBB115_25:                             ; =>This Inner Loop Header: Depth=1
	s_mov_b32 s9, exec_lo
	v_cmpx_gt_u32_e64 s14, v4
	s_cbranch_execz .LBB115_24
; %bb.26:                               ;   in Loop: Header=BB115_25 Depth=1
	s_delay_alu instid0(VALU_DEP_2) | instskip(NEXT) | instid1(VALU_DEP_1)
	v_lshlrev_b64 v[7:8], 1, v[1:2]
	v_add_co_u32 v7, s0, s1, v7
	s_delay_alu instid0(VALU_DEP_1)
	v_add_co_ci_u32_e64 v8, s0, s2, v8, s0
	global_load_u16 v7, v[7:8], off
	s_waitcnt vmcnt(0)
	v_cmp_lt_i16_e64 s0, -1, v7
	v_and_b32_e32 v8, 0xffff, v7
	v_lshlrev_b32_e32 v7, 16, v7
	s_delay_alu instid0(VALU_DEP_3) | instskip(NEXT) | instid1(VALU_DEP_2)
	v_cndmask_b32_e64 v9, 0xffff, v6, s0
	v_cmp_o_f32_e64 s0, v7, v7
	s_delay_alu instid0(VALU_DEP_2) | instskip(NEXT) | instid1(VALU_DEP_1)
	v_xor_b32_e32 v8, v9, v8
	v_cndmask_b32_e64 v7, 0xffff, v8, s0
	s_delay_alu instid0(VALU_DEP_1) | instskip(NEXT) | instid1(VALU_DEP_1)
	v_xor_b32_e32 v8, s8, v7
	v_and_b32_e32 v8, s3, v8
	s_delay_alu instid0(VALU_DEP_1) | instskip(NEXT) | instid1(VALU_DEP_1)
	v_cmp_eq_u32_e64 s0, 0, v8
	s_and_b32 exec_lo, exec_lo, s0
	s_cbranch_execz .LBB115_24
; %bb.27:                               ;   in Loop: Header=BB115_25 Depth=1
	v_bfe_u32 v7, v7, s4, 8
	s_delay_alu instid0(VALU_DEP_1)
	v_lshlrev_b32_e32 v7, 2, v7
	ds_add_u32 v7, v5
	s_branch .LBB115_24
.LBB115_28:
	s_set_inst_prefetch_distance 0x2
	v_mov_b32_e32 v1, 0
	s_waitcnt lgkmcnt(0)
	s_barrier
	buffer_gl0_inv
	s_and_saveexec_b32 s0, vcc_lo
	s_cbranch_execz .LBB115_30
; %bb.29:
	ds_load_b32 v1, v3
.LBB115_30:
	s_or_b32 exec_lo, exec_lo, s0
	s_and_saveexec_b32 s0, vcc_lo
	s_cbranch_execz .LBB115_32
; %bb.31:
	v_lshl_or_b32 v2, s16, 8, v0
	v_mov_b32_e32 v3, 0
	s_delay_alu instid0(VALU_DEP_1) | instskip(NEXT) | instid1(VALU_DEP_1)
	v_lshlrev_b64 v[2:3], 1, v[2:3]
	v_add_co_u32 v2, vcc_lo, s6, v2
	s_delay_alu instid0(VALU_DEP_2)
	v_add_co_ci_u32_e32 v3, vcc_lo, s7, v3, vcc_lo
	s_waitcnt lgkmcnt(0)
	global_store_b16 v[2:3], v1, off
.LBB115_32:
	s_nop 0
	s_sendmsg sendmsg(MSG_DEALLOC_VGPRS)
	s_endpgm
	.section	.rodata,"a",@progbits
	.p2align	6, 0x0
	.amdhsa_kernel _ZN2at6native6mbtopk23computeBlockDigitCountsIN3c108BFloat16EjjLin1EEEvNS_4cuda6detail10TensorInfoIKT_T0_EEjPjjSA_iijT1_PSD_Ps
		.amdhsa_group_segment_fixed_size 1024
		.amdhsa_private_segment_fixed_size 0
		.amdhsa_kernarg_size 528
		.amdhsa_user_sgpr_count 13
		.amdhsa_user_sgpr_dispatch_ptr 0
		.amdhsa_user_sgpr_queue_ptr 0
		.amdhsa_user_sgpr_kernarg_segment_ptr 1
		.amdhsa_user_sgpr_dispatch_id 0
		.amdhsa_user_sgpr_private_segment_size 0
		.amdhsa_wavefront_size32 1
		.amdhsa_uses_dynamic_stack 0
		.amdhsa_enable_private_segment 0
		.amdhsa_system_sgpr_workgroup_id_x 1
		.amdhsa_system_sgpr_workgroup_id_y 1
		.amdhsa_system_sgpr_workgroup_id_z 1
		.amdhsa_system_sgpr_workgroup_info 0
		.amdhsa_system_vgpr_workitem_id 0
		.amdhsa_next_free_vgpr 13
		.amdhsa_next_free_sgpr 24
		.amdhsa_reserve_vcc 1
		.amdhsa_float_round_mode_32 0
		.amdhsa_float_round_mode_16_64 0
		.amdhsa_float_denorm_mode_32 3
		.amdhsa_float_denorm_mode_16_64 3
		.amdhsa_dx10_clamp 1
		.amdhsa_ieee_mode 1
		.amdhsa_fp16_overflow 0
		.amdhsa_workgroup_processor_mode 1
		.amdhsa_memory_ordered 1
		.amdhsa_forward_progress 0
		.amdhsa_shared_vgpr_count 0
		.amdhsa_exception_fp_ieee_invalid_op 0
		.amdhsa_exception_fp_denorm_src 0
		.amdhsa_exception_fp_ieee_div_zero 0
		.amdhsa_exception_fp_ieee_overflow 0
		.amdhsa_exception_fp_ieee_underflow 0
		.amdhsa_exception_fp_ieee_inexact 0
		.amdhsa_exception_int_div_zero 0
	.end_amdhsa_kernel
	.section	.text._ZN2at6native6mbtopk23computeBlockDigitCountsIN3c108BFloat16EjjLin1EEEvNS_4cuda6detail10TensorInfoIKT_T0_EEjPjjSA_iijT1_PSD_Ps,"axG",@progbits,_ZN2at6native6mbtopk23computeBlockDigitCountsIN3c108BFloat16EjjLin1EEEvNS_4cuda6detail10TensorInfoIKT_T0_EEjPjjSA_iijT1_PSD_Ps,comdat
.Lfunc_end115:
	.size	_ZN2at6native6mbtopk23computeBlockDigitCountsIN3c108BFloat16EjjLin1EEEvNS_4cuda6detail10TensorInfoIKT_T0_EEjPjjSA_iijT1_PSD_Ps, .Lfunc_end115-_ZN2at6native6mbtopk23computeBlockDigitCountsIN3c108BFloat16EjjLin1EEEvNS_4cuda6detail10TensorInfoIKT_T0_EEjPjjSA_iijT1_PSD_Ps
                                        ; -- End function
	.section	.AMDGPU.csdata,"",@progbits
; Kernel info:
; codeLenInByte = 1992
; NumSgprs: 26
; NumVgprs: 13
; ScratchSize: 0
; MemoryBound: 0
; FloatMode: 240
; IeeeMode: 1
; LDSByteSize: 1024 bytes/workgroup (compile time only)
; SGPRBlocks: 3
; VGPRBlocks: 1
; NumSGPRsForWavesPerEU: 26
; NumVGPRsForWavesPerEU: 13
; Occupancy: 16
; WaveLimiterHint : 1
; COMPUTE_PGM_RSRC2:SCRATCH_EN: 0
; COMPUTE_PGM_RSRC2:USER_SGPR: 13
; COMPUTE_PGM_RSRC2:TRAP_HANDLER: 0
; COMPUTE_PGM_RSRC2:TGID_X_EN: 1
; COMPUTE_PGM_RSRC2:TGID_Y_EN: 1
; COMPUTE_PGM_RSRC2:TGID_Z_EN: 1
; COMPUTE_PGM_RSRC2:TIDIG_COMP_CNT: 0
	.section	.text._ZN2at6native6mbtopk10gatherTopKIN3c108BFloat16EjLin1EEEvNS_4cuda6detail10TensorInfoIKT_T0_EESA_SA_bjSA_NS7_IS8_SA_EESA_NS7_IlSA_EESA_jjPS8_PjSF_j,"axG",@progbits,_ZN2at6native6mbtopk10gatherTopKIN3c108BFloat16EjLin1EEEvNS_4cuda6detail10TensorInfoIKT_T0_EESA_SA_bjSA_NS7_IS8_SA_EESA_NS7_IlSA_EESA_jjPS8_PjSF_j,comdat
	.protected	_ZN2at6native6mbtopk10gatherTopKIN3c108BFloat16EjLin1EEEvNS_4cuda6detail10TensorInfoIKT_T0_EESA_SA_bjSA_NS7_IS8_SA_EESA_NS7_IlSA_EESA_jjPS8_PjSF_j ; -- Begin function _ZN2at6native6mbtopk10gatherTopKIN3c108BFloat16EjLin1EEEvNS_4cuda6detail10TensorInfoIKT_T0_EESA_SA_bjSA_NS7_IS8_SA_EESA_NS7_IlSA_EESA_jjPS8_PjSF_j
	.globl	_ZN2at6native6mbtopk10gatherTopKIN3c108BFloat16EjLin1EEEvNS_4cuda6detail10TensorInfoIKT_T0_EESA_SA_bjSA_NS7_IS8_SA_EESA_NS7_IlSA_EESA_jjPS8_PjSF_j
	.p2align	8
	.type	_ZN2at6native6mbtopk10gatherTopKIN3c108BFloat16EjLin1EEEvNS_4cuda6detail10TensorInfoIKT_T0_EESA_SA_bjSA_NS7_IS8_SA_EESA_NS7_IlSA_EESA_jjPS8_PjSF_j,@function
_ZN2at6native6mbtopk10gatherTopKIN3c108BFloat16EjLin1EEEvNS_4cuda6detail10TensorInfoIKT_T0_EESA_SA_bjSA_NS7_IS8_SA_EESA_NS7_IlSA_EESA_jjPS8_PjSF_j: ; @_ZN2at6native6mbtopk10gatherTopKIN3c108BFloat16EjLin1EEEvNS_4cuda6detail10TensorInfoIKT_T0_EESA_SA_bjSA_NS7_IS8_SA_EESA_NS7_IlSA_EESA_jjPS8_PjSF_j
; %bb.0:
	s_clause 0x1
	s_load_b64 s[2:3], s[0:1], 0x2d8
	s_load_b32 s4, s[0:1], 0x2d0
	s_waitcnt lgkmcnt(0)
	s_mul_i32 s3, s3, s15
	s_delay_alu instid0(SALU_CYCLE_1) | instskip(NEXT) | instid1(SALU_CYCLE_1)
	s_add_i32 s3, s3, s14
	s_mul_i32 s2, s3, s2
	s_delay_alu instid0(SALU_CYCLE_1) | instskip(NEXT) | instid1(SALU_CYCLE_1)
	s_add_i32 s13, s2, s13
	s_cmp_ge_u32 s13, s4
	s_cbranch_scc1 .LBB116_49
; %bb.1:
	s_clause 0x1
	s_load_b128 s[4:7], s[0:1], 0x2a8
	s_load_b32 s2, s[0:1], 0xd0
	s_mov_b32 s17, 0
	s_waitcnt lgkmcnt(0)
	v_cvt_f32_u32_e32 v1, s6
	s_sub_i32 s7, 0, s6
	s_delay_alu instid0(VALU_DEP_1) | instskip(SKIP_2) | instid1(VALU_DEP_1)
	v_rcp_iflag_f32_e32 v1, v1
	s_waitcnt_depctr 0xfff
	v_mul_f32_e32 v1, 0x4f7ffffe, v1
	v_cvt_u32_f32_e32 v1, v1
	s_delay_alu instid0(VALU_DEP_1) | instskip(NEXT) | instid1(VALU_DEP_1)
	v_readfirstlane_b32 s3, v1
	s_mul_i32 s7, s7, s3
	s_delay_alu instid0(SALU_CYCLE_1) | instskip(NEXT) | instid1(SALU_CYCLE_1)
	s_mul_hi_u32 s7, s3, s7
	s_add_i32 s3, s3, s7
	s_delay_alu instid0(SALU_CYCLE_1) | instskip(NEXT) | instid1(SALU_CYCLE_1)
	s_mul_hi_u32 s3, s13, s3
	s_mul_i32 s7, s3, s6
	s_add_i32 s8, s3, 1
	s_sub_i32 s7, s13, s7
	s_delay_alu instid0(SALU_CYCLE_1)
	s_sub_i32 s9, s7, s6
	s_cmp_ge_u32 s7, s6
	s_cselect_b32 s3, s8, s3
	s_cselect_b32 s7, s9, s7
	s_add_i32 s8, s3, 1
	s_cmp_ge_u32 s7, s6
	s_cselect_b32 s18, s8, s3
	s_cmp_lt_i32 s2, 2
	s_mov_b32 s16, s18
	s_cbranch_scc1 .LBB116_4
; %bb.2:
	s_add_i32 s16, s2, -1
	s_add_i32 s7, s2, 1
	s_lshl_b64 s[8:9], s[16:17], 2
	s_mov_b32 s16, s18
	s_add_u32 s2, s8, s0
	s_addc_u32 s3, s9, s1
	s_add_u32 s2, s2, 8
	s_addc_u32 s3, s3, 0
	s_set_inst_prefetch_distance 0x1
	.p2align	6
.LBB116_3:                              ; =>This Inner Loop Header: Depth=1
	s_clause 0x1
	s_load_b32 s8, s[2:3], 0x0
	s_load_b32 s9, s[2:3], 0x64
	s_mov_b32 s12, s16
	s_waitcnt lgkmcnt(0)
	v_cvt_f32_u32_e32 v1, s8
	s_sub_i32 s11, 0, s8
	s_waitcnt_depctr 0xfff
	v_rcp_iflag_f32_e32 v1, v1
	s_waitcnt_depctr 0xfff
	v_mul_f32_e32 v1, 0x4f7ffffe, v1
	s_delay_alu instid0(VALU_DEP_1) | instskip(NEXT) | instid1(VALU_DEP_1)
	v_cvt_u32_f32_e32 v1, v1
	v_readfirstlane_b32 s10, v1
	s_delay_alu instid0(VALU_DEP_1) | instskip(NEXT) | instid1(SALU_CYCLE_1)
	s_mul_i32 s11, s11, s10
	s_mul_hi_u32 s11, s10, s11
	s_delay_alu instid0(SALU_CYCLE_1) | instskip(NEXT) | instid1(SALU_CYCLE_1)
	s_add_i32 s10, s10, s11
	s_mul_hi_u32 s10, s16, s10
	s_delay_alu instid0(SALU_CYCLE_1) | instskip(SKIP_2) | instid1(SALU_CYCLE_1)
	s_mul_i32 s11, s10, s8
	s_add_i32 s14, s10, 1
	s_sub_i32 s11, s16, s11
	s_sub_i32 s15, s11, s8
	s_cmp_ge_u32 s11, s8
	s_cselect_b32 s10, s14, s10
	s_cselect_b32 s11, s15, s11
	s_add_i32 s14, s10, 1
	s_cmp_ge_u32 s11, s8
	s_cselect_b32 s16, s14, s10
	s_add_i32 s7, s7, -1
	s_mul_i32 s8, s16, s8
	s_delay_alu instid0(SALU_CYCLE_1) | instskip(NEXT) | instid1(SALU_CYCLE_1)
	s_sub_i32 s8, s12, s8
	s_mul_i32 s8, s9, s8
	s_delay_alu instid0(SALU_CYCLE_1)
	s_add_i32 s17, s8, s17
	s_add_u32 s2, s2, -4
	s_addc_u32 s3, s3, -1
	s_cmp_gt_u32 s7, 2
	s_cbranch_scc1 .LBB116_3
.LBB116_4:
	s_set_inst_prefetch_distance 0x2
	s_load_b32 s7, s[0:1], 0x1c0
	s_add_u32 s2, s0, 0xf0
	s_addc_u32 s3, s1, 0
	s_mov_b32 s21, 0
	s_mov_b32 s20, s18
	s_waitcnt lgkmcnt(0)
	s_cmp_lt_i32 s7, 2
	s_cbranch_scc1 .LBB116_7
; %bb.5:
	s_add_i32 s20, s7, -1
	s_add_i32 s7, s7, 1
	s_lshl_b64 s[8:9], s[20:21], 2
	s_mov_b32 s20, s18
	s_add_u32 s8, s8, s2
	s_addc_u32 s9, s9, s3
	s_add_u32 s8, s8, 8
	s_addc_u32 s9, s9, 0
	s_set_inst_prefetch_distance 0x1
	.p2align	6
.LBB116_6:                              ; =>This Inner Loop Header: Depth=1
	s_clause 0x1
	s_load_b32 s10, s[8:9], 0x0
	s_load_b32 s11, s[8:9], 0x64
	s_mov_b32 s15, s20
	s_waitcnt lgkmcnt(0)
	v_cvt_f32_u32_e32 v1, s10
	s_sub_i32 s14, 0, s10
	s_waitcnt_depctr 0xfff
	v_rcp_iflag_f32_e32 v1, v1
	s_waitcnt_depctr 0xfff
	v_mul_f32_e32 v1, 0x4f7ffffe, v1
	s_delay_alu instid0(VALU_DEP_1) | instskip(NEXT) | instid1(VALU_DEP_1)
	v_cvt_u32_f32_e32 v1, v1
	v_readfirstlane_b32 s12, v1
	s_delay_alu instid0(VALU_DEP_1) | instskip(NEXT) | instid1(SALU_CYCLE_1)
	s_mul_i32 s14, s14, s12
	s_mul_hi_u32 s14, s12, s14
	s_delay_alu instid0(SALU_CYCLE_1) | instskip(NEXT) | instid1(SALU_CYCLE_1)
	s_add_i32 s12, s12, s14
	s_mul_hi_u32 s12, s20, s12
	s_delay_alu instid0(SALU_CYCLE_1) | instskip(SKIP_2) | instid1(SALU_CYCLE_1)
	s_mul_i32 s14, s12, s10
	s_add_i32 s19, s12, 1
	s_sub_i32 s14, s20, s14
	s_sub_i32 s20, s14, s10
	s_cmp_ge_u32 s14, s10
	s_cselect_b32 s12, s19, s12
	s_cselect_b32 s14, s20, s14
	s_add_i32 s19, s12, 1
	s_cmp_ge_u32 s14, s10
	s_cselect_b32 s20, s19, s12
	s_add_i32 s7, s7, -1
	s_mul_i32 s10, s20, s10
	s_delay_alu instid0(SALU_CYCLE_1) | instskip(NEXT) | instid1(SALU_CYCLE_1)
	s_sub_i32 s10, s15, s10
	s_mul_i32 s10, s11, s10
	s_delay_alu instid0(SALU_CYCLE_1)
	s_add_i32 s21, s10, s21
	s_add_u32 s8, s8, -4
	s_addc_u32 s9, s9, -1
	s_cmp_gt_u32 s7, 2
	s_cbranch_scc1 .LBB116_6
.LBB116_7:
	s_set_inst_prefetch_distance 0x2
	s_clause 0x1
	s_load_b32 s33, s[0:1], 0x6c
	s_load_b32 s7, s[0:1], 0x2a0
	s_add_u32 s8, s0, 0x1d0
	s_addc_u32 s9, s1, 0
	s_mov_b32 s23, 0
	s_mov_b32 s22, s18
	s_waitcnt lgkmcnt(0)
	s_cmp_lt_i32 s7, 2
	s_cbranch_scc1 .LBB116_10
; %bb.8:
	s_add_i32 s22, s7, -1
	s_add_i32 s7, s7, 1
	s_lshl_b64 s[10:11], s[22:23], 2
	s_mov_b32 s22, s18
	s_add_u32 s8, s10, s8
	s_addc_u32 s9, s11, s9
	s_add_u32 s8, s8, 8
	s_addc_u32 s9, s9, 0
	s_set_inst_prefetch_distance 0x1
	.p2align	6
.LBB116_9:                              ; =>This Inner Loop Header: Depth=1
	s_clause 0x1
	s_load_b32 s10, s[8:9], 0x0
	s_load_b32 s11, s[8:9], 0x64
	s_mov_b32 s15, s22
	s_waitcnt lgkmcnt(0)
	v_cvt_f32_u32_e32 v1, s10
	s_sub_i32 s14, 0, s10
	s_waitcnt_depctr 0xfff
	v_rcp_iflag_f32_e32 v1, v1
	s_waitcnt_depctr 0xfff
	v_mul_f32_e32 v1, 0x4f7ffffe, v1
	s_delay_alu instid0(VALU_DEP_1) | instskip(NEXT) | instid1(VALU_DEP_1)
	v_cvt_u32_f32_e32 v1, v1
	v_readfirstlane_b32 s12, v1
	s_delay_alu instid0(VALU_DEP_1) | instskip(NEXT) | instid1(SALU_CYCLE_1)
	s_mul_i32 s14, s14, s12
	s_mul_hi_u32 s14, s12, s14
	s_delay_alu instid0(SALU_CYCLE_1) | instskip(NEXT) | instid1(SALU_CYCLE_1)
	s_add_i32 s12, s12, s14
	s_mul_hi_u32 s12, s22, s12
	s_delay_alu instid0(SALU_CYCLE_1) | instskip(SKIP_2) | instid1(SALU_CYCLE_1)
	s_mul_i32 s14, s12, s10
	s_add_i32 s19, s12, 1
	s_sub_i32 s14, s22, s14
	s_sub_i32 s22, s14, s10
	s_cmp_ge_u32 s14, s10
	s_cselect_b32 s12, s19, s12
	s_cselect_b32 s14, s22, s14
	s_add_i32 s19, s12, 1
	s_cmp_ge_u32 s14, s10
	s_cselect_b32 s22, s19, s12
	s_add_i32 s7, s7, -1
	s_mul_i32 s10, s22, s10
	s_delay_alu instid0(SALU_CYCLE_1) | instskip(NEXT) | instid1(SALU_CYCLE_1)
	s_sub_i32 s10, s15, s10
	s_mul_i32 s10, s11, s10
	s_delay_alu instid0(SALU_CYCLE_1)
	s_add_i32 s23, s10, s23
	s_add_u32 s8, s8, -4
	s_addc_u32 s9, s9, -1
	s_cmp_gt_u32 s7, 2
	s_cbranch_scc1 .LBB116_9
.LBB116_10:
	s_set_inst_prefetch_distance 0x2
	s_clause 0x1
	s_load_b32 s36, s[2:3], 0x6c
	s_load_b128 s[8:11], s[0:1], 0x2b8
	s_mov_b32 s19, 0
	s_mul_i32 s12, s18, s6
	v_mov_b32_e32 v1, 0
	s_lshl_b64 s[2:3], s[18:19], 1
	s_sub_i32 s7, s13, s12
	s_waitcnt lgkmcnt(0)
	s_add_u32 s2, s8, s2
	s_addc_u32 s3, s9, s3
	global_load_u16 v1, v1, s[2:3]
	s_clause 0x2
	s_load_b64 s[28:29], s[0:1], 0x0
	s_load_b64 s[26:27], s[0:1], 0xf0
	;; [unrolled: 1-line block ×3, first 2 shown]
	v_cmp_ne_u32_e64 s2, 0, v0
	v_cmp_eq_u32_e64 s3, 0, v0
	s_waitcnt vmcnt(0)
	v_readfirstlane_b32 s18, v1
	s_delay_alu instid0(VALU_DEP_2)
	s_and_saveexec_b32 s37, s3
	s_cbranch_execz .LBB116_26
; %bb.11:
	s_load_b64 s[8:9], s[0:1], 0x2c8
	s_mov_b32 s13, s19
	s_mov_b32 s38, 0
	s_lshl_b64 s[30:31], s[12:13], 2
	s_mov_b32 s39, 0
	s_add_u32 s12, s10, s30
	s_addc_u32 s13, s11, s31
	s_waitcnt lgkmcnt(0)
	s_add_u32 s14, s8, s30
	s_addc_u32 s15, s9, s31
	s_cmp_lt_u32 s6, 4
	s_cbranch_scc1 .LBB116_23
; %bb.12:
	s_mov_b32 s40, 0
.LBB116_13:                             ; =>This Inner Loop Header: Depth=1
	s_add_u32 s12, s10, s30
	s_addc_u32 s13, s11, s31
	s_add_u32 s34, s8, s30
	s_load_b128 s[12:15], s[12:13], 0x0
	s_addc_u32 s35, s9, s31
	s_cmp_ge_u32 s40, s7
	s_cbranch_scc0 .LBB116_20
; %bb.14:                               ;   in Loop: Header=BB116_13 Depth=1
	s_add_i32 s41, s40, 1
	s_delay_alu instid0(SALU_CYCLE_1)
	s_cmp_ge_u32 s41, s7
	s_cbranch_scc0 .LBB116_21
.LBB116_15:                             ;   in Loop: Header=BB116_13 Depth=1
	s_add_i32 s41, s41, 1
	s_delay_alu instid0(SALU_CYCLE_1)
	s_cmp_ge_u32 s41, s7
	s_cbranch_scc0 .LBB116_22
.LBB116_16:                             ;   in Loop: Header=BB116_13 Depth=1
	s_add_i32 s41, s41, 1
	s_delay_alu instid0(SALU_CYCLE_1)
	s_cmp_ge_u32 s41, s7
	s_cbranch_scc1 .LBB116_18
.LBB116_17:                             ;   in Loop: Header=BB116_13 Depth=1
	s_load_b32 s34, s[34:35], 0xc
	s_waitcnt lgkmcnt(0)
	s_add_i32 s19, s19, s15
	s_add_i32 s38, s34, s38
.LBB116_18:                             ;   in Loop: Header=BB116_13 Depth=1
	s_waitcnt lgkmcnt(0)
	s_add_i32 s12, s12, s39
	s_delay_alu instid0(SALU_CYCLE_1) | instskip(NEXT) | instid1(SALU_CYCLE_1)
	s_add_i32 s12, s12, s13
	s_add_i32 s12, s12, s14
	s_delay_alu instid0(SALU_CYCLE_1)
	s_add_i32 s39, s12, s15
	s_add_u32 s10, s10, 16
	s_addc_u32 s11, s11, 0
	s_add_u32 s8, s8, 16
	s_addc_u32 s9, s9, 0
	s_add_i32 s35, s41, 4
	s_add_u32 s14, s8, s30
	s_addc_u32 s15, s9, s31
	s_add_u32 s12, s10, s30
	s_addc_u32 s13, s11, s31
	s_add_i32 s34, s41, 1
	s_cmp_ge_u32 s35, s6
	s_cbranch_scc1 .LBB116_24
; %bb.19:                               ;   in Loop: Header=BB116_13 Depth=1
	s_mov_b32 s40, s34
	s_branch .LBB116_13
.LBB116_20:                             ;   in Loop: Header=BB116_13 Depth=1
	s_load_b32 s41, s[34:35], 0x0
	s_waitcnt lgkmcnt(0)
	s_add_i32 s19, s12, s19
	s_add_i32 s38, s41, s38
	;; [unrolled: 1-line block ×3, first 2 shown]
	s_delay_alu instid0(SALU_CYCLE_1)
	s_cmp_ge_u32 s41, s7
	s_cbranch_scc1 .LBB116_15
.LBB116_21:                             ;   in Loop: Header=BB116_13 Depth=1
	s_load_b32 s42, s[34:35], 0x4
	s_waitcnt lgkmcnt(0)
	s_add_i32 s19, s19, s13
	s_add_i32 s38, s42, s38
	;; [unrolled: 1-line block ×3, first 2 shown]
	s_delay_alu instid0(SALU_CYCLE_1)
	s_cmp_ge_u32 s41, s7
	s_cbranch_scc1 .LBB116_16
.LBB116_22:                             ;   in Loop: Header=BB116_13 Depth=1
	s_load_b32 s42, s[34:35], 0x8
	s_waitcnt lgkmcnt(0)
	s_add_i32 s19, s19, s14
	s_add_i32 s38, s42, s38
	;; [unrolled: 1-line block ×3, first 2 shown]
	s_delay_alu instid0(SALU_CYCLE_1)
	s_cmp_ge_u32 s41, s7
	s_cbranch_scc0 .LBB116_17
	s_branch .LBB116_18
.LBB116_23:
	s_mov_b32 s8, 0
	s_delay_alu instid0(SALU_CYCLE_1)
	s_cmp_ge_u32 s8, s6
	s_cbranch_scc0 .LBB116_47
	s_branch .LBB116_25
.LBB116_24:
	s_add_i32 s8, s40, 4
	s_delay_alu instid0(SALU_CYCLE_1)
	s_cmp_ge_u32 s8, s6
	s_cbranch_scc0 .LBB116_47
.LBB116_25:
	v_dual_mov_b32 v1, s38 :: v_dual_mov_b32 v2, s39
	v_dual_mov_b32 v3, s19 :: v_dual_mov_b32 v4, 0
	ds_store_b96 v4, v[1:3] offset:1056
.LBB116_26:
	s_or_b32 exec_lo, exec_lo, s37
	s_clause 0x1
	s_load_b32 s12, s[0:1], 0x23c
	s_load_b128 s[8:11], s[0:1], 0xd8
	s_waitcnt lgkmcnt(0)
	s_mul_i32 s11, s5, s7
	s_add_i32 s7, s7, 1
	s_lshl_b32 s19, s11, 8
	s_barrier
	buffer_gl0_inv
	s_sub_i32 s11, s8, s19
	s_delay_alu instid0(SALU_CYCLE_1) | instskip(SKIP_4) | instid1(VALU_DEP_1)
	s_add_u32 s11, s11, 0xff
	s_addc_u32 s13, 0, 0
	s_cmp_lt_u32 s7, s6
	v_alignbit_b32 v1, s13, s11, 8
	s_mov_b32 s7, 0
	v_readfirstlane_b32 s11, v1
	s_delay_alu instid0(VALU_DEP_1) | instskip(NEXT) | instid1(SALU_CYCLE_1)
	s_cselect_b32 s5, s5, s11
	s_cmp_eq_u32 s5, 0
	s_cbranch_scc1 .LBB116_49
; %bb.27:
	s_mul_i32 s6, s36, s20
	s_mul_i32 s11, s33, s16
	s_add_i32 s14, s6, s21
	s_add_i32 s6, s11, s17
	s_mul_i32 s11, s12, s22
	s_lshl_b64 s[12:13], s[6:7], 1
	s_add_i32 s16, s11, s23
	s_mov_b32 s15, s7
	s_add_u32 s6, s28, s12
	s_addc_u32 s11, s29, s13
	s_lshl_b64 s[12:13], s[14:15], 1
	v_mov_b32_e32 v5, 0
	s_mov_b32 s17, s7
	s_add_u32 s12, s26, s12
	s_addc_u32 s13, s27, s13
	s_lshl_b64 s[14:15], s[16:17], 3
	ds_load_b96 v[1:3], v5 offset:1056
	s_add_u32 s7, s24, s14
	s_addc_u32 s14, s25, s15
	s_sext_i32_i16 s15, s18
	s_and_b32 s16, 0xffff, s18
	s_cmp_gt_i32 s15, -1
	s_mov_b32 s15, 0x8000
	v_lshrrev_b32_e32 v4, 5, v0
	s_cselect_b32 s15, s15, 0xffff
	s_lshl_b32 s17, s18, 16
	s_load_b32 s18, s[0:1], 0xe8
	v_cmp_o_f32_e64 s17, s17, s17
	s_xor_b32 s15, s15, s16
	v_add_nc_u32_e32 v9, -1, v0
	v_add_lshl_u32 v7, v4, v0, 2
	v_lshrrev_b32_e32 v4, 2, v0
	s_and_b32 s16, s17, exec_lo
	s_cselect_b32 s15, s15, 0xffff
	s_bitcmp1_b32 s10, 0
	s_load_b32 s10, s[0:1], 0x1c8
	s_waitcnt lgkmcnt(0)
	v_add_nc_u32_e32 v6, v1, v2
	v_dual_mov_b32 v13, 0x8000 :: v_dual_lshlrev_b32 v2, 3, v0
	v_add_nc_u32_e32 v1, s19, v0
	v_lshrrev_b32_e32 v10, 5, v9
	v_mbcnt_lo_u32_b32 v8, -1, 0
	v_cmp_gt_u32_e64 s0, 32, v0
	v_add_lshl_u32 v0, v4, v2, 2
	s_cselect_b32 s1, -1, 0
	v_add_lshl_u32 v9, v10, v9, 2
	v_mul_lo_u32 v4, s18, v1
	v_and_b32_e32 v10, 15, v8
	v_bfe_i32 v11, v8, 4, 1
	v_add_nc_u32_e32 v12, -1, v8
	s_lshl_b32 s16, s18, 8
                                        ; implicit-def: $vgpr14
	s_branch .LBB116_30
.LBB116_28:                             ;   in Loop: Header=BB116_30 Depth=1
	s_or_b32 exec_lo, exec_lo, s17
	v_add_nc_u32_e32 v6, v17, v6
.LBB116_29:                             ;   in Loop: Header=BB116_30 Depth=1
	v_add_nc_u32_e32 v3, v16, v3
	v_add_nc_u32_e32 v4, s16, v4
	;; [unrolled: 1-line block ×3, first 2 shown]
	s_add_i32 s5, s5, -1
	s_delay_alu instid0(SALU_CYCLE_1)
	s_cmp_lg_u32 s5, 0
	s_cbranch_scc0 .LBB116_49
.LBB116_30:                             ; =>This Inner Loop Header: Depth=1
	v_dual_mov_b32 v2, 0 :: v_dual_mov_b32 v15, 0
	s_mov_b32 s17, exec_lo
	v_cmpx_gt_u32_e64 s8, v1
	s_cbranch_execz .LBB116_32
; %bb.31:                               ;   in Loop: Header=BB116_30 Depth=1
	v_lshlrev_b64 v[14:15], 1, v[4:5]
	s_delay_alu instid0(VALU_DEP_1) | instskip(NEXT) | instid1(VALU_DEP_2)
	v_add_co_u32 v14, vcc_lo, s6, v14
	v_add_co_ci_u32_e32 v15, vcc_lo, s11, v15, vcc_lo
	global_load_u16 v14, v[14:15], off
	s_waitcnt vmcnt(0)
	v_cmp_lt_i16_e32 vcc_lo, -1, v14
	v_and_b32_e32 v2, 0xffff, v14
	v_dual_cndmask_b32 v15, 0xffff, v13 :: v_dual_lshlrev_b32 v16, 16, v14
	s_delay_alu instid0(VALU_DEP_1) | instskip(NEXT) | instid1(VALU_DEP_2)
	v_cmp_o_f32_e32 vcc_lo, v16, v16
	v_xor_b32_e32 v2, v15, v2
	s_delay_alu instid0(VALU_DEP_1) | instskip(NEXT) | instid1(VALU_DEP_1)
	v_cndmask_b32_e32 v15, 0xffff, v2, vcc_lo
	v_cmp_lt_u32_e32 vcc_lo, s15, v15
	v_cndmask_b32_e64 v2, 0, 1, vcc_lo
	v_cmp_gt_u32_e32 vcc_lo, s15, v15
	v_cndmask_b32_e64 v16, 0, 1, vcc_lo
	v_cmp_eq_u32_e32 vcc_lo, s15, v15
	s_delay_alu instid0(VALU_DEP_2) | instskip(SKIP_1) | instid1(VALU_DEP_2)
	v_cndmask_b32_e64 v2, v16, v2, s1
	v_cndmask_b32_e64 v15, 0, 1, vcc_lo
	v_and_b32_e32 v2, 1, v2
.LBB116_32:                             ;   in Loop: Header=BB116_30 Depth=1
	s_or_b32 exec_lo, exec_lo, s17
	ds_store_b32 v7, v2
	s_waitcnt lgkmcnt(0)
	s_waitcnt_vscnt null, 0x0
	s_barrier
	buffer_gl0_inv
	s_and_saveexec_b32 s17, s0
	s_cbranch_execz .LBB116_34
; %bb.33:                               ;   in Loop: Header=BB116_30 Depth=1
	ds_load_2addr_b32 v[16:17], v0 offset1:1
	ds_load_2addr_b32 v[18:19], v0 offset0:2 offset1:3
	ds_load_2addr_b32 v[20:21], v0 offset0:4 offset1:5
	;; [unrolled: 1-line block ×3, first 2 shown]
	v_cmp_ne_u32_e32 vcc_lo, 0, v10
	; wave barrier
	s_waitcnt lgkmcnt(3)
	v_add_nc_u32_e32 v17, v17, v16
	s_waitcnt lgkmcnt(2)
	s_delay_alu instid0(VALU_DEP_1) | instskip(SKIP_1) | instid1(VALU_DEP_1)
	v_add3_u32 v17, v17, v18, v19
	s_waitcnt lgkmcnt(1)
	v_add3_u32 v17, v17, v20, v21
	s_waitcnt lgkmcnt(0)
	s_delay_alu instid0(VALU_DEP_1) | instskip(NEXT) | instid1(VALU_DEP_1)
	v_add3_u32 v17, v17, v22, v23
	v_mov_b32_dpp v18, v17 row_shr:1 row_mask:0xf bank_mask:0xf
	s_delay_alu instid0(VALU_DEP_1) | instskip(SKIP_1) | instid1(VALU_DEP_2)
	v_cndmask_b32_e32 v18, 0, v18, vcc_lo
	v_cmp_lt_u32_e32 vcc_lo, 1, v10
	v_add_nc_u32_e32 v17, v18, v17
	s_delay_alu instid0(VALU_DEP_1) | instskip(NEXT) | instid1(VALU_DEP_1)
	v_mov_b32_dpp v18, v17 row_shr:2 row_mask:0xf bank_mask:0xf
	v_cndmask_b32_e32 v18, 0, v18, vcc_lo
	v_cmp_lt_u32_e32 vcc_lo, 3, v10
	s_delay_alu instid0(VALU_DEP_2) | instskip(NEXT) | instid1(VALU_DEP_1)
	v_add_nc_u32_e32 v17, v17, v18
	v_mov_b32_dpp v18, v17 row_shr:4 row_mask:0xf bank_mask:0xf
	s_delay_alu instid0(VALU_DEP_1) | instskip(SKIP_1) | instid1(VALU_DEP_2)
	v_cndmask_b32_e32 v18, 0, v18, vcc_lo
	v_cmp_lt_u32_e32 vcc_lo, 7, v10
	v_add_nc_u32_e32 v17, v17, v18
	s_delay_alu instid0(VALU_DEP_1) | instskip(NEXT) | instid1(VALU_DEP_1)
	v_mov_b32_dpp v18, v17 row_shr:8 row_mask:0xf bank_mask:0xf
	v_cndmask_b32_e32 v18, 0, v18, vcc_lo
	v_cmp_gt_i32_e32 vcc_lo, 0, v12
	v_cndmask_b32_e32 v19, v12, v8, vcc_lo
	s_delay_alu instid0(VALU_DEP_1) | instskip(NEXT) | instid1(VALU_DEP_4)
	v_lshlrev_b32_e32 v19, 2, v19
	v_add_nc_u32_e32 v17, v17, v18
	ds_swizzle_b32 v18, v17 offset:swizzle(BROADCAST,32,15)
	s_waitcnt lgkmcnt(0)
	v_and_b32_e32 v18, v11, v18
	s_delay_alu instid0(VALU_DEP_1) | instskip(SKIP_3) | instid1(VALU_DEP_1)
	v_add_nc_u32_e32 v17, v17, v18
	ds_bpermute_b32 v17, v19, v17
	s_waitcnt lgkmcnt(0)
	v_add_nc_u32_e32 v16, v17, v16
	v_cndmask_b32_e64 v22, v16, v2, s3
	ds_store_b32 v0, v22
	; wave barrier
	ds_load_2addr_b32 v[16:17], v0 offset0:1 offset1:2
	ds_load_2addr_b32 v[18:19], v0 offset0:3 offset1:4
	;; [unrolled: 1-line block ×3, first 2 shown]
	ds_load_b32 v23, v0 offset:28
	s_waitcnt lgkmcnt(3)
	v_add_nc_u32_e32 v16, v16, v22
	s_delay_alu instid0(VALU_DEP_1) | instskip(SKIP_1) | instid1(VALU_DEP_1)
	v_add_nc_u32_e32 v17, v17, v16
	s_waitcnt lgkmcnt(2)
	v_add_nc_u32_e32 v18, v18, v17
	s_delay_alu instid0(VALU_DEP_1) | instskip(SKIP_1) | instid1(VALU_DEP_1)
	v_add_nc_u32_e32 v19, v19, v18
	;; [unrolled: 4-line block ×3, first 2 shown]
	s_waitcnt lgkmcnt(0)
	v_add_nc_u32_e32 v22, v23, v21
	ds_store_2addr_b32 v0, v16, v17 offset0:1 offset1:2
	ds_store_2addr_b32 v0, v18, v19 offset0:3 offset1:4
	;; [unrolled: 1-line block ×3, first 2 shown]
	ds_store_b32 v0, v22 offset:28
.LBB116_34:                             ;   in Loop: Header=BB116_30 Depth=1
	s_or_b32 exec_lo, exec_lo, s17
	v_mov_b32_e32 v17, 0
	s_waitcnt lgkmcnt(0)
	s_barrier
	buffer_gl0_inv
	s_and_saveexec_b32 s17, s2
	s_cbranch_execz .LBB116_36
; %bb.35:                               ;   in Loop: Header=BB116_30 Depth=1
	ds_load_b32 v17, v9
.LBB116_36:                             ;   in Loop: Header=BB116_30 Depth=1
	s_or_b32 exec_lo, exec_lo, s17
	ds_load_b32 v16, v5 offset:1048
	s_mov_b32 s17, exec_lo
	s_waitcnt lgkmcnt(0)
	s_barrier
	buffer_gl0_inv
	v_cmpx_ne_u32_e32 0, v2
	s_cbranch_execz .LBB116_38
; %bb.37:                               ;   in Loop: Header=BB116_30 Depth=1
	v_add_nc_u32_e32 v2, v17, v3
	v_mov_b32_e32 v18, v5
	v_mov_b32_e32 v20, v5
	s_delay_alu instid0(VALU_DEP_3) | instskip(SKIP_2) | instid1(VALU_DEP_3)
	v_mul_lo_u32 v17, v2, s10
	v_mul_lo_u32 v19, v2, s4
	v_mov_b32_e32 v2, v5
	v_lshlrev_b64 v[17:18], 1, v[17:18]
	s_delay_alu instid0(VALU_DEP_3) | instskip(NEXT) | instid1(VALU_DEP_2)
	v_lshlrev_b64 v[19:20], 3, v[19:20]
	v_add_co_u32 v17, vcc_lo, s12, v17
	s_delay_alu instid0(VALU_DEP_3) | instskip(NEXT) | instid1(VALU_DEP_3)
	v_add_co_ci_u32_e32 v18, vcc_lo, s13, v18, vcc_lo
	v_add_co_u32 v19, vcc_lo, s7, v19
	s_delay_alu instid0(VALU_DEP_4)
	v_add_co_ci_u32_e32 v20, vcc_lo, s14, v20, vcc_lo
	global_store_b16 v[17:18], v14, off
	global_store_b64 v[19:20], v[1:2], off
.LBB116_38:                             ;   in Loop: Header=BB116_30 Depth=1
	s_or_b32 exec_lo, exec_lo, s17
	v_cmp_le_u32_e32 vcc_lo, s9, v6
	s_cbranch_vccnz .LBB116_29
; %bb.39:                               ;   in Loop: Header=BB116_30 Depth=1
	ds_store_b32 v7, v15
	s_waitcnt lgkmcnt(0)
	s_waitcnt_vscnt null, 0x0
	s_barrier
	buffer_gl0_inv
	s_and_saveexec_b32 s17, s0
	s_cbranch_execz .LBB116_41
; %bb.40:                               ;   in Loop: Header=BB116_30 Depth=1
	ds_load_2addr_b32 v[17:18], v0 offset1:1
	ds_load_2addr_b32 v[19:20], v0 offset0:2 offset1:3
	ds_load_2addr_b32 v[21:22], v0 offset0:4 offset1:5
	;; [unrolled: 1-line block ×3, first 2 shown]
	v_cmp_ne_u32_e32 vcc_lo, 0, v10
	; wave barrier
	s_waitcnt lgkmcnt(3)
	v_add_nc_u32_e32 v2, v18, v17
	s_waitcnt lgkmcnt(2)
	s_delay_alu instid0(VALU_DEP_1) | instskip(SKIP_1) | instid1(VALU_DEP_1)
	v_add3_u32 v2, v2, v19, v20
	s_waitcnt lgkmcnt(1)
	v_add3_u32 v2, v2, v21, v22
	s_waitcnt lgkmcnt(0)
	s_delay_alu instid0(VALU_DEP_1) | instskip(NEXT) | instid1(VALU_DEP_1)
	v_add3_u32 v2, v2, v23, v24
	v_mov_b32_dpp v18, v2 row_shr:1 row_mask:0xf bank_mask:0xf
	s_delay_alu instid0(VALU_DEP_1) | instskip(SKIP_1) | instid1(VALU_DEP_2)
	v_cndmask_b32_e32 v18, 0, v18, vcc_lo
	v_cmp_lt_u32_e32 vcc_lo, 1, v10
	v_add_nc_u32_e32 v2, v18, v2
	s_delay_alu instid0(VALU_DEP_1) | instskip(NEXT) | instid1(VALU_DEP_1)
	v_mov_b32_dpp v18, v2 row_shr:2 row_mask:0xf bank_mask:0xf
	v_cndmask_b32_e32 v18, 0, v18, vcc_lo
	v_cmp_lt_u32_e32 vcc_lo, 3, v10
	s_delay_alu instid0(VALU_DEP_2) | instskip(NEXT) | instid1(VALU_DEP_1)
	v_add_nc_u32_e32 v2, v2, v18
	v_mov_b32_dpp v18, v2 row_shr:4 row_mask:0xf bank_mask:0xf
	s_delay_alu instid0(VALU_DEP_1) | instskip(SKIP_1) | instid1(VALU_DEP_2)
	v_cndmask_b32_e32 v18, 0, v18, vcc_lo
	v_cmp_lt_u32_e32 vcc_lo, 7, v10
	v_add_nc_u32_e32 v2, v2, v18
	s_delay_alu instid0(VALU_DEP_1) | instskip(NEXT) | instid1(VALU_DEP_1)
	v_mov_b32_dpp v18, v2 row_shr:8 row_mask:0xf bank_mask:0xf
	v_cndmask_b32_e32 v18, 0, v18, vcc_lo
	v_cmp_gt_i32_e32 vcc_lo, 0, v12
	s_delay_alu instid0(VALU_DEP_2) | instskip(SKIP_4) | instid1(VALU_DEP_1)
	v_dual_cndmask_b32 v19, v12, v8 :: v_dual_add_nc_u32 v2, v2, v18
	ds_swizzle_b32 v18, v2 offset:swizzle(BROADCAST,32,15)
	v_lshlrev_b32_e32 v19, 2, v19
	s_waitcnt lgkmcnt(0)
	v_and_b32_e32 v18, v11, v18
	v_add_nc_u32_e32 v2, v2, v18
	ds_bpermute_b32 v2, v19, v2
	s_waitcnt lgkmcnt(0)
	v_add_nc_u32_e32 v2, v2, v17
	s_delay_alu instid0(VALU_DEP_1)
	v_cndmask_b32_e64 v2, v2, v15, s3
	ds_store_b32 v0, v2
	; wave barrier
	ds_load_2addr_b32 v[17:18], v0 offset0:1 offset1:2
	ds_load_2addr_b32 v[19:20], v0 offset0:3 offset1:4
	;; [unrolled: 1-line block ×3, first 2 shown]
	ds_load_b32 v23, v0 offset:28
	s_waitcnt lgkmcnt(3)
	v_add_nc_u32_e32 v2, v17, v2
	s_delay_alu instid0(VALU_DEP_1) | instskip(SKIP_1) | instid1(VALU_DEP_1)
	v_add_nc_u32_e32 v17, v18, v2
	s_waitcnt lgkmcnt(2)
	v_add_nc_u32_e32 v18, v19, v17
	s_delay_alu instid0(VALU_DEP_1) | instskip(SKIP_1) | instid1(VALU_DEP_1)
	v_add_nc_u32_e32 v19, v20, v18
	;; [unrolled: 4-line block ×3, first 2 shown]
	s_waitcnt lgkmcnt(0)
	v_add_nc_u32_e32 v22, v23, v21
	ds_store_2addr_b32 v0, v2, v17 offset0:1 offset1:2
	ds_store_2addr_b32 v0, v18, v19 offset0:3 offset1:4
	;; [unrolled: 1-line block ×3, first 2 shown]
	ds_store_b32 v0, v22 offset:28
.LBB116_41:                             ;   in Loop: Header=BB116_30 Depth=1
	s_or_b32 exec_lo, exec_lo, s17
	v_mov_b32_e32 v2, 0
	s_waitcnt lgkmcnt(0)
	s_barrier
	buffer_gl0_inv
	s_and_saveexec_b32 s17, s2
	s_cbranch_execz .LBB116_43
; %bb.42:                               ;   in Loop: Header=BB116_30 Depth=1
	ds_load_b32 v2, v9
.LBB116_43:                             ;   in Loop: Header=BB116_30 Depth=1
	s_or_b32 exec_lo, exec_lo, s17
	ds_load_b32 v17, v5 offset:1048
	s_mov_b32 s17, exec_lo
	s_waitcnt lgkmcnt(0)
	s_barrier
	buffer_gl0_inv
	v_cmpx_ne_u32_e32 0, v15
	s_cbranch_execz .LBB116_28
; %bb.44:                               ;   in Loop: Header=BB116_30 Depth=1
	v_add_nc_u32_e32 v2, v2, v6
	s_delay_alu instid0(VALU_DEP_1)
	v_cmp_gt_u32_e32 vcc_lo, s9, v2
	s_and_b32 exec_lo, exec_lo, vcc_lo
	s_cbranch_execz .LBB116_28
; %bb.45:                               ;   in Loop: Header=BB116_30 Depth=1
	v_mul_lo_u32 v18, v2, s10
	v_mov_b32_e32 v19, v5
	v_mul_lo_u32 v20, v2, s4
	v_mov_b32_e32 v21, v5
	v_mov_b32_e32 v2, v5
	s_delay_alu instid0(VALU_DEP_4) | instskip(NEXT) | instid1(VALU_DEP_3)
	v_lshlrev_b64 v[18:19], 1, v[18:19]
	v_lshlrev_b64 v[20:21], 3, v[20:21]
	s_delay_alu instid0(VALU_DEP_2) | instskip(NEXT) | instid1(VALU_DEP_3)
	v_add_co_u32 v18, vcc_lo, s12, v18
	v_add_co_ci_u32_e32 v19, vcc_lo, s13, v19, vcc_lo
	s_delay_alu instid0(VALU_DEP_3) | instskip(NEXT) | instid1(VALU_DEP_4)
	v_add_co_u32 v20, vcc_lo, s7, v20
	v_add_co_ci_u32_e32 v21, vcc_lo, s14, v21, vcc_lo
	global_store_b16 v[18:19], v14, off
	global_store_b64 v[20:21], v[1:2], off
	s_branch .LBB116_28
	.p2align	6
.LBB116_46:                             ;   in Loop: Header=BB116_47 Depth=1
	s_add_u32 s12, s12, 4
	s_addc_u32 s13, s13, 0
	s_waitcnt lgkmcnt(0)
	s_add_i32 s39, s9, s39
	s_add_u32 s14, s14, 4
	s_addc_u32 s15, s15, 0
	s_add_i32 s8, s8, 1
	s_delay_alu instid0(SALU_CYCLE_1)
	s_cmp_lt_u32 s8, s6
	s_cbranch_scc0 .LBB116_25
.LBB116_47:                             ; =>This Inner Loop Header: Depth=1
	s_load_b32 s9, s[12:13], 0x0
	s_cmp_ge_u32 s8, s7
	s_cbranch_scc1 .LBB116_46
; %bb.48:                               ;   in Loop: Header=BB116_47 Depth=1
	s_load_b32 s10, s[14:15], 0x0
	s_waitcnt lgkmcnt(0)
	s_add_i32 s19, s9, s19
	s_add_i32 s38, s10, s38
	s_branch .LBB116_46
.LBB116_49:
	s_nop 0
	s_sendmsg sendmsg(MSG_DEALLOC_VGPRS)
	s_endpgm
	.section	.rodata,"a",@progbits
	.p2align	6, 0x0
	.amdhsa_kernel _ZN2at6native6mbtopk10gatherTopKIN3c108BFloat16EjLin1EEEvNS_4cuda6detail10TensorInfoIKT_T0_EESA_SA_bjSA_NS7_IS8_SA_EESA_NS7_IlSA_EESA_jjPS8_PjSF_j
		.amdhsa_group_segment_fixed_size 1068
		.amdhsa_private_segment_fixed_size 0
		.amdhsa_kernarg_size 984
		.amdhsa_user_sgpr_count 13
		.amdhsa_user_sgpr_dispatch_ptr 0
		.amdhsa_user_sgpr_queue_ptr 0
		.amdhsa_user_sgpr_kernarg_segment_ptr 1
		.amdhsa_user_sgpr_dispatch_id 0
		.amdhsa_user_sgpr_private_segment_size 0
		.amdhsa_wavefront_size32 1
		.amdhsa_uses_dynamic_stack 0
		.amdhsa_enable_private_segment 0
		.amdhsa_system_sgpr_workgroup_id_x 1
		.amdhsa_system_sgpr_workgroup_id_y 1
		.amdhsa_system_sgpr_workgroup_id_z 1
		.amdhsa_system_sgpr_workgroup_info 0
		.amdhsa_system_vgpr_workitem_id 0
		.amdhsa_next_free_vgpr 25
		.amdhsa_next_free_sgpr 43
		.amdhsa_reserve_vcc 1
		.amdhsa_float_round_mode_32 0
		.amdhsa_float_round_mode_16_64 0
		.amdhsa_float_denorm_mode_32 3
		.amdhsa_float_denorm_mode_16_64 3
		.amdhsa_dx10_clamp 1
		.amdhsa_ieee_mode 1
		.amdhsa_fp16_overflow 0
		.amdhsa_workgroup_processor_mode 1
		.amdhsa_memory_ordered 1
		.amdhsa_forward_progress 0
		.amdhsa_shared_vgpr_count 0
		.amdhsa_exception_fp_ieee_invalid_op 0
		.amdhsa_exception_fp_denorm_src 0
		.amdhsa_exception_fp_ieee_div_zero 0
		.amdhsa_exception_fp_ieee_overflow 0
		.amdhsa_exception_fp_ieee_underflow 0
		.amdhsa_exception_fp_ieee_inexact 0
		.amdhsa_exception_int_div_zero 0
	.end_amdhsa_kernel
	.section	.text._ZN2at6native6mbtopk10gatherTopKIN3c108BFloat16EjLin1EEEvNS_4cuda6detail10TensorInfoIKT_T0_EESA_SA_bjSA_NS7_IS8_SA_EESA_NS7_IlSA_EESA_jjPS8_PjSF_j,"axG",@progbits,_ZN2at6native6mbtopk10gatherTopKIN3c108BFloat16EjLin1EEEvNS_4cuda6detail10TensorInfoIKT_T0_EESA_SA_bjSA_NS7_IS8_SA_EESA_NS7_IlSA_EESA_jjPS8_PjSF_j,comdat
.Lfunc_end116:
	.size	_ZN2at6native6mbtopk10gatherTopKIN3c108BFloat16EjLin1EEEvNS_4cuda6detail10TensorInfoIKT_T0_EESA_SA_bjSA_NS7_IS8_SA_EESA_NS7_IlSA_EESA_jjPS8_PjSF_j, .Lfunc_end116-_ZN2at6native6mbtopk10gatherTopKIN3c108BFloat16EjLin1EEEvNS_4cuda6detail10TensorInfoIKT_T0_EESA_SA_bjSA_NS7_IS8_SA_EESA_NS7_IlSA_EESA_jjPS8_PjSF_j
                                        ; -- End function
	.section	.AMDGPU.csdata,"",@progbits
; Kernel info:
; codeLenInByte = 3392
; NumSgprs: 45
; NumVgprs: 25
; ScratchSize: 0
; MemoryBound: 0
; FloatMode: 240
; IeeeMode: 1
; LDSByteSize: 1068 bytes/workgroup (compile time only)
; SGPRBlocks: 5
; VGPRBlocks: 3
; NumSGPRsForWavesPerEU: 45
; NumVGPRsForWavesPerEU: 25
; Occupancy: 16
; WaveLimiterHint : 1
; COMPUTE_PGM_RSRC2:SCRATCH_EN: 0
; COMPUTE_PGM_RSRC2:USER_SGPR: 13
; COMPUTE_PGM_RSRC2:TRAP_HANDLER: 0
; COMPUTE_PGM_RSRC2:TGID_X_EN: 1
; COMPUTE_PGM_RSRC2:TGID_Y_EN: 1
; COMPUTE_PGM_RSRC2:TGID_Z_EN: 1
; COMPUTE_PGM_RSRC2:TIDIG_COMP_CNT: 0
	.section	.text._ZN2at6native6sbtopk10gatherTopKIN3c108BFloat16EjLin1ELb0EEEvNS_4cuda6detail10TensorInfoIKT_T0_EESA_SA_bSA_SA_NS7_IS8_SA_EESA_NS7_IlSA_EESA_PS8_,"axG",@progbits,_ZN2at6native6sbtopk10gatherTopKIN3c108BFloat16EjLin1ELb0EEEvNS_4cuda6detail10TensorInfoIKT_T0_EESA_SA_bSA_SA_NS7_IS8_SA_EESA_NS7_IlSA_EESA_PS8_,comdat
	.protected	_ZN2at6native6sbtopk10gatherTopKIN3c108BFloat16EjLin1ELb0EEEvNS_4cuda6detail10TensorInfoIKT_T0_EESA_SA_bSA_SA_NS7_IS8_SA_EESA_NS7_IlSA_EESA_PS8_ ; -- Begin function _ZN2at6native6sbtopk10gatherTopKIN3c108BFloat16EjLin1ELb0EEEvNS_4cuda6detail10TensorInfoIKT_T0_EESA_SA_bSA_SA_NS7_IS8_SA_EESA_NS7_IlSA_EESA_PS8_
	.globl	_ZN2at6native6sbtopk10gatherTopKIN3c108BFloat16EjLin1ELb0EEEvNS_4cuda6detail10TensorInfoIKT_T0_EESA_SA_bSA_SA_NS7_IS8_SA_EESA_NS7_IlSA_EESA_PS8_
	.p2align	8
	.type	_ZN2at6native6sbtopk10gatherTopKIN3c108BFloat16EjLin1ELb0EEEvNS_4cuda6detail10TensorInfoIKT_T0_EESA_SA_bSA_SA_NS7_IS8_SA_EESA_NS7_IlSA_EESA_PS8_,@function
_ZN2at6native6sbtopk10gatherTopKIN3c108BFloat16EjLin1ELb0EEEvNS_4cuda6detail10TensorInfoIKT_T0_EESA_SA_bSA_SA_NS7_IS8_SA_EESA_NS7_IlSA_EESA_PS8_: ; @_ZN2at6native6sbtopk10gatherTopKIN3c108BFloat16EjLin1ELb0EEEvNS_4cuda6detail10TensorInfoIKT_T0_EESA_SA_bSA_SA_NS7_IS8_SA_EESA_NS7_IlSA_EESA_PS8_
; %bb.0:
	s_clause 0x1
	s_load_b64 s[4:5], s[0:1], 0x2b8
	s_load_b128 s[24:27], s[0:1], 0xd8
	s_add_u32 s6, s0, 0x2b8
	s_addc_u32 s7, s1, 0
	s_waitcnt lgkmcnt(0)
	s_mul_i32 s2, s5, s15
	s_delay_alu instid0(SALU_CYCLE_1) | instskip(NEXT) | instid1(SALU_CYCLE_1)
	s_add_i32 s2, s2, s14
	s_mul_i32 s2, s2, s4
	s_delay_alu instid0(SALU_CYCLE_1) | instskip(NEXT) | instid1(SALU_CYCLE_1)
	s_add_i32 s42, s2, s13
	s_cmp_ge_u32 s42, s27
	s_cbranch_scc1 .LBB117_476
; %bb.1:
	s_clause 0x1
	s_load_b32 s5, s[0:1], 0xd0
	s_load_b32 s28, s[0:1], 0xe8
	s_mov_b32 s3, 0
	s_mov_b32 s2, s42
	s_waitcnt lgkmcnt(0)
	s_cmp_lt_i32 s5, 2
	s_cbranch_scc1 .LBB117_4
; %bb.2:
	s_add_i32 s2, s5, -1
	s_add_i32 s5, s5, 1
	s_lshl_b64 s[8:9], s[2:3], 2
	s_delay_alu instid0(SALU_CYCLE_1)
	s_add_u32 s2, s8, s0
	s_addc_u32 s9, s9, s1
	s_add_u32 s8, s2, 8
	s_addc_u32 s9, s9, 0
	s_mov_b32 s2, s42
	s_set_inst_prefetch_distance 0x1
	.p2align	6
.LBB117_3:                              ; =>This Inner Loop Header: Depth=1
	s_clause 0x1
	s_load_b32 s10, s[8:9], 0x0
	s_load_b32 s11, s[8:9], 0x64
	s_mov_b32 s15, s2
	s_waitcnt lgkmcnt(0)
	v_cvt_f32_u32_e32 v1, s10
	s_sub_i32 s14, 0, s10
	s_waitcnt_depctr 0xfff
	v_rcp_iflag_f32_e32 v1, v1
	s_waitcnt_depctr 0xfff
	v_mul_f32_e32 v1, 0x4f7ffffe, v1
	s_delay_alu instid0(VALU_DEP_1) | instskip(NEXT) | instid1(VALU_DEP_1)
	v_cvt_u32_f32_e32 v1, v1
	v_readfirstlane_b32 s12, v1
	s_delay_alu instid0(VALU_DEP_1) | instskip(NEXT) | instid1(SALU_CYCLE_1)
	s_mul_i32 s14, s14, s12
	s_mul_hi_u32 s14, s12, s14
	s_delay_alu instid0(SALU_CYCLE_1) | instskip(NEXT) | instid1(SALU_CYCLE_1)
	s_add_i32 s12, s12, s14
	s_mul_hi_u32 s2, s2, s12
	s_delay_alu instid0(SALU_CYCLE_1) | instskip(SKIP_2) | instid1(SALU_CYCLE_1)
	s_mul_i32 s12, s2, s10
	s_add_i32 s14, s2, 1
	s_sub_i32 s12, s15, s12
	s_sub_i32 s16, s12, s10
	s_cmp_ge_u32 s12, s10
	s_cselect_b32 s2, s14, s2
	s_cselect_b32 s12, s16, s12
	s_add_i32 s14, s2, 1
	s_cmp_ge_u32 s12, s10
	s_cselect_b32 s2, s14, s2
	s_add_i32 s5, s5, -1
	s_mul_i32 s10, s2, s10
	s_delay_alu instid0(SALU_CYCLE_1) | instskip(NEXT) | instid1(SALU_CYCLE_1)
	s_sub_i32 s10, s15, s10
	s_mul_i32 s10, s11, s10
	s_delay_alu instid0(SALU_CYCLE_1)
	s_add_i32 s3, s10, s3
	s_add_u32 s8, s8, -4
	s_addc_u32 s9, s9, -1
	s_cmp_gt_u32 s5, 2
	s_cbranch_scc1 .LBB117_3
.LBB117_4:
	s_set_inst_prefetch_distance 0x2
	s_load_b32 s5, s[0:1], 0x1c0
	s_add_u32 s8, s0, 0xf0
	s_addc_u32 s9, s1, 0
	s_mov_b32 s31, 0
	s_mov_b32 s43, s42
	s_waitcnt lgkmcnt(0)
	s_cmp_lt_i32 s5, 2
	s_cbranch_scc1 .LBB117_7
; %bb.5:
	s_add_i32 s30, s5, -1
	s_add_i32 s5, s5, 1
	s_lshl_b64 s[10:11], s[30:31], 2
	s_mov_b32 s43, s42
	s_add_u32 s10, s10, s8
	s_addc_u32 s11, s11, s9
	s_add_u32 s10, s10, 8
	s_addc_u32 s11, s11, 0
	s_set_inst_prefetch_distance 0x1
	.p2align	6
.LBB117_6:                              ; =>This Inner Loop Header: Depth=1
	s_clause 0x1
	s_load_b32 s12, s[10:11], 0x0
	s_load_b32 s14, s[10:11], 0x64
	s_mov_b32 s17, s43
	s_waitcnt lgkmcnt(0)
	v_cvt_f32_u32_e32 v1, s12
	s_sub_i32 s16, 0, s12
	s_waitcnt_depctr 0xfff
	v_rcp_iflag_f32_e32 v1, v1
	s_waitcnt_depctr 0xfff
	v_mul_f32_e32 v1, 0x4f7ffffe, v1
	s_delay_alu instid0(VALU_DEP_1) | instskip(NEXT) | instid1(VALU_DEP_1)
	v_cvt_u32_f32_e32 v1, v1
	v_readfirstlane_b32 s15, v1
	s_delay_alu instid0(VALU_DEP_1) | instskip(NEXT) | instid1(SALU_CYCLE_1)
	s_mul_i32 s16, s16, s15
	s_mul_hi_u32 s16, s15, s16
	s_delay_alu instid0(SALU_CYCLE_1) | instskip(NEXT) | instid1(SALU_CYCLE_1)
	s_add_i32 s15, s15, s16
	s_mul_hi_u32 s15, s43, s15
	s_delay_alu instid0(SALU_CYCLE_1) | instskip(SKIP_2) | instid1(SALU_CYCLE_1)
	s_mul_i32 s16, s15, s12
	s_add_i32 s18, s15, 1
	s_sub_i32 s16, s43, s16
	s_sub_i32 s19, s16, s12
	s_cmp_ge_u32 s16, s12
	s_cselect_b32 s15, s18, s15
	s_cselect_b32 s16, s19, s16
	s_add_i32 s18, s15, 1
	s_cmp_ge_u32 s16, s12
	s_cselect_b32 s43, s18, s15
	s_add_i32 s5, s5, -1
	s_mul_i32 s12, s43, s12
	s_delay_alu instid0(SALU_CYCLE_1) | instskip(NEXT) | instid1(SALU_CYCLE_1)
	s_sub_i32 s12, s17, s12
	s_mul_i32 s12, s14, s12
	s_delay_alu instid0(SALU_CYCLE_1)
	s_add_i32 s31, s12, s31
	s_add_u32 s10, s10, -4
	s_addc_u32 s11, s11, -1
	s_cmp_gt_u32 s5, 2
	s_cbranch_scc1 .LBB117_6
.LBB117_7:
	s_set_inst_prefetch_distance 0x2
	s_clause 0x1
	s_load_b32 s12, s[0:1], 0x6c
	s_load_b32 s5, s[0:1], 0x2a0
	s_add_u32 s10, s0, 0x1d0
	s_addc_u32 s11, s1, 0
	s_mov_b32 s35, 0
	s_waitcnt lgkmcnt(0)
	s_cmp_lt_i32 s5, 2
	s_cbranch_scc1 .LBB117_10
; %bb.8:
	s_add_i32 s34, s5, -1
	s_add_i32 s5, s5, 1
	s_lshl_b64 s[14:15], s[34:35], 2
	s_delay_alu instid0(SALU_CYCLE_1)
	s_add_u32 s10, s14, s10
	s_addc_u32 s11, s15, s11
	s_add_u32 s10, s10, 8
	s_addc_u32 s11, s11, 0
	s_set_inst_prefetch_distance 0x1
	.p2align	6
.LBB117_9:                              ; =>This Inner Loop Header: Depth=1
	s_clause 0x1
	s_load_b32 s14, s[10:11], 0x0
	s_load_b32 s15, s[10:11], 0x64
	s_mov_b32 s18, s42
	s_waitcnt lgkmcnt(0)
	v_cvt_f32_u32_e32 v1, s14
	s_sub_i32 s17, 0, s14
	s_waitcnt_depctr 0xfff
	v_rcp_iflag_f32_e32 v1, v1
	s_waitcnt_depctr 0xfff
	v_mul_f32_e32 v1, 0x4f7ffffe, v1
	s_delay_alu instid0(VALU_DEP_1) | instskip(NEXT) | instid1(VALU_DEP_1)
	v_cvt_u32_f32_e32 v1, v1
	v_readfirstlane_b32 s16, v1
	s_delay_alu instid0(VALU_DEP_1) | instskip(NEXT) | instid1(SALU_CYCLE_1)
	s_mul_i32 s17, s17, s16
	s_mul_hi_u32 s17, s16, s17
	s_delay_alu instid0(SALU_CYCLE_1) | instskip(NEXT) | instid1(SALU_CYCLE_1)
	s_add_i32 s16, s16, s17
	s_mul_hi_u32 s16, s42, s16
	s_delay_alu instid0(SALU_CYCLE_1) | instskip(SKIP_2) | instid1(SALU_CYCLE_1)
	s_mul_i32 s17, s16, s14
	s_add_i32 s19, s16, 1
	s_sub_i32 s17, s42, s17
	s_sub_i32 s20, s17, s14
	s_cmp_ge_u32 s17, s14
	s_cselect_b32 s16, s19, s16
	s_cselect_b32 s17, s20, s17
	s_add_i32 s19, s16, 1
	s_cmp_ge_u32 s17, s14
	s_cselect_b32 s42, s19, s16
	s_add_i32 s5, s5, -1
	s_mul_i32 s14, s42, s14
	s_delay_alu instid0(SALU_CYCLE_1) | instskip(NEXT) | instid1(SALU_CYCLE_1)
	s_sub_i32 s14, s18, s14
	s_mul_i32 s14, s15, s14
	s_delay_alu instid0(SALU_CYCLE_1)
	s_add_i32 s35, s14, s35
	s_add_u32 s10, s10, -4
	s_addc_u32 s11, s11, -1
	s_cmp_gt_u32 s5, 2
	s_cbranch_scc1 .LBB117_9
.LBB117_10:
	s_set_inst_prefetch_distance 0x2
	s_clause 0x3
	s_load_b32 s44, s[8:9], 0x6c
	s_load_b64 s[8:9], s[0:1], 0x0
	s_load_b64 s[38:39], s[0:1], 0xf0
	;; [unrolled: 1-line block ×3, first 2 shown]
	v_cmp_eq_u32_e64 s5, 0, v0
	s_mov_b32 s41, 0
	s_delay_alu instid0(VALU_DEP_1)
	s_and_saveexec_b32 s10, s5
	s_cbranch_execz .LBB117_12
; %bb.11:
	v_dual_mov_b32 v1, 0 :: v_dual_mov_b32 v2, s24
	s_delay_alu instid0(VALU_DEP_1)
	v_mov_b32_e32 v3, v1
	ds_store_b96 v1, v[1:3] offset:4096
.LBB117_12:
	s_or_b32 exec_lo, exec_lo, s10
	s_waitcnt lgkmcnt(0)
	s_barrier
	buffer_gl0_inv
	s_load_b32 s14, s[6:7], 0xc
	s_mul_i32 s2, s12, s2
	v_mbcnt_lo_u32_b32 v15, -1, 0
	s_add_i32 s40, s2, s3
	v_cmp_gt_u32_e32 vcc_lo, 32, v0
	s_lshl_b64 s[10:11], s[40:41], 1
	v_mul_lo_u32 v7, v0, s28
	s_add_u32 s29, s8, s10
	s_addc_u32 s30, s9, s11
	s_bitcmp1_b32 s26, 0
	v_cmp_gt_i32_e64 s2, 4, v15
	s_cselect_b32 s3, -1, 0
	s_load_b32 s40, s[0:1], 0x23c
	s_xor_b32 s46, s3, -1
	v_lshlrev_b32_e32 v22, 2, v7
	s_and_b32 s45, vcc_lo, s2
	v_lshlrev_b32_e32 v24, 3, v0
	v_lshl_or_b32 v25, v15, 2, 0xc00
	v_mov_b32_e32 v26, 0x8000
	v_mov_b32_e32 v28, 0
	s_waitcnt lgkmcnt(0)
	s_and_b32 s33, s14, 0xffff
	s_bfe_u32 s2, s14, 0xb0005
	s_lshl_b32 s47, s33, 2
	s_cmpk_gt_u32 s24, 0x600
	v_cvt_f32_u32_e32 v1, s47
	s_cselect_b32 s48, -1, 0
	s_cmp_gt_u32 s33, 31
	v_cvt_f32_u32_e32 v2, s33
	s_cselect_b32 s49, -1, 0
	v_rcp_iflag_f32_e32 v1, v1
	s_add_i32 s50, s33, -1
	v_lshlrev_b32_e32 v16, 2, v0
	s_add_i32 s9, s50, s24
	s_cmp_lt_u32 s13, s4
	v_rcp_iflag_f32_e32 v2, v2
	s_cselect_b32 s4, 12, 18
	v_mov_b32_e32 v9, 0
	s_add_u32 s26, s6, s4
	s_addc_u32 s27, s7, 0
	s_waitcnt_depctr 0xfff
	v_mul_f32_e32 v1, 0x4f7ffffe, v1
	s_add_i32 s4, s2, -1
	s_bfe_u32 s51, s33, 0x30005
	s_cmp_gt_u32 s4, 6
	v_mad_u64_u32 v[12:13], null, s28, v16, s[28:29]
	v_mul_f32_e32 v2, 0x4f7ffffe, v2
	v_cvt_u32_f32_e32 v1, v1
	s_cselect_b32 s52, -1, 0
	s_and_b32 s53, s2, 0x7f8
	s_cmp_lg_u32 s51, 0
	v_cvt_u32_f32_e32 v2, v2
	v_readfirstlane_b32 s2, v1
	s_cselect_b32 s54, -1, 0
	s_sub_i32 s6, 0, s47
	v_lshrrev_b32_e32 v1, 3, v0
	v_dual_mov_b32 v8, v9 :: v_dual_lshlrev_b32 v17, 1, v0
	s_mul_i32 s6, s6, s2
	v_cmp_gt_u32_e64 s4, s24, v0
	s_mul_hi_u32 s7, s2, s6
	v_dual_mov_b32 v29, 0 :: v_dual_and_b32 v18, 0x7c, v1
	s_add_i32 s55, s2, s7
	v_cmp_gt_u32_e64 s6, 2, v0
	s_mul_hi_u32 s2, s24, s55
	v_dual_mov_b32 v30, s25 :: v_dual_add_nc_u32 v19, 0xc00, v17
	s_mul_i32 s7, s2, s47
	v_cmp_eq_u32_e64 s2, 0, v15
	s_sub_i32 s7, s24, s7
	s_mul_i32 s34, s28, s33
	s_sub_i32 s8, s7, s47
	s_cmp_ge_u32 s7, s47
	s_mov_b32 s68, 14
	s_cselect_b32 s7, s8, s7
	v_readfirstlane_b32 s8, v2
	s_sub_i32 s10, s7, s47
	s_cmp_ge_u32 s7, s47
	v_lshlrev_b64 v[1:2], v15, -1
	s_cselect_b32 s10, s10, s7
	v_lshlrev_b64 v[2:3], 1, v[7:8]
	s_sub_i32 s56, s24, s10
	s_delay_alu instid0(SALU_CYCLE_1)
	v_dual_mov_b32 v27, 0 :: v_dual_add_nc_u32 v20, s56, v0
	s_sub_i32 s7, 0, s33
	v_not_b32_e32 v14, v1
	s_mul_i32 s7, s7, s8
	v_add_co_u32 v5, vcc_lo, s29, v2
	v_mul_lo_u32 v8, v20, s28
	s_mul_hi_u32 s7, s8, s7
	v_add_co_ci_u32_e32 v6, vcc_lo, s30, v3, vcc_lo
	s_add_i32 s57, s8, s7
	v_or_b32_e32 v3, 3, v16
	s_mul_hi_u32 s7, s9, s57
	s_movk_i32 s63, 0x3f80
	s_delay_alu instid0(VALU_DEP_3)
	v_lshlrev_b64 v[1:2], 1, v[8:9]
	s_mul_i32 s7, s7, s33
	v_mul_lo_u32 v21, s28, v3
	s_sub_i32 s7, s9, s7
	s_mov_b32 s64, 0
	s_sub_i32 s8, s7, s33
	v_add_co_u32 v10, vcc_lo, s29, v1
	v_add3_u32 v1, s33, s24, v0
	s_cmp_ge_u32 s7, s33
	v_add_co_ci_u32_e32 v11, vcc_lo, s30, v2, vcc_lo
	s_cselect_b32 s8, s8, s7
	v_or_b32_e32 v2, 2, v16
	v_subrev_nc_u32_e32 v1, s10, v1
	s_sub_i32 s11, s8, s33
	s_cmp_ge_u32 s8, s33
	v_cmp_gt_u32_e64 s7, s56, v16
	s_cselect_b32 s11, s11, s8
	v_mul_lo_u32 v13, s28, v2
	v_mul_lo_u32 v23, s28, v1
	s_sub_i32 s58, s9, s11
	v_cmp_gt_u32_e64 s8, s24, v20
	v_cmp_gt_u32_e64 s9, s58, v0
	s_lshl_b32 s59, s34, 2
	s_lshl_b32 s60, s33, 3
	;; [unrolled: 1-line block ×3, first 2 shown]
                                        ; implicit-def: $sgpr62
                                        ; implicit-def: $sgpr67
                                        ; implicit-def: $sgpr66
                                        ; implicit-def: $sgpr69
                                        ; implicit-def: $sgpr65
                                        ; implicit-def: $sgpr70
                                        ; implicit-def: $sgpr72
                                        ; implicit-def: $sgpr71
                                        ; implicit-def: $sgpr73
                                        ; implicit-def: $sgpr74
	s_branch .LBB117_15
.LBB117_13:                             ;   in Loop: Header=BB117_15 Depth=1
	s_or_b32 exec_lo, exec_lo, s13
	v_dual_mov_b32 v27, v2 :: v_dual_mov_b32 v28, v1
	v_dual_mov_b32 v30, v4 :: v_dual_mov_b32 v29, v3
	s_and_not1_b32 s13, s74, exec_lo
	s_and_b32 s12, s12, exec_lo
	s_and_not1_b32 s73, s73, exec_lo
	s_or_b32 s74, s13, s12
	s_and_not1_b32 s71, s71, exec_lo
	s_and_not1_b32 s72, s72, exec_lo
	;; [unrolled: 1-line block ×3, first 2 shown]
	s_or_not1_b32 s12, s11, exec_lo
.LBB117_14:                             ;   in Loop: Header=BB117_15 Depth=1
	s_or_b32 exec_lo, exec_lo, s10
	s_delay_alu instid0(SALU_CYCLE_1) | instskip(NEXT) | instid1(SALU_CYCLE_1)
	s_and_b32 s10, exec_lo, s12
	s_or_b32 s41, s10, s41
	s_and_not1_b32 s10, s65, exec_lo
	s_and_b32 s11, s74, exec_lo
	s_and_not1_b32 s12, s69, exec_lo
	s_or_b32 s65, s10, s11
	s_and_b32 s10, s73, exec_lo
	s_and_not1_b32 s11, s66, exec_lo
	s_and_b32 s13, s71, exec_lo
	s_or_b32 s69, s12, s10
	s_or_b32 s66, s11, s13
	s_and_not1_b32 s10, s67, exec_lo
	s_and_b32 s11, s72, exec_lo
	s_and_not1_b32 s12, s62, exec_lo
	s_and_b32 s13, s70, exec_lo
	s_or_b32 s67, s10, s11
	s_or_b32 s62, s12, s13
	s_and_not1_b32 exec_lo, exec_lo, s41
	s_cbranch_execz .LBB117_412
.LBB117_15:                             ; =>This Loop Header: Depth=1
                                        ;     Child Loop BB117_20 Depth 2
                                        ;     Child Loop BB117_35 Depth 2
	;; [unrolled: 1-line block ×24, first 2 shown]
	ds_load_b64 v[1:2], v9 offset:4096
	s_waitcnt lgkmcnt(0)
	v_readfirstlane_b32 s75, v1
	s_delay_alu instid0(VALU_DEP_1)
	s_cmp_lg_u32 s75, 0
	s_cbranch_scc1 .LBB117_42
; %bb.16:                               ;   in Loop: Header=BB117_15 Depth=1
	s_and_b32 vcc_lo, exec_lo, s48
	s_cbranch_vccz .LBB117_28
; %bb.17:                               ;   in Loop: Header=BB117_15 Depth=1
	v_cmp_gt_u32_e32 vcc_lo, 0x601, v2
	s_mov_b32 s75, 0
	s_mov_b32 s10, 0
	s_cbranch_vccz .LBB117_29
; %bb.18:                               ;   in Loop: Header=BB117_15 Depth=1
	global_load_u16 v1, v9, s[26:27]
	global_load_u16 v4, v[5:6], off
	v_mov_b32_e32 v3, v0
	s_mov_b32 s12, 0
	s_waitcnt vmcnt(1)
	v_add_nc_u32_e32 v2, v0, v1
	s_delay_alu instid0(VALU_DEP_1)
	v_mul_lo_u32 v8, s28, v2
	v_mul_lo_u32 v2, s28, v1
	s_branch .LBB117_20
.LBB117_19:                             ;   in Loop: Header=BB117_20 Depth=2
	s_or_b32 exec_lo, exec_lo, s11
	v_add_nc_u32_e32 v8, v8, v2
	v_mov_b32_e32 v4, v31
	s_and_not1_b32 exec_lo, exec_lo, s12
	s_cbranch_execz .LBB117_93
.LBB117_20:                             ;   Parent Loop BB117_15 Depth=1
                                        ; =>  This Inner Loop Header: Depth=2
	s_waitcnt lgkmcnt(0)
	v_dual_mov_b32 v32, 0 :: v_dual_add_nc_u32 v3, v3, v1
	v_mov_b32_e32 v31, 0
	s_mov_b32 s11, exec_lo
	s_delay_alu instid0(VALU_DEP_2)
	v_cmp_le_u32_e32 vcc_lo, s24, v3
	v_cmpx_gt_u32_e64 s24, v3
	s_cbranch_execz .LBB117_22
; %bb.21:                               ;   in Loop: Header=BB117_20 Depth=2
	v_lshlrev_b64 v[33:34], 1, v[8:9]
	s_delay_alu instid0(VALU_DEP_1) | instskip(NEXT) | instid1(VALU_DEP_1)
	v_add_co_u32 v33, s10, s29, v33
	v_add_co_ci_u32_e64 v34, s10, s30, v34, s10
	global_load_u16 v31, v[33:34], off
.LBB117_22:                             ;   in Loop: Header=BB117_20 Depth=2
	s_or_b32 exec_lo, exec_lo, s11
	s_waitcnt vmcnt(0)
	v_cmp_lt_i16_e64 s10, -1, v4
	v_and_b32_e32 v33, 0xffff, v4
	v_lshlrev_b32_e32 v35, 16, v4
	s_delay_alu instid0(VALU_DEP_3) | instskip(NEXT) | instid1(VALU_DEP_2)
	v_cndmask_b32_e64 v34, 0xffff, v26, s10
	v_cmp_o_f32_e64 s10, v35, v35
	s_delay_alu instid0(VALU_DEP_2) | instskip(NEXT) | instid1(VALU_DEP_1)
	v_xor_b32_e32 v33, v34, v33
	v_cndmask_b32_e64 v33, 0xffff, v33, s10
	s_delay_alu instid0(VALU_DEP_1) | instskip(NEXT) | instid1(VALU_DEP_1)
	v_and_b32_e32 v33, v33, v27
	v_cmp_eq_u32_e64 s10, v33, v28
	s_delay_alu instid0(VALU_DEP_1) | instskip(SKIP_1) | instid1(SALU_CYCLE_1)
	s_cmp_lg_u32 s10, 0
	s_cselect_b32 s11, -1, 0
	s_and_b32 s11, s2, s11
	s_delay_alu instid0(SALU_CYCLE_1)
	s_and_saveexec_b32 s13, s11
	s_cbranch_execz .LBB117_26
; %bb.23:                               ;   in Loop: Header=BB117_20 Depth=2
	s_mov_b32 s16, exec_lo
	s_bcnt1_i32_b32 s14, s10
	v_mbcnt_lo_u32_b32 v32, s16, 0
	s_mov_b32 s15, exec_lo
                                        ; implicit-def: $vgpr33
	s_delay_alu instid0(VALU_DEP_1)
	v_cmpx_eq_u32_e32 0, v32
	s_cbranch_execz .LBB117_25
; %bb.24:                               ;   in Loop: Header=BB117_20 Depth=2
	s_bcnt1_i32_b32 s11, s16
	s_delay_alu instid0(SALU_CYCLE_1) | instskip(NEXT) | instid1(SALU_CYCLE_1)
	s_mul_i32 s11, s14, s11
	v_mov_b32_e32 v33, s11
	ds_add_rtn_u32 v33, v9, v33 offset:4104
.LBB117_25:                             ;   in Loop: Header=BB117_20 Depth=2
	s_or_b32 exec_lo, exec_lo, s15
	s_waitcnt lgkmcnt(0)
	v_readfirstlane_b32 s11, v33
	s_delay_alu instid0(VALU_DEP_1)
	v_mad_u32_u24 v32, s14, v32, s11
.LBB117_26:                             ;   in Loop: Header=BB117_20 Depth=2
	s_or_b32 exec_lo, exec_lo, s13
	ds_bpermute_b32 v32, v9, v32
	s_and_b32 s11, exec_lo, vcc_lo
	s_delay_alu instid0(SALU_CYCLE_1)
	s_or_b32 s12, s11, s12
	s_and_saveexec_b32 s11, s10
	s_cbranch_execz .LBB117_19
; %bb.27:                               ;   in Loop: Header=BB117_20 Depth=2
	v_and_b32_e32 v33, s10, v14
	s_delay_alu instid0(VALU_DEP_1) | instskip(NEXT) | instid1(VALU_DEP_1)
	v_bcnt_u32_b32 v33, v33, 0
	v_lshlrev_b32_e32 v33, 1, v33
	s_waitcnt lgkmcnt(0)
	s_delay_alu instid0(VALU_DEP_1)
	v_lshl_add_u32 v32, v32, 1, v33
	ds_store_b16 v32, v4
	s_branch .LBB117_19
.LBB117_28:                             ;   in Loop: Header=BB117_15 Depth=1
	s_mov_b32 s75, -1
	s_mov_b32 s10, 0
.LBB117_29:                             ;   in Loop: Header=BB117_15 Depth=1
	s_and_b32 vcc_lo, exec_lo, s75
	s_cbranch_vccz .LBB117_40
.LBB117_30:                             ;   in Loop: Header=BB117_15 Depth=1
	v_mov_b32_e32 v1, 0
	s_and_saveexec_b32 s10, s4
	s_cbranch_execz .LBB117_32
; %bb.31:                               ;   in Loop: Header=BB117_15 Depth=1
	global_load_u16 v1, v[5:6], off
.LBB117_32:                             ;   in Loop: Header=BB117_15 Depth=1
	s_or_b32 exec_lo, exec_lo, s10
	s_and_saveexec_b32 s11, s4
	s_cbranch_execz .LBB117_37
; %bb.33:                               ;   in Loop: Header=BB117_15 Depth=1
	global_load_u16 v2, v9, s[26:27]
	v_mov_b32_e32 v32, v0
	s_mov_b32 s12, 0
	v_mov_b32_e32 v31, v17
	s_waitcnt vmcnt(0)
	v_add_nc_u32_e32 v3, v0, v2
	v_lshlrev_b32_e32 v4, 1, v2
	s_delay_alu instid0(VALU_DEP_2)
	v_mul_lo_u32 v8, s28, v3
	v_mul_lo_u32 v3, s28, v2
	s_set_inst_prefetch_distance 0x1
	s_branch .LBB117_35
	.p2align	6
.LBB117_34:                             ;   in Loop: Header=BB117_35 Depth=2
	s_or_b32 exec_lo, exec_lo, s13
	ds_store_b16 v31, v1
	v_add_nc_u32_e32 v31, v31, v4
	s_waitcnt vmcnt(0)
	v_dual_mov_b32 v1, v33 :: v_dual_add_nc_u32 v8, v8, v3
	s_and_b32 s10, exec_lo, vcc_lo
	s_delay_alu instid0(SALU_CYCLE_1) | instskip(NEXT) | instid1(SALU_CYCLE_1)
	s_or_b32 s12, s10, s12
	s_and_not1_b32 exec_lo, exec_lo, s12
	s_cbranch_execz .LBB117_37
.LBB117_35:                             ;   Parent Loop BB117_15 Depth=1
                                        ; =>  This Inner Loop Header: Depth=2
	v_dual_mov_b32 v33, 0 :: v_dual_add_nc_u32 v32, v32, v2
	s_mov_b32 s13, exec_lo
	s_delay_alu instid0(VALU_DEP_1)
	v_cmp_le_u32_e32 vcc_lo, s24, v32
	v_cmpx_gt_u32_e64 s24, v32
	s_cbranch_execz .LBB117_34
; %bb.36:                               ;   in Loop: Header=BB117_35 Depth=2
	v_lshlrev_b64 v[33:34], 1, v[8:9]
	s_delay_alu instid0(VALU_DEP_1) | instskip(NEXT) | instid1(VALU_DEP_1)
	v_add_co_u32 v33, s10, s29, v33
	v_add_co_ci_u32_e64 v34, s10, s30, v34, s10
	global_load_u16 v33, v[33:34], off
	s_branch .LBB117_34
.LBB117_37:                             ;   in Loop: Header=BB117_15 Depth=1
	s_set_inst_prefetch_distance 0x2
	s_or_b32 exec_lo, exec_lo, s11
	s_waitcnt vmcnt(0) lgkmcnt(0)
	s_barrier
	buffer_gl0_inv
	s_and_saveexec_b32 s10, s5
	s_cbranch_execz .LBB117_39
; %bb.38:                               ;   in Loop: Header=BB117_15 Depth=1
	v_mov_b32_e32 v1, s24
	ds_store_b32 v9, v1 offset:4096
.LBB117_39:                             ;   in Loop: Header=BB117_15 Depth=1
	s_or_b32 exec_lo, exec_lo, s10
	s_mov_b32 s10, -1
	s_waitcnt lgkmcnt(0)
	s_barrier
                                        ; implicit-def: $sgpr75
.LBB117_40:                             ;   in Loop: Header=BB117_15 Depth=1
	s_and_b32 vcc_lo, exec_lo, s10
	s_cbranch_vccz .LBB117_42
; %bb.41:                               ;   in Loop: Header=BB117_15 Depth=1
	buffer_gl0_inv
	ds_load_b32 v1, v9 offset:4096
	s_waitcnt lgkmcnt(0)
	v_readfirstlane_b32 s75, v1
.LBB117_42:                             ;   in Loop: Header=BB117_15 Depth=1
	s_delay_alu instid0(VALU_DEP_1)
	s_cmp_lt_i32 s75, 1
	s_cbranch_scc0 .LBB117_46
; %bb.43:                               ;   in Loop: Header=BB117_15 Depth=1
	v_dual_mov_b32 v1, 0 :: v_dual_mov_b32 v2, 0
	v_dual_mov_b32 v3, 0 :: v_dual_mov_b32 v4, 0
	s_mov_b32 s22, 0
	s_and_saveexec_b32 s21, s7
	s_cbranch_execnz .LBB117_47
; %bb.44:                               ;   in Loop: Header=BB117_15 Depth=1
	s_or_b32 exec_lo, exec_lo, s21
	v_mov_b32_e32 v32, 0
	s_and_saveexec_b32 s10, s8
	s_cbranch_execnz .LBB117_50
.LBB117_45:                             ;   in Loop: Header=BB117_15 Depth=1
	s_or_b32 exec_lo, exec_lo, s10
	s_and_saveexec_b32 s14, s8
	s_cbranch_execnz .LBB117_51
	s_branch .LBB117_56
.LBB117_46:                             ;   in Loop: Header=BB117_15 Depth=1
                                        ; implicit-def: $vgpr4
	s_cbranch_execnz .LBB117_57
	s_branch .LBB117_66
.LBB117_47:                             ;   in Loop: Header=BB117_15 Depth=1
	v_mov_b32_e32 v31, v16
	s_and_b32 s23, s68, 0xfe
	s_mov_b32 s76, 0
	s_mov_b32 s77, 0
	s_mov_b32 s78, 0
	s_mov_b32 s79, 0
	s_mov_b32 s80, 0
.LBB117_48:                             ;   Parent Loop BB117_15 Depth=1
                                        ; =>  This Inner Loop Header: Depth=2
	v_add_nc_u32_e32 v8, s76, v22
	s_delay_alu instid0(VALU_DEP_1) | instskip(SKIP_1) | instid1(VALU_DEP_1)
	v_lshlrev_b64 v[1:2], 1, v[8:9]
	v_add_nc_u32_e32 v8, s76, v12
	v_lshlrev_b64 v[3:4], 1, v[8:9]
	s_delay_alu instid0(VALU_DEP_3) | instskip(SKIP_2) | instid1(VALU_DEP_4)
	v_add_co_u32 v1, vcc_lo, s29, v1
	v_add_nc_u32_e32 v8, s76, v13
	v_add_co_ci_u32_e32 v2, vcc_lo, s30, v2, vcc_lo
	v_add_co_u32 v3, vcc_lo, s29, v3
	s_delay_alu instid0(VALU_DEP_3)
	v_lshlrev_b64 v[32:33], 1, v[8:9]
	v_add_nc_u32_e32 v8, s76, v21
	v_add_co_ci_u32_e32 v4, vcc_lo, s30, v4, vcc_lo
	global_load_u16 v34, v[1:2], off
	s_add_i32 s76, s76, s59
	v_lshlrev_b64 v[1:2], 1, v[8:9]
	global_load_u16 v8, v[3:4], off
	v_add_co_u32 v3, vcc_lo, s29, v32
	v_add_co_ci_u32_e32 v4, vcc_lo, s30, v33, vcc_lo
	v_add_co_u32 v1, vcc_lo, s29, v1
	v_add_co_ci_u32_e32 v2, vcc_lo, s30, v2, vcc_lo
	s_clause 0x1
	global_load_u16 v3, v[3:4], off
	global_load_u16 v1, v[1:2], off
	s_waitcnt vmcnt(3)
	v_cmp_lt_i16_e64 s10, -1, v34
	v_and_b32_e32 v2, 0xffff, v34
	v_lshlrev_b32_e32 v32, 16, v34
	s_waitcnt vmcnt(2)
	v_and_b32_e32 v33, 0xffff, v8
	v_cndmask_b32_e64 v4, 0xffff, v26, s10
	v_cmp_lt_i16_e64 s10, -1, v8
	s_delay_alu instid0(VALU_DEP_2) | instskip(NEXT) | instid1(VALU_DEP_2)
	v_xor_b32_e32 v2, v4, v2
	v_cndmask_b32_e64 v34, 0xffff, v26, s10
	v_cmp_o_f32_e64 s10, v32, v32
	v_lshlrev_b32_e32 v4, 16, v8
	s_waitcnt vmcnt(1)
	v_cmp_lt_i16_e64 s11, -1, v3
	v_and_b32_e32 v32, 0xffff, v3
	v_xor_b32_e32 v8, v34, v33
	v_cndmask_b32_e64 v2, 0xffff, v2, s10
	v_cmp_o_f32_e64 s10, v4, v4
	v_cndmask_b32_e64 v33, 0xffff, v26, s11
	v_lshlrev_b32_e32 v3, 16, v3
	s_delay_alu instid0(VALU_DEP_4) | instskip(NEXT) | instid1(VALU_DEP_4)
	v_and_b32_e32 v34, v2, v27
	v_cndmask_b32_e64 v4, 0xffff, v8, s10
	s_waitcnt vmcnt(0)
	v_cmp_lt_i16_e64 s10, -1, v1
	v_xor_b32_e32 v8, v33, v32
	v_bfe_u32 v2, v2, s23, 2
	v_and_b32_e32 v32, 0xffff, v1
	v_lshlrev_b32_e32 v1, 16, v1
	v_cndmask_b32_e64 v33, 0xffff, v26, s10
	v_cmp_o_f32_e64 s10, v3, v3
	v_cmp_eq_u32_e64 s11, 0, v2
	v_cmp_eq_u32_e64 s12, 1, v2
	v_cmp_o_f32_e64 s15, v1, v1
	v_cmp_eq_u32_e64 s13, 2, v2
	v_cndmask_b32_e64 v3, 0xffff, v8, s10
	v_cmp_eq_u32_e64 s10, v34, v28
	v_xor_b32_e32 v8, v33, v32
	v_and_b32_e32 v32, v4, v27
	v_bfe_u32 v4, v4, s23, 2
	v_cmp_eq_u32_e64 s14, 3, v2
	v_and_b32_e32 v2, v3, v27
	v_bfe_u32 v3, v3, s23, 2
	s_and_b32 s11, s10, s11
	v_cndmask_b32_e64 v1, 0xffff, v8, s15
	v_cmp_eq_u32_e64 s15, v32, v28
	v_cmp_eq_u32_e64 s16, 0, v4
	v_cndmask_b32_e64 v8, 0, 1, s11
	v_cmp_eq_u32_e64 s11, 1, v4
	s_and_b32 s12, s10, s12
	s_and_b32 s13, s10, s13
	;; [unrolled: 1-line block ×3, first 2 shown]
	v_cndmask_b32_e64 v32, 0, 1, s12
	v_cmp_eq_u32_e64 s12, 2, v4
	v_cndmask_b32_e64 v33, 0, 1, s13
	v_cmp_eq_u32_e64 s13, 3, v4
	;; [unrolled: 2-line block ×3, first 2 shown]
	v_cmp_eq_u32_e64 s14, 0, v3
	v_and_b32_e32 v2, v1, v27
	v_bfe_u32 v1, v1, s23, 2
	s_and_b32 s16, s15, s16
	s_and_b32 s11, s15, s11
	v_cmp_ne_u32_e64 s17, 0, v8
	v_cndmask_b32_e64 v8, 0, 1, s16
	v_cmp_eq_u32_e64 s16, 1, v3
	v_cmp_ne_u32_e64 s18, 0, v32
	v_cndmask_b32_e64 v32, 0, 1, s11
	v_cmp_eq_u32_e64 s11, 2, v3
	s_and_b32 s12, s15, s12
	s_and_b32 s13, s15, s13
	;; [unrolled: 1-line block ×3, first 2 shown]
	v_cmp_ne_u32_e64 s19, 0, v33
	v_cndmask_b32_e64 v33, 0, 1, s12
	v_cmp_eq_u32_e64 s12, 3, v3
	v_cndmask_b32_e64 v3, 0, 1, s13
	v_cmp_eq_u32_e64 s13, v2, v28
	v_cndmask_b32_e64 v2, 0, 1, s14
	v_cmp_eq_u32_e64 s14, 1, v1
	v_cmp_ne_u32_e64 s20, 0, v4
	v_cmp_eq_u32_e64 s15, 0, v1
	s_and_b32 s16, s10, s16
	s_and_b32 s11, s10, s11
	s_bcnt1_i32_b32 s81, s17
	v_cmp_ne_u32_e64 s17, 0, v8
	v_cndmask_b32_e64 v4, 0, 1, s16
	v_cmp_eq_u32_e64 s16, 2, v1
	v_cndmask_b32_e64 v8, 0, 1, s11
	v_cmp_eq_u32_e64 s11, 3, v1
	s_and_b32 s10, s10, s12
	s_and_b32 s14, s13, s14
	s_bcnt1_i32_b32 s84, s20
	v_cmp_ne_u32_e64 s20, 0, v3
	v_cndmask_b32_e64 v1, 0, 1, s10
	v_cndmask_b32_e64 v3, 0, 1, s14
	s_bcnt1_i32_b32 s82, s18
	v_cmp_ne_u32_e64 s18, 0, v32
	s_and_b32 s12, s13, s15
	v_cmp_ne_u32_e64 s10, 0, v2
	v_cndmask_b32_e64 v2, 0, 1, s12
	v_cmp_ne_u32_e64 s12, 0, v4
	s_and_b32 s15, s13, s16
	s_and_b32 s11, s13, s11
	v_cndmask_b32_e64 v4, 0, 1, s15
	v_cmp_ne_u32_e64 s15, 0, v1
	v_cndmask_b32_e64 v1, 0, 1, s11
	v_cmp_ne_u32_e64 s11, 0, v3
	s_bcnt1_i32_b32 s83, s19
	v_cmp_ne_u32_e64 s19, 0, v33
	s_add_i32 s79, s82, s79
	s_add_i32 s77, s84, s77
	s_bcnt1_i32_b32 s18, s18
	s_bcnt1_i32_b32 s16, s20
	v_cmp_ne_u32_e64 s14, 0, v8
	s_add_i32 s18, s79, s18
	s_add_i32 s16, s77, s16
	s_bcnt1_i32_b32 s77, s12
	s_bcnt1_i32_b32 s20, s10
	v_cmp_ne_u32_e64 s10, 0, v2
	v_cmp_ne_u32_e64 s12, 0, v4
	;; [unrolled: 1-line block ×3, first 2 shown]
	s_add_i32 s18, s18, s77
	s_bcnt1_i32_b32 s11, s11
	s_add_i32 s80, s81, s80
	s_add_i32 s78, s83, s78
	s_bcnt1_i32_b32 s17, s17
	s_bcnt1_i32_b32 s19, s19
	s_add_i32 s79, s18, s11
	s_delay_alu instid0(SALU_CYCLE_1)
	v_dual_mov_b32 v2, s79 :: v_dual_add_nc_u32 v31, s47, v31
	s_add_i32 s17, s80, s17
	s_add_i32 s19, s78, s19
	s_bcnt1_i32_b32 s14, s14
	s_bcnt1_i32_b32 s15, s15
	s_add_i32 s17, s17, s20
	s_add_i32 s14, s19, s14
	;; [unrolled: 1-line block ×3, first 2 shown]
	s_bcnt1_i32_b32 s10, s10
	s_bcnt1_i32_b32 s12, s12
	;; [unrolled: 1-line block ×3, first 2 shown]
	v_cmp_le_u32_e32 vcc_lo, s56, v31
	s_add_i32 s80, s17, s10
	s_add_i32 s78, s14, s12
	;; [unrolled: 1-line block ×3, first 2 shown]
	v_mov_b32_e32 v1, s80
	v_dual_mov_b32 v3, s78 :: v_dual_mov_b32 v4, s77
	s_or_b32 s22, vcc_lo, s22
	s_delay_alu instid0(SALU_CYCLE_1)
	s_and_not1_b32 exec_lo, exec_lo, s22
	s_cbranch_execnz .LBB117_48
; %bb.49:                               ;   in Loop: Header=BB117_15 Depth=1
	s_or_b32 exec_lo, exec_lo, s22
	s_delay_alu instid0(SALU_CYCLE_1)
	s_or_b32 exec_lo, exec_lo, s21
	v_mov_b32_e32 v32, 0
	s_and_saveexec_b32 s10, s8
	s_cbranch_execz .LBB117_45
.LBB117_50:                             ;   in Loop: Header=BB117_15 Depth=1
	global_load_u16 v32, v[10:11], off
	s_or_b32 exec_lo, exec_lo, s10
	s_and_saveexec_b32 s14, s8
	s_cbranch_execz .LBB117_56
.LBB117_51:                             ;   in Loop: Header=BB117_15 Depth=1
	v_dual_mov_b32 v8, v23 :: v_dual_mov_b32 v31, v20
	s_and_b32 s16, s68, 0xfe
	s_mov_b32 s15, 0
	s_branch .LBB117_53
.LBB117_52:                             ;   in Loop: Header=BB117_53 Depth=2
	s_or_b32 exec_lo, exec_lo, s11
	s_waitcnt vmcnt(0)
	v_cmp_lt_i16_e64 s10, -1, v32
	v_and_b32_e32 v34, 0xffff, v32
	v_lshlrev_b32_e32 v32, 16, v32
	s_and_b32 s11, exec_lo, vcc_lo
	v_add_nc_u32_e32 v8, s34, v8
	v_cndmask_b32_e64 v35, 0xffff, v26, s10
	s_or_b32 s15, s11, s15
	v_cmp_o_f32_e64 s10, v32, v32
	s_delay_alu instid0(VALU_DEP_2) | instskip(NEXT) | instid1(VALU_DEP_1)
	v_xor_b32_e32 v34, v35, v34
	v_cndmask_b32_e64 v32, 0xffff, v34, s10
	s_delay_alu instid0(VALU_DEP_1) | instskip(SKIP_1) | instid1(VALU_DEP_2)
	v_and_b32_e32 v34, v32, v27
	v_bfe_u32 v32, v32, s16, 2
	v_cmp_eq_u32_e32 vcc_lo, v34, v28
	s_delay_alu instid0(VALU_DEP_2) | instskip(SKIP_3) | instid1(VALU_DEP_4)
	v_cmp_eq_u32_e64 s10, 0, v32
	v_cmp_eq_u32_e64 s11, 1, v32
	;; [unrolled: 1-line block ×4, first 2 shown]
	s_and_b32 s10, vcc_lo, s10
	s_delay_alu instid0(SALU_CYCLE_1) | instskip(SKIP_1) | instid1(SALU_CYCLE_1)
	v_cndmask_b32_e64 v32, 0, 1, s10
	s_and_b32 s10, vcc_lo, s11
	v_cndmask_b32_e64 v34, 0, 1, s10
	s_and_b32 s10, vcc_lo, s12
	s_delay_alu instid0(SALU_CYCLE_1)
	v_cndmask_b32_e64 v35, 0, 1, s10
	s_and_b32 s10, vcc_lo, s13
	v_cmp_ne_u32_e32 vcc_lo, 0, v32
	v_cndmask_b32_e64 v36, 0, 1, s10
	v_cmp_ne_u32_e64 s10, 0, v34
	v_cmp_ne_u32_e64 s11, 0, v35
	v_mov_b32_e32 v32, v33
	s_bcnt1_i32_b32 s13, vcc_lo
	v_cmp_ne_u32_e64 s12, 0, v36
	s_bcnt1_i32_b32 s10, s10
	s_bcnt1_i32_b32 s11, s11
	v_add_nc_u32_e32 v1, s13, v1
	v_add_nc_u32_e32 v2, s10, v2
	s_bcnt1_i32_b32 s12, s12
	v_add_nc_u32_e32 v3, s11, v3
	v_add_nc_u32_e32 v4, s12, v4
	s_and_not1_b32 exec_lo, exec_lo, s15
	s_cbranch_execz .LBB117_55
.LBB117_53:                             ;   Parent Loop BB117_15 Depth=1
                                        ; =>  This Inner Loop Header: Depth=2
	s_delay_alu instid0(VALU_DEP_1) | instskip(SKIP_2) | instid1(VALU_DEP_2)
	v_add_nc_u32_e32 v31, s33, v31
	v_mov_b32_e32 v33, 0
	s_mov_b32 s11, exec_lo
	v_cmp_le_u32_e32 vcc_lo, s24, v31
	v_cmpx_gt_u32_e64 s24, v31
	s_cbranch_execz .LBB117_52
; %bb.54:                               ;   in Loop: Header=BB117_53 Depth=2
	v_lshlrev_b64 v[33:34], 1, v[8:9]
	s_delay_alu instid0(VALU_DEP_1) | instskip(NEXT) | instid1(VALU_DEP_1)
	v_add_co_u32 v33, s10, s29, v33
	v_add_co_ci_u32_e64 v34, s10, s30, v34, s10
	global_load_u16 v33, v[33:34], off
	s_branch .LBB117_52
.LBB117_55:                             ;   in Loop: Header=BB117_15 Depth=1
	s_or_b32 exec_lo, exec_lo, s15
.LBB117_56:                             ;   in Loop: Header=BB117_15 Depth=1
	s_delay_alu instid0(SALU_CYCLE_1)
	s_or_b32 exec_lo, exec_lo, s14
	s_branch .LBB117_66
.LBB117_57:                             ;   in Loop: Header=BB117_15 Depth=1
	s_mul_hi_u32 s10, s75, s55
	v_dual_mov_b32 v1, 0 :: v_dual_mov_b32 v2, 0
	s_mul_i32 s10, s10, s47
	v_dual_mov_b32 v3, 0 :: v_dual_mov_b32 v4, 0
	s_sub_i32 s10, s75, s10
	s_mov_b32 s78, 0
	s_sub_i32 s11, s10, s47
	s_cmp_ge_u32 s10, s47
	s_mov_b32 s77, exec_lo
	s_cselect_b32 s10, s11, s10
	s_delay_alu instid0(SALU_CYCLE_1) | instskip(SKIP_2) | instid1(SALU_CYCLE_1)
	s_sub_i32 s11, s10, s47
	s_cmp_ge_u32 s10, s47
	s_cselect_b32 s10, s11, s10
	s_sub_i32 s76, s75, s10
	s_delay_alu instid0(SALU_CYCLE_1)
	v_cmpx_gt_u32_e64 s76, v16
	s_cbranch_execz .LBB117_61
; %bb.58:                               ;   in Loop: Header=BB117_15 Depth=1
	v_mov_b32_e32 v8, v24
	v_mov_b32_e32 v31, v16
	s_and_b32 s79, s68, 0xfe
	s_mov_b32 s80, 0
	s_mov_b32 s81, 0
	;; [unrolled: 1-line block ×4, first 2 shown]
.LBB117_59:                             ;   Parent Loop BB117_15 Depth=1
                                        ; =>  This Inner Loop Header: Depth=2
	ds_load_b64 v[1:2], v8
	s_waitcnt lgkmcnt(0)
	v_cmp_lt_i16_e64 s10, -1, v1
	v_lshrrev_b32_e32 v4, 16, v2
	v_lshrrev_b32_e32 v3, 16, v1
	s_waitcnt vmcnt(0)
	v_and_b32_e32 v32, 0xffff, v1
	v_lshlrev_b32_e32 v34, 16, v1
	v_cndmask_b32_e64 v33, 0xffff, v26, s10
	v_cmp_lt_i16_e64 s10, -1, v2
	v_and_b32_e32 v35, 0xffff, v2
	v_cmp_lt_i16_e64 s11, -1, v4
	v_lshlrev_b32_e32 v37, 16, v2
	v_xor_b32_e32 v32, v33, v32
	v_cndmask_b32_e64 v36, 0xffff, v26, s10
	v_cmp_lt_i16_e64 s10, -1, v3
	v_and_b32_e32 v1, 0xffff0000, v1
	v_and_b32_e32 v2, 0xffff0000, v2
	s_delay_alu instid0(VALU_DEP_4) | instskip(SKIP_4) | instid1(VALU_DEP_4)
	v_xor_b32_e32 v35, v36, v35
	v_cndmask_b32_e64 v36, 0xffff, v26, s11
	v_cmp_o_f32_e64 s11, v34, v34
	v_cndmask_b32_e64 v33, 0xffff, v26, s10
	v_cmp_o_f32_e64 s10, v37, v37
	v_xor_b32_e32 v4, v36, v4
	s_delay_alu instid0(VALU_DEP_4) | instskip(NEXT) | instid1(VALU_DEP_4)
	v_cndmask_b32_e64 v32, 0xffff, v32, s11
	v_xor_b32_e32 v3, v33, v3
	s_delay_alu instid0(VALU_DEP_4) | instskip(SKIP_4) | instid1(VALU_DEP_3)
	v_cndmask_b32_e64 v33, 0xffff, v35, s10
	v_cmp_o_f32_e64 s10, v2, v2
	v_cmp_o_f32_e64 s11, v1, v1
	v_and_b32_e32 v2, v32, v27
	v_bfe_u32 v32, v32, s79, 2
	v_cndmask_b32_e64 v1, 0xffff, v3, s11
	v_cndmask_b32_e64 v3, 0xffff, v4, s10
	v_and_b32_e32 v4, v33, v27
	v_bfe_u32 v33, v33, s79, 2
	v_cmp_eq_u32_e64 s10, v2, v28
	v_cmp_eq_u32_e64 s12, 0, v32
	v_and_b32_e32 v2, v1, v27
	v_cmp_eq_u32_e64 s11, v4, v28
	v_cmp_eq_u32_e64 s13, 0, v33
	v_and_b32_e32 v4, v3, v27
	v_bfe_u32 v1, v1, s79, 2
	v_bfe_u32 v3, v3, s79, 2
	v_cmp_eq_u32_e64 s14, 1, v32
	v_cmp_eq_u32_e64 s16, 2, v32
	s_and_b32 s12, s10, s12
	v_cmp_eq_u32_e64 s15, 1, v33
	v_cmp_eq_u32_e64 s17, 2, v33
	v_cmp_eq_u32_e64 s18, 3, v32
	v_cmp_eq_u32_e64 s20, v2, v28
	v_cndmask_b32_e64 v2, 0, 1, s12
	s_and_b32 s12, s11, s13
	v_cmp_eq_u32_e64 s19, 3, v33
	v_cmp_eq_u32_e64 s21, v4, v28
	;; [unrolled: 1-line block ×4, first 2 shown]
	v_cndmask_b32_e64 v4, 0, 1, s12
	v_cmp_eq_u32_e64 s12, 1, v1
	s_and_b32 s14, s10, s14
	s_and_b32 s16, s10, s16
	v_cndmask_b32_e64 v32, 0, 1, s14
	s_and_b32 s14, s11, s15
	v_cndmask_b32_e64 v34, 0, 1, s16
	s_and_b32 s16, s11, s17
	s_and_b32 s10, s10, s18
	v_cmp_eq_u32_e64 s13, 1, v3
	v_cndmask_b32_e64 v33, 0, 1, s14
	v_cmp_eq_u32_e64 s14, 2, v1
	v_cmp_eq_u32_e64 s15, 2, v3
	v_cndmask_b32_e64 v35, 0, 1, s16
	v_cmp_eq_u32_e64 s16, 3, v1
	v_cmp_eq_u32_e64 s17, 3, v3
	v_cndmask_b32_e64 v1, 0, 1, s10
	s_and_b32 s10, s11, s19
	s_and_b32 s11, s20, s22
	;; [unrolled: 1-line block ×4, first 2 shown]
	v_cndmask_b32_e64 v3, 0, 1, s10
	v_cmp_ne_u32_e64 s10, 0, v2
	v_cndmask_b32_e64 v2, 0, 1, s11
	v_cmp_ne_u32_e64 s11, 0, v4
	;; [unrolled: 2-line block ×3, first 2 shown]
	v_cndmask_b32_e64 v32, 0, 1, s12
	s_and_b32 s13, s21, s13
	s_and_b32 s14, s20, s14
	;; [unrolled: 1-line block ×5, first 2 shown]
	v_cmp_ne_u32_e64 s12, 0, v33
	v_cndmask_b32_e64 v33, 0, 1, s13
	v_cmp_ne_u32_e64 s13, 0, v34
	v_cndmask_b32_e64 v34, 0, 1, s14
	;; [unrolled: 2-line block ×5, first 2 shown]
	v_cmp_ne_u32_e64 s17, 0, v32
	s_bcnt1_i32_b32 s18, s18
	s_bcnt1_i32_b32 s21, s12
	v_cmp_ne_u32_e64 s12, 0, v33
	s_bcnt1_i32_b32 s19, s10
	v_cmp_ne_u32_e64 s10, 0, v2
	;; [unrolled: 2-line block ×4, first 2 shown]
	s_add_i32 s18, s18, s82
	s_bcnt1_i32_b32 s17, s17
	s_bcnt1_i32_b32 s20, s11
	s_add_i32 s17, s18, s17
	v_cmp_ne_u32_e64 s11, 0, v4
	s_bcnt1_i32_b32 s23, s14
	v_cmp_ne_u32_e64 s14, 0, v35
	s_bcnt1_i32_b32 s85, s16
	;; [unrolled: 2-line block ×3, first 2 shown]
	s_add_i32 s17, s17, s21
	s_add_i32 s19, s19, s83
	;; [unrolled: 1-line block ×4, first 2 shown]
	s_bcnt1_i32_b32 s10, s10
	s_bcnt1_i32_b32 s13, s13
	;; [unrolled: 1-line block ×3, first 2 shown]
	s_add_i32 s82, s17, s12
	s_delay_alu instid0(SALU_CYCLE_1)
	v_dual_mov_b32 v2, s82 :: v_dual_add_nc_u32 v31, s47, v31
	s_add_i32 s10, s19, s10
	s_add_i32 s13, s22, s13
	;; [unrolled: 1-line block ×3, first 2 shown]
	s_bcnt1_i32_b32 s11, s11
	s_bcnt1_i32_b32 s14, s14
	;; [unrolled: 1-line block ×3, first 2 shown]
	s_add_i32 s10, s10, s20
	s_add_i32 s13, s13, s23
	;; [unrolled: 1-line block ×3, first 2 shown]
	v_cmp_le_u32_e32 vcc_lo, s76, v31
	s_add_i32 s83, s10, s11
	s_add_i32 s81, s13, s14
	;; [unrolled: 1-line block ×3, first 2 shown]
	v_dual_mov_b32 v1, s83 :: v_dual_add_nc_u32 v8, s60, v8
	v_dual_mov_b32 v3, s81 :: v_dual_mov_b32 v4, s80
	s_or_b32 s78, vcc_lo, s78
	s_delay_alu instid0(SALU_CYCLE_1)
	s_and_not1_b32 exec_lo, exec_lo, s78
	s_cbranch_execnz .LBB117_59
; %bb.60:                               ;   in Loop: Header=BB117_15 Depth=1
	s_or_b32 exec_lo, exec_lo, s78
.LBB117_61:                             ;   in Loop: Header=BB117_15 Depth=1
	s_delay_alu instid0(SALU_CYCLE_1) | instskip(SKIP_2) | instid1(VALU_DEP_1)
	s_or_b32 exec_lo, exec_lo, s77
	v_add_nc_u32_e32 v8, s76, v0
	s_mov_b32 s15, exec_lo
	v_cmpx_gt_u32_e64 s75, v8
	s_cbranch_execz .LBB117_65
; %bb.62:                               ;   in Loop: Header=BB117_15 Depth=1
	v_lshlrev_b32_e32 v31, 1, v8
	s_and_b32 s17, s68, 0xfe
	s_mov_b32 s16, 0
.LBB117_63:                             ;   Parent Loop BB117_15 Depth=1
                                        ; =>  This Inner Loop Header: Depth=2
	s_waitcnt vmcnt(0)
	ds_load_u16 v32, v31
	v_add_nc_u32_e32 v8, s33, v8
	v_add_nc_u32_e32 v31, s61, v31
	s_delay_alu instid0(VALU_DEP_2) | instskip(SKIP_4) | instid1(VALU_DEP_3)
	v_cmp_le_u32_e32 vcc_lo, s75, v8
	s_waitcnt lgkmcnt(0)
	v_cmp_lt_i16_e64 s10, -1, v32
	v_and_b32_e32 v33, 0xffff, v32
	v_lshlrev_b32_e32 v32, 16, v32
	v_cndmask_b32_e64 v34, 0xffff, v26, s10
	s_delay_alu instid0(VALU_DEP_2) | instskip(NEXT) | instid1(VALU_DEP_2)
	v_cmp_o_f32_e64 s10, v32, v32
	v_xor_b32_e32 v33, v34, v33
	s_delay_alu instid0(VALU_DEP_1) | instskip(NEXT) | instid1(VALU_DEP_1)
	v_cndmask_b32_e64 v32, 0xffff, v33, s10
	v_and_b32_e32 v33, v32, v27
	v_bfe_u32 v32, v32, s17, 2
	s_delay_alu instid0(VALU_DEP_2) | instskip(NEXT) | instid1(VALU_DEP_2)
	v_cmp_eq_u32_e64 s10, v33, v28
	v_cmp_eq_u32_e64 s11, 0, v32
	;; [unrolled: 1-line block ×5, first 2 shown]
	s_delay_alu instid0(VALU_DEP_4) | instskip(NEXT) | instid1(SALU_CYCLE_1)
	s_and_b32 s11, s10, s11
	v_cndmask_b32_e64 v32, 0, 1, s11
	s_and_b32 s11, s10, s12
	s_delay_alu instid0(SALU_CYCLE_1)
	v_cndmask_b32_e64 v33, 0, 1, s11
	s_and_b32 s11, s10, s13
	s_and_b32 s10, s10, s14
	v_cndmask_b32_e64 v34, 0, 1, s11
	v_cndmask_b32_e64 v35, 0, 1, s10
	v_cmp_ne_u32_e64 s10, 0, v32
	v_cmp_ne_u32_e64 s11, 0, v33
	s_delay_alu instid0(VALU_DEP_4) | instskip(NEXT) | instid1(VALU_DEP_4)
	v_cmp_ne_u32_e64 s12, 0, v34
	v_cmp_ne_u32_e64 s13, 0, v35
	s_delay_alu instid0(VALU_DEP_4) | instskip(NEXT) | instid1(VALU_DEP_3)
	s_bcnt1_i32_b32 s10, s10
	s_bcnt1_i32_b32 s11, s11
	v_add_nc_u32_e32 v1, s10, v1
	s_bcnt1_i32_b32 s12, s12
	s_bcnt1_i32_b32 s13, s13
	v_add_nc_u32_e32 v2, s11, v2
	v_add_nc_u32_e32 v3, s12, v3
	;; [unrolled: 1-line block ×3, first 2 shown]
	s_or_b32 s16, vcc_lo, s16
	s_delay_alu instid0(SALU_CYCLE_1)
	s_and_not1_b32 exec_lo, exec_lo, s16
	s_cbranch_execnz .LBB117_63
; %bb.64:                               ;   in Loop: Header=BB117_15 Depth=1
	s_or_b32 exec_lo, exec_lo, s16
.LBB117_65:                             ;   in Loop: Header=BB117_15 Depth=1
	s_delay_alu instid0(SALU_CYCLE_1)
	s_or_b32 exec_lo, exec_lo, s15
.LBB117_66:                             ;   in Loop: Header=BB117_15 Depth=1
	s_lshl_b32 s10, s64, 7
	s_and_saveexec_b32 s11, s2
	s_cbranch_execz .LBB117_68
; %bb.67:                               ;   in Loop: Header=BB117_15 Depth=1
	v_or_b32_e32 v8, s10, v18
	s_delay_alu instid0(VALU_DEP_1)
	v_lshlrev_b32_e32 v8, 2, v8
	ds_store_b128 v8, v[1:4] offset:3072
.LBB117_68:                             ;   in Loop: Header=BB117_15 Depth=1
	s_or_b32 exec_lo, exec_lo, s11
	s_waitcnt vmcnt(0) lgkmcnt(0)
	s_barrier
	buffer_gl0_inv
	s_and_saveexec_b32 s11, s45
	s_cbranch_execz .LBB117_78
; %bb.69:                               ;   in Loop: Header=BB117_15 Depth=1
	v_mov_b32_e32 v1, 0
	s_and_not1_b32 vcc_lo, exec_lo, s49
	s_cbranch_vccnz .LBB117_77
; %bb.70:                               ;   in Loop: Header=BB117_15 Depth=1
	v_mov_b32_e32 v1, 0
	s_and_not1_b32 vcc_lo, exec_lo, s52
	s_mov_b32 s12, 0
	s_cbranch_vccnz .LBB117_74
; %bb.71:                               ;   in Loop: Header=BB117_15 Depth=1
	v_lshl_add_u32 v2, s64, 9, v25
	v_mov_b32_e32 v1, 0
	.p2align	6
.LBB117_72:                             ;   Parent Loop BB117_15 Depth=1
                                        ; =>  This Inner Loop Header: Depth=2
	ds_load_2addr_b32 v[3:4], v2 offset1:4
	ds_load_2addr_b32 v[31:32], v2 offset0:8 offset1:12
	ds_load_2addr_b32 v[33:34], v2 offset0:16 offset1:20
	;; [unrolled: 1-line block ×3, first 2 shown]
	v_add_nc_u32_e32 v2, 0x80, v2
	s_add_i32 s12, s12, 8
	s_delay_alu instid0(SALU_CYCLE_1) | instskip(SKIP_3) | instid1(VALU_DEP_1)
	s_cmp_eq_u32 s53, s12
	s_waitcnt lgkmcnt(3)
	v_add3_u32 v1, v3, v1, v4
	s_waitcnt lgkmcnt(2)
	v_add3_u32 v1, v31, v1, v32
	s_waitcnt lgkmcnt(1)
	s_delay_alu instid0(VALU_DEP_1) | instskip(SKIP_1) | instid1(VALU_DEP_1)
	v_add3_u32 v1, v33, v1, v34
	s_waitcnt lgkmcnt(0)
	v_add3_u32 v1, v35, v1, v36
	s_cbranch_scc0 .LBB117_72
; %bb.73:                               ;   in Loop: Header=BB117_15 Depth=1
	s_mov_b32 s12, s53
.LBB117_74:                             ;   in Loop: Header=BB117_15 Depth=1
	s_and_not1_b32 vcc_lo, exec_lo, s54
	s_cbranch_vccnz .LBB117_77
; %bb.75:                               ;   in Loop: Header=BB117_15 Depth=1
	s_lshl_b32 s13, s64, 9
	s_lshl_b32 s12, s12, 4
	s_delay_alu instid0(SALU_CYCLE_1)
	v_add3_u32 v2, s13, s12, v25
	s_mov_b32 s12, s51
.LBB117_76:                             ;   Parent Loop BB117_15 Depth=1
                                        ; =>  This Inner Loop Header: Depth=2
	ds_load_b32 v3, v2
	v_add_nc_u32_e32 v2, 16, v2
	s_add_i32 s12, s12, -1
	s_delay_alu instid0(SALU_CYCLE_1)
	s_cmp_lg_u32 s12, 0
	s_waitcnt lgkmcnt(0)
	v_add_nc_u32_e32 v1, v3, v1
	s_cbranch_scc1 .LBB117_76
.LBB117_77:                             ;   in Loop: Header=BB117_15 Depth=1
	v_add_lshl_u32 v2, s10, v15, 2
	ds_store_b32 v2, v1 offset:3072
.LBB117_78:                             ;   in Loop: Header=BB117_15 Depth=1
	s_or_b32 exec_lo, exec_lo, s11
	s_lshl_b32 s10, s10, 2
	s_waitcnt lgkmcnt(0)
	v_mov_b32_e32 v1, s10
	s_barrier
	buffer_gl0_inv
	s_and_b32 s17, s68, 0xfe
	v_cmp_eq_u32_e64 s10, 1, v30
	ds_load_b128 v[1:4], v1 offset:3072
	s_lshl_b32 s13, 3, s17
	s_and_not1_b32 vcc_lo, exec_lo, s46
	s_not_b32 s14, s13
	s_waitcnt lgkmcnt(0)
	v_readfirstlane_b32 s12, v1
	v_readfirstlane_b32 s16, v2
	v_readfirstlane_b32 s18, v3
	v_readfirstlane_b32 s19, v4
	s_cbranch_vccnz .LBB117_91
; %bb.79:                               ;   in Loop: Header=BB117_15 Depth=1
	s_cmp_eq_u32 s12, 1
	v_dual_mov_b32 v1, v28 :: v_dual_mov_b32 v2, v27
	v_mov_b32_e32 v3, v29
	s_cselect_b32 s11, -1, 0
	s_mov_b32 s77, -1
	s_and_b32 s76, s11, s10
                                        ; implicit-def: $sgpr15
                                        ; implicit-def: $sgpr22
                                        ; implicit-def: $sgpr21
	s_delay_alu instid0(SALU_CYCLE_1)
	s_and_saveexec_b32 s20, s76
	s_cbranch_execz .LBB117_110
; %bb.80:                               ;   in Loop: Header=BB117_15 Depth=1
	ds_load_b32 v1, v9 offset:4096
	s_waitcnt lgkmcnt(0)
	s_barrier
	buffer_gl0_inv
	v_readfirstlane_b32 s15, v1
	s_and_saveexec_b32 s11, s6
	s_cbranch_execz .LBB117_82
; %bb.81:                               ;   in Loop: Header=BB117_15 Depth=1
	ds_store_b16 v19, v9
.LBB117_82:                             ;   in Loop: Header=BB117_15 Depth=1
	s_or_b32 exec_lo, exec_lo, s11
	v_and_b32_e32 v1, s14, v28
	v_or_b32_e32 v2, s13, v27
	s_cmp_eq_u32 s15, 0
	s_waitcnt lgkmcnt(0)
	s_barrier
	buffer_gl0_inv
	s_cbranch_scc1 .LBB117_96
; %bb.83:                               ;   in Loop: Header=BB117_15 Depth=1
	s_add_i32 s11, s15, s50
                                        ; implicit-def: $vgpr3
	s_delay_alu instid0(SALU_CYCLE_1) | instskip(NEXT) | instid1(SALU_CYCLE_1)
	s_mul_hi_u32 s21, s11, s57
	s_mul_i32 s21, s21, s33
	s_delay_alu instid0(SALU_CYCLE_1) | instskip(NEXT) | instid1(SALU_CYCLE_1)
	s_sub_i32 s21, s11, s21
	s_sub_i32 s22, s21, s33
	s_cmp_ge_u32 s21, s33
	s_cselect_b32 s21, s22, s21
	s_delay_alu instid0(SALU_CYCLE_1) | instskip(SKIP_2) | instid1(SALU_CYCLE_1)
	s_sub_i32 s22, s21, s33
	s_cmp_ge_u32 s21, s33
	s_cselect_b32 s21, s22, s21
	s_sub_i32 s22, s11, s21
	s_mov_b32 s11, 0
	s_mov_b32 s21, exec_lo
	v_cmpx_gt_u32_e64 s22, v0
	s_cbranch_execz .LBB117_98
; %bb.84:                               ;   in Loop: Header=BB117_15 Depth=1
	v_dual_mov_b32 v3, v17 :: v_dual_mov_b32 v4, v0
	s_mov_b32 s23, 0
                                        ; implicit-def: $sgpr75
	s_branch .LBB117_86
.LBB117_85:                             ;   in Loop: Header=BB117_86 Depth=2
	s_or_b32 exec_lo, exec_lo, s11
	s_waitcnt lgkmcnt(0)
	s_barrier
	buffer_gl0_inv
	ds_load_b32 v8, v9 offset:3072
	v_add_nc_u32_e32 v4, s33, v4
	v_add_nc_u32_e32 v3, s61, v3
	s_waitcnt lgkmcnt(0)
	s_barrier
	buffer_gl0_inv
	v_cmp_le_u32_e32 vcc_lo, s22, v4
	v_and_b32_e32 v31, 0x7fff, v8
	s_delay_alu instid0(VALU_DEP_1) | instskip(NEXT) | instid1(VALU_DEP_1)
	v_cmp_ne_u16_e64 s11, 0, v31
	s_or_b32 s77, vcc_lo, s11
	s_delay_alu instid0(SALU_CYCLE_1) | instskip(NEXT) | instid1(SALU_CYCLE_1)
	s_and_b32 s77, exec_lo, s77
	s_or_b32 s23, s77, s23
	s_and_not1_b32 s75, s75, exec_lo
	s_and_b32 s11, s11, exec_lo
	s_delay_alu instid0(SALU_CYCLE_1)
	s_or_b32 s75, s75, s11
	s_and_not1_b32 exec_lo, exec_lo, s23
	s_cbranch_execz .LBB117_97
.LBB117_86:                             ;   Parent Loop BB117_15 Depth=1
                                        ; =>  This Inner Loop Header: Depth=2
	s_delay_alu instid0(VALU_DEP_1)
	v_cmp_gt_u32_e32 vcc_lo, s15, v4
	v_mov_b32_e32 v8, 0
	s_and_saveexec_b32 s11, vcc_lo
	s_cbranch_execz .LBB117_88
; %bb.87:                               ;   in Loop: Header=BB117_86 Depth=2
	ds_load_u16 v8, v3
.LBB117_88:                             ;   in Loop: Header=BB117_86 Depth=2
	s_or_b32 exec_lo, exec_lo, s11
	s_and_saveexec_b32 s11, vcc_lo
	s_cbranch_execz .LBB117_85
; %bb.89:                               ;   in Loop: Header=BB117_86 Depth=2
	s_waitcnt lgkmcnt(0)
	v_cmp_lt_i16_e32 vcc_lo, -1, v8
	v_and_b32_e32 v31, 0xffff, v8
	v_dual_cndmask_b32 v32, 0xffff, v26 :: v_dual_lshlrev_b32 v33, 16, v8
	s_delay_alu instid0(VALU_DEP_1) | instskip(NEXT) | instid1(VALU_DEP_2)
	v_cmp_o_f32_e32 vcc_lo, v33, v33
	v_xor_b32_e32 v31, v32, v31
	s_delay_alu instid0(VALU_DEP_1) | instskip(NEXT) | instid1(VALU_DEP_1)
	v_cndmask_b32_e32 v31, 0xffff, v31, vcc_lo
	v_and_b32_e32 v31, v31, v2
	s_delay_alu instid0(VALU_DEP_1)
	v_cmp_eq_u32_e32 vcc_lo, v31, v1
	s_and_b32 exec_lo, exec_lo, vcc_lo
	s_cbranch_execz .LBB117_85
; %bb.90:                               ;   in Loop: Header=BB117_86 Depth=2
	v_perm_b32 v8, v8, s63, 0x5040100
	ds_store_b32 v9, v8 offset:3072
	s_branch .LBB117_85
.LBB117_91:                             ;   in Loop: Header=BB117_15 Depth=1
	s_mov_b32 s20, 0
	s_mov_b32 s11, 0
                                        ; implicit-def: $sgpr21
                                        ; implicit-def: $sgpr22
                                        ; implicit-def: $sgpr15
                                        ; implicit-def: $vgpr8
                                        ; implicit-def: $vgpr4
                                        ; implicit-def: $vgpr1
                                        ; implicit-def: $vgpr2
                                        ; implicit-def: $vgpr3
	s_cbranch_execnz .LBB117_246
.LBB117_92:                             ;   in Loop: Header=BB117_15 Depth=1
	s_mov_b32 s23, s15
	s_mov_b32 s75, s15
	s_and_saveexec_b32 s10, s20
	s_cbranch_execnz .LBB117_408
	s_branch .LBB117_409
.LBB117_93:                             ;   in Loop: Header=BB117_15 Depth=1
	s_or_b32 exec_lo, exec_lo, s12
	s_waitcnt lgkmcnt(0)
	s_barrier
	buffer_gl0_inv
	s_and_saveexec_b32 s10, s5
	s_cbranch_execz .LBB117_95
; %bb.94:                               ;   in Loop: Header=BB117_15 Depth=1
	ds_load_b32 v1, v9 offset:4104
	s_waitcnt lgkmcnt(0)
	ds_store_b32 v9, v1 offset:4096
.LBB117_95:                             ;   in Loop: Header=BB117_15 Depth=1
	s_or_b32 exec_lo, exec_lo, s10
	s_waitcnt lgkmcnt(0)
	s_mov_b32 s10, -1
	s_barrier
	s_and_b32 vcc_lo, exec_lo, s75
	s_cbranch_vccnz .LBB117_30
	s_branch .LBB117_40
.LBB117_96:                             ;   in Loop: Header=BB117_15 Depth=1
	s_mov_b32 s15, -1
	s_mov_b32 s11, 0
                                        ; implicit-def: $sgpr21
                                        ; implicit-def: $vgpr3
	s_mov_b32 s22, s15
	s_cbranch_execnz .LBB117_99
	s_branch .LBB117_109
.LBB117_97:                             ;   in Loop: Header=BB117_15 Depth=1
	s_or_b32 exec_lo, exec_lo, s23
	v_lshrrev_b32_e32 v3, 16, v8
	s_and_b32 s11, s75, exec_lo
.LBB117_98:                             ;   in Loop: Header=BB117_15 Depth=1
	s_or_b32 exec_lo, exec_lo, s21
	s_mov_b32 s21, -1
	s_mov_b32 s15, 0
	s_delay_alu instid0(SALU_CYCLE_1)
	s_mov_b32 s22, s15
	s_branch .LBB117_109
.LBB117_99:                             ;   in Loop: Header=BB117_15 Depth=1
	s_mov_b32 s11, 0
                                        ; implicit-def: $vgpr3
	s_and_saveexec_b32 s15, s9
	s_cbranch_execz .LBB117_108
; %bb.100:                              ;   in Loop: Header=BB117_15 Depth=1
	v_dual_mov_b32 v8, v7 :: v_dual_mov_b32 v3, v0
	s_mov_b32 s21, 0
                                        ; implicit-def: $sgpr22
	s_branch .LBB117_102
.LBB117_101:                            ;   in Loop: Header=BB117_102 Depth=2
	s_or_b32 exec_lo, exec_lo, s11
	s_waitcnt vmcnt(0) lgkmcnt(0)
	s_barrier
	buffer_gl0_inv
	ds_load_b32 v4, v9 offset:3072
	v_add_nc_u32_e32 v3, s33, v3
	v_add_nc_u32_e32 v8, s34, v8
	s_waitcnt lgkmcnt(0)
	s_barrier
	buffer_gl0_inv
	v_cmp_le_u32_e32 vcc_lo, s58, v3
	v_and_b32_e32 v31, 0x7fff, v4
	s_delay_alu instid0(VALU_DEP_1) | instskip(NEXT) | instid1(VALU_DEP_1)
	v_cmp_ne_u16_e64 s11, 0, v31
	s_or_b32 s23, vcc_lo, s11
	s_delay_alu instid0(SALU_CYCLE_1) | instskip(NEXT) | instid1(SALU_CYCLE_1)
	s_and_b32 s23, exec_lo, s23
	s_or_b32 s21, s23, s21
	s_and_not1_b32 s22, s22, exec_lo
	s_and_b32 s11, s11, exec_lo
	s_delay_alu instid0(SALU_CYCLE_1)
	s_or_b32 s22, s22, s11
	s_and_not1_b32 exec_lo, exec_lo, s21
	s_cbranch_execz .LBB117_107
.LBB117_102:                            ;   Parent Loop BB117_15 Depth=1
                                        ; =>  This Inner Loop Header: Depth=2
	s_delay_alu instid0(VALU_DEP_1)
	v_cmp_gt_u32_e32 vcc_lo, s24, v3
	v_mov_b32_e32 v4, 0
	s_and_saveexec_b32 s23, vcc_lo
	s_cbranch_execz .LBB117_104
; %bb.103:                              ;   in Loop: Header=BB117_102 Depth=2
	v_lshlrev_b64 v[31:32], 1, v[8:9]
	s_delay_alu instid0(VALU_DEP_1) | instskip(NEXT) | instid1(VALU_DEP_1)
	v_add_co_u32 v31, s11, s29, v31
	v_add_co_ci_u32_e64 v32, s11, s30, v32, s11
	global_load_u16 v4, v[31:32], off
.LBB117_104:                            ;   in Loop: Header=BB117_102 Depth=2
	s_or_b32 exec_lo, exec_lo, s23
	s_and_saveexec_b32 s11, vcc_lo
	s_cbranch_execz .LBB117_101
; %bb.105:                              ;   in Loop: Header=BB117_102 Depth=2
	s_waitcnt vmcnt(0)
	v_cmp_lt_i16_e32 vcc_lo, -1, v4
	v_and_b32_e32 v31, 0xffff, v4
	v_dual_cndmask_b32 v32, 0xffff, v26 :: v_dual_lshlrev_b32 v33, 16, v4
	s_delay_alu instid0(VALU_DEP_1) | instskip(NEXT) | instid1(VALU_DEP_2)
	v_cmp_o_f32_e32 vcc_lo, v33, v33
	v_xor_b32_e32 v31, v32, v31
	s_delay_alu instid0(VALU_DEP_1) | instskip(NEXT) | instid1(VALU_DEP_1)
	v_cndmask_b32_e32 v31, 0xffff, v31, vcc_lo
	v_and_b32_e32 v31, v31, v2
	s_delay_alu instid0(VALU_DEP_1)
	v_cmp_eq_u32_e32 vcc_lo, v31, v1
	s_and_b32 exec_lo, exec_lo, vcc_lo
	s_cbranch_execz .LBB117_101
; %bb.106:                              ;   in Loop: Header=BB117_102 Depth=2
	v_perm_b32 v4, v4, s63, 0x5040100
	ds_store_b32 v9, v4 offset:3072
	s_branch .LBB117_101
.LBB117_107:                            ;   in Loop: Header=BB117_15 Depth=1
	s_or_b32 exec_lo, exec_lo, s21
	v_lshrrev_b32_e32 v3, 16, v4
	s_and_b32 s11, s22, exec_lo
.LBB117_108:                            ;   in Loop: Header=BB117_15 Depth=1
	s_or_b32 exec_lo, exec_lo, s15
	s_mov_b32 s22, -1
	s_mov_b32 s15, 0
	s_mov_b32 s21, 0
.LBB117_109:                            ;   in Loop: Header=BB117_15 Depth=1
	s_or_not1_b32 s77, s11, exec_lo
.LBB117_110:                            ;   in Loop: Header=BB117_15 Depth=1
	s_or_b32 exec_lo, exec_lo, s20
	s_mov_b32 s23, 0
	s_mov_b32 s20, 0
	;; [unrolled: 1-line block ×3, first 2 shown]
                                        ; implicit-def: $vgpr8
                                        ; implicit-def: $vgpr4
	s_and_saveexec_b32 s75, s77
	s_cbranch_execz .LBB117_245
; %bb.111:                              ;   in Loop: Header=BB117_15 Depth=1
	v_mov_b32_e32 v4, 1
	v_mov_b32_e32 v8, 1
	s_xor_b32 s76, s76, -1
	s_delay_alu instid0(SALU_CYCLE_1)
	s_and_saveexec_b32 s11, s76
	s_cbranch_execz .LBB117_121
; %bb.112:                              ;   in Loop: Header=BB117_15 Depth=1
	s_mov_b32 s76, exec_lo
                                        ; implicit-def: $sgpr77
                                        ; implicit-def: $sgpr20
	v_cmpx_ge_u32_e64 s12, v30
	s_xor_b32 s76, exec_lo, s76
	s_cbranch_execz .LBB117_118
; %bb.113:                              ;   in Loop: Header=BB117_15 Depth=1
	ds_load_b32 v4, v9 offset:4096
	s_waitcnt lgkmcnt(0)
	v_cmp_ne_u32_e32 vcc_lo, 0, v4
	s_cbranch_vccnz .LBB117_117
; %bb.114:                              ;   in Loop: Header=BB117_15 Depth=1
	s_and_saveexec_b32 s20, s5
	s_cbranch_execz .LBB117_116
; %bb.115:                              ;   in Loop: Header=BB117_15 Depth=1
	v_mov_b32_e32 v4, s12
	ds_store_b32 v9, v4 offset:4100
.LBB117_116:                            ;   in Loop: Header=BB117_15 Depth=1
	s_or_b32 exec_lo, exec_lo, s20
	s_waitcnt lgkmcnt(0)
	s_barrier
	buffer_gl0_inv
.LBB117_117:                            ;   in Loop: Header=BB117_15 Depth=1
	v_and_b32_e32 v1, s14, v1
	v_or_b32_e32 v2, s13, v2
	s_mov_b32 s20, 0
	s_mov_b32 s77, 8
.LBB117_118:                            ;   in Loop: Header=BB117_15 Depth=1
	s_or_saveexec_b32 s76, s76
	v_mov_b32_e32 v8, s77
	v_mov_b32_e32 v4, v30
	s_xor_b32 exec_lo, exec_lo, s76
; %bb.119:                              ;   in Loop: Header=BB117_15 Depth=1
	v_subrev_nc_u32_e32 v4, s12, v30
	v_mov_b32_e32 v8, 0
	s_or_b32 s20, s20, exec_lo
; %bb.120:                              ;   in Loop: Header=BB117_15 Depth=1
	s_or_b32 exec_lo, exec_lo, s76
	s_delay_alu instid0(SALU_CYCLE_1)
	s_and_b32 s20, s20, exec_lo
.LBB117_121:                            ;   in Loop: Header=BB117_15 Depth=1
	s_or_b32 exec_lo, exec_lo, s11
	s_mov_b32 s11, -1
                                        ; implicit-def: $sgpr76
                                        ; implicit-def: $sgpr78
                                        ; implicit-def: $sgpr79
	s_and_saveexec_b32 s77, s20
	s_delay_alu instid0(SALU_CYCLE_1)
	s_xor_b32 s20, exec_lo, s77
	s_cbranch_execz .LBB117_242
; %bb.122:                              ;   in Loop: Header=BB117_15 Depth=1
	v_cmp_eq_u32_e32 vcc_lo, 1, v4
	s_cmp_eq_u32 s16, 1
                                        ; implicit-def: $sgpr76
                                        ; implicit-def: $sgpr78
                                        ; implicit-def: $sgpr77
	s_cselect_b32 s11, -1, 0
	s_delay_alu instid0(SALU_CYCLE_1)
	s_and_b32 s80, s11, vcc_lo
	s_mov_b32 s11, -1
	s_and_saveexec_b32 s79, s80
	s_cbranch_execz .LBB117_148
; %bb.123:                              ;   in Loop: Header=BB117_15 Depth=1
	ds_load_b32 v3, v9 offset:4096
	s_waitcnt lgkmcnt(0)
	s_barrier
	buffer_gl0_inv
	v_readfirstlane_b32 s76, v3
	s_and_saveexec_b32 s11, s6
	s_cbranch_execz .LBB117_125
; %bb.124:                              ;   in Loop: Header=BB117_15 Depth=1
	ds_store_b16 v19, v9
.LBB117_125:                            ;   in Loop: Header=BB117_15 Depth=1
	s_or_b32 exec_lo, exec_lo, s11
	s_lshl_b32 s11, 1, s17
	v_or_b32_e32 v2, s13, v2
	v_and_or_b32 v1, v1, s14, s11
	s_cmp_eq_u32 s76, 0
	s_waitcnt lgkmcnt(0)
	s_barrier
	buffer_gl0_inv
	s_cbranch_scc1 .LBB117_134
; %bb.126:                              ;   in Loop: Header=BB117_15 Depth=1
	s_add_i32 s11, s76, s50
                                        ; implicit-def: $vgpr3
	s_delay_alu instid0(SALU_CYCLE_1) | instskip(NEXT) | instid1(SALU_CYCLE_1)
	s_mul_hi_u32 s77, s11, s57
	s_mul_i32 s77, s77, s33
	s_delay_alu instid0(SALU_CYCLE_1) | instskip(NEXT) | instid1(SALU_CYCLE_1)
	s_sub_i32 s77, s11, s77
	s_sub_i32 s78, s77, s33
	s_cmp_ge_u32 s77, s33
	s_cselect_b32 s77, s78, s77
	s_delay_alu instid0(SALU_CYCLE_1) | instskip(SKIP_2) | instid1(SALU_CYCLE_1)
	s_sub_i32 s78, s77, s33
	s_cmp_ge_u32 s77, s33
	s_cselect_b32 s77, s78, s77
	s_sub_i32 s78, s11, s77
	s_mov_b32 s11, 0
	s_mov_b32 s77, exec_lo
	v_cmpx_gt_u32_e64 s78, v0
	s_cbranch_execz .LBB117_136
; %bb.127:                              ;   in Loop: Header=BB117_15 Depth=1
	v_dual_mov_b32 v3, v17 :: v_dual_mov_b32 v8, v0
	s_mov_b32 s81, 0
                                        ; implicit-def: $sgpr82
	s_branch .LBB117_129
.LBB117_128:                            ;   in Loop: Header=BB117_129 Depth=2
	s_or_b32 exec_lo, exec_lo, s11
	s_waitcnt lgkmcnt(0)
	s_barrier
	buffer_gl0_inv
	ds_load_b32 v31, v9 offset:3072
	v_add_nc_u32_e32 v8, s33, v8
	v_add_nc_u32_e32 v3, s61, v3
	s_waitcnt lgkmcnt(0)
	s_barrier
	buffer_gl0_inv
	v_cmp_le_u32_e32 vcc_lo, s78, v8
	v_and_b32_e32 v32, 0x7fff, v31
	s_delay_alu instid0(VALU_DEP_1) | instskip(NEXT) | instid1(VALU_DEP_1)
	v_cmp_ne_u16_e64 s11, 0, v32
	s_or_b32 s83, vcc_lo, s11
	s_delay_alu instid0(SALU_CYCLE_1) | instskip(NEXT) | instid1(SALU_CYCLE_1)
	s_and_b32 s83, exec_lo, s83
	s_or_b32 s81, s83, s81
	s_and_not1_b32 s82, s82, exec_lo
	s_and_b32 s11, s11, exec_lo
	s_delay_alu instid0(SALU_CYCLE_1)
	s_or_b32 s82, s82, s11
	s_and_not1_b32 exec_lo, exec_lo, s81
	s_cbranch_execz .LBB117_135
.LBB117_129:                            ;   Parent Loop BB117_15 Depth=1
                                        ; =>  This Inner Loop Header: Depth=2
	s_delay_alu instid0(VALU_DEP_1)
	v_cmp_gt_u32_e32 vcc_lo, s76, v8
	v_mov_b32_e32 v31, 0
	s_and_saveexec_b32 s11, vcc_lo
	s_cbranch_execz .LBB117_131
; %bb.130:                              ;   in Loop: Header=BB117_129 Depth=2
	ds_load_u16 v31, v3
.LBB117_131:                            ;   in Loop: Header=BB117_129 Depth=2
	s_or_b32 exec_lo, exec_lo, s11
	s_and_saveexec_b32 s11, vcc_lo
	s_cbranch_execz .LBB117_128
; %bb.132:                              ;   in Loop: Header=BB117_129 Depth=2
	s_waitcnt lgkmcnt(0)
	v_cmp_lt_i16_e32 vcc_lo, -1, v31
	v_and_b32_e32 v32, 0xffff, v31
	v_dual_cndmask_b32 v33, 0xffff, v26 :: v_dual_lshlrev_b32 v34, 16, v31
	s_delay_alu instid0(VALU_DEP_1) | instskip(NEXT) | instid1(VALU_DEP_2)
	v_cmp_o_f32_e32 vcc_lo, v34, v34
	v_xor_b32_e32 v32, v33, v32
	s_delay_alu instid0(VALU_DEP_1) | instskip(NEXT) | instid1(VALU_DEP_1)
	v_cndmask_b32_e32 v32, 0xffff, v32, vcc_lo
	v_and_b32_e32 v32, v32, v2
	s_delay_alu instid0(VALU_DEP_1)
	v_cmp_eq_u32_e32 vcc_lo, v32, v1
	s_and_b32 exec_lo, exec_lo, vcc_lo
	s_cbranch_execz .LBB117_128
; %bb.133:                              ;   in Loop: Header=BB117_129 Depth=2
	v_perm_b32 v31, v31, s63, 0x5040100
	ds_store_b32 v9, v31 offset:3072
	s_branch .LBB117_128
.LBB117_134:                            ;   in Loop: Header=BB117_15 Depth=1
	s_mov_b32 s76, -1
	s_mov_b32 s11, 0
                                        ; implicit-def: $sgpr77
                                        ; implicit-def: $vgpr3
	s_mov_b32 s78, s76
	s_cbranch_execnz .LBB117_137
	s_branch .LBB117_147
.LBB117_135:                            ;   in Loop: Header=BB117_15 Depth=1
	s_or_b32 exec_lo, exec_lo, s81
	v_lshrrev_b32_e32 v3, 16, v31
	s_and_b32 s11, s82, exec_lo
.LBB117_136:                            ;   in Loop: Header=BB117_15 Depth=1
	s_or_b32 exec_lo, exec_lo, s77
	s_mov_b32 s77, -1
	s_mov_b32 s76, 0
	s_delay_alu instid0(SALU_CYCLE_1)
	s_mov_b32 s78, s76
	s_branch .LBB117_147
.LBB117_137:                            ;   in Loop: Header=BB117_15 Depth=1
	s_mov_b32 s11, 0
                                        ; implicit-def: $vgpr3
	s_and_saveexec_b32 s76, s9
	s_cbranch_execz .LBB117_146
; %bb.138:                              ;   in Loop: Header=BB117_15 Depth=1
	v_dual_mov_b32 v8, v7 :: v_dual_mov_b32 v3, v0
	s_mov_b32 s77, 0
                                        ; implicit-def: $sgpr78
	s_branch .LBB117_140
.LBB117_139:                            ;   in Loop: Header=BB117_140 Depth=2
	s_or_b32 exec_lo, exec_lo, s11
	s_waitcnt vmcnt(0) lgkmcnt(0)
	s_barrier
	buffer_gl0_inv
	ds_load_b32 v31, v9 offset:3072
	v_add_nc_u32_e32 v3, s33, v3
	v_add_nc_u32_e32 v8, s34, v8
	s_waitcnt lgkmcnt(0)
	s_barrier
	buffer_gl0_inv
	v_cmp_le_u32_e32 vcc_lo, s58, v3
	v_and_b32_e32 v32, 0x7fff, v31
	s_delay_alu instid0(VALU_DEP_1) | instskip(NEXT) | instid1(VALU_DEP_1)
	v_cmp_ne_u16_e64 s11, 0, v32
	s_or_b32 s81, vcc_lo, s11
	s_delay_alu instid0(SALU_CYCLE_1) | instskip(NEXT) | instid1(SALU_CYCLE_1)
	s_and_b32 s81, exec_lo, s81
	s_or_b32 s77, s81, s77
	s_and_not1_b32 s78, s78, exec_lo
	s_and_b32 s11, s11, exec_lo
	s_delay_alu instid0(SALU_CYCLE_1)
	s_or_b32 s78, s78, s11
	s_and_not1_b32 exec_lo, exec_lo, s77
	s_cbranch_execz .LBB117_145
.LBB117_140:                            ;   Parent Loop BB117_15 Depth=1
                                        ; =>  This Inner Loop Header: Depth=2
	s_delay_alu instid0(VALU_DEP_1)
	v_cmp_gt_u32_e32 vcc_lo, s24, v3
	v_mov_b32_e32 v31, 0
	s_and_saveexec_b32 s81, vcc_lo
	s_cbranch_execz .LBB117_142
; %bb.141:                              ;   in Loop: Header=BB117_140 Depth=2
	v_lshlrev_b64 v[31:32], 1, v[8:9]
	s_delay_alu instid0(VALU_DEP_1) | instskip(NEXT) | instid1(VALU_DEP_1)
	v_add_co_u32 v31, s11, s29, v31
	v_add_co_ci_u32_e64 v32, s11, s30, v32, s11
	global_load_u16 v31, v[31:32], off
.LBB117_142:                            ;   in Loop: Header=BB117_140 Depth=2
	s_or_b32 exec_lo, exec_lo, s81
	s_and_saveexec_b32 s11, vcc_lo
	s_cbranch_execz .LBB117_139
; %bb.143:                              ;   in Loop: Header=BB117_140 Depth=2
	s_waitcnt vmcnt(0)
	v_cmp_lt_i16_e32 vcc_lo, -1, v31
	v_and_b32_e32 v32, 0xffff, v31
	v_dual_cndmask_b32 v33, 0xffff, v26 :: v_dual_lshlrev_b32 v34, 16, v31
	s_delay_alu instid0(VALU_DEP_1) | instskip(NEXT) | instid1(VALU_DEP_2)
	v_cmp_o_f32_e32 vcc_lo, v34, v34
	v_xor_b32_e32 v32, v33, v32
	s_delay_alu instid0(VALU_DEP_1) | instskip(NEXT) | instid1(VALU_DEP_1)
	v_cndmask_b32_e32 v32, 0xffff, v32, vcc_lo
	v_and_b32_e32 v32, v32, v2
	s_delay_alu instid0(VALU_DEP_1)
	v_cmp_eq_u32_e32 vcc_lo, v32, v1
	s_and_b32 exec_lo, exec_lo, vcc_lo
	s_cbranch_execz .LBB117_139
; %bb.144:                              ;   in Loop: Header=BB117_140 Depth=2
	v_perm_b32 v31, v31, s63, 0x5040100
	ds_store_b32 v9, v31 offset:3072
	s_branch .LBB117_139
.LBB117_145:                            ;   in Loop: Header=BB117_15 Depth=1
	s_or_b32 exec_lo, exec_lo, s77
	v_lshrrev_b32_e32 v3, 16, v31
	s_and_b32 s11, s78, exec_lo
.LBB117_146:                            ;   in Loop: Header=BB117_15 Depth=1
	s_or_b32 exec_lo, exec_lo, s76
	s_mov_b32 s78, -1
	s_mov_b32 s76, 0
	s_mov_b32 s77, 0
.LBB117_147:                            ;   in Loop: Header=BB117_15 Depth=1
	s_or_not1_b32 s11, s11, exec_lo
.LBB117_148:                            ;   in Loop: Header=BB117_15 Depth=1
	s_or_b32 exec_lo, exec_lo, s79
	s_mov_b32 s81, 0
                                        ; implicit-def: $vgpr8
	s_and_saveexec_b32 s79, s11
	s_cbranch_execz .LBB117_241
; %bb.149:                              ;   in Loop: Header=BB117_15 Depth=1
	v_dual_mov_b32 v31, 1 :: v_dual_mov_b32 v8, 1
	s_xor_b32 s80, s80, -1
	s_mov_b32 s82, 0
	s_and_saveexec_b32 s11, s80
	s_cbranch_execz .LBB117_159
; %bb.150:                              ;   in Loop: Header=BB117_15 Depth=1
	s_mov_b32 s81, exec_lo
                                        ; implicit-def: $sgpr82
                                        ; implicit-def: $sgpr80
	v_cmpx_ge_u32_e64 s16, v4
	s_xor_b32 s81, exec_lo, s81
	s_cbranch_execz .LBB117_156
; %bb.151:                              ;   in Loop: Header=BB117_15 Depth=1
	ds_load_b32 v8, v9 offset:4096
	s_waitcnt lgkmcnt(0)
	v_cmp_ne_u32_e32 vcc_lo, 0, v8
	s_cbranch_vccnz .LBB117_155
; %bb.152:                              ;   in Loop: Header=BB117_15 Depth=1
	s_and_saveexec_b32 s80, s5
	s_cbranch_execz .LBB117_154
; %bb.153:                              ;   in Loop: Header=BB117_15 Depth=1
	v_mov_b32_e32 v8, s16
	ds_store_b32 v9, v8 offset:4100
.LBB117_154:                            ;   in Loop: Header=BB117_15 Depth=1
	s_or_b32 exec_lo, exec_lo, s80
	s_waitcnt lgkmcnt(0)
	s_barrier
	buffer_gl0_inv
.LBB117_155:                            ;   in Loop: Header=BB117_15 Depth=1
	s_lshl_b32 s80, 1, s17
	v_or_b32_e32 v2, s13, v2
	v_and_or_b32 v1, v1, s14, s80
	s_mov_b32 s80, 0
	s_mov_b32 s82, 8
.LBB117_156:                            ;   in Loop: Header=BB117_15 Depth=1
	s_or_saveexec_b32 s81, s81
	v_mov_b32_e32 v8, s82
	s_xor_b32 exec_lo, exec_lo, s81
; %bb.157:                              ;   in Loop: Header=BB117_15 Depth=1
	v_subrev_nc_u32_e32 v4, s16, v4
	v_mov_b32_e32 v8, 0
	s_or_b32 s80, s80, exec_lo
; %bb.158:                              ;   in Loop: Header=BB117_15 Depth=1
	s_or_b32 exec_lo, exec_lo, s81
	s_delay_alu instid0(VALU_DEP_2)
	v_mov_b32_e32 v31, v4
	s_and_b32 s82, s80, exec_lo
.LBB117_159:                            ;   in Loop: Header=BB117_15 Depth=1
	s_or_b32 exec_lo, exec_lo, s11
	s_mov_b32 s11, -1
                                        ; implicit-def: $sgpr81
                                        ; implicit-def: $sgpr83
                                        ; implicit-def: $sgpr84
	s_and_saveexec_b32 s80, s82
	s_cbranch_execz .LBB117_240
; %bb.160:                              ;   in Loop: Header=BB117_15 Depth=1
	v_cmp_eq_u32_e32 vcc_lo, 1, v31
	s_cmp_eq_u32 s18, 1
                                        ; implicit-def: $sgpr81
                                        ; implicit-def: $sgpr83
                                        ; implicit-def: $sgpr82
	s_cselect_b32 s11, -1, 0
	s_delay_alu instid0(SALU_CYCLE_1)
	s_and_b32 s85, s11, vcc_lo
	s_mov_b32 s11, -1
	s_and_saveexec_b32 s84, s85
	s_cbranch_execz .LBB117_186
; %bb.161:                              ;   in Loop: Header=BB117_15 Depth=1
	ds_load_b32 v3, v9 offset:4096
	s_waitcnt lgkmcnt(0)
	s_barrier
	buffer_gl0_inv
	v_readfirstlane_b32 s81, v3
	s_and_saveexec_b32 s11, s6
	s_cbranch_execz .LBB117_163
; %bb.162:                              ;   in Loop: Header=BB117_15 Depth=1
	ds_store_b16 v19, v9
.LBB117_163:                            ;   in Loop: Header=BB117_15 Depth=1
	s_or_b32 exec_lo, exec_lo, s11
	s_lshl_b32 s11, 2, s17
	v_or_b32_e32 v2, s13, v2
	v_and_or_b32 v1, v1, s14, s11
	s_cmp_eq_u32 s81, 0
	s_waitcnt lgkmcnt(0)
	s_barrier
	buffer_gl0_inv
	s_cbranch_scc1 .LBB117_172
; %bb.164:                              ;   in Loop: Header=BB117_15 Depth=1
	s_add_i32 s11, s81, s50
                                        ; implicit-def: $vgpr3
	s_delay_alu instid0(SALU_CYCLE_1) | instskip(NEXT) | instid1(SALU_CYCLE_1)
	s_mul_hi_u32 s82, s11, s57
	s_mul_i32 s82, s82, s33
	s_delay_alu instid0(SALU_CYCLE_1) | instskip(NEXT) | instid1(SALU_CYCLE_1)
	s_sub_i32 s82, s11, s82
	s_sub_i32 s83, s82, s33
	s_cmp_ge_u32 s82, s33
	s_cselect_b32 s82, s83, s82
	s_delay_alu instid0(SALU_CYCLE_1) | instskip(SKIP_2) | instid1(SALU_CYCLE_1)
	s_sub_i32 s83, s82, s33
	s_cmp_ge_u32 s82, s33
	s_cselect_b32 s82, s83, s82
	s_sub_i32 s83, s11, s82
	s_mov_b32 s11, 0
	s_mov_b32 s82, exec_lo
	v_cmpx_gt_u32_e64 s83, v0
	s_cbranch_execz .LBB117_174
; %bb.165:                              ;   in Loop: Header=BB117_15 Depth=1
	v_dual_mov_b32 v3, v17 :: v_dual_mov_b32 v4, v0
	s_mov_b32 s86, 0
                                        ; implicit-def: $sgpr87
	s_branch .LBB117_167
.LBB117_166:                            ;   in Loop: Header=BB117_167 Depth=2
	s_or_b32 exec_lo, exec_lo, s11
	s_waitcnt lgkmcnt(0)
	s_barrier
	buffer_gl0_inv
	ds_load_b32 v8, v9 offset:3072
	v_add_nc_u32_e32 v4, s33, v4
	v_add_nc_u32_e32 v3, s61, v3
	s_waitcnt lgkmcnt(0)
	s_barrier
	buffer_gl0_inv
	v_cmp_le_u32_e32 vcc_lo, s83, v4
	v_and_b32_e32 v32, 0x7fff, v8
	s_delay_alu instid0(VALU_DEP_1) | instskip(NEXT) | instid1(VALU_DEP_1)
	v_cmp_ne_u16_e64 s11, 0, v32
	s_or_b32 s88, vcc_lo, s11
	s_delay_alu instid0(SALU_CYCLE_1) | instskip(NEXT) | instid1(SALU_CYCLE_1)
	s_and_b32 s88, exec_lo, s88
	s_or_b32 s86, s88, s86
	s_and_not1_b32 s87, s87, exec_lo
	s_and_b32 s11, s11, exec_lo
	s_delay_alu instid0(SALU_CYCLE_1)
	s_or_b32 s87, s87, s11
	s_and_not1_b32 exec_lo, exec_lo, s86
	s_cbranch_execz .LBB117_173
.LBB117_167:                            ;   Parent Loop BB117_15 Depth=1
                                        ; =>  This Inner Loop Header: Depth=2
	s_delay_alu instid0(VALU_DEP_1)
	v_cmp_gt_u32_e32 vcc_lo, s81, v4
	v_mov_b32_e32 v8, 0
	s_and_saveexec_b32 s11, vcc_lo
	s_cbranch_execz .LBB117_169
; %bb.168:                              ;   in Loop: Header=BB117_167 Depth=2
	ds_load_u16 v8, v3
.LBB117_169:                            ;   in Loop: Header=BB117_167 Depth=2
	s_or_b32 exec_lo, exec_lo, s11
	s_and_saveexec_b32 s11, vcc_lo
	s_cbranch_execz .LBB117_166
; %bb.170:                              ;   in Loop: Header=BB117_167 Depth=2
	s_waitcnt lgkmcnt(0)
	v_cmp_lt_i16_e32 vcc_lo, -1, v8
	v_and_b32_e32 v32, 0xffff, v8
	v_dual_cndmask_b32 v33, 0xffff, v26 :: v_dual_lshlrev_b32 v34, 16, v8
	s_delay_alu instid0(VALU_DEP_1) | instskip(NEXT) | instid1(VALU_DEP_2)
	v_cmp_o_f32_e32 vcc_lo, v34, v34
	v_xor_b32_e32 v32, v33, v32
	s_delay_alu instid0(VALU_DEP_1) | instskip(NEXT) | instid1(VALU_DEP_1)
	v_cndmask_b32_e32 v32, 0xffff, v32, vcc_lo
	v_and_b32_e32 v32, v32, v2
	s_delay_alu instid0(VALU_DEP_1)
	v_cmp_eq_u32_e32 vcc_lo, v32, v1
	s_and_b32 exec_lo, exec_lo, vcc_lo
	s_cbranch_execz .LBB117_166
; %bb.171:                              ;   in Loop: Header=BB117_167 Depth=2
	v_perm_b32 v8, v8, s63, 0x5040100
	ds_store_b32 v9, v8 offset:3072
	s_branch .LBB117_166
.LBB117_172:                            ;   in Loop: Header=BB117_15 Depth=1
	s_mov_b32 s81, -1
	s_mov_b32 s11, 0
                                        ; implicit-def: $sgpr82
                                        ; implicit-def: $vgpr3
	s_mov_b32 s83, s81
	s_cbranch_execnz .LBB117_175
	s_branch .LBB117_185
.LBB117_173:                            ;   in Loop: Header=BB117_15 Depth=1
	s_or_b32 exec_lo, exec_lo, s86
	v_lshrrev_b32_e32 v3, 16, v8
	s_and_b32 s11, s87, exec_lo
.LBB117_174:                            ;   in Loop: Header=BB117_15 Depth=1
	s_or_b32 exec_lo, exec_lo, s82
	s_mov_b32 s82, -1
	s_mov_b32 s81, 0
	s_delay_alu instid0(SALU_CYCLE_1)
	s_mov_b32 s83, s81
	s_branch .LBB117_185
.LBB117_175:                            ;   in Loop: Header=BB117_15 Depth=1
	s_mov_b32 s11, 0
                                        ; implicit-def: $vgpr3
	s_and_saveexec_b32 s81, s9
	s_cbranch_execz .LBB117_184
; %bb.176:                              ;   in Loop: Header=BB117_15 Depth=1
	v_dual_mov_b32 v8, v7 :: v_dual_mov_b32 v3, v0
	s_mov_b32 s82, 0
                                        ; implicit-def: $sgpr83
	s_branch .LBB117_178
.LBB117_177:                            ;   in Loop: Header=BB117_178 Depth=2
	s_or_b32 exec_lo, exec_lo, s11
	s_waitcnt vmcnt(0) lgkmcnt(0)
	s_barrier
	buffer_gl0_inv
	ds_load_b32 v4, v9 offset:3072
	v_add_nc_u32_e32 v3, s33, v3
	v_add_nc_u32_e32 v8, s34, v8
	s_waitcnt lgkmcnt(0)
	s_barrier
	buffer_gl0_inv
	v_cmp_le_u32_e32 vcc_lo, s58, v3
	v_and_b32_e32 v32, 0x7fff, v4
	s_delay_alu instid0(VALU_DEP_1) | instskip(NEXT) | instid1(VALU_DEP_1)
	v_cmp_ne_u16_e64 s11, 0, v32
	s_or_b32 s86, vcc_lo, s11
	s_delay_alu instid0(SALU_CYCLE_1) | instskip(NEXT) | instid1(SALU_CYCLE_1)
	s_and_b32 s86, exec_lo, s86
	s_or_b32 s82, s86, s82
	s_and_not1_b32 s83, s83, exec_lo
	s_and_b32 s11, s11, exec_lo
	s_delay_alu instid0(SALU_CYCLE_1)
	s_or_b32 s83, s83, s11
	s_and_not1_b32 exec_lo, exec_lo, s82
	s_cbranch_execz .LBB117_183
.LBB117_178:                            ;   Parent Loop BB117_15 Depth=1
                                        ; =>  This Inner Loop Header: Depth=2
	s_delay_alu instid0(VALU_DEP_1)
	v_cmp_gt_u32_e32 vcc_lo, s24, v3
	v_mov_b32_e32 v4, 0
	s_and_saveexec_b32 s86, vcc_lo
	s_cbranch_execz .LBB117_180
; %bb.179:                              ;   in Loop: Header=BB117_178 Depth=2
	v_lshlrev_b64 v[32:33], 1, v[8:9]
	s_delay_alu instid0(VALU_DEP_1) | instskip(NEXT) | instid1(VALU_DEP_1)
	v_add_co_u32 v32, s11, s29, v32
	v_add_co_ci_u32_e64 v33, s11, s30, v33, s11
	global_load_u16 v4, v[32:33], off
.LBB117_180:                            ;   in Loop: Header=BB117_178 Depth=2
	s_or_b32 exec_lo, exec_lo, s86
	s_and_saveexec_b32 s11, vcc_lo
	s_cbranch_execz .LBB117_177
; %bb.181:                              ;   in Loop: Header=BB117_178 Depth=2
	s_waitcnt vmcnt(0)
	v_cmp_lt_i16_e32 vcc_lo, -1, v4
	v_and_b32_e32 v32, 0xffff, v4
	v_dual_cndmask_b32 v33, 0xffff, v26 :: v_dual_lshlrev_b32 v34, 16, v4
	s_delay_alu instid0(VALU_DEP_1) | instskip(NEXT) | instid1(VALU_DEP_2)
	v_cmp_o_f32_e32 vcc_lo, v34, v34
	v_xor_b32_e32 v32, v33, v32
	s_delay_alu instid0(VALU_DEP_1) | instskip(NEXT) | instid1(VALU_DEP_1)
	v_cndmask_b32_e32 v32, 0xffff, v32, vcc_lo
	v_and_b32_e32 v32, v32, v2
	s_delay_alu instid0(VALU_DEP_1)
	v_cmp_eq_u32_e32 vcc_lo, v32, v1
	s_and_b32 exec_lo, exec_lo, vcc_lo
	s_cbranch_execz .LBB117_177
; %bb.182:                              ;   in Loop: Header=BB117_178 Depth=2
	v_perm_b32 v4, v4, s63, 0x5040100
	ds_store_b32 v9, v4 offset:3072
	s_branch .LBB117_177
.LBB117_183:                            ;   in Loop: Header=BB117_15 Depth=1
	s_or_b32 exec_lo, exec_lo, s82
	v_lshrrev_b32_e32 v3, 16, v4
	s_and_b32 s11, s83, exec_lo
.LBB117_184:                            ;   in Loop: Header=BB117_15 Depth=1
	s_or_b32 exec_lo, exec_lo, s81
	s_mov_b32 s83, -1
	s_mov_b32 s81, 0
	s_mov_b32 s82, 0
.LBB117_185:                            ;   in Loop: Header=BB117_15 Depth=1
	s_or_not1_b32 s11, s11, exec_lo
.LBB117_186:                            ;   in Loop: Header=BB117_15 Depth=1
	s_or_b32 exec_lo, exec_lo, s84
	s_mov_b32 s86, 0
                                        ; implicit-def: $vgpr8
	s_and_saveexec_b32 s84, s11
	s_cbranch_execz .LBB117_239
; %bb.187:                              ;   in Loop: Header=BB117_15 Depth=1
	v_mov_b32_e32 v4, 1
	v_mov_b32_e32 v8, 1
	s_xor_b32 s85, s85, -1
	s_mov_b32 s87, 0
	s_and_saveexec_b32 s11, s85
	s_cbranch_execz .LBB117_197
; %bb.188:                              ;   in Loop: Header=BB117_15 Depth=1
	s_mov_b32 s86, exec_lo
                                        ; implicit-def: $sgpr87
                                        ; implicit-def: $sgpr85
	v_cmpx_ge_u32_e64 s18, v31
	s_xor_b32 s86, exec_lo, s86
	s_cbranch_execz .LBB117_194
; %bb.189:                              ;   in Loop: Header=BB117_15 Depth=1
	ds_load_b32 v4, v9 offset:4096
	s_waitcnt lgkmcnt(0)
	v_cmp_ne_u32_e32 vcc_lo, 0, v4
	s_cbranch_vccnz .LBB117_193
; %bb.190:                              ;   in Loop: Header=BB117_15 Depth=1
	s_and_saveexec_b32 s85, s5
	s_cbranch_execz .LBB117_192
; %bb.191:                              ;   in Loop: Header=BB117_15 Depth=1
	v_mov_b32_e32 v4, s18
	ds_store_b32 v9, v4 offset:4100
.LBB117_192:                            ;   in Loop: Header=BB117_15 Depth=1
	s_or_b32 exec_lo, exec_lo, s85
	s_waitcnt lgkmcnt(0)
	s_barrier
	buffer_gl0_inv
.LBB117_193:                            ;   in Loop: Header=BB117_15 Depth=1
	s_lshl_b32 s85, 2, s17
	v_or_b32_e32 v2, s13, v2
	v_and_or_b32 v1, v1, s14, s85
	s_mov_b32 s85, 0
	s_mov_b32 s87, 8
.LBB117_194:                            ;   in Loop: Header=BB117_15 Depth=1
	s_or_saveexec_b32 s86, s86
	v_mov_b32_e32 v8, s87
	s_xor_b32 exec_lo, exec_lo, s86
; %bb.195:                              ;   in Loop: Header=BB117_15 Depth=1
	v_subrev_nc_u32_e32 v31, s18, v31
	v_mov_b32_e32 v8, 0
	s_or_b32 s85, s85, exec_lo
; %bb.196:                              ;   in Loop: Header=BB117_15 Depth=1
	s_or_b32 exec_lo, exec_lo, s86
	s_delay_alu instid0(VALU_DEP_2)
	v_mov_b32_e32 v4, v31
	s_and_b32 s87, s85, exec_lo
.LBB117_197:                            ;   in Loop: Header=BB117_15 Depth=1
	s_or_b32 exec_lo, exec_lo, s11
	s_mov_b32 s86, -1
                                        ; implicit-def: $sgpr11
                                        ; implicit-def: $sgpr89
                                        ; implicit-def: $sgpr88
	s_and_saveexec_b32 s85, s87
	s_cbranch_execz .LBB117_238
; %bb.198:                              ;   in Loop: Header=BB117_15 Depth=1
	v_cmp_eq_u32_e32 vcc_lo, 1, v4
	s_cmp_eq_u32 s19, 1
	s_mov_b32 s90, -1
	s_cselect_b32 s11, -1, 0
                                        ; implicit-def: $sgpr89
                                        ; implicit-def: $sgpr88
	s_delay_alu instid0(SALU_CYCLE_1) | instskip(NEXT) | instid1(SALU_CYCLE_1)
	s_and_b32 s86, s11, vcc_lo
                                        ; implicit-def: $sgpr11
	s_and_saveexec_b32 s87, s86
	s_cbranch_execz .LBB117_225
; %bb.199:                              ;   in Loop: Header=BB117_15 Depth=1
	ds_load_b32 v3, v9 offset:4096
	s_waitcnt lgkmcnt(0)
	s_barrier
	buffer_gl0_inv
	v_readfirstlane_b32 s88, v3
	s_and_saveexec_b32 s11, s6
	s_cbranch_execz .LBB117_201
; %bb.200:                              ;   in Loop: Header=BB117_15 Depth=1
	ds_store_b16 v19, v9
.LBB117_201:                            ;   in Loop: Header=BB117_15 Depth=1
	s_or_b32 exec_lo, exec_lo, s11
	v_or_b32_e32 v1, s13, v1
	v_or_b32_e32 v2, s13, v2
	s_cmp_eq_u32 s88, 0
	s_waitcnt lgkmcnt(0)
	s_barrier
	buffer_gl0_inv
	s_cbranch_scc1 .LBB117_210
; %bb.202:                              ;   in Loop: Header=BB117_15 Depth=1
	s_add_i32 s11, s88, s50
	s_mov_b32 s91, 0
	s_mul_hi_u32 s89, s11, s57
                                        ; implicit-def: $vgpr3
	s_delay_alu instid0(SALU_CYCLE_1) | instskip(NEXT) | instid1(SALU_CYCLE_1)
	s_mul_i32 s89, s89, s33
	s_sub_i32 s89, s11, s89
	s_delay_alu instid0(SALU_CYCLE_1) | instskip(SKIP_2) | instid1(SALU_CYCLE_1)
	s_sub_i32 s90, s89, s33
	s_cmp_ge_u32 s89, s33
	s_cselect_b32 s89, s90, s89
	s_sub_i32 s90, s89, s33
	s_cmp_ge_u32 s89, s33
	s_cselect_b32 s89, s90, s89
	s_delay_alu instid0(SALU_CYCLE_1)
	s_sub_i32 s90, s11, s89
	s_mov_b32 s89, exec_lo
	v_cmpx_gt_u32_e64 s90, v0
	s_cbranch_execz .LBB117_212
; %bb.203:                              ;   in Loop: Header=BB117_15 Depth=1
	v_dual_mov_b32 v3, v17 :: v_dual_mov_b32 v8, v0
                                        ; implicit-def: $sgpr92
	s_branch .LBB117_205
.LBB117_204:                            ;   in Loop: Header=BB117_205 Depth=2
	s_or_b32 exec_lo, exec_lo, s11
	s_waitcnt lgkmcnt(0)
	s_barrier
	buffer_gl0_inv
	ds_load_b32 v31, v9 offset:3072
	v_add_nc_u32_e32 v8, s33, v8
	v_add_nc_u32_e32 v3, s61, v3
	s_waitcnt lgkmcnt(0)
	s_barrier
	buffer_gl0_inv
	v_cmp_le_u32_e32 vcc_lo, s90, v8
	v_and_b32_e32 v32, 0x7fff, v31
	s_delay_alu instid0(VALU_DEP_1) | instskip(NEXT) | instid1(VALU_DEP_1)
	v_cmp_ne_u16_e64 s11, 0, v32
	s_or_b32 s93, vcc_lo, s11
	s_delay_alu instid0(SALU_CYCLE_1) | instskip(NEXT) | instid1(SALU_CYCLE_1)
	s_and_b32 s93, exec_lo, s93
	s_or_b32 s91, s93, s91
	s_and_not1_b32 s92, s92, exec_lo
	s_and_b32 s11, s11, exec_lo
	s_delay_alu instid0(SALU_CYCLE_1)
	s_or_b32 s92, s92, s11
	s_and_not1_b32 exec_lo, exec_lo, s91
	s_cbranch_execz .LBB117_211
.LBB117_205:                            ;   Parent Loop BB117_15 Depth=1
                                        ; =>  This Inner Loop Header: Depth=2
	s_delay_alu instid0(VALU_DEP_1)
	v_cmp_gt_u32_e32 vcc_lo, s88, v8
	v_mov_b32_e32 v31, 0
	s_and_saveexec_b32 s11, vcc_lo
	s_cbranch_execz .LBB117_207
; %bb.206:                              ;   in Loop: Header=BB117_205 Depth=2
	ds_load_u16 v31, v3
.LBB117_207:                            ;   in Loop: Header=BB117_205 Depth=2
	s_or_b32 exec_lo, exec_lo, s11
	s_and_saveexec_b32 s11, vcc_lo
	s_cbranch_execz .LBB117_204
; %bb.208:                              ;   in Loop: Header=BB117_205 Depth=2
	s_waitcnt lgkmcnt(0)
	v_cmp_lt_i16_e32 vcc_lo, -1, v31
	v_and_b32_e32 v32, 0xffff, v31
	v_dual_cndmask_b32 v33, 0xffff, v26 :: v_dual_lshlrev_b32 v34, 16, v31
	s_delay_alu instid0(VALU_DEP_1) | instskip(NEXT) | instid1(VALU_DEP_2)
	v_cmp_o_f32_e32 vcc_lo, v34, v34
	v_xor_b32_e32 v32, v33, v32
	s_delay_alu instid0(VALU_DEP_1) | instskip(NEXT) | instid1(VALU_DEP_1)
	v_cndmask_b32_e32 v32, 0xffff, v32, vcc_lo
	v_and_b32_e32 v32, v32, v2
	s_delay_alu instid0(VALU_DEP_1)
	v_cmp_eq_u32_e32 vcc_lo, v32, v1
	s_and_b32 exec_lo, exec_lo, vcc_lo
	s_cbranch_execz .LBB117_204
; %bb.209:                              ;   in Loop: Header=BB117_205 Depth=2
	v_perm_b32 v31, v31, s63, 0x5040100
	ds_store_b32 v9, v31 offset:3072
	s_branch .LBB117_204
.LBB117_210:                            ;   in Loop: Header=BB117_15 Depth=1
	s_mov_b32 s11, -1
	s_mov_b32 s91, 0
                                        ; implicit-def: $sgpr88
                                        ; implicit-def: $vgpr3
	s_branch .LBB117_213
.LBB117_211:                            ;   in Loop: Header=BB117_15 Depth=1
	s_or_b32 exec_lo, exec_lo, s91
	v_lshrrev_b32_e32 v3, 16, v31
	s_and_b32 s91, s92, exec_lo
.LBB117_212:                            ;   in Loop: Header=BB117_15 Depth=1
	s_or_b32 exec_lo, exec_lo, s89
	s_mov_b32 s88, -1
	s_mov_b32 s11, 0
.LBB117_213:                            ;   in Loop: Header=BB117_15 Depth=1
	s_delay_alu instid0(SALU_CYCLE_1)
	s_and_b32 vcc_lo, exec_lo, s11
	s_mov_b32 s89, s11
	s_cbranch_vccz .LBB117_224
; %bb.214:                              ;   in Loop: Header=BB117_15 Depth=1
	s_mov_b32 s91, 0
                                        ; implicit-def: $vgpr3
	s_and_saveexec_b32 s88, s9
	s_cbranch_execz .LBB117_223
; %bb.215:                              ;   in Loop: Header=BB117_15 Depth=1
	v_dual_mov_b32 v8, v7 :: v_dual_mov_b32 v3, v0
	s_mov_b32 s89, 0
                                        ; implicit-def: $sgpr90
	s_branch .LBB117_217
.LBB117_216:                            ;   in Loop: Header=BB117_217 Depth=2
	s_or_b32 exec_lo, exec_lo, s11
	s_waitcnt vmcnt(0) lgkmcnt(0)
	s_barrier
	buffer_gl0_inv
	ds_load_b32 v31, v9 offset:3072
	v_add_nc_u32_e32 v3, s33, v3
	v_add_nc_u32_e32 v8, s34, v8
	s_waitcnt lgkmcnt(0)
	s_barrier
	buffer_gl0_inv
	v_cmp_le_u32_e32 vcc_lo, s58, v3
	v_and_b32_e32 v32, 0x7fff, v31
	s_delay_alu instid0(VALU_DEP_1) | instskip(NEXT) | instid1(VALU_DEP_1)
	v_cmp_ne_u16_e64 s11, 0, v32
	s_or_b32 s91, vcc_lo, s11
	s_delay_alu instid0(SALU_CYCLE_1) | instskip(NEXT) | instid1(SALU_CYCLE_1)
	s_and_b32 s91, exec_lo, s91
	s_or_b32 s89, s91, s89
	s_and_not1_b32 s90, s90, exec_lo
	s_and_b32 s11, s11, exec_lo
	s_delay_alu instid0(SALU_CYCLE_1)
	s_or_b32 s90, s90, s11
	s_and_not1_b32 exec_lo, exec_lo, s89
	s_cbranch_execz .LBB117_222
.LBB117_217:                            ;   Parent Loop BB117_15 Depth=1
                                        ; =>  This Inner Loop Header: Depth=2
	s_delay_alu instid0(VALU_DEP_1)
	v_cmp_gt_u32_e32 vcc_lo, s24, v3
	v_mov_b32_e32 v31, 0
	s_and_saveexec_b32 s91, vcc_lo
	s_cbranch_execz .LBB117_219
; %bb.218:                              ;   in Loop: Header=BB117_217 Depth=2
	v_lshlrev_b64 v[31:32], 1, v[8:9]
	s_delay_alu instid0(VALU_DEP_1) | instskip(NEXT) | instid1(VALU_DEP_1)
	v_add_co_u32 v31, s11, s29, v31
	v_add_co_ci_u32_e64 v32, s11, s30, v32, s11
	global_load_u16 v31, v[31:32], off
.LBB117_219:                            ;   in Loop: Header=BB117_217 Depth=2
	s_or_b32 exec_lo, exec_lo, s91
	s_and_saveexec_b32 s11, vcc_lo
	s_cbranch_execz .LBB117_216
; %bb.220:                              ;   in Loop: Header=BB117_217 Depth=2
	s_waitcnt vmcnt(0)
	v_cmp_lt_i16_e32 vcc_lo, -1, v31
	v_and_b32_e32 v32, 0xffff, v31
	v_dual_cndmask_b32 v33, 0xffff, v26 :: v_dual_lshlrev_b32 v34, 16, v31
	s_delay_alu instid0(VALU_DEP_1) | instskip(NEXT) | instid1(VALU_DEP_2)
	v_cmp_o_f32_e32 vcc_lo, v34, v34
	v_xor_b32_e32 v32, v33, v32
	s_delay_alu instid0(VALU_DEP_1) | instskip(NEXT) | instid1(VALU_DEP_1)
	v_cndmask_b32_e32 v32, 0xffff, v32, vcc_lo
	v_and_b32_e32 v32, v32, v2
	s_delay_alu instid0(VALU_DEP_1)
	v_cmp_eq_u32_e32 vcc_lo, v32, v1
	s_and_b32 exec_lo, exec_lo, vcc_lo
	s_cbranch_execz .LBB117_216
; %bb.221:                              ;   in Loop: Header=BB117_217 Depth=2
	v_perm_b32 v31, v31, s63, 0x5040100
	ds_store_b32 v9, v31 offset:3072
	s_branch .LBB117_216
.LBB117_222:                            ;   in Loop: Header=BB117_15 Depth=1
	s_or_b32 exec_lo, exec_lo, s89
	v_lshrrev_b32_e32 v3, 16, v31
	s_and_b32 s91, s90, exec_lo
.LBB117_223:                            ;   in Loop: Header=BB117_15 Depth=1
	s_or_b32 exec_lo, exec_lo, s88
	s_mov_b32 s89, -1
	s_mov_b32 s11, 0
	s_mov_b32 s88, 0
.LBB117_224:                            ;   in Loop: Header=BB117_15 Depth=1
	s_or_not1_b32 s90, s91, exec_lo
.LBB117_225:                            ;   in Loop: Header=BB117_15 Depth=1
	s_or_b32 exec_lo, exec_lo, s87
	s_mov_b32 s91, 0
                                        ; implicit-def: $vgpr8
                                        ; implicit-def: $vgpr31
	s_and_saveexec_b32 s87, s90
	s_cbranch_execz .LBB117_237
; %bb.226:                              ;   in Loop: Header=BB117_15 Depth=1
	v_dual_mov_b32 v8, 1 :: v_dual_mov_b32 v31, 1
	s_xor_b32 s90, s86, -1
	s_delay_alu instid0(SALU_CYCLE_1)
	s_and_saveexec_b32 s86, s90
	s_cbranch_execz .LBB117_236
; %bb.227:                              ;   in Loop: Header=BB117_15 Depth=1
	s_mov_b32 s90, exec_lo
                                        ; implicit-def: $sgpr91
	v_cmpx_ge_u32_e64 s19, v4
	s_xor_b32 s90, exec_lo, s90
	s_cbranch_execz .LBB117_233
; %bb.228:                              ;   in Loop: Header=BB117_15 Depth=1
	ds_load_b32 v8, v9 offset:4096
	s_waitcnt lgkmcnt(0)
	v_cmp_ne_u32_e32 vcc_lo, 0, v8
	s_cbranch_vccnz .LBB117_232
; %bb.229:                              ;   in Loop: Header=BB117_15 Depth=1
	s_and_saveexec_b32 s91, s5
	s_cbranch_execz .LBB117_231
; %bb.230:                              ;   in Loop: Header=BB117_15 Depth=1
	v_mov_b32_e32 v8, s19
	ds_store_b32 v9, v8 offset:4100
.LBB117_231:                            ;   in Loop: Header=BB117_15 Depth=1
	s_or_b32 exec_lo, exec_lo, s91
	s_waitcnt lgkmcnt(0)
	s_barrier
	buffer_gl0_inv
.LBB117_232:                            ;   in Loop: Header=BB117_15 Depth=1
	v_or_b32_e32 v1, s13, v1
	v_or_b32_e32 v2, s13, v2
	s_mov_b32 s91, 8
.LBB117_233:                            ;   in Loop: Header=BB117_15 Depth=1
	s_or_saveexec_b32 s90, s90
	v_mov_b32_e32 v8, s91
	s_xor_b32 exec_lo, exec_lo, s90
; %bb.234:                              ;   in Loop: Header=BB117_15 Depth=1
	v_subrev_nc_u32_e32 v4, s19, v4
	v_mov_b32_e32 v8, 8
; %bb.235:                              ;   in Loop: Header=BB117_15 Depth=1
	s_or_b32 exec_lo, exec_lo, s90
	s_delay_alu instid0(VALU_DEP_2)
	v_mov_b32_e32 v31, v4
.LBB117_236:                            ;   in Loop: Header=BB117_15 Depth=1
	s_or_b32 exec_lo, exec_lo, s86
	s_delay_alu instid0(SALU_CYCLE_1)
	s_mov_b32 s91, exec_lo
.LBB117_237:                            ;   in Loop: Header=BB117_15 Depth=1
	s_or_b32 exec_lo, exec_lo, s87
	s_delay_alu instid0(VALU_DEP_1)
	v_mov_b32_e32 v4, v31
	s_or_not1_b32 s86, s91, exec_lo
.LBB117_238:                            ;   in Loop: Header=BB117_15 Depth=1
	s_or_b32 exec_lo, exec_lo, s85
	s_delay_alu instid0(SALU_CYCLE_1)
	s_and_not1_b32 s81, s81, exec_lo
	s_and_b32 s11, s11, exec_lo
	v_mov_b32_e32 v31, v4
	s_or_b32 s81, s81, s11
	s_and_not1_b32 s11, s83, exec_lo
	s_and_b32 s83, s89, exec_lo
	s_and_not1_b32 s82, s82, exec_lo
	s_and_b32 s85, s88, exec_lo
	s_or_b32 s83, s11, s83
	s_or_b32 s82, s82, s85
	s_and_b32 s86, s86, exec_lo
.LBB117_239:                            ;   in Loop: Header=BB117_15 Depth=1
	s_or_b32 exec_lo, exec_lo, s84
	s_delay_alu instid0(SALU_CYCLE_1)
	s_and_b32 s84, s81, exec_lo
	s_and_b32 s83, s83, exec_lo
	;; [unrolled: 1-line block ×3, first 2 shown]
	s_or_not1_b32 s11, s86, exec_lo
.LBB117_240:                            ;   in Loop: Header=BB117_15 Depth=1
	s_or_b32 exec_lo, exec_lo, s80
	s_delay_alu instid0(SALU_CYCLE_1)
	s_and_not1_b32 s76, s76, exec_lo
	s_and_b32 s80, s84, exec_lo
	v_mov_b32_e32 v4, v31
	s_or_b32 s76, s76, s80
	s_and_not1_b32 s78, s78, exec_lo
	s_and_b32 s80, s83, exec_lo
	s_and_not1_b32 s77, s77, exec_lo
	s_and_b32 s81, s81, exec_lo
	s_or_b32 s78, s78, s80
	s_or_b32 s77, s77, s81
	s_and_b32 s81, s11, exec_lo
.LBB117_241:                            ;   in Loop: Header=BB117_15 Depth=1
	s_or_b32 exec_lo, exec_lo, s79
	s_delay_alu instid0(SALU_CYCLE_1)
	s_and_b32 s79, s76, exec_lo
	s_and_b32 s78, s78, exec_lo
	;; [unrolled: 1-line block ×3, first 2 shown]
	s_or_not1_b32 s11, s81, exec_lo
.LBB117_242:                            ;   in Loop: Header=BB117_15 Depth=1
	s_or_b32 exec_lo, exec_lo, s20
	s_mov_b32 s20, 0
	s_mov_b32 s77, 0
	s_and_saveexec_b32 s80, s11
	s_delay_alu instid0(SALU_CYCLE_1)
	s_xor_b32 s80, exec_lo, s80
; %bb.243:                              ;   in Loop: Header=BB117_15 Depth=1
	v_cmp_ne_u32_e32 vcc_lo, 8, v8
	v_cmp_eq_u32_e64 s11, 8, v8
	s_and_not1_b32 s79, s79, exec_lo
	s_and_not1_b32 s78, s78, exec_lo
	;; [unrolled: 1-line block ×3, first 2 shown]
	s_and_b32 s77, vcc_lo, exec_lo
	s_and_b32 s20, s11, exec_lo
; %bb.244:                              ;   in Loop: Header=BB117_15 Depth=1
	s_or_b32 exec_lo, exec_lo, s80
	s_delay_alu instid0(SALU_CYCLE_1)
	s_and_not1_b32 s11, s15, exec_lo
	s_and_b32 s15, s79, exec_lo
	s_and_not1_b32 s21, s21, exec_lo
	s_or_b32 s15, s11, s15
	s_and_not1_b32 s11, s22, exec_lo
	s_and_b32 s22, s78, exec_lo
	s_and_b32 s76, s76, exec_lo
	s_or_b32 s22, s11, s22
	s_or_b32 s21, s21, s76
	s_and_b32 s11, s77, exec_lo
	s_and_b32 s20, s20, exec_lo
.LBB117_245:                            ;   in Loop: Header=BB117_15 Depth=1
	s_or_b32 exec_lo, exec_lo, s75
	s_delay_alu instid0(SALU_CYCLE_1)
	s_and_b32 vcc_lo, exec_lo, s23
	s_cbranch_vccz .LBB117_92
.LBB117_246:                            ;   in Loop: Header=BB117_15 Depth=1
	s_cmp_eq_u32 s19, 1
                                        ; implicit-def: $sgpr23
                                        ; implicit-def: $sgpr75
	s_cselect_b32 s15, -1, 0
	s_delay_alu instid0(SALU_CYCLE_1)
	s_and_b32 s22, s15, s10
	s_mov_b32 s10, -1
                                        ; implicit-def: $sgpr15
	s_and_saveexec_b32 s21, s22
	s_cbranch_execz .LBB117_272
; %bb.247:                              ;   in Loop: Header=BB117_15 Depth=1
	ds_load_b32 v1, v9 offset:4096
	s_waitcnt lgkmcnt(0)
	s_barrier
	buffer_gl0_inv
	v_readfirstlane_b32 s15, v1
	s_and_saveexec_b32 s10, s6
	s_cbranch_execz .LBB117_249
; %bb.248:                              ;   in Loop: Header=BB117_15 Depth=1
	ds_store_b16 v19, v9
.LBB117_249:                            ;   in Loop: Header=BB117_15 Depth=1
	s_or_b32 exec_lo, exec_lo, s10
	v_or_b32_e32 v28, s13, v28
	v_or_b32_e32 v27, s13, v27
	s_cmp_eq_u32 s15, 0
	s_waitcnt lgkmcnt(0)
	s_barrier
	buffer_gl0_inv
	s_cbranch_scc1 .LBB117_258
; %bb.250:                              ;   in Loop: Header=BB117_15 Depth=1
	s_add_i32 s10, s15, s50
                                        ; implicit-def: $vgpr29
	s_delay_alu instid0(SALU_CYCLE_1) | instskip(NEXT) | instid1(SALU_CYCLE_1)
	s_mul_hi_u32 s23, s10, s57
	s_mul_i32 s23, s23, s33
	s_delay_alu instid0(SALU_CYCLE_1) | instskip(NEXT) | instid1(SALU_CYCLE_1)
	s_sub_i32 s23, s10, s23
	s_sub_i32 s75, s23, s33
	s_cmp_ge_u32 s23, s33
	s_cselect_b32 s23, s75, s23
	s_delay_alu instid0(SALU_CYCLE_1) | instskip(SKIP_2) | instid1(SALU_CYCLE_1)
	s_sub_i32 s75, s23, s33
	s_cmp_ge_u32 s23, s33
	s_cselect_b32 s23, s75, s23
	s_sub_i32 s75, s10, s23
	s_mov_b32 s10, 0
	s_mov_b32 s23, exec_lo
	v_cmpx_gt_u32_e64 s75, v0
	s_cbranch_execz .LBB117_260
; %bb.251:                              ;   in Loop: Header=BB117_15 Depth=1
	v_dual_mov_b32 v1, v17 :: v_dual_mov_b32 v2, v0
	s_mov_b32 s76, 0
                                        ; implicit-def: $sgpr77
	s_branch .LBB117_253
.LBB117_252:                            ;   in Loop: Header=BB117_253 Depth=2
	s_or_b32 exec_lo, exec_lo, s10
	s_waitcnt lgkmcnt(0)
	s_barrier
	buffer_gl0_inv
	ds_load_b32 v3, v9 offset:3072
	v_add_nc_u32_e32 v2, s33, v2
	v_add_nc_u32_e32 v1, s61, v1
	s_waitcnt lgkmcnt(0)
	s_barrier
	buffer_gl0_inv
	v_cmp_le_u32_e32 vcc_lo, s75, v2
	v_and_b32_e32 v4, 0x7fff, v3
	s_delay_alu instid0(VALU_DEP_1) | instskip(NEXT) | instid1(VALU_DEP_1)
	v_cmp_ne_u16_e64 s10, 0, v4
	s_or_b32 s78, vcc_lo, s10
	s_delay_alu instid0(SALU_CYCLE_1) | instskip(NEXT) | instid1(SALU_CYCLE_1)
	s_and_b32 s78, exec_lo, s78
	s_or_b32 s76, s78, s76
	s_and_not1_b32 s77, s77, exec_lo
	s_and_b32 s10, s10, exec_lo
	s_delay_alu instid0(SALU_CYCLE_1)
	s_or_b32 s77, s77, s10
	s_and_not1_b32 exec_lo, exec_lo, s76
	s_cbranch_execz .LBB117_259
.LBB117_253:                            ;   Parent Loop BB117_15 Depth=1
                                        ; =>  This Inner Loop Header: Depth=2
	s_delay_alu instid0(VALU_DEP_1)
	v_cmp_gt_u32_e32 vcc_lo, s15, v2
	v_mov_b32_e32 v3, 0
	s_and_saveexec_b32 s10, vcc_lo
	s_cbranch_execz .LBB117_255
; %bb.254:                              ;   in Loop: Header=BB117_253 Depth=2
	ds_load_u16 v3, v1
.LBB117_255:                            ;   in Loop: Header=BB117_253 Depth=2
	s_or_b32 exec_lo, exec_lo, s10
	s_and_saveexec_b32 s10, vcc_lo
	s_cbranch_execz .LBB117_252
; %bb.256:                              ;   in Loop: Header=BB117_253 Depth=2
	s_waitcnt lgkmcnt(0)
	v_cmp_lt_i16_e32 vcc_lo, -1, v3
	v_and_b32_e32 v4, 0xffff, v3
	v_dual_cndmask_b32 v8, 0xffff, v26 :: v_dual_lshlrev_b32 v29, 16, v3
	s_delay_alu instid0(VALU_DEP_1) | instskip(NEXT) | instid1(VALU_DEP_2)
	v_cmp_o_f32_e32 vcc_lo, v29, v29
	v_xor_b32_e32 v4, v8, v4
	s_delay_alu instid0(VALU_DEP_1) | instskip(NEXT) | instid1(VALU_DEP_1)
	v_cndmask_b32_e32 v4, 0xffff, v4, vcc_lo
	v_and_b32_e32 v4, v4, v27
	s_delay_alu instid0(VALU_DEP_1)
	v_cmp_eq_u32_e32 vcc_lo, v4, v28
	s_and_b32 exec_lo, exec_lo, vcc_lo
	s_cbranch_execz .LBB117_252
; %bb.257:                              ;   in Loop: Header=BB117_253 Depth=2
	v_perm_b32 v3, v3, s63, 0x5040100
	ds_store_b32 v9, v3 offset:3072
	s_branch .LBB117_252
.LBB117_258:                            ;   in Loop: Header=BB117_15 Depth=1
	s_mov_b32 s23, -1
	s_mov_b32 s10, 0
                                        ; implicit-def: $sgpr75
                                        ; implicit-def: $vgpr29
	s_mov_b32 s15, s23
	s_cbranch_execnz .LBB117_261
	s_branch .LBB117_271
.LBB117_259:                            ;   in Loop: Header=BB117_15 Depth=1
	s_or_b32 exec_lo, exec_lo, s76
	v_lshrrev_b32_e32 v29, 16, v3
	s_and_b32 s10, s77, exec_lo
.LBB117_260:                            ;   in Loop: Header=BB117_15 Depth=1
	s_or_b32 exec_lo, exec_lo, s23
	s_mov_b32 s23, 0
	s_mov_b32 s75, -1
	s_mov_b32 s15, s23
	s_branch .LBB117_271
.LBB117_261:                            ;   in Loop: Header=BB117_15 Depth=1
	s_mov_b32 s10, 0
                                        ; implicit-def: $vgpr29
	s_and_saveexec_b32 s15, s9
	s_cbranch_execz .LBB117_270
; %bb.262:                              ;   in Loop: Header=BB117_15 Depth=1
	v_dual_mov_b32 v8, v7 :: v_dual_mov_b32 v1, v0
	s_mov_b32 s23, 0
                                        ; implicit-def: $sgpr75
	s_branch .LBB117_264
.LBB117_263:                            ;   in Loop: Header=BB117_264 Depth=2
	s_or_b32 exec_lo, exec_lo, s10
	s_waitcnt vmcnt(0) lgkmcnt(0)
	s_barrier
	buffer_gl0_inv
	ds_load_b32 v2, v9 offset:3072
	v_add_nc_u32_e32 v1, s33, v1
	v_add_nc_u32_e32 v8, s34, v8
	s_waitcnt lgkmcnt(0)
	s_barrier
	buffer_gl0_inv
	v_cmp_le_u32_e32 vcc_lo, s58, v1
	v_and_b32_e32 v3, 0x7fff, v2
	s_delay_alu instid0(VALU_DEP_1) | instskip(NEXT) | instid1(VALU_DEP_1)
	v_cmp_ne_u16_e64 s10, 0, v3
	s_or_b32 s76, vcc_lo, s10
	s_delay_alu instid0(SALU_CYCLE_1) | instskip(NEXT) | instid1(SALU_CYCLE_1)
	s_and_b32 s76, exec_lo, s76
	s_or_b32 s23, s76, s23
	s_and_not1_b32 s75, s75, exec_lo
	s_and_b32 s10, s10, exec_lo
	s_delay_alu instid0(SALU_CYCLE_1)
	s_or_b32 s75, s75, s10
	s_and_not1_b32 exec_lo, exec_lo, s23
	s_cbranch_execz .LBB117_269
.LBB117_264:                            ;   Parent Loop BB117_15 Depth=1
                                        ; =>  This Inner Loop Header: Depth=2
	s_delay_alu instid0(VALU_DEP_1)
	v_cmp_gt_u32_e32 vcc_lo, s24, v1
	v_mov_b32_e32 v2, 0
	s_and_saveexec_b32 s76, vcc_lo
	s_cbranch_execz .LBB117_266
; %bb.265:                              ;   in Loop: Header=BB117_264 Depth=2
	v_lshlrev_b64 v[2:3], 1, v[8:9]
	s_delay_alu instid0(VALU_DEP_1) | instskip(NEXT) | instid1(VALU_DEP_1)
	v_add_co_u32 v2, s10, s29, v2
	v_add_co_ci_u32_e64 v3, s10, s30, v3, s10
	global_load_u16 v2, v[2:3], off
.LBB117_266:                            ;   in Loop: Header=BB117_264 Depth=2
	s_or_b32 exec_lo, exec_lo, s76
	s_and_saveexec_b32 s10, vcc_lo
	s_cbranch_execz .LBB117_263
; %bb.267:                              ;   in Loop: Header=BB117_264 Depth=2
	s_waitcnt vmcnt(0)
	v_cmp_lt_i16_e32 vcc_lo, -1, v2
	v_and_b32_e32 v3, 0xffff, v2
	v_lshlrev_b32_e32 v29, 16, v2
	v_cndmask_b32_e32 v4, 0xffff, v26, vcc_lo
	s_delay_alu instid0(VALU_DEP_2) | instskip(NEXT) | instid1(VALU_DEP_2)
	v_cmp_o_f32_e32 vcc_lo, v29, v29
	v_xor_b32_e32 v3, v4, v3
	s_delay_alu instid0(VALU_DEP_1) | instskip(NEXT) | instid1(VALU_DEP_1)
	v_cndmask_b32_e32 v3, 0xffff, v3, vcc_lo
	v_and_b32_e32 v3, v3, v27
	s_delay_alu instid0(VALU_DEP_1)
	v_cmp_eq_u32_e32 vcc_lo, v3, v28
	s_and_b32 exec_lo, exec_lo, vcc_lo
	s_cbranch_execz .LBB117_263
; %bb.268:                              ;   in Loop: Header=BB117_264 Depth=2
	v_perm_b32 v2, v2, s63, 0x5040100
	ds_store_b32 v9, v2 offset:3072
	s_branch .LBB117_263
.LBB117_269:                            ;   in Loop: Header=BB117_15 Depth=1
	s_or_b32 exec_lo, exec_lo, s23
	v_lshrrev_b32_e32 v29, 16, v2
	s_and_b32 s10, s75, exec_lo
.LBB117_270:                            ;   in Loop: Header=BB117_15 Depth=1
	s_or_b32 exec_lo, exec_lo, s15
	s_mov_b32 s75, 0
	s_mov_b32 s23, -1
	s_mov_b32 s15, 0
.LBB117_271:                            ;   in Loop: Header=BB117_15 Depth=1
	s_or_not1_b32 s10, s10, exec_lo
.LBB117_272:                            ;   in Loop: Header=BB117_15 Depth=1
	s_or_b32 exec_lo, exec_lo, s21
                                        ; implicit-def: $vgpr8
                                        ; implicit-def: $vgpr4
                                        ; implicit-def: $vgpr1
                                        ; implicit-def: $vgpr2
                                        ; implicit-def: $vgpr3
	s_and_saveexec_b32 s21, s10
	s_cbranch_execz .LBB117_407
; %bb.273:                              ;   in Loop: Header=BB117_15 Depth=1
	v_mov_b32_e32 v4, 1
	v_mov_b32_e32 v8, 1
	s_xor_b32 s22, s22, -1
	s_mov_b32 s79, 0
	s_and_saveexec_b32 s10, s22
	s_cbranch_execz .LBB117_283
; %bb.274:                              ;   in Loop: Header=BB117_15 Depth=1
	s_mov_b32 s76, exec_lo
                                        ; implicit-def: $sgpr77
                                        ; implicit-def: $sgpr22
	v_cmpx_ge_u32_e64 s19, v30
	s_xor_b32 s76, exec_lo, s76
	s_cbranch_execz .LBB117_280
; %bb.275:                              ;   in Loop: Header=BB117_15 Depth=1
	ds_load_b32 v1, v9 offset:4096
	s_waitcnt lgkmcnt(0)
	v_cmp_ne_u32_e32 vcc_lo, 0, v1
	s_cbranch_vccnz .LBB117_279
; %bb.276:                              ;   in Loop: Header=BB117_15 Depth=1
	s_and_saveexec_b32 s22, s5
	s_cbranch_execz .LBB117_278
; %bb.277:                              ;   in Loop: Header=BB117_15 Depth=1
	v_mov_b32_e32 v1, s19
	ds_store_b32 v9, v1 offset:4100
.LBB117_278:                            ;   in Loop: Header=BB117_15 Depth=1
	s_or_b32 exec_lo, exec_lo, s22
	s_waitcnt lgkmcnt(0)
	s_barrier
	buffer_gl0_inv
.LBB117_279:                            ;   in Loop: Header=BB117_15 Depth=1
	v_or_b32_e32 v28, s13, v28
	v_or_b32_e32 v27, s13, v27
	s_mov_b32 s22, 0
	s_mov_b32 s77, 5
.LBB117_280:                            ;   in Loop: Header=BB117_15 Depth=1
	s_or_saveexec_b32 s76, s76
	v_mov_b32_e32 v8, s77
	s_xor_b32 exec_lo, exec_lo, s76
; %bb.281:                              ;   in Loop: Header=BB117_15 Depth=1
	v_subrev_nc_u32_e32 v30, s19, v30
	v_mov_b32_e32 v8, 0
	s_or_b32 s22, s22, exec_lo
; %bb.282:                              ;   in Loop: Header=BB117_15 Depth=1
	s_or_b32 exec_lo, exec_lo, s76
	s_delay_alu instid0(VALU_DEP_2)
	v_mov_b32_e32 v4, v30
	s_and_b32 s79, s22, exec_lo
.LBB117_283:                            ;   in Loop: Header=BB117_15 Depth=1
	s_or_b32 exec_lo, exec_lo, s10
	s_mov_b32 s77, -1
                                        ; implicit-def: $sgpr22
                                        ; implicit-def: $sgpr76
                                        ; implicit-def: $sgpr78
	s_and_saveexec_b32 s10, s79
	s_delay_alu instid0(SALU_CYCLE_1)
	s_xor_b32 s19, exec_lo, s10
	s_cbranch_execz .LBB117_404
; %bb.284:                              ;   in Loop: Header=BB117_15 Depth=1
	v_cmp_eq_u32_e32 vcc_lo, 1, v4
	s_cmp_eq_u32 s18, 1
                                        ; implicit-def: $sgpr22
                                        ; implicit-def: $sgpr76
                                        ; implicit-def: $sgpr77
	s_cselect_b32 s10, -1, 0
	s_delay_alu instid0(SALU_CYCLE_1)
	s_and_b32 s79, s10, vcc_lo
	s_mov_b32 s10, -1
	s_and_saveexec_b32 s78, s79
	s_cbranch_execz .LBB117_310
; %bb.285:                              ;   in Loop: Header=BB117_15 Depth=1
	ds_load_b32 v1, v9 offset:4096
	s_waitcnt lgkmcnt(0)
	s_barrier
	buffer_gl0_inv
	v_readfirstlane_b32 s22, v1
	s_and_saveexec_b32 s10, s6
	s_cbranch_execz .LBB117_287
; %bb.286:                              ;   in Loop: Header=BB117_15 Depth=1
	ds_store_b16 v19, v9
.LBB117_287:                            ;   in Loop: Header=BB117_15 Depth=1
	s_or_b32 exec_lo, exec_lo, s10
	s_lshl_b32 s10, 2, s17
	v_or_b32_e32 v27, s13, v27
	v_and_or_b32 v28, v28, s14, s10
	s_cmp_eq_u32 s22, 0
	s_waitcnt lgkmcnt(0)
	s_barrier
	buffer_gl0_inv
	s_cbranch_scc1 .LBB117_296
; %bb.288:                              ;   in Loop: Header=BB117_15 Depth=1
	s_add_i32 s10, s22, s50
                                        ; implicit-def: $vgpr29
	s_delay_alu instid0(SALU_CYCLE_1) | instskip(NEXT) | instid1(SALU_CYCLE_1)
	s_mul_hi_u32 s76, s10, s57
	s_mul_i32 s76, s76, s33
	s_delay_alu instid0(SALU_CYCLE_1) | instskip(NEXT) | instid1(SALU_CYCLE_1)
	s_sub_i32 s76, s10, s76
	s_sub_i32 s77, s76, s33
	s_cmp_ge_u32 s76, s33
	s_cselect_b32 s76, s77, s76
	s_delay_alu instid0(SALU_CYCLE_1) | instskip(SKIP_2) | instid1(SALU_CYCLE_1)
	s_sub_i32 s77, s76, s33
	s_cmp_ge_u32 s76, s33
	s_cselect_b32 s76, s77, s76
	s_sub_i32 s77, s10, s76
	s_mov_b32 s10, 0
	s_mov_b32 s76, exec_lo
	v_cmpx_gt_u32_e64 s77, v0
	s_cbranch_execz .LBB117_298
; %bb.289:                              ;   in Loop: Header=BB117_15 Depth=1
	v_dual_mov_b32 v1, v17 :: v_dual_mov_b32 v2, v0
	s_mov_b32 s80, 0
                                        ; implicit-def: $sgpr81
	s_branch .LBB117_291
.LBB117_290:                            ;   in Loop: Header=BB117_291 Depth=2
	s_or_b32 exec_lo, exec_lo, s10
	s_waitcnt lgkmcnt(0)
	s_barrier
	buffer_gl0_inv
	ds_load_b32 v3, v9 offset:3072
	v_add_nc_u32_e32 v2, s33, v2
	v_add_nc_u32_e32 v1, s61, v1
	s_waitcnt lgkmcnt(0)
	s_barrier
	buffer_gl0_inv
	v_cmp_le_u32_e32 vcc_lo, s77, v2
	v_and_b32_e32 v8, 0x7fff, v3
	s_delay_alu instid0(VALU_DEP_1) | instskip(NEXT) | instid1(VALU_DEP_1)
	v_cmp_ne_u16_e64 s10, 0, v8
	s_or_b32 s82, vcc_lo, s10
	s_delay_alu instid0(SALU_CYCLE_1) | instskip(NEXT) | instid1(SALU_CYCLE_1)
	s_and_b32 s82, exec_lo, s82
	s_or_b32 s80, s82, s80
	s_and_not1_b32 s81, s81, exec_lo
	s_and_b32 s10, s10, exec_lo
	s_delay_alu instid0(SALU_CYCLE_1)
	s_or_b32 s81, s81, s10
	s_and_not1_b32 exec_lo, exec_lo, s80
	s_cbranch_execz .LBB117_297
.LBB117_291:                            ;   Parent Loop BB117_15 Depth=1
                                        ; =>  This Inner Loop Header: Depth=2
	s_delay_alu instid0(VALU_DEP_1)
	v_cmp_gt_u32_e32 vcc_lo, s22, v2
	v_mov_b32_e32 v3, 0
	s_and_saveexec_b32 s10, vcc_lo
	s_cbranch_execz .LBB117_293
; %bb.292:                              ;   in Loop: Header=BB117_291 Depth=2
	ds_load_u16 v3, v1
.LBB117_293:                            ;   in Loop: Header=BB117_291 Depth=2
	s_or_b32 exec_lo, exec_lo, s10
	s_and_saveexec_b32 s10, vcc_lo
	s_cbranch_execz .LBB117_290
; %bb.294:                              ;   in Loop: Header=BB117_291 Depth=2
	s_waitcnt lgkmcnt(0)
	v_cmp_lt_i16_e32 vcc_lo, -1, v3
	v_and_b32_e32 v8, 0xffff, v3
	v_dual_cndmask_b32 v29, 0xffff, v26 :: v_dual_lshlrev_b32 v30, 16, v3
	s_delay_alu instid0(VALU_DEP_1) | instskip(NEXT) | instid1(VALU_DEP_2)
	v_cmp_o_f32_e32 vcc_lo, v30, v30
	v_xor_b32_e32 v8, v29, v8
	s_delay_alu instid0(VALU_DEP_1) | instskip(NEXT) | instid1(VALU_DEP_1)
	v_cndmask_b32_e32 v8, 0xffff, v8, vcc_lo
	v_and_b32_e32 v8, v8, v27
	s_delay_alu instid0(VALU_DEP_1)
	v_cmp_eq_u32_e32 vcc_lo, v8, v28
	s_and_b32 exec_lo, exec_lo, vcc_lo
	s_cbranch_execz .LBB117_290
; %bb.295:                              ;   in Loop: Header=BB117_291 Depth=2
	v_perm_b32 v3, v3, s63, 0x5040100
	ds_store_b32 v9, v3 offset:3072
	s_branch .LBB117_290
.LBB117_296:                            ;   in Loop: Header=BB117_15 Depth=1
	s_mov_b32 s22, -1
	s_mov_b32 s10, 0
                                        ; implicit-def: $sgpr76
                                        ; implicit-def: $vgpr29
	s_mov_b32 s77, s22
	s_cbranch_execnz .LBB117_299
	s_branch .LBB117_309
.LBB117_297:                            ;   in Loop: Header=BB117_15 Depth=1
	s_or_b32 exec_lo, exec_lo, s80
	v_lshrrev_b32_e32 v29, 16, v3
	s_and_b32 s10, s81, exec_lo
.LBB117_298:                            ;   in Loop: Header=BB117_15 Depth=1
	s_or_b32 exec_lo, exec_lo, s76
	s_mov_b32 s22, 0
	s_mov_b32 s76, -1
	s_mov_b32 s77, s22
	s_branch .LBB117_309
.LBB117_299:                            ;   in Loop: Header=BB117_15 Depth=1
	s_mov_b32 s10, 0
                                        ; implicit-def: $vgpr29
	s_and_saveexec_b32 s22, s9
	s_cbranch_execz .LBB117_308
; %bb.300:                              ;   in Loop: Header=BB117_15 Depth=1
	v_dual_mov_b32 v8, v7 :: v_dual_mov_b32 v1, v0
	s_mov_b32 s76, 0
                                        ; implicit-def: $sgpr77
	s_branch .LBB117_302
.LBB117_301:                            ;   in Loop: Header=BB117_302 Depth=2
	s_or_b32 exec_lo, exec_lo, s10
	s_waitcnt vmcnt(0) lgkmcnt(0)
	s_barrier
	buffer_gl0_inv
	ds_load_b32 v2, v9 offset:3072
	v_add_nc_u32_e32 v1, s33, v1
	v_add_nc_u32_e32 v8, s34, v8
	s_waitcnt lgkmcnt(0)
	s_barrier
	buffer_gl0_inv
	v_cmp_le_u32_e32 vcc_lo, s58, v1
	v_and_b32_e32 v3, 0x7fff, v2
	s_delay_alu instid0(VALU_DEP_1) | instskip(NEXT) | instid1(VALU_DEP_1)
	v_cmp_ne_u16_e64 s10, 0, v3
	s_or_b32 s80, vcc_lo, s10
	s_delay_alu instid0(SALU_CYCLE_1) | instskip(NEXT) | instid1(SALU_CYCLE_1)
	s_and_b32 s80, exec_lo, s80
	s_or_b32 s76, s80, s76
	s_and_not1_b32 s77, s77, exec_lo
	s_and_b32 s10, s10, exec_lo
	s_delay_alu instid0(SALU_CYCLE_1)
	s_or_b32 s77, s77, s10
	s_and_not1_b32 exec_lo, exec_lo, s76
	s_cbranch_execz .LBB117_307
.LBB117_302:                            ;   Parent Loop BB117_15 Depth=1
                                        ; =>  This Inner Loop Header: Depth=2
	s_delay_alu instid0(VALU_DEP_1)
	v_cmp_gt_u32_e32 vcc_lo, s24, v1
	v_mov_b32_e32 v2, 0
	s_and_saveexec_b32 s80, vcc_lo
	s_cbranch_execz .LBB117_304
; %bb.303:                              ;   in Loop: Header=BB117_302 Depth=2
	v_lshlrev_b64 v[2:3], 1, v[8:9]
	s_delay_alu instid0(VALU_DEP_1) | instskip(NEXT) | instid1(VALU_DEP_1)
	v_add_co_u32 v2, s10, s29, v2
	v_add_co_ci_u32_e64 v3, s10, s30, v3, s10
	global_load_u16 v2, v[2:3], off
.LBB117_304:                            ;   in Loop: Header=BB117_302 Depth=2
	s_or_b32 exec_lo, exec_lo, s80
	s_and_saveexec_b32 s10, vcc_lo
	s_cbranch_execz .LBB117_301
; %bb.305:                              ;   in Loop: Header=BB117_302 Depth=2
	s_waitcnt vmcnt(0)
	v_cmp_lt_i16_e32 vcc_lo, -1, v2
	v_and_b32_e32 v3, 0xffff, v2
	v_cndmask_b32_e32 v29, 0xffff, v26, vcc_lo
	s_delay_alu instid0(VALU_DEP_1) | instskip(SKIP_1) | instid1(VALU_DEP_1)
	v_xor_b32_e32 v3, v29, v3
	v_lshlrev_b32_e32 v30, 16, v2
	v_cmp_o_f32_e32 vcc_lo, v30, v30
	s_delay_alu instid0(VALU_DEP_3) | instskip(NEXT) | instid1(VALU_DEP_1)
	v_cndmask_b32_e32 v3, 0xffff, v3, vcc_lo
	v_and_b32_e32 v3, v3, v27
	s_delay_alu instid0(VALU_DEP_1)
	v_cmp_eq_u32_e32 vcc_lo, v3, v28
	s_and_b32 exec_lo, exec_lo, vcc_lo
	s_cbranch_execz .LBB117_301
; %bb.306:                              ;   in Loop: Header=BB117_302 Depth=2
	v_perm_b32 v2, v2, s63, 0x5040100
	ds_store_b32 v9, v2 offset:3072
	s_branch .LBB117_301
.LBB117_307:                            ;   in Loop: Header=BB117_15 Depth=1
	s_or_b32 exec_lo, exec_lo, s76
	v_lshrrev_b32_e32 v29, 16, v2
	s_and_b32 s10, s77, exec_lo
.LBB117_308:                            ;   in Loop: Header=BB117_15 Depth=1
	s_or_b32 exec_lo, exec_lo, s22
	s_mov_b32 s76, 0
	s_mov_b32 s22, -1
	s_mov_b32 s77, 0
.LBB117_309:                            ;   in Loop: Header=BB117_15 Depth=1
	s_or_not1_b32 s10, s10, exec_lo
.LBB117_310:                            ;   in Loop: Header=BB117_15 Depth=1
	s_or_b32 exec_lo, exec_lo, s78
	s_mov_b32 s80, 0
                                        ; implicit-def: $vgpr8
	s_and_saveexec_b32 s78, s10
	s_cbranch_execz .LBB117_403
; %bb.311:                              ;   in Loop: Header=BB117_15 Depth=1
	v_dual_mov_b32 v1, 1 :: v_dual_mov_b32 v8, 1
	s_xor_b32 s79, s79, -1
	s_mov_b32 s81, 0
	s_and_saveexec_b32 s10, s79
	s_cbranch_execz .LBB117_321
; %bb.312:                              ;   in Loop: Header=BB117_15 Depth=1
	s_mov_b32 s80, exec_lo
                                        ; implicit-def: $sgpr81
                                        ; implicit-def: $sgpr79
	v_cmpx_ge_u32_e64 s18, v4
	s_xor_b32 s80, exec_lo, s80
	s_cbranch_execz .LBB117_318
; %bb.313:                              ;   in Loop: Header=BB117_15 Depth=1
	ds_load_b32 v1, v9 offset:4096
	s_waitcnt lgkmcnt(0)
	v_cmp_ne_u32_e32 vcc_lo, 0, v1
	s_cbranch_vccnz .LBB117_317
; %bb.314:                              ;   in Loop: Header=BB117_15 Depth=1
	s_and_saveexec_b32 s79, s5
	s_cbranch_execz .LBB117_316
; %bb.315:                              ;   in Loop: Header=BB117_15 Depth=1
	v_mov_b32_e32 v1, s18
	ds_store_b32 v9, v1 offset:4100
.LBB117_316:                            ;   in Loop: Header=BB117_15 Depth=1
	s_or_b32 exec_lo, exec_lo, s79
	s_waitcnt lgkmcnt(0)
	s_barrier
	buffer_gl0_inv
.LBB117_317:                            ;   in Loop: Header=BB117_15 Depth=1
	s_lshl_b32 s79, 2, s17
	v_or_b32_e32 v27, s13, v27
	v_and_or_b32 v28, v28, s14, s79
	s_mov_b32 s79, 0
	s_mov_b32 s81, 5
.LBB117_318:                            ;   in Loop: Header=BB117_15 Depth=1
	s_or_saveexec_b32 s80, s80
	v_mov_b32_e32 v8, s81
	s_xor_b32 exec_lo, exec_lo, s80
; %bb.319:                              ;   in Loop: Header=BB117_15 Depth=1
	v_subrev_nc_u32_e32 v4, s18, v4
	v_mov_b32_e32 v8, 0
	s_or_b32 s79, s79, exec_lo
; %bb.320:                              ;   in Loop: Header=BB117_15 Depth=1
	s_or_b32 exec_lo, exec_lo, s80
	s_delay_alu instid0(VALU_DEP_2)
	v_mov_b32_e32 v1, v4
	s_and_b32 s81, s79, exec_lo
.LBB117_321:                            ;   in Loop: Header=BB117_15 Depth=1
	s_or_b32 exec_lo, exec_lo, s10
	s_mov_b32 s10, -1
                                        ; implicit-def: $sgpr79
                                        ; implicit-def: $sgpr80
                                        ; implicit-def: $sgpr82
	s_and_saveexec_b32 s18, s81
	s_cbranch_execz .LBB117_402
; %bb.322:                              ;   in Loop: Header=BB117_15 Depth=1
	v_cmp_eq_u32_e32 vcc_lo, 1, v1
	s_cmp_eq_u32 s16, 1
                                        ; implicit-def: $sgpr79
                                        ; implicit-def: $sgpr80
                                        ; implicit-def: $sgpr81
	s_cselect_b32 s10, -1, 0
	s_delay_alu instid0(SALU_CYCLE_1)
	s_and_b32 s83, s10, vcc_lo
	s_mov_b32 s10, -1
	s_and_saveexec_b32 s82, s83
	s_cbranch_execz .LBB117_348
; %bb.323:                              ;   in Loop: Header=BB117_15 Depth=1
	ds_load_b32 v2, v9 offset:4096
	s_waitcnt lgkmcnt(0)
	s_barrier
	buffer_gl0_inv
	v_readfirstlane_b32 s79, v2
	s_and_saveexec_b32 s10, s6
	s_cbranch_execz .LBB117_325
; %bb.324:                              ;   in Loop: Header=BB117_15 Depth=1
	ds_store_b16 v19, v9
.LBB117_325:                            ;   in Loop: Header=BB117_15 Depth=1
	s_or_b32 exec_lo, exec_lo, s10
	s_lshl_b32 s10, 1, s17
	v_or_b32_e32 v27, s13, v27
	v_and_or_b32 v28, v28, s14, s10
	s_cmp_eq_u32 s79, 0
	s_waitcnt lgkmcnt(0)
	s_barrier
	buffer_gl0_inv
	s_cbranch_scc1 .LBB117_334
; %bb.326:                              ;   in Loop: Header=BB117_15 Depth=1
	s_add_i32 s10, s79, s50
                                        ; implicit-def: $vgpr29
	s_delay_alu instid0(SALU_CYCLE_1) | instskip(NEXT) | instid1(SALU_CYCLE_1)
	s_mul_hi_u32 s80, s10, s57
	s_mul_i32 s80, s80, s33
	s_delay_alu instid0(SALU_CYCLE_1) | instskip(NEXT) | instid1(SALU_CYCLE_1)
	s_sub_i32 s80, s10, s80
	s_sub_i32 s81, s80, s33
	s_cmp_ge_u32 s80, s33
	s_cselect_b32 s80, s81, s80
	s_delay_alu instid0(SALU_CYCLE_1) | instskip(SKIP_2) | instid1(SALU_CYCLE_1)
	s_sub_i32 s81, s80, s33
	s_cmp_ge_u32 s80, s33
	s_cselect_b32 s80, s81, s80
	s_sub_i32 s81, s10, s80
	s_mov_b32 s10, 0
	s_mov_b32 s80, exec_lo
	v_cmpx_gt_u32_e64 s81, v0
	s_cbranch_execz .LBB117_336
; %bb.327:                              ;   in Loop: Header=BB117_15 Depth=1
	v_dual_mov_b32 v2, v17 :: v_dual_mov_b32 v3, v0
	s_mov_b32 s84, 0
                                        ; implicit-def: $sgpr85
	s_branch .LBB117_329
.LBB117_328:                            ;   in Loop: Header=BB117_329 Depth=2
	s_or_b32 exec_lo, exec_lo, s10
	s_waitcnt lgkmcnt(0)
	s_barrier
	buffer_gl0_inv
	ds_load_b32 v4, v9 offset:3072
	v_add_nc_u32_e32 v3, s33, v3
	v_add_nc_u32_e32 v2, s61, v2
	s_waitcnt lgkmcnt(0)
	s_barrier
	buffer_gl0_inv
	v_cmp_le_u32_e32 vcc_lo, s81, v3
	v_and_b32_e32 v8, 0x7fff, v4
	s_delay_alu instid0(VALU_DEP_1) | instskip(NEXT) | instid1(VALU_DEP_1)
	v_cmp_ne_u16_e64 s10, 0, v8
	s_or_b32 s86, vcc_lo, s10
	s_delay_alu instid0(SALU_CYCLE_1) | instskip(NEXT) | instid1(SALU_CYCLE_1)
	s_and_b32 s86, exec_lo, s86
	s_or_b32 s84, s86, s84
	s_and_not1_b32 s85, s85, exec_lo
	s_and_b32 s10, s10, exec_lo
	s_delay_alu instid0(SALU_CYCLE_1)
	s_or_b32 s85, s85, s10
	s_and_not1_b32 exec_lo, exec_lo, s84
	s_cbranch_execz .LBB117_335
.LBB117_329:                            ;   Parent Loop BB117_15 Depth=1
                                        ; =>  This Inner Loop Header: Depth=2
	s_delay_alu instid0(VALU_DEP_1)
	v_cmp_gt_u32_e32 vcc_lo, s79, v3
	v_mov_b32_e32 v4, 0
	s_and_saveexec_b32 s10, vcc_lo
	s_cbranch_execz .LBB117_331
; %bb.330:                              ;   in Loop: Header=BB117_329 Depth=2
	ds_load_u16 v4, v2
.LBB117_331:                            ;   in Loop: Header=BB117_329 Depth=2
	s_or_b32 exec_lo, exec_lo, s10
	s_and_saveexec_b32 s10, vcc_lo
	s_cbranch_execz .LBB117_328
; %bb.332:                              ;   in Loop: Header=BB117_329 Depth=2
	s_waitcnt lgkmcnt(0)
	v_cmp_lt_i16_e32 vcc_lo, -1, v4
	v_and_b32_e32 v8, 0xffff, v4
	v_dual_cndmask_b32 v29, 0xffff, v26 :: v_dual_lshlrev_b32 v30, 16, v4
	s_delay_alu instid0(VALU_DEP_1) | instskip(NEXT) | instid1(VALU_DEP_2)
	v_cmp_o_f32_e32 vcc_lo, v30, v30
	v_xor_b32_e32 v8, v29, v8
	s_delay_alu instid0(VALU_DEP_1) | instskip(NEXT) | instid1(VALU_DEP_1)
	v_cndmask_b32_e32 v8, 0xffff, v8, vcc_lo
	v_and_b32_e32 v8, v8, v27
	s_delay_alu instid0(VALU_DEP_1)
	v_cmp_eq_u32_e32 vcc_lo, v8, v28
	s_and_b32 exec_lo, exec_lo, vcc_lo
	s_cbranch_execz .LBB117_328
; %bb.333:                              ;   in Loop: Header=BB117_329 Depth=2
	v_perm_b32 v4, v4, s63, 0x5040100
	ds_store_b32 v9, v4 offset:3072
	s_branch .LBB117_328
.LBB117_334:                            ;   in Loop: Header=BB117_15 Depth=1
	s_mov_b32 s79, -1
	s_mov_b32 s10, 0
                                        ; implicit-def: $sgpr80
                                        ; implicit-def: $vgpr29
	s_mov_b32 s81, s79
	s_cbranch_execnz .LBB117_337
	s_branch .LBB117_347
.LBB117_335:                            ;   in Loop: Header=BB117_15 Depth=1
	s_or_b32 exec_lo, exec_lo, s84
	v_lshrrev_b32_e32 v29, 16, v4
	s_and_b32 s10, s85, exec_lo
.LBB117_336:                            ;   in Loop: Header=BB117_15 Depth=1
	s_or_b32 exec_lo, exec_lo, s80
	s_mov_b32 s79, 0
	s_mov_b32 s80, -1
	s_mov_b32 s81, s79
	s_branch .LBB117_347
.LBB117_337:                            ;   in Loop: Header=BB117_15 Depth=1
	s_mov_b32 s10, 0
                                        ; implicit-def: $vgpr29
	s_and_saveexec_b32 s79, s9
	s_cbranch_execz .LBB117_346
; %bb.338:                              ;   in Loop: Header=BB117_15 Depth=1
	v_mov_b32_e32 v8, v7
	v_mov_b32_e32 v2, v0
	s_mov_b32 s80, 0
                                        ; implicit-def: $sgpr81
	s_branch .LBB117_340
.LBB117_339:                            ;   in Loop: Header=BB117_340 Depth=2
	s_or_b32 exec_lo, exec_lo, s10
	s_waitcnt vmcnt(0) lgkmcnt(0)
	s_barrier
	buffer_gl0_inv
	ds_load_b32 v3, v9 offset:3072
	v_add_nc_u32_e32 v2, s33, v2
	v_add_nc_u32_e32 v8, s34, v8
	s_waitcnt lgkmcnt(0)
	s_barrier
	buffer_gl0_inv
	v_cmp_le_u32_e32 vcc_lo, s58, v2
	v_and_b32_e32 v4, 0x7fff, v3
	s_delay_alu instid0(VALU_DEP_1) | instskip(NEXT) | instid1(VALU_DEP_1)
	v_cmp_ne_u16_e64 s10, 0, v4
	s_or_b32 s84, vcc_lo, s10
	s_delay_alu instid0(SALU_CYCLE_1) | instskip(NEXT) | instid1(SALU_CYCLE_1)
	s_and_b32 s84, exec_lo, s84
	s_or_b32 s80, s84, s80
	s_and_not1_b32 s81, s81, exec_lo
	s_and_b32 s10, s10, exec_lo
	s_delay_alu instid0(SALU_CYCLE_1)
	s_or_b32 s81, s81, s10
	s_and_not1_b32 exec_lo, exec_lo, s80
	s_cbranch_execz .LBB117_345
.LBB117_340:                            ;   Parent Loop BB117_15 Depth=1
                                        ; =>  This Inner Loop Header: Depth=2
	s_delay_alu instid0(VALU_DEP_1)
	v_cmp_gt_u32_e32 vcc_lo, s24, v2
	v_mov_b32_e32 v3, 0
	s_and_saveexec_b32 s84, vcc_lo
	s_cbranch_execz .LBB117_342
; %bb.341:                              ;   in Loop: Header=BB117_340 Depth=2
	v_lshlrev_b64 v[3:4], 1, v[8:9]
	s_delay_alu instid0(VALU_DEP_1) | instskip(NEXT) | instid1(VALU_DEP_1)
	v_add_co_u32 v3, s10, s29, v3
	v_add_co_ci_u32_e64 v4, s10, s30, v4, s10
	global_load_u16 v3, v[3:4], off
.LBB117_342:                            ;   in Loop: Header=BB117_340 Depth=2
	s_or_b32 exec_lo, exec_lo, s84
	s_and_saveexec_b32 s10, vcc_lo
	s_cbranch_execz .LBB117_339
; %bb.343:                              ;   in Loop: Header=BB117_340 Depth=2
	s_waitcnt vmcnt(0)
	v_cmp_lt_i16_e32 vcc_lo, -1, v3
	v_and_b32_e32 v4, 0xffff, v3
	v_dual_cndmask_b32 v29, 0xffff, v26 :: v_dual_lshlrev_b32 v30, 16, v3
	s_delay_alu instid0(VALU_DEP_1) | instskip(NEXT) | instid1(VALU_DEP_2)
	v_cmp_o_f32_e32 vcc_lo, v30, v30
	v_xor_b32_e32 v4, v29, v4
	s_delay_alu instid0(VALU_DEP_1) | instskip(NEXT) | instid1(VALU_DEP_1)
	v_cndmask_b32_e32 v4, 0xffff, v4, vcc_lo
	v_and_b32_e32 v4, v4, v27
	s_delay_alu instid0(VALU_DEP_1)
	v_cmp_eq_u32_e32 vcc_lo, v4, v28
	s_and_b32 exec_lo, exec_lo, vcc_lo
	s_cbranch_execz .LBB117_339
; %bb.344:                              ;   in Loop: Header=BB117_340 Depth=2
	v_perm_b32 v3, v3, s63, 0x5040100
	ds_store_b32 v9, v3 offset:3072
	s_branch .LBB117_339
.LBB117_345:                            ;   in Loop: Header=BB117_15 Depth=1
	s_or_b32 exec_lo, exec_lo, s80
	v_lshrrev_b32_e32 v29, 16, v3
	s_and_b32 s10, s81, exec_lo
.LBB117_346:                            ;   in Loop: Header=BB117_15 Depth=1
	s_or_b32 exec_lo, exec_lo, s79
	s_mov_b32 s80, 0
	s_mov_b32 s79, -1
	s_mov_b32 s81, 0
.LBB117_347:                            ;   in Loop: Header=BB117_15 Depth=1
	s_or_not1_b32 s10, s10, exec_lo
.LBB117_348:                            ;   in Loop: Header=BB117_15 Depth=1
	s_or_b32 exec_lo, exec_lo, s82
	s_mov_b32 s84, 0
                                        ; implicit-def: $vgpr8
	s_and_saveexec_b32 s82, s10
	s_cbranch_execz .LBB117_401
; %bb.349:                              ;   in Loop: Header=BB117_15 Depth=1
	v_mov_b32_e32 v2, 1
	v_mov_b32_e32 v8, 1
	s_xor_b32 s84, s83, -1
	s_mov_b32 s83, 0
	s_and_saveexec_b32 s10, s84
	s_cbranch_execz .LBB117_359
; %bb.350:                              ;   in Loop: Header=BB117_15 Depth=1
	s_mov_b32 s84, exec_lo
                                        ; implicit-def: $sgpr85
                                        ; implicit-def: $sgpr83
	v_cmpx_ge_u32_e64 s16, v1
	s_xor_b32 s84, exec_lo, s84
	s_cbranch_execz .LBB117_356
; %bb.351:                              ;   in Loop: Header=BB117_15 Depth=1
	ds_load_b32 v2, v9 offset:4096
	s_waitcnt lgkmcnt(0)
	v_cmp_ne_u32_e32 vcc_lo, 0, v2
	s_cbranch_vccnz .LBB117_355
; %bb.352:                              ;   in Loop: Header=BB117_15 Depth=1
	s_and_saveexec_b32 s83, s5
	s_cbranch_execz .LBB117_354
; %bb.353:                              ;   in Loop: Header=BB117_15 Depth=1
	v_mov_b32_e32 v2, s16
	ds_store_b32 v9, v2 offset:4100
.LBB117_354:                            ;   in Loop: Header=BB117_15 Depth=1
	s_or_b32 exec_lo, exec_lo, s83
	s_waitcnt lgkmcnt(0)
	s_barrier
	buffer_gl0_inv
.LBB117_355:                            ;   in Loop: Header=BB117_15 Depth=1
	s_lshl_b32 s17, 1, s17
	v_or_b32_e32 v27, s13, v27
	v_and_or_b32 v28, v28, s14, s17
	s_mov_b32 s83, 0
	s_mov_b32 s85, 5
.LBB117_356:                            ;   in Loop: Header=BB117_15 Depth=1
	s_or_saveexec_b32 s17, s84
	v_mov_b32_e32 v8, s85
	s_xor_b32 exec_lo, exec_lo, s17
; %bb.357:                              ;   in Loop: Header=BB117_15 Depth=1
	v_subrev_nc_u32_e32 v1, s16, v1
	v_mov_b32_e32 v8, 0
	s_or_b32 s83, s83, exec_lo
; %bb.358:                              ;   in Loop: Header=BB117_15 Depth=1
	s_or_b32 exec_lo, exec_lo, s17
	s_delay_alu instid0(VALU_DEP_2)
	v_mov_b32_e32 v2, v1
	s_and_b32 s83, s83, exec_lo
.LBB117_359:                            ;   in Loop: Header=BB117_15 Depth=1
	s_or_b32 exec_lo, exec_lo, s10
	s_mov_b32 s17, -1
                                        ; implicit-def: $sgpr10
                                        ; implicit-def: $sgpr84
                                        ; implicit-def: $sgpr85
	s_and_saveexec_b32 s16, s83
	s_cbranch_execz .LBB117_400
; %bb.360:                              ;   in Loop: Header=BB117_15 Depth=1
	v_cmp_eq_u32_e32 vcc_lo, 1, v2
	s_cmp_eq_u32 s12, 1
	s_mov_b32 s86, -1
	s_cselect_b32 s10, -1, 0
                                        ; implicit-def: $sgpr84
                                        ; implicit-def: $sgpr85
	s_delay_alu instid0(SALU_CYCLE_1) | instskip(NEXT) | instid1(SALU_CYCLE_1)
	s_and_b32 s17, s10, vcc_lo
                                        ; implicit-def: $sgpr10
	s_and_saveexec_b32 s83, s17
	s_cbranch_execz .LBB117_387
; %bb.361:                              ;   in Loop: Header=BB117_15 Depth=1
	ds_load_b32 v1, v9 offset:4096
	s_waitcnt lgkmcnt(0)
	s_barrier
	buffer_gl0_inv
	v_readfirstlane_b32 s84, v1
	s_and_saveexec_b32 s10, s6
	s_cbranch_execz .LBB117_363
; %bb.362:                              ;   in Loop: Header=BB117_15 Depth=1
	ds_store_b16 v19, v9
.LBB117_363:                            ;   in Loop: Header=BB117_15 Depth=1
	s_or_b32 exec_lo, exec_lo, s10
	v_and_b32_e32 v28, s14, v28
	v_or_b32_e32 v27, s13, v27
	s_cmp_eq_u32 s84, 0
	s_waitcnt lgkmcnt(0)
	s_barrier
	buffer_gl0_inv
	s_cbranch_scc1 .LBB117_372
; %bb.364:                              ;   in Loop: Header=BB117_15 Depth=1
	s_add_i32 s10, s84, s50
	s_mov_b32 s87, 0
	s_mul_hi_u32 s85, s10, s57
                                        ; implicit-def: $vgpr29
	s_delay_alu instid0(SALU_CYCLE_1) | instskip(NEXT) | instid1(SALU_CYCLE_1)
	s_mul_i32 s85, s85, s33
	s_sub_i32 s85, s10, s85
	s_delay_alu instid0(SALU_CYCLE_1) | instskip(SKIP_2) | instid1(SALU_CYCLE_1)
	s_sub_i32 s86, s85, s33
	s_cmp_ge_u32 s85, s33
	s_cselect_b32 s85, s86, s85
	s_sub_i32 s86, s85, s33
	s_cmp_ge_u32 s85, s33
	s_cselect_b32 s85, s86, s85
	s_delay_alu instid0(SALU_CYCLE_1)
	s_sub_i32 s86, s10, s85
	s_mov_b32 s85, exec_lo
	v_cmpx_gt_u32_e64 s86, v0
	s_cbranch_execz .LBB117_374
; %bb.365:                              ;   in Loop: Header=BB117_15 Depth=1
	v_mov_b32_e32 v1, v17
	v_mov_b32_e32 v3, v0
                                        ; implicit-def: $sgpr88
	s_branch .LBB117_367
.LBB117_366:                            ;   in Loop: Header=BB117_367 Depth=2
	s_or_b32 exec_lo, exec_lo, s10
	s_waitcnt lgkmcnt(0)
	s_barrier
	buffer_gl0_inv
	ds_load_b32 v4, v9 offset:3072
	v_add_nc_u32_e32 v3, s33, v3
	v_add_nc_u32_e32 v1, s61, v1
	s_waitcnt lgkmcnt(0)
	s_barrier
	buffer_gl0_inv
	v_cmp_le_u32_e32 vcc_lo, s86, v3
	v_and_b32_e32 v8, 0x7fff, v4
	s_delay_alu instid0(VALU_DEP_1) | instskip(NEXT) | instid1(VALU_DEP_1)
	v_cmp_ne_u16_e64 s10, 0, v8
	s_or_b32 s89, vcc_lo, s10
	s_delay_alu instid0(SALU_CYCLE_1) | instskip(NEXT) | instid1(SALU_CYCLE_1)
	s_and_b32 s89, exec_lo, s89
	s_or_b32 s87, s89, s87
	s_and_not1_b32 s88, s88, exec_lo
	s_and_b32 s10, s10, exec_lo
	s_delay_alu instid0(SALU_CYCLE_1)
	s_or_b32 s88, s88, s10
	s_and_not1_b32 exec_lo, exec_lo, s87
	s_cbranch_execz .LBB117_373
.LBB117_367:                            ;   Parent Loop BB117_15 Depth=1
                                        ; =>  This Inner Loop Header: Depth=2
	s_delay_alu instid0(VALU_DEP_1)
	v_cmp_gt_u32_e32 vcc_lo, s84, v3
	v_mov_b32_e32 v4, 0
	s_and_saveexec_b32 s10, vcc_lo
	s_cbranch_execz .LBB117_369
; %bb.368:                              ;   in Loop: Header=BB117_367 Depth=2
	ds_load_u16 v4, v1
.LBB117_369:                            ;   in Loop: Header=BB117_367 Depth=2
	s_or_b32 exec_lo, exec_lo, s10
	s_and_saveexec_b32 s10, vcc_lo
	s_cbranch_execz .LBB117_366
; %bb.370:                              ;   in Loop: Header=BB117_367 Depth=2
	s_waitcnt lgkmcnt(0)
	v_cmp_lt_i16_e32 vcc_lo, -1, v4
	v_and_b32_e32 v8, 0xffff, v4
	v_dual_cndmask_b32 v29, 0xffff, v26 :: v_dual_lshlrev_b32 v30, 16, v4
	s_delay_alu instid0(VALU_DEP_1) | instskip(NEXT) | instid1(VALU_DEP_2)
	v_cmp_o_f32_e32 vcc_lo, v30, v30
	v_xor_b32_e32 v8, v29, v8
	s_delay_alu instid0(VALU_DEP_1) | instskip(NEXT) | instid1(VALU_DEP_1)
	v_cndmask_b32_e32 v8, 0xffff, v8, vcc_lo
	v_and_b32_e32 v8, v8, v27
	s_delay_alu instid0(VALU_DEP_1)
	v_cmp_eq_u32_e32 vcc_lo, v8, v28
	s_and_b32 exec_lo, exec_lo, vcc_lo
	s_cbranch_execz .LBB117_366
; %bb.371:                              ;   in Loop: Header=BB117_367 Depth=2
	v_perm_b32 v4, v4, s63, 0x5040100
	ds_store_b32 v9, v4 offset:3072
	s_branch .LBB117_366
.LBB117_372:                            ;   in Loop: Header=BB117_15 Depth=1
	s_mov_b32 s10, -1
	s_mov_b32 s87, 0
                                        ; implicit-def: $sgpr84
                                        ; implicit-def: $vgpr29
	s_branch .LBB117_375
.LBB117_373:                            ;   in Loop: Header=BB117_15 Depth=1
	s_or_b32 exec_lo, exec_lo, s87
	v_lshrrev_b32_e32 v29, 16, v4
	s_and_b32 s87, s88, exec_lo
.LBB117_374:                            ;   in Loop: Header=BB117_15 Depth=1
	s_or_b32 exec_lo, exec_lo, s85
	s_mov_b32 s10, 0
	s_mov_b32 s84, -1
.LBB117_375:                            ;   in Loop: Header=BB117_15 Depth=1
	s_and_b32 vcc_lo, exec_lo, s10
	s_mov_b32 s85, s10
	s_cbranch_vccz .LBB117_386
; %bb.376:                              ;   in Loop: Header=BB117_15 Depth=1
	s_mov_b32 s87, 0
                                        ; implicit-def: $vgpr29
	s_and_saveexec_b32 s84, s9
	s_cbranch_execz .LBB117_385
; %bb.377:                              ;   in Loop: Header=BB117_15 Depth=1
	v_dual_mov_b32 v8, v7 :: v_dual_mov_b32 v1, v0
	s_mov_b32 s85, 0
                                        ; implicit-def: $sgpr86
	s_branch .LBB117_379
.LBB117_378:                            ;   in Loop: Header=BB117_379 Depth=2
	s_or_b32 exec_lo, exec_lo, s10
	s_waitcnt vmcnt(0) lgkmcnt(0)
	s_barrier
	buffer_gl0_inv
	ds_load_b32 v3, v9 offset:3072
	v_add_nc_u32_e32 v1, s33, v1
	v_add_nc_u32_e32 v8, s34, v8
	s_waitcnt lgkmcnt(0)
	s_barrier
	buffer_gl0_inv
	v_cmp_le_u32_e32 vcc_lo, s58, v1
	v_and_b32_e32 v4, 0x7fff, v3
	s_delay_alu instid0(VALU_DEP_1) | instskip(NEXT) | instid1(VALU_DEP_1)
	v_cmp_ne_u16_e64 s10, 0, v4
	s_or_b32 s87, vcc_lo, s10
	s_delay_alu instid0(SALU_CYCLE_1) | instskip(NEXT) | instid1(SALU_CYCLE_1)
	s_and_b32 s87, exec_lo, s87
	s_or_b32 s85, s87, s85
	s_and_not1_b32 s86, s86, exec_lo
	s_and_b32 s10, s10, exec_lo
	s_delay_alu instid0(SALU_CYCLE_1)
	s_or_b32 s86, s86, s10
	s_and_not1_b32 exec_lo, exec_lo, s85
	s_cbranch_execz .LBB117_384
.LBB117_379:                            ;   Parent Loop BB117_15 Depth=1
                                        ; =>  This Inner Loop Header: Depth=2
	s_delay_alu instid0(VALU_DEP_1)
	v_cmp_gt_u32_e32 vcc_lo, s24, v1
	v_mov_b32_e32 v3, 0
	s_and_saveexec_b32 s87, vcc_lo
	s_cbranch_execz .LBB117_381
; %bb.380:                              ;   in Loop: Header=BB117_379 Depth=2
	v_lshlrev_b64 v[3:4], 1, v[8:9]
	s_delay_alu instid0(VALU_DEP_1) | instskip(NEXT) | instid1(VALU_DEP_1)
	v_add_co_u32 v3, s10, s29, v3
	v_add_co_ci_u32_e64 v4, s10, s30, v4, s10
	global_load_u16 v3, v[3:4], off
.LBB117_381:                            ;   in Loop: Header=BB117_379 Depth=2
	s_or_b32 exec_lo, exec_lo, s87
	s_and_saveexec_b32 s10, vcc_lo
	s_cbranch_execz .LBB117_378
; %bb.382:                              ;   in Loop: Header=BB117_379 Depth=2
	s_waitcnt vmcnt(0)
	v_cmp_lt_i16_e32 vcc_lo, -1, v3
	v_and_b32_e32 v4, 0xffff, v3
	v_dual_cndmask_b32 v29, 0xffff, v26 :: v_dual_lshlrev_b32 v30, 16, v3
	s_delay_alu instid0(VALU_DEP_1) | instskip(NEXT) | instid1(VALU_DEP_2)
	v_cmp_o_f32_e32 vcc_lo, v30, v30
	v_xor_b32_e32 v4, v29, v4
	s_delay_alu instid0(VALU_DEP_1) | instskip(NEXT) | instid1(VALU_DEP_1)
	v_cndmask_b32_e32 v4, 0xffff, v4, vcc_lo
	v_and_b32_e32 v4, v4, v27
	s_delay_alu instid0(VALU_DEP_1)
	v_cmp_eq_u32_e32 vcc_lo, v4, v28
	s_and_b32 exec_lo, exec_lo, vcc_lo
	s_cbranch_execz .LBB117_378
; %bb.383:                              ;   in Loop: Header=BB117_379 Depth=2
	v_perm_b32 v3, v3, s63, 0x5040100
	ds_store_b32 v9, v3 offset:3072
	s_branch .LBB117_378
.LBB117_384:                            ;   in Loop: Header=BB117_15 Depth=1
	s_or_b32 exec_lo, exec_lo, s85
	v_lshrrev_b32_e32 v29, 16, v3
	s_and_b32 s87, s86, exec_lo
.LBB117_385:                            ;   in Loop: Header=BB117_15 Depth=1
	s_or_b32 exec_lo, exec_lo, s84
	s_mov_b32 s84, 0
	s_mov_b32 s10, -1
	s_mov_b32 s85, 0
.LBB117_386:                            ;   in Loop: Header=BB117_15 Depth=1
	s_or_not1_b32 s86, s87, exec_lo
.LBB117_387:                            ;   in Loop: Header=BB117_15 Depth=1
	s_or_b32 exec_lo, exec_lo, s83
	s_mov_b32 s87, 0
                                        ; implicit-def: $vgpr8
                                        ; implicit-def: $vgpr1
	s_and_saveexec_b32 s83, s86
	s_cbranch_execz .LBB117_399
; %bb.388:                              ;   in Loop: Header=BB117_15 Depth=1
	v_dual_mov_b32 v8, 1 :: v_dual_mov_b32 v1, 1
	s_xor_b32 s86, s17, -1
	s_delay_alu instid0(SALU_CYCLE_1)
	s_and_saveexec_b32 s17, s86
	s_cbranch_execz .LBB117_398
; %bb.389:                              ;   in Loop: Header=BB117_15 Depth=1
	s_mov_b32 s86, exec_lo
                                        ; implicit-def: $sgpr87
	v_cmpx_ge_u32_e64 s12, v2
	s_xor_b32 s86, exec_lo, s86
	s_cbranch_execz .LBB117_395
; %bb.390:                              ;   in Loop: Header=BB117_15 Depth=1
	ds_load_b32 v1, v9 offset:4096
	s_waitcnt lgkmcnt(0)
	v_cmp_ne_u32_e32 vcc_lo, 0, v1
	s_cbranch_vccnz .LBB117_394
; %bb.391:                              ;   in Loop: Header=BB117_15 Depth=1
	s_and_saveexec_b32 s87, s5
	s_cbranch_execz .LBB117_393
; %bb.392:                              ;   in Loop: Header=BB117_15 Depth=1
	v_mov_b32_e32 v1, s12
	ds_store_b32 v9, v1 offset:4100
.LBB117_393:                            ;   in Loop: Header=BB117_15 Depth=1
	s_or_b32 exec_lo, exec_lo, s87
	s_waitcnt lgkmcnt(0)
	s_barrier
	buffer_gl0_inv
.LBB117_394:                            ;   in Loop: Header=BB117_15 Depth=1
	v_and_b32_e32 v28, s14, v28
	v_or_b32_e32 v27, s13, v27
	s_mov_b32 s87, 5
.LBB117_395:                            ;   in Loop: Header=BB117_15 Depth=1
	s_or_saveexec_b32 s13, s86
	v_mov_b32_e32 v8, s87
	s_xor_b32 exec_lo, exec_lo, s13
; %bb.396:                              ;   in Loop: Header=BB117_15 Depth=1
	v_subrev_nc_u32_e32 v2, s12, v2
	v_mov_b32_e32 v8, 5
; %bb.397:                              ;   in Loop: Header=BB117_15 Depth=1
	s_or_b32 exec_lo, exec_lo, s13
	s_delay_alu instid0(VALU_DEP_2)
	v_mov_b32_e32 v1, v2
.LBB117_398:                            ;   in Loop: Header=BB117_15 Depth=1
	s_or_b32 exec_lo, exec_lo, s17
	s_delay_alu instid0(SALU_CYCLE_1)
	s_mov_b32 s87, exec_lo
.LBB117_399:                            ;   in Loop: Header=BB117_15 Depth=1
	s_or_b32 exec_lo, exec_lo, s83
	s_delay_alu instid0(VALU_DEP_1)
	v_mov_b32_e32 v2, v1
	s_or_not1_b32 s17, s87, exec_lo
.LBB117_400:                            ;   in Loop: Header=BB117_15 Depth=1
	s_or_b32 exec_lo, exec_lo, s16
	s_delay_alu instid0(SALU_CYCLE_1)
	s_and_not1_b32 s12, s79, exec_lo
	s_and_b32 s10, s10, exec_lo
	s_and_not1_b32 s13, s81, exec_lo
	s_or_b32 s79, s12, s10
	s_and_not1_b32 s10, s80, exec_lo
	s_and_b32 s12, s84, exec_lo
	s_and_b32 s14, s85, exec_lo
	v_mov_b32_e32 v1, v2
	s_or_b32 s80, s10, s12
	s_or_b32 s81, s13, s14
	s_and_b32 s84, s17, exec_lo
.LBB117_401:                            ;   in Loop: Header=BB117_15 Depth=1
	s_or_b32 exec_lo, exec_lo, s82
	s_delay_alu instid0(SALU_CYCLE_1)
	s_and_b32 s82, s79, exec_lo
	s_and_b32 s80, s80, exec_lo
	;; [unrolled: 1-line block ×3, first 2 shown]
	s_or_not1_b32 s10, s84, exec_lo
.LBB117_402:                            ;   in Loop: Header=BB117_15 Depth=1
	s_or_b32 exec_lo, exec_lo, s18
	s_delay_alu instid0(SALU_CYCLE_1)
	s_and_not1_b32 s12, s22, exec_lo
	s_and_b32 s13, s82, exec_lo
	s_and_not1_b32 s14, s77, exec_lo
	s_or_b32 s22, s12, s13
	s_and_not1_b32 s12, s76, exec_lo
	s_and_b32 s13, s80, exec_lo
	s_and_b32 s16, s79, exec_lo
	v_mov_b32_e32 v4, v1
	s_or_b32 s76, s12, s13
	s_or_b32 s77, s14, s16
	s_and_b32 s80, s10, exec_lo
.LBB117_403:                            ;   in Loop: Header=BB117_15 Depth=1
	s_or_b32 exec_lo, exec_lo, s78
	s_delay_alu instid0(SALU_CYCLE_1)
	s_and_b32 s78, s22, exec_lo
	s_and_b32 s76, s76, exec_lo
	;; [unrolled: 1-line block ×3, first 2 shown]
	s_or_not1_b32 s77, s80, exec_lo
.LBB117_404:                            ;   in Loop: Header=BB117_15 Depth=1
	s_or_b32 exec_lo, exec_lo, s19
	s_mov_b32 s10, s20
	s_mov_b32 s12, s11
	s_and_saveexec_b32 s13, s77
; %bb.405:                              ;   in Loop: Header=BB117_15 Depth=1
	v_cmp_eq_u32_e32 vcc_lo, 5, v8
	v_cmp_ne_u32_e64 s10, 5, v8
	s_and_not1_b32 s12, s11, exec_lo
	s_and_not1_b32 s14, s20, exec_lo
	;; [unrolled: 1-line block ×3, first 2 shown]
	s_and_b32 s16, vcc_lo, exec_lo
	s_and_b32 s10, s10, exec_lo
	s_and_not1_b32 s76, s76, exec_lo
	s_and_not1_b32 s22, s22, exec_lo
	s_or_b32 s12, s12, s10
	s_or_b32 s10, s14, s16
; %bb.406:                              ;   in Loop: Header=BB117_15 Depth=1
	s_or_b32 exec_lo, exec_lo, s13
	s_delay_alu instid0(SALU_CYCLE_1)
	s_and_not1_b32 s13, s23, exec_lo
	s_and_b32 s14, s78, exec_lo
	v_dual_mov_b32 v1, v28 :: v_dual_mov_b32 v2, v27
	s_or_b32 s23, s13, s14
	s_and_not1_b32 s13, s75, exec_lo
	s_and_b32 s14, s76, exec_lo
	v_mov_b32_e32 v3, v29
	s_and_not1_b32 s15, s15, exec_lo
	s_and_b32 s16, s22, exec_lo
	s_or_b32 s75, s13, s14
	s_and_not1_b32 s11, s11, exec_lo
	s_and_b32 s12, s12, exec_lo
	s_and_not1_b32 s13, s20, exec_lo
	s_and_b32 s10, s10, exec_lo
	s_or_b32 s15, s15, s16
	s_or_b32 s11, s11, s12
	;; [unrolled: 1-line block ×3, first 2 shown]
.LBB117_407:                            ;   in Loop: Header=BB117_15 Depth=1
	s_or_b32 exec_lo, exec_lo, s21
	s_mov_b32 s22, s15
	s_mov_b32 s21, s15
	s_and_saveexec_b32 s10, s20
.LBB117_408:                            ;   in Loop: Header=BB117_15 Depth=1
	v_mov_b32_e32 v8, 0
	s_and_not1_b32 s15, s15, exec_lo
	s_and_not1_b32 s23, s23, exec_lo
	;; [unrolled: 1-line block ×5, first 2 shown]
	s_or_b32 s11, s11, exec_lo
.LBB117_409:                            ;   in Loop: Header=BB117_15 Depth=1
	s_or_b32 exec_lo, exec_lo, s10
	s_delay_alu instid0(SALU_CYCLE_1)
	s_and_not1_b32 s10, s74, exec_lo
	s_and_b32 s13, s15, exec_lo
	s_and_not1_b32 s14, s71, exec_lo
	s_or_b32 s74, s10, s13
	s_and_not1_b32 s10, s73, exec_lo
	s_and_b32 s13, s23, exec_lo
	s_and_b32 s15, s75, exec_lo
	s_or_b32 s73, s10, s13
	s_or_b32 s71, s14, s15
	s_and_not1_b32 s10, s72, exec_lo
	s_and_b32 s13, s22, exec_lo
	s_and_not1_b32 s14, s70, exec_lo
	s_and_b32 s15, s21, exec_lo
	s_mov_b32 s12, -1
	s_or_b32 s72, s10, s13
	s_or_b32 s70, s14, s15
                                        ; implicit-def: $vgpr27
                                        ; implicit-def: $vgpr28
                                        ; implicit-def: $vgpr30
                                        ; implicit-def: $vgpr29
	s_and_saveexec_b32 s10, s11
	s_delay_alu instid0(SALU_CYCLE_1)
	s_xor_b32 s10, exec_lo, s10
	s_cbranch_execz .LBB117_14
; %bb.410:                              ;   in Loop: Header=BB117_15 Depth=1
	s_mov_b32 s11, -1
	s_mov_b32 s13, exec_lo
	v_cmpx_eq_u32_e32 0, v8
	s_cbranch_execz .LBB117_13
; %bb.411:                              ;   in Loop: Header=BB117_15 Depth=1
	s_xor_b32 s64, s64, 1
	s_add_i32 s14, s68, -2
	s_cmp_eq_u32 s68, 0
	s_mov_b32 s68, s14
	s_cselect_b32 s11, -1, 0
	s_xor_b32 s12, exec_lo, -1
	s_or_not1_b32 s11, s11, exec_lo
	s_branch .LBB117_13
.LBB117_412:
	s_or_b32 exec_lo, exec_lo, s41
	s_xor_b32 s7, s69, -1
	s_xor_b32 s12, s66, -1
	;; [unrolled: 1-line block ×5, first 2 shown]
	s_mov_b32 s9, 0
	s_and_saveexec_b32 s10, s8
	s_delay_alu instid0(SALU_CYCLE_1)
	s_xor_b32 s8, exec_lo, s10
	s_cbranch_execz .LBB117_473
; %bb.413:
	s_mov_b32 s10, 0
	s_and_saveexec_b32 s9, s11
	s_delay_alu instid0(SALU_CYCLE_1)
	s_xor_b32 s9, exec_lo, s9
	s_cbranch_execz .LBB117_471
; %bb.414:
	;; [unrolled: 6-line block ×4, first 2 shown]
	s_and_saveexec_b32 s7, s6
	s_delay_alu instid0(SALU_CYCLE_1)
	s_xor_b32 s6, exec_lo, s7
; %bb.417:
	v_and_b32_e32 v2, 0x8000, v1
	v_mov_b32_e32 v3, 0xffff
	s_delay_alu instid0(VALU_DEP_2) | instskip(NEXT) | instid1(VALU_DEP_2)
	v_cmp_eq_u32_e32 vcc_lo, 0, v2
	v_cndmask_b32_e32 v2, 0x8000, v3, vcc_lo
	s_delay_alu instid0(VALU_DEP_1)
	v_xor_b32_e32 v3, v2, v1
; %bb.418:
	s_or_b32 exec_lo, exec_lo, s6
	s_and_saveexec_b32 s6, s5
	s_cbranch_execz .LBB117_420
; %bb.419:
	v_mov_b32_e32 v1, 0
	ds_store_b32 v1, v1 offset:4108
.LBB117_420:
	s_or_b32 exec_lo, exec_lo, s6
	v_mov_b32_e32 v9, 0
	s_waitcnt lgkmcnt(0)
	s_barrier
	buffer_gl0_inv
	s_and_saveexec_b32 s5, s4
	s_cbranch_execz .LBB117_422
; %bb.421:
	global_load_u16 v9, v[5:6], off
.LBB117_422:
	s_or_b32 exec_lo, exec_lo, s5
	v_mov_b32_e32 v8, 0x8000
	v_cmp_lt_i16_e32 vcc_lo, -1, v3
	s_clause 0x1
	s_load_b32 s5, s[0:1], 0x1c8
	s_load_b32 s12, s[0:1], 0x2a8
	v_and_b32_e32 v1, 0xffff, v3
	v_lshlrev_b32_e32 v3, 16, v3
	s_mul_i32 s0, s44, s43
	v_cndmask_b32_e32 v2, 0xffff, v8, vcc_lo
	s_mov_b32 s7, 0
	s_add_i32 s6, s0, s31
	v_cmp_o_f32_e32 vcc_lo, v3, v3
	s_add_i32 s13, s24, 31
	v_xor_b32_e32 v1, v2, v1
	s_mul_i32 s14, s40, s42
	s_lshl_b64 s[0:1], s[6:7], 1
	s_and_not1_b32 s13, s13, 31
	s_add_i32 s16, s14, s35
	s_mov_b32 s17, s7
	s_add_u32 s6, s38, s0
	v_cndmask_b32_e32 v7, 0xffff, v1, vcc_lo
	s_addc_u32 s14, s39, s1
	s_lshl_b64 s[0:1], s[16:17], 3
	v_cmp_gt_u32_e32 vcc_lo, s13, v0
	s_add_u32 s15, s36, s0
	s_mov_b32 s18, -1
	s_addc_u32 s16, s37, s1
	s_mov_b32 s1, 0
	s_and_saveexec_b32 s17, vcc_lo
	s_cbranch_execz .LBB117_440
; %bb.423:
	v_dual_mov_b32 v2, 0 :: v_dual_add_nc_u32 v1, s33, v0
	v_mov_b32_e32 v3, v0
	s_mov_b32 s18, 0
                                        ; implicit-def: $sgpr19
                                        ; implicit-def: $vgpr11
	s_delay_alu instid0(VALU_DEP_2)
	v_mul_lo_u32 v1, s28, v1
	s_branch .LBB117_425
.LBB117_424:                            ;   in Loop: Header=BB117_425 Depth=1
	s_or_b32 exec_lo, exec_lo, s20
	s_xor_b32 s0, s22, -1
	s_and_b32 s1, exec_lo, s1
	v_mov_b32_e32 v3, v10
	s_or_b32 s18, s1, s18
	s_waitcnt vmcnt(0)
	v_mov_b32_e32 v9, v12
	s_and_not1_b32 s1, s19, exec_lo
	s_and_b32 s0, s0, exec_lo
	s_delay_alu instid0(SALU_CYCLE_1)
	s_or_b32 s19, s1, s0
	s_and_not1_b32 exec_lo, exec_lo, s18
	s_cbranch_execz .LBB117_439
.LBB117_425:                            ; =>This Inner Loop Header: Depth=1
	s_delay_alu instid0(VALU_DEP_2) | instskip(SKIP_2) | instid1(VALU_DEP_2)
	v_add_nc_u32_e32 v10, s33, v3
	v_mov_b32_e32 v12, 0
	s_mov_b32 s1, exec_lo
	v_cmpx_gt_u32_e64 s24, v10
	s_cbranch_execz .LBB117_427
; %bb.426:                              ;   in Loop: Header=BB117_425 Depth=1
	s_delay_alu instid0(VALU_DEP_4) | instskip(NEXT) | instid1(VALU_DEP_1)
	v_lshlrev_b64 v[12:13], 1, v[1:2]
	v_add_co_u32 v12, s0, s29, v12
	s_delay_alu instid0(VALU_DEP_1)
	v_add_co_ci_u32_e64 v13, s0, s30, v13, s0
	global_load_u16 v12, v[12:13], off
.LBB117_427:                            ;   in Loop: Header=BB117_425 Depth=1
	s_or_b32 exec_lo, exec_lo, s1
	s_mov_b32 s20, 0
	s_mov_b32 s1, exec_lo
	v_cmpx_gt_u32_e64 s24, v3
	s_cbranch_execz .LBB117_429
; %bb.428:                              ;   in Loop: Header=BB117_425 Depth=1
	s_waitcnt vmcnt(0)
	v_cmp_lt_i16_e64 s0, -1, v9
	v_and_b32_e32 v4, 0xffff, v9
	v_lshlrev_b32_e32 v15, 16, v9
	s_delay_alu instid0(VALU_DEP_3) | instskip(NEXT) | instid1(VALU_DEP_2)
	v_cndmask_b32_e64 v13, 0xffff, v8, s0
	v_cmp_o_f32_e64 s0, v15, v15
	s_delay_alu instid0(VALU_DEP_2) | instskip(NEXT) | instid1(VALU_DEP_1)
	v_xor_b32_e32 v4, v13, v4
	v_cndmask_b32_e64 v4, 0xffff, v4, s0
	s_delay_alu instid0(VALU_DEP_1) | instskip(NEXT) | instid1(VALU_DEP_1)
	v_cmp_gt_u32_e64 s0, v4, v7
	v_cndmask_b32_e64 v13, 0, 1, s0
	v_cmp_lt_u32_e64 s0, v4, v7
	s_delay_alu instid0(VALU_DEP_1) | instskip(NEXT) | instid1(VALU_DEP_1)
	v_cndmask_b32_e64 v4, 0, 1, s0
	v_cndmask_b32_e64 v4, v4, v13, s3
	s_delay_alu instid0(VALU_DEP_1) | instskip(NEXT) | instid1(VALU_DEP_1)
	v_and_b32_e32 v4, 1, v4
	v_cmp_eq_u32_e64 s0, 1, v4
	s_delay_alu instid0(VALU_DEP_1)
	s_and_b32 s20, s0, exec_lo
.LBB117_429:                            ;   in Loop: Header=BB117_425 Depth=1
	s_or_b32 exec_lo, exec_lo, s1
	v_cndmask_b32_e64 v4, 0, 1, s20
	s_delay_alu instid0(VALU_DEP_1) | instskip(NEXT) | instid1(VALU_DEP_1)
	v_cmp_ne_u32_e64 s0, 0, v4
	s_cmp_lg_u32 s0, 0
	s_cselect_b32 s1, -1, 0
	s_delay_alu instid0(SALU_CYCLE_1) | instskip(NEXT) | instid1(SALU_CYCLE_1)
	s_and_b32 s1, s2, s1
	s_and_saveexec_b32 s21, s1
	s_cbranch_execz .LBB117_433
; %bb.430:                              ;   in Loop: Header=BB117_425 Depth=1
	s_mov_b32 s26, exec_lo
	s_bcnt1_i32_b32 s22, s0
	v_mbcnt_lo_u32_b32 v4, s26, 0
	s_mov_b32 s23, exec_lo
                                        ; implicit-def: $vgpr11
	s_delay_alu instid0(VALU_DEP_1)
	v_cmpx_eq_u32_e32 0, v4
	s_cbranch_execz .LBB117_432
; %bb.431:                              ;   in Loop: Header=BB117_425 Depth=1
	s_bcnt1_i32_b32 s1, s26
	s_delay_alu instid0(SALU_CYCLE_1)
	s_mul_i32 s1, s22, s1
	s_waitcnt lgkmcnt(0)
	v_mov_b32_e32 v11, s1
	ds_add_rtn_u32 v11, v2, v11 offset:4108
.LBB117_432:                            ;   in Loop: Header=BB117_425 Depth=1
	s_or_b32 exec_lo, exec_lo, s23
	s_waitcnt lgkmcnt(0)
	v_readfirstlane_b32 s1, v11
	s_delay_alu instid0(VALU_DEP_1)
	v_mad_u32_u24 v11, s22, v4, s1
.LBB117_433:                            ;   in Loop: Header=BB117_425 Depth=1
	s_or_b32 exec_lo, exec_lo, s21
	s_waitcnt lgkmcnt(0)
	ds_bpermute_b32 v11, v2, v11
	s_mov_b32 s1, -1
	s_mov_b32 s23, -1
                                        ; implicit-def: $sgpr22
	s_and_saveexec_b32 s21, s20
	s_cbranch_execz .LBB117_437
; %bb.434:                              ;   in Loop: Header=BB117_425 Depth=1
	v_and_b32_e32 v4, s0, v14
	s_mov_b32 s20, 0
	s_mov_b32 s22, exec_lo
	s_waitcnt lgkmcnt(0)
	s_delay_alu instid0(VALU_DEP_1) | instskip(NEXT) | instid1(VALU_DEP_1)
	v_bcnt_u32_b32 v4, v4, v11
	v_cmpx_gt_u32_e64 s25, v4
	s_cbranch_execz .LBB117_436
; %bb.435:                              ;   in Loop: Header=BB117_425 Depth=1
	v_mul_lo_u32 v15, v4, s5
	v_mov_b32_e32 v16, v2
	v_mul_lo_u32 v17, v4, s12
	v_mov_b32_e32 v18, v2
	v_mov_b32_e32 v4, v2
	s_mov_b32 s20, exec_lo
	v_lshlrev_b64 v[15:16], 1, v[15:16]
	s_delay_alu instid0(VALU_DEP_3) | instskip(NEXT) | instid1(VALU_DEP_2)
	v_lshlrev_b64 v[17:18], 3, v[17:18]
	v_add_co_u32 v15, s0, s6, v15
	s_delay_alu instid0(VALU_DEP_1) | instskip(NEXT) | instid1(VALU_DEP_3)
	v_add_co_ci_u32_e64 v16, s0, s14, v16, s0
	v_add_co_u32 v17, s0, s15, v17
	s_delay_alu instid0(VALU_DEP_1)
	v_add_co_ci_u32_e64 v18, s0, s16, v18, s0
	s_waitcnt vmcnt(0)
	global_store_b16 v[15:16], v9, off
	global_store_b64 v[17:18], v[3:4], off
.LBB117_436:                            ;   in Loop: Header=BB117_425 Depth=1
	s_or_b32 exec_lo, exec_lo, s22
	s_mov_b32 s22, -1
	s_or_not1_b32 s23, s20, exec_lo
.LBB117_437:                            ;   in Loop: Header=BB117_425 Depth=1
	s_or_b32 exec_lo, exec_lo, s21
	s_and_saveexec_b32 s20, s23
	s_cbranch_execz .LBB117_424
; %bb.438:                              ;   in Loop: Header=BB117_425 Depth=1
	v_cmp_le_u32_e64 s0, s13, v10
	v_add_nc_u32_e32 v1, s34, v1
	s_and_not1_b32 s22, s22, exec_lo
	s_delay_alu instid0(VALU_DEP_2)
	s_or_not1_b32 s1, s0, exec_lo
	s_branch .LBB117_424
.LBB117_439:
	s_or_b32 exec_lo, exec_lo, s18
	s_delay_alu instid0(SALU_CYCLE_1)
	s_mov_b32 s1, exec_lo
	s_or_not1_b32 s18, s19, exec_lo
.LBB117_440:
	s_or_b32 exec_lo, exec_lo, s17
	s_and_saveexec_b32 s3, s18
	s_cbranch_execz .LBB117_465
; %bb.441:
	v_mov_b32_e32 v8, 0
	s_waitcnt vmcnt(0) lgkmcnt(0)
	s_waitcnt_vscnt null, 0x0
	s_barrier
	buffer_gl0_inv
	s_and_saveexec_b32 s0, s4
	s_cbranch_execz .LBB117_443
; %bb.442:
	global_load_u16 v8, v[5:6], off
.LBB117_443:
	s_or_b32 exec_lo, exec_lo, s0
	s_mov_b32 s0, 0
	s_and_saveexec_b32 s4, vcc_lo
	s_cbranch_execz .LBB117_464
; %bb.444:
	v_dual_mov_b32 v4, 0x8000 :: v_dual_add_nc_u32 v1, s33, v0
	v_mov_b32_e32 v3, 0
	s_mov_b32 s17, 0
                                        ; implicit-def: $sgpr7
                                        ; implicit-def: $vgpr5
	s_delay_alu instid0(VALU_DEP_2)
	v_mul_lo_u32 v2, s28, v1
	s_branch .LBB117_447
.LBB117_445:                            ;   in Loop: Header=BB117_447 Depth=1
	s_or_b32 exec_lo, exec_lo, s19
	s_waitcnt vmcnt(0)
	v_mov_b32_e32 v8, v9
	v_mov_b32_e32 v0, v6
	s_or_not1_b32 s20, s20, exec_lo
	s_or_not1_b32 s18, s18, exec_lo
.LBB117_446:                            ;   in Loop: Header=BB117_447 Depth=1
	s_or_b32 exec_lo, exec_lo, s0
	s_xor_b32 s0, s20, -1
	s_and_b32 s18, exec_lo, s18
	s_delay_alu instid0(SALU_CYCLE_1) | instskip(SKIP_2) | instid1(SALU_CYCLE_1)
	s_or_b32 s17, s18, s17
	s_and_not1_b32 s7, s7, exec_lo
	s_and_b32 s0, s0, exec_lo
	s_or_b32 s7, s7, s0
	s_and_not1_b32 exec_lo, exec_lo, s17
	s_cbranch_execz .LBB117_462
.LBB117_447:                            ; =>This Inner Loop Header: Depth=1
	s_waitcnt vmcnt(0)
	v_dual_mov_b32 v9, 0 :: v_dual_add_nc_u32 v6, s33, v0
	s_mov_b32 s0, exec_lo
	s_delay_alu instid0(VALU_DEP_1)
	v_cmpx_gt_u32_e64 s24, v6
	s_cbranch_execz .LBB117_449
; %bb.448:                              ;   in Loop: Header=BB117_447 Depth=1
	s_delay_alu instid0(VALU_DEP_3) | instskip(NEXT) | instid1(VALU_DEP_1)
	v_lshlrev_b64 v[9:10], 1, v[2:3]
	v_add_co_u32 v9, vcc_lo, s29, v9
	s_delay_alu instid0(VALU_DEP_2)
	v_add_co_ci_u32_e32 v10, vcc_lo, s30, v10, vcc_lo
	global_load_u16 v9, v[9:10], off
.LBB117_449:                            ;   in Loop: Header=BB117_447 Depth=1
	s_or_b32 exec_lo, exec_lo, s0
	s_mov_b32 s19, 0
	s_mov_b32 s0, exec_lo
	v_cmpx_gt_u32_e64 s24, v0
	s_cbranch_execz .LBB117_451
; %bb.450:                              ;   in Loop: Header=BB117_447 Depth=1
	s_waitcnt vmcnt(0)
	v_cmp_lt_i16_e32 vcc_lo, -1, v8
	v_and_b32_e32 v1, 0xffff, v8
	v_lshlrev_b32_e32 v11, 16, v8
	v_cndmask_b32_e32 v10, 0xffff, v4, vcc_lo
	s_delay_alu instid0(VALU_DEP_2) | instskip(NEXT) | instid1(VALU_DEP_2)
	v_cmp_o_f32_e32 vcc_lo, v11, v11
	v_xor_b32_e32 v1, v10, v1
	s_delay_alu instid0(VALU_DEP_1) | instskip(NEXT) | instid1(VALU_DEP_1)
	v_cndmask_b32_e32 v1, 0xffff, v1, vcc_lo
	v_cmp_eq_u32_e32 vcc_lo, v1, v7
	s_and_b32 s19, vcc_lo, exec_lo
.LBB117_451:                            ;   in Loop: Header=BB117_447 Depth=1
	s_or_b32 exec_lo, exec_lo, s0
	v_cndmask_b32_e64 v1, 0, 1, s19
	s_delay_alu instid0(VALU_DEP_1) | instskip(SKIP_2) | instid1(SALU_CYCLE_1)
	v_cmp_ne_u32_e32 vcc_lo, 0, v1
	s_cmp_lg_u32 vcc_lo, 0
	s_cselect_b32 s0, -1, 0
	s_and_b32 s0, s2, s0
	s_delay_alu instid0(SALU_CYCLE_1)
	s_and_saveexec_b32 s18, s0
	s_cbranch_execz .LBB117_455
; %bb.452:                              ;   in Loop: Header=BB117_447 Depth=1
	s_mov_b32 s22, exec_lo
	s_bcnt1_i32_b32 s20, vcc_lo
	v_mbcnt_lo_u32_b32 v1, s22, 0
	s_mov_b32 s21, exec_lo
                                        ; implicit-def: $vgpr5
	s_delay_alu instid0(VALU_DEP_1)
	v_cmpx_eq_u32_e32 0, v1
	s_cbranch_execz .LBB117_454
; %bb.453:                              ;   in Loop: Header=BB117_447 Depth=1
	s_bcnt1_i32_b32 s0, s22
	s_delay_alu instid0(SALU_CYCLE_1) | instskip(NEXT) | instid1(SALU_CYCLE_1)
	s_mul_i32 s0, s20, s0
	v_mov_b32_e32 v5, s0
	ds_add_rtn_u32 v5, v3, v5 offset:4108
.LBB117_454:                            ;   in Loop: Header=BB117_447 Depth=1
	s_or_b32 exec_lo, exec_lo, s21
	s_waitcnt lgkmcnt(0)
	v_readfirstlane_b32 s0, v5
	s_delay_alu instid0(VALU_DEP_1)
	v_mad_u32_u24 v5, s20, v1, s0
.LBB117_455:                            ;   in Loop: Header=BB117_447 Depth=1
	s_or_b32 exec_lo, exec_lo, s18
	ds_bpermute_b32 v5, v3, v5
	s_cmp_eq_u32 vcc_lo, 0
	s_mov_b32 s18, -1
	s_cselect_b32 s20, -1, 0
	s_waitcnt lgkmcnt(0)
	v_cmp_gt_u32_e64 s0, s25, v5
	s_delay_alu instid0(VALU_DEP_1)
	s_or_b32 s21, s20, s0
	s_mov_b32 s20, -1
	s_and_saveexec_b32 s0, s21
	s_cbranch_execz .LBB117_446
; %bb.456:                              ;   in Loop: Header=BB117_447 Depth=1
	v_and_b32_e32 v1, vcc_lo, v14
	v_sub_nc_u32_e32 v10, s25, v5
	s_mov_b32 s21, -1
	s_delay_alu instid0(VALU_DEP_2) | instskip(NEXT) | instid1(VALU_DEP_1)
	v_bcnt_u32_b32 v1, v1, 0
	v_bcnt_u32_b32 v1, 0, v1
	s_delay_alu instid0(VALU_DEP_1) | instskip(SKIP_1) | instid1(SALU_CYCLE_1)
	v_cmp_gt_u32_e32 vcc_lo, v10, v1
	s_and_b32 s22, s19, vcc_lo
	s_and_saveexec_b32 s19, s22
	s_cbranch_execz .LBB117_460
; %bb.457:                              ;   in Loop: Header=BB117_447 Depth=1
	v_add_nc_u32_e32 v1, v5, v1
	s_mov_b32 s21, 0
	s_mov_b32 s20, exec_lo
	s_delay_alu instid0(VALU_DEP_1)
	v_cmpx_gt_u32_e64 s25, v1
	s_cbranch_execz .LBB117_459
; %bb.458:                              ;   in Loop: Header=BB117_447 Depth=1
	v_mul_lo_u32 v10, v1, s5
	v_mov_b32_e32 v11, v3
	v_mul_lo_u32 v12, v1, s12
	v_mov_b32_e32 v13, v3
	v_mov_b32_e32 v1, v3
	s_mov_b32 s21, exec_lo
	v_lshlrev_b64 v[10:11], 1, v[10:11]
	s_delay_alu instid0(VALU_DEP_3) | instskip(NEXT) | instid1(VALU_DEP_2)
	v_lshlrev_b64 v[12:13], 3, v[12:13]
	v_add_co_u32 v10, vcc_lo, s6, v10
	s_delay_alu instid0(VALU_DEP_3) | instskip(NEXT) | instid1(VALU_DEP_3)
	v_add_co_ci_u32_e32 v11, vcc_lo, s14, v11, vcc_lo
	v_add_co_u32 v12, vcc_lo, s15, v12
	s_delay_alu instid0(VALU_DEP_4)
	v_add_co_ci_u32_e32 v13, vcc_lo, s16, v13, vcc_lo
	s_waitcnt vmcnt(0)
	global_store_b16 v[10:11], v8, off
	global_store_b64 v[12:13], v[0:1], off
.LBB117_459:                            ;   in Loop: Header=BB117_447 Depth=1
	s_or_b32 exec_lo, exec_lo, s20
	s_delay_alu instid0(SALU_CYCLE_1)
	s_xor_b32 s20, exec_lo, -1
	s_or_not1_b32 s21, s21, exec_lo
.LBB117_460:                            ;   in Loop: Header=BB117_447 Depth=1
	s_or_b32 exec_lo, exec_lo, s19
	s_and_saveexec_b32 s19, s21
	s_cbranch_execz .LBB117_445
; %bb.461:                              ;   in Loop: Header=BB117_447 Depth=1
	v_cmp_le_u32_e32 vcc_lo, s13, v6
	v_add_nc_u32_e32 v2, s34, v2
	s_or_b32 s20, s20, exec_lo
	s_or_not1_b32 s18, vcc_lo, exec_lo
	s_branch .LBB117_445
.LBB117_462:
	s_or_b32 exec_lo, exec_lo, s17
	s_mov_b32 s0, 0
	s_and_saveexec_b32 s2, s7
	s_delay_alu instid0(SALU_CYCLE_1)
	s_xor_b32 s2, exec_lo, s2
	s_cbranch_execnz .LBB117_497
.LBB117_463:
	s_or_b32 exec_lo, exec_lo, s2
	s_delay_alu instid0(SALU_CYCLE_1)
	s_and_b32 s0, s0, exec_lo
.LBB117_464:
	s_or_b32 exec_lo, exec_lo, s4
	s_delay_alu instid0(SALU_CYCLE_1)
	s_and_b32 s7, s0, exec_lo
	s_and_not1_b32 s1, s1, exec_lo
.LBB117_465:
	s_or_b32 exec_lo, exec_lo, s3
	s_and_saveexec_b32 s0, s1
	s_delay_alu instid0(SALU_CYCLE_1)
	s_xor_b32 s0, exec_lo, s0
	s_cbranch_execnz .LBB117_491
.LBB117_466:
	s_or_b32 exec_lo, exec_lo, s0
	s_waitcnt lgkmcnt(0)
	s_and_b32 s12, s7, exec_lo
.LBB117_467:
	s_and_not1_saveexec_b32 s0, s11
	s_cbranch_execnz .LBB117_487
.LBB117_468:
	s_or_b32 exec_lo, exec_lo, s0
	s_delay_alu instid0(SALU_CYCLE_1)
	s_and_b32 s11, s12, exec_lo
.LBB117_469:
	s_and_not1_saveexec_b32 s0, s10
	s_cbranch_execnz .LBB117_483
.LBB117_470:
	s_or_b32 exec_lo, exec_lo, s0
	s_delay_alu instid0(SALU_CYCLE_1)
	s_and_b32 s10, s11, exec_lo
.LBB117_471:
	s_and_not1_saveexec_b32 s0, s9
	s_cbranch_execnz .LBB117_479
.LBB117_472:
	s_or_b32 exec_lo, exec_lo, s0
	s_delay_alu instid0(SALU_CYCLE_1)
	s_and_b32 s9, s10, exec_lo
.LBB117_473:
	s_and_not1_saveexec_b32 s0, s8
	s_cbranch_execnz .LBB117_477
; %bb.474:
	s_or_b32 exec_lo, exec_lo, s0
	s_and_saveexec_b32 s0, s9
.LBB117_475:
	; divergent unreachable
.LBB117_476:
	s_nop 0
	s_sendmsg sendmsg(MSG_DEALLOC_VGPRS)
	s_endpgm
.LBB117_477:
	s_cbranch_execnz .LBB117_481
; %bb.478:
	s_or_b32 s9, s9, exec_lo
	s_or_b32 exec_lo, exec_lo, s0
	s_and_saveexec_b32 s0, s9
	s_cbranch_execnz .LBB117_475
	s_branch .LBB117_476
.LBB117_479:
	s_cbranch_execnz .LBB117_485
; %bb.480:
	s_or_b32 s10, s10, exec_lo
	s_branch .LBB117_472
.LBB117_481:
	s_trap 2
	s_sendmsg_rtn_b32 s0, sendmsg(MSG_RTN_GET_DOORBELL)
	s_mov_b32 ttmp2, m0
	s_waitcnt lgkmcnt(0)
	s_and_b32 s0, s0, 0x3ff
	s_delay_alu instid0(SALU_CYCLE_1) | instskip(NEXT) | instid1(SALU_CYCLE_1)
	s_bitset1_b32 s0, 10
	s_mov_b32 m0, s0
	s_sendmsg sendmsg(MSG_INTERRUPT)
	s_mov_b32 m0, ttmp2
.LBB117_482:                            ; =>This Inner Loop Header: Depth=1
	s_sethalt 5
	s_branch .LBB117_482
.LBB117_483:
	s_cbranch_execnz .LBB117_489
; %bb.484:
	s_or_b32 s11, s11, exec_lo
	s_branch .LBB117_470
.LBB117_485:
	s_trap 2
	s_sendmsg_rtn_b32 s0, sendmsg(MSG_RTN_GET_DOORBELL)
	s_mov_b32 ttmp2, m0
	s_waitcnt lgkmcnt(0)
	s_and_b32 s0, s0, 0x3ff
	s_delay_alu instid0(SALU_CYCLE_1) | instskip(NEXT) | instid1(SALU_CYCLE_1)
	s_bitset1_b32 s0, 10
	s_mov_b32 m0, s0
	s_sendmsg sendmsg(MSG_INTERRUPT)
	s_mov_b32 m0, ttmp2
.LBB117_486:                            ; =>This Inner Loop Header: Depth=1
	s_sethalt 5
	s_branch .LBB117_486
.LBB117_487:
	s_cbranch_execnz .LBB117_493
; %bb.488:
	s_or_b32 s12, s12, exec_lo
	s_branch .LBB117_468
.LBB117_489:
	s_trap 2
	s_sendmsg_rtn_b32 s0, sendmsg(MSG_RTN_GET_DOORBELL)
	s_mov_b32 ttmp2, m0
	s_waitcnt lgkmcnt(0)
	s_and_b32 s0, s0, 0x3ff
	s_delay_alu instid0(SALU_CYCLE_1) | instskip(NEXT) | instid1(SALU_CYCLE_1)
	s_bitset1_b32 s0, 10
	s_mov_b32 m0, s0
	s_sendmsg sendmsg(MSG_INTERRUPT)
	s_mov_b32 m0, ttmp2
.LBB117_490:                            ; =>This Inner Loop Header: Depth=1
	s_sethalt 5
	s_branch .LBB117_490
.LBB117_491:
	s_cbranch_execnz .LBB117_495
; %bb.492:
	s_or_b32 s7, s7, exec_lo
	s_branch .LBB117_466
.LBB117_493:
	s_trap 2
	s_sendmsg_rtn_b32 s0, sendmsg(MSG_RTN_GET_DOORBELL)
	s_mov_b32 ttmp2, m0
	s_waitcnt lgkmcnt(0)
	s_and_b32 s0, s0, 0x3ff
	s_delay_alu instid0(SALU_CYCLE_1) | instskip(NEXT) | instid1(SALU_CYCLE_1)
	s_bitset1_b32 s0, 10
	s_mov_b32 m0, s0
	s_sendmsg sendmsg(MSG_INTERRUPT)
	s_mov_b32 m0, ttmp2
.LBB117_494:                            ; =>This Inner Loop Header: Depth=1
	s_sethalt 5
	s_branch .LBB117_494
.LBB117_495:
	s_trap 2
	s_sendmsg_rtn_b32 s0, sendmsg(MSG_RTN_GET_DOORBELL)
	s_mov_b32 ttmp2, m0
	s_waitcnt lgkmcnt(0)
	s_and_b32 s0, s0, 0x3ff
	s_delay_alu instid0(SALU_CYCLE_1) | instskip(NEXT) | instid1(SALU_CYCLE_1)
	s_bitset1_b32 s0, 10
	s_mov_b32 m0, s0
	s_sendmsg sendmsg(MSG_INTERRUPT)
	s_mov_b32 m0, ttmp2
.LBB117_496:                            ; =>This Inner Loop Header: Depth=1
	s_sethalt 5
	s_branch .LBB117_496
.LBB117_497:
	s_cbranch_execnz .LBB117_499
; %bb.498:
	s_mov_b32 s0, exec_lo
	s_branch .LBB117_463
.LBB117_499:
	s_trap 2
	s_sendmsg_rtn_b32 s0, sendmsg(MSG_RTN_GET_DOORBELL)
	s_mov_b32 ttmp2, m0
	s_waitcnt lgkmcnt(0)
	s_and_b32 s0, s0, 0x3ff
	s_delay_alu instid0(SALU_CYCLE_1) | instskip(NEXT) | instid1(SALU_CYCLE_1)
	s_bitset1_b32 s0, 10
	s_mov_b32 m0, s0
	s_sendmsg sendmsg(MSG_INTERRUPT)
	s_mov_b32 m0, ttmp2
.LBB117_500:                            ; =>This Inner Loop Header: Depth=1
	s_sethalt 5
	s_branch .LBB117_500
	.section	.rodata,"a",@progbits
	.p2align	6, 0x0
	.amdhsa_kernel _ZN2at6native6sbtopk10gatherTopKIN3c108BFloat16EjLin1ELb0EEEvNS_4cuda6detail10TensorInfoIKT_T0_EESA_SA_bSA_SA_NS7_IS8_SA_EESA_NS7_IlSA_EESA_PS8_
		.amdhsa_group_segment_fixed_size 4112
		.amdhsa_private_segment_fixed_size 0
		.amdhsa_kernarg_size 952
		.amdhsa_user_sgpr_count 13
		.amdhsa_user_sgpr_dispatch_ptr 0
		.amdhsa_user_sgpr_queue_ptr 0
		.amdhsa_user_sgpr_kernarg_segment_ptr 1
		.amdhsa_user_sgpr_dispatch_id 0
		.amdhsa_user_sgpr_private_segment_size 0
		.amdhsa_wavefront_size32 1
		.amdhsa_uses_dynamic_stack 0
		.amdhsa_enable_private_segment 0
		.amdhsa_system_sgpr_workgroup_id_x 1
		.amdhsa_system_sgpr_workgroup_id_y 1
		.amdhsa_system_sgpr_workgroup_id_z 1
		.amdhsa_system_sgpr_workgroup_info 0
		.amdhsa_system_vgpr_workitem_id 0
		.amdhsa_next_free_vgpr 38
		.amdhsa_next_free_sgpr 94
		.amdhsa_reserve_vcc 1
		.amdhsa_float_round_mode_32 0
		.amdhsa_float_round_mode_16_64 0
		.amdhsa_float_denorm_mode_32 3
		.amdhsa_float_denorm_mode_16_64 3
		.amdhsa_dx10_clamp 1
		.amdhsa_ieee_mode 1
		.amdhsa_fp16_overflow 0
		.amdhsa_workgroup_processor_mode 1
		.amdhsa_memory_ordered 1
		.amdhsa_forward_progress 0
		.amdhsa_shared_vgpr_count 0
		.amdhsa_exception_fp_ieee_invalid_op 0
		.amdhsa_exception_fp_denorm_src 0
		.amdhsa_exception_fp_ieee_div_zero 0
		.amdhsa_exception_fp_ieee_overflow 0
		.amdhsa_exception_fp_ieee_underflow 0
		.amdhsa_exception_fp_ieee_inexact 0
		.amdhsa_exception_int_div_zero 0
	.end_amdhsa_kernel
	.section	.text._ZN2at6native6sbtopk10gatherTopKIN3c108BFloat16EjLin1ELb0EEEvNS_4cuda6detail10TensorInfoIKT_T0_EESA_SA_bSA_SA_NS7_IS8_SA_EESA_NS7_IlSA_EESA_PS8_,"axG",@progbits,_ZN2at6native6sbtopk10gatherTopKIN3c108BFloat16EjLin1ELb0EEEvNS_4cuda6detail10TensorInfoIKT_T0_EESA_SA_bSA_SA_NS7_IS8_SA_EESA_NS7_IlSA_EESA_PS8_,comdat
.Lfunc_end117:
	.size	_ZN2at6native6sbtopk10gatherTopKIN3c108BFloat16EjLin1ELb0EEEvNS_4cuda6detail10TensorInfoIKT_T0_EESA_SA_bSA_SA_NS7_IS8_SA_EESA_NS7_IlSA_EESA_PS8_, .Lfunc_end117-_ZN2at6native6sbtopk10gatherTopKIN3c108BFloat16EjLin1ELb0EEEvNS_4cuda6detail10TensorInfoIKT_T0_EESA_SA_bSA_SA_NS7_IS8_SA_EESA_NS7_IlSA_EESA_PS8_
                                        ; -- End function
	.section	.AMDGPU.csdata,"",@progbits
; Kernel info:
; codeLenInByte = 17608
; NumSgprs: 96
; NumVgprs: 38
; ScratchSize: 0
; MemoryBound: 0
; FloatMode: 240
; IeeeMode: 1
; LDSByteSize: 4112 bytes/workgroup (compile time only)
; SGPRBlocks: 11
; VGPRBlocks: 4
; NumSGPRsForWavesPerEU: 96
; NumVGPRsForWavesPerEU: 38
; Occupancy: 16
; WaveLimiterHint : 1
; COMPUTE_PGM_RSRC2:SCRATCH_EN: 0
; COMPUTE_PGM_RSRC2:USER_SGPR: 13
; COMPUTE_PGM_RSRC2:TRAP_HANDLER: 0
; COMPUTE_PGM_RSRC2:TGID_X_EN: 1
; COMPUTE_PGM_RSRC2:TGID_Y_EN: 1
; COMPUTE_PGM_RSRC2:TGID_Z_EN: 1
; COMPUTE_PGM_RSRC2:TIDIG_COMP_CNT: 0
	.section	.text._ZN2at6native6mbtopk23computeBlockDigitCountsIhmjLi1EEEvNS_4cuda6detail10TensorInfoIKT_T0_EEjPjjS8_iijT1_PSB_Ps,"axG",@progbits,_ZN2at6native6mbtopk23computeBlockDigitCountsIhmjLi1EEEvNS_4cuda6detail10TensorInfoIKT_T0_EEjPjjS8_iijT1_PSB_Ps,comdat
	.protected	_ZN2at6native6mbtopk23computeBlockDigitCountsIhmjLi1EEEvNS_4cuda6detail10TensorInfoIKT_T0_EEjPjjS8_iijT1_PSB_Ps ; -- Begin function _ZN2at6native6mbtopk23computeBlockDigitCountsIhmjLi1EEEvNS_4cuda6detail10TensorInfoIKT_T0_EEjPjjS8_iijT1_PSB_Ps
	.globl	_ZN2at6native6mbtopk23computeBlockDigitCountsIhmjLi1EEEvNS_4cuda6detail10TensorInfoIKT_T0_EEjPjjS8_iijT1_PSB_Ps
	.p2align	8
	.type	_ZN2at6native6mbtopk23computeBlockDigitCountsIhmjLi1EEEvNS_4cuda6detail10TensorInfoIKT_T0_EEjPjjS8_iijT1_PSB_Ps,@function
_ZN2at6native6mbtopk23computeBlockDigitCountsIhmjLi1EEEvNS_4cuda6detail10TensorInfoIKT_T0_EEjPjjS8_iijT1_PSB_Ps: ; @_ZN2at6native6mbtopk23computeBlockDigitCountsIhmjLi1EEEvNS_4cuda6detail10TensorInfoIKT_T0_EEjPjjS8_iijT1_PSB_Ps
; %bb.0:
	s_clause 0x2
	s_load_b128 s[4:7], s[0:1], 0x1c0
	s_load_b32 s9, s[0:1], 0x1b0
	s_load_b64 s[2:3], s[0:1], 0x1e0
	s_waitcnt lgkmcnt(0)
	v_cvt_f32_u32_e32 v1, s6
	s_sub_i32 s10, 0, s6
	s_mul_i32 s3, s3, s15
	s_delay_alu instid0(SALU_CYCLE_1) | instskip(NEXT) | instid1(VALU_DEP_1)
	s_add_i32 s3, s3, s14
	v_rcp_iflag_f32_e32 v1, v1
	s_mul_i32 s14, s3, s2
	s_delay_alu instid0(SALU_CYCLE_1) | instskip(SKIP_3) | instid1(VALU_DEP_1)
	s_add_i32 s14, s14, s13
	s_mov_b32 s13, 0
	s_waitcnt_depctr 0xfff
	v_mul_f32_e32 v1, 0x4f7ffffe, v1
	v_cvt_u32_f32_e32 v1, v1
	s_delay_alu instid0(VALU_DEP_1) | instskip(NEXT) | instid1(VALU_DEP_1)
	v_readfirstlane_b32 s8, v1
	s_mul_i32 s10, s10, s8
	s_delay_alu instid0(SALU_CYCLE_1) | instskip(NEXT) | instid1(SALU_CYCLE_1)
	s_mul_hi_u32 s2, s8, s10
	s_add_i32 s8, s8, s2
	s_delay_alu instid0(SALU_CYCLE_1) | instskip(NEXT) | instid1(SALU_CYCLE_1)
	s_mul_hi_u32 s2, s14, s8
	s_mul_i32 s3, s2, s6
	s_add_i32 s8, s2, 1
	s_sub_i32 s3, s14, s3
	s_delay_alu instid0(SALU_CYCLE_1)
	s_sub_i32 s10, s3, s6
	s_cmp_ge_u32 s3, s6
	s_cselect_b32 s2, s8, s2
	s_cselect_b32 s3, s10, s3
	s_add_i32 s8, s2, 1
	s_cmp_ge_u32 s3, s6
	s_cselect_b32 s12, s8, s2
	s_delay_alu instid0(SALU_CYCLE_1)
	s_cmp_ge_u32 s12, s9
	s_cbranch_scc1 .LBB118_29
; %bb.1:
	s_load_b128 s[8:11], s[0:1], 0x1d0
	s_lshl_b64 s[2:3], s[12:13], 2
	v_cmp_gt_u32_e32 vcc_lo, 0x100, v0
	v_lshlrev_b32_e32 v1, 2, v0
	s_waitcnt lgkmcnt(0)
	s_add_u32 s8, s8, s2
	s_addc_u32 s9, s9, s3
	s_and_saveexec_b32 s2, vcc_lo
	s_cbranch_execz .LBB118_3
; %bb.2:
	v_mov_b32_e32 v2, 0
	ds_store_b32 v1, v2
.LBB118_3:
	s_or_b32 exec_lo, exec_lo, s2
	s_load_b32 s13, s[0:1], 0x1a0
	s_mul_i32 s2, s12, s6
	s_waitcnt lgkmcnt(0)
	s_sub_i32 s2, s14, s2
	s_barrier
	s_mul_i32 s3, s5, s2
	s_add_i32 s2, s2, 1
	s_lshl_b32 s15, s3, 8
	buffer_gl0_inv
	s_sub_i32 s3, s13, s15
	s_delay_alu instid0(SALU_CYCLE_1) | instskip(SKIP_4) | instid1(VALU_DEP_1)
	s_add_u32 s3, s3, 0xff
	s_addc_u32 s16, 0, 0
	s_cmp_lt_u32 s2, s6
	v_alignbit_b32 v2, s16, s3, 8
	s_mov_b32 s6, 0
	v_readfirstlane_b32 s3, v2
	s_delay_alu instid0(VALU_DEP_1) | instskip(NEXT) | instid1(SALU_CYCLE_1)
	s_cselect_b32 s5, s5, s3
	s_cmp_lt_i32 s5, 1
	s_cbranch_scc1 .LBB118_25
; %bb.4:
	s_clause 0x2
	s_load_b64 s[16:17], s[0:1], 0xd0
	s_load_b64 s[2:3], s[0:1], 0x1b8
	;; [unrolled: 1-line block ×3, first 2 shown]
	s_load_b32 s1, s[8:9], 0x0
	s_waitcnt lgkmcnt(0)
	s_mul_i32 s0, s17, s12
	s_mul_hi_u32 s8, s16, s12
	s_mul_i32 s9, s16, s12
	s_add_i32 s0, s8, s0
	s_add_u32 s8, s18, s9
	s_addc_u32 s9, s19, s0
	s_and_b32 s4, s4, 0xff
	s_cmp_lt_u32 s5, 4
	s_cbranch_scc1 .LBB118_19
; %bb.5:
	v_dual_mov_b32 v3, 1 :: v_dual_add_nc_u32 v2, s15, v0
	s_and_b32 s6, s5, 0x7ffffffc
	s_mov_b32 s12, 0
	s_branch .LBB118_7
.LBB118_6:                              ;   in Loop: Header=BB118_7 Depth=1
	s_or_b32 exec_lo, exec_lo, s16
	v_add_nc_u32_e32 v2, 0x400, v2
	s_add_i32 s12, s12, 4
	s_delay_alu instid0(SALU_CYCLE_1)
	s_cmp_eq_u32 s6, s12
	s_cbranch_scc1 .LBB118_19
.LBB118_7:                              ; =>This Inner Loop Header: Depth=1
	s_mov_b32 s16, exec_lo
	v_cmpx_gt_u32_e64 s13, v2
	s_cbranch_execz .LBB118_10
; %bb.8:                                ;   in Loop: Header=BB118_7 Depth=1
	v_mad_u64_u32 v[4:5], null, v2, s2, s[8:9]
	s_delay_alu instid0(VALU_DEP_1) | instskip(NEXT) | instid1(VALU_DEP_1)
	v_mad_u64_u32 v[6:7], null, v2, s3, v[5:6]
	v_mov_b32_e32 v5, v6
	global_load_u8 v4, v[4:5], off
	s_waitcnt vmcnt(0)
	v_xor_b32_e32 v5, s1, v4
	s_delay_alu instid0(VALU_DEP_1) | instskip(NEXT) | instid1(VALU_DEP_1)
	v_and_b32_e32 v5, s7, v5
	v_cmp_eq_u32_e64 s0, 0, v5
	s_delay_alu instid0(VALU_DEP_1)
	s_and_b32 exec_lo, exec_lo, s0
	s_cbranch_execz .LBB118_10
; %bb.9:                                ;   in Loop: Header=BB118_7 Depth=1
	v_lshrrev_b32_e32 v4, s4, v4
	s_delay_alu instid0(VALU_DEP_1)
	v_lshlrev_b32_e32 v4, 2, v4
	ds_add_u32 v4, v3
.LBB118_10:                             ;   in Loop: Header=BB118_7 Depth=1
	s_or_b32 exec_lo, exec_lo, s16
	v_add_nc_u32_e32 v4, 0x100, v2
	s_mov_b32 s16, exec_lo
	s_delay_alu instid0(VALU_DEP_1)
	v_cmpx_gt_u32_e64 s13, v4
	s_cbranch_execz .LBB118_13
; %bb.11:                               ;   in Loop: Header=BB118_7 Depth=1
	v_mad_u64_u32 v[5:6], null, v4, s2, s[8:9]
	s_delay_alu instid0(VALU_DEP_1) | instskip(NEXT) | instid1(VALU_DEP_1)
	v_mad_u64_u32 v[7:8], null, v4, s3, v[6:7]
	v_mov_b32_e32 v6, v7
	global_load_u8 v4, v[5:6], off
	s_waitcnt vmcnt(0)
	v_xor_b32_e32 v5, s1, v4
	s_delay_alu instid0(VALU_DEP_1) | instskip(NEXT) | instid1(VALU_DEP_1)
	v_and_b32_e32 v5, s7, v5
	v_cmp_eq_u32_e64 s0, 0, v5
	s_delay_alu instid0(VALU_DEP_1)
	s_and_b32 exec_lo, exec_lo, s0
	s_cbranch_execz .LBB118_13
; %bb.12:                               ;   in Loop: Header=BB118_7 Depth=1
	v_lshrrev_b32_e32 v4, s4, v4
	s_delay_alu instid0(VALU_DEP_1)
	v_lshlrev_b32_e32 v4, 2, v4
	ds_add_u32 v4, v3
.LBB118_13:                             ;   in Loop: Header=BB118_7 Depth=1
	s_or_b32 exec_lo, exec_lo, s16
	v_add_nc_u32_e32 v4, 0x200, v2
	s_mov_b32 s16, exec_lo
	s_delay_alu instid0(VALU_DEP_1)
	v_cmpx_gt_u32_e64 s13, v4
	s_cbranch_execz .LBB118_16
; %bb.14:                               ;   in Loop: Header=BB118_7 Depth=1
	v_mad_u64_u32 v[5:6], null, v4, s2, s[8:9]
	s_delay_alu instid0(VALU_DEP_1) | instskip(NEXT) | instid1(VALU_DEP_1)
	v_mad_u64_u32 v[7:8], null, v4, s3, v[6:7]
	v_mov_b32_e32 v6, v7
	global_load_u8 v4, v[5:6], off
	s_waitcnt vmcnt(0)
	v_xor_b32_e32 v5, s1, v4
	s_delay_alu instid0(VALU_DEP_1) | instskip(NEXT) | instid1(VALU_DEP_1)
	v_and_b32_e32 v5, s7, v5
	v_cmp_eq_u32_e64 s0, 0, v5
	s_delay_alu instid0(VALU_DEP_1)
	s_and_b32 exec_lo, exec_lo, s0
	s_cbranch_execz .LBB118_16
; %bb.15:                               ;   in Loop: Header=BB118_7 Depth=1
	v_lshrrev_b32_e32 v4, s4, v4
	s_delay_alu instid0(VALU_DEP_1)
	v_lshlrev_b32_e32 v4, 2, v4
	ds_add_u32 v4, v3
.LBB118_16:                             ;   in Loop: Header=BB118_7 Depth=1
	s_or_b32 exec_lo, exec_lo, s16
	v_add_nc_u32_e32 v4, 0x300, v2
	s_mov_b32 s16, exec_lo
	s_delay_alu instid0(VALU_DEP_1)
	v_cmpx_gt_u32_e64 s13, v4
	s_cbranch_execz .LBB118_6
; %bb.17:                               ;   in Loop: Header=BB118_7 Depth=1
	v_mad_u64_u32 v[5:6], null, v4, s2, s[8:9]
	s_delay_alu instid0(VALU_DEP_1) | instskip(NEXT) | instid1(VALU_DEP_1)
	v_mad_u64_u32 v[7:8], null, v4, s3, v[6:7]
	v_mov_b32_e32 v6, v7
	global_load_u8 v4, v[5:6], off
	s_waitcnt vmcnt(0)
	v_xor_b32_e32 v5, s1, v4
	s_delay_alu instid0(VALU_DEP_1) | instskip(NEXT) | instid1(VALU_DEP_1)
	v_and_b32_e32 v5, s7, v5
	v_cmp_eq_u32_e64 s0, 0, v5
	s_delay_alu instid0(VALU_DEP_1)
	s_and_b32 exec_lo, exec_lo, s0
	s_cbranch_execz .LBB118_6
; %bb.18:                               ;   in Loop: Header=BB118_7 Depth=1
	v_lshrrev_b32_e32 v4, s4, v4
	s_delay_alu instid0(VALU_DEP_1)
	v_lshlrev_b32_e32 v4, 2, v4
	ds_add_u32 v4, v3
	s_branch .LBB118_6
.LBB118_19:
	s_and_b32 s5, s5, 3
	s_delay_alu instid0(SALU_CYCLE_1)
	s_cmp_eq_u32 s5, 0
	s_cbranch_scc1 .LBB118_25
; %bb.20:
	s_lshl_b32 s0, s6, 8
	v_mov_b32_e32 v3, 1
	v_add3_u32 v2, s0, s15, v0
	s_set_inst_prefetch_distance 0x1
	s_branch .LBB118_22
	.p2align	6
.LBB118_21:                             ;   in Loop: Header=BB118_22 Depth=1
	s_or_b32 exec_lo, exec_lo, s6
	v_add_nc_u32_e32 v2, 0x100, v2
	s_add_i32 s5, s5, -1
	s_delay_alu instid0(SALU_CYCLE_1)
	s_cmp_lg_u32 s5, 0
	s_cbranch_scc0 .LBB118_25
.LBB118_22:                             ; =>This Inner Loop Header: Depth=1
	s_mov_b32 s6, exec_lo
	s_delay_alu instid0(VALU_DEP_1)
	v_cmpx_gt_u32_e64 s13, v2
	s_cbranch_execz .LBB118_21
; %bb.23:                               ;   in Loop: Header=BB118_22 Depth=1
	v_mad_u64_u32 v[4:5], null, v2, s2, s[8:9]
	s_delay_alu instid0(VALU_DEP_1) | instskip(NEXT) | instid1(VALU_DEP_1)
	v_mad_u64_u32 v[6:7], null, v2, s3, v[5:6]
	v_mov_b32_e32 v5, v6
	global_load_u8 v4, v[4:5], off
	s_waitcnt vmcnt(0)
	v_xor_b32_e32 v5, s1, v4
	s_delay_alu instid0(VALU_DEP_1) | instskip(NEXT) | instid1(VALU_DEP_1)
	v_and_b32_e32 v5, s7, v5
	v_cmp_eq_u32_e64 s0, 0, v5
	s_delay_alu instid0(VALU_DEP_1)
	s_and_b32 exec_lo, exec_lo, s0
	s_cbranch_execz .LBB118_21
; %bb.24:                               ;   in Loop: Header=BB118_22 Depth=1
	v_lshrrev_b32_e32 v4, s4, v4
	s_delay_alu instid0(VALU_DEP_1)
	v_lshlrev_b32_e32 v4, 2, v4
	ds_add_u32 v4, v3
	s_branch .LBB118_21
.LBB118_25:
	s_set_inst_prefetch_distance 0x2
	v_mov_b32_e32 v2, 0
	s_waitcnt lgkmcnt(0)
	s_barrier
	buffer_gl0_inv
	s_and_saveexec_b32 s0, vcc_lo
	s_cbranch_execz .LBB118_27
; %bb.26:
	ds_load_b32 v2, v1
.LBB118_27:
	s_or_b32 exec_lo, exec_lo, s0
	s_and_saveexec_b32 s0, vcc_lo
	s_cbranch_execz .LBB118_29
; %bb.28:
	v_lshl_or_b32 v0, s14, 8, v0
	v_mov_b32_e32 v1, 0
	s_delay_alu instid0(VALU_DEP_1) | instskip(NEXT) | instid1(VALU_DEP_1)
	v_lshlrev_b64 v[0:1], 1, v[0:1]
	v_add_co_u32 v0, vcc_lo, s10, v0
	s_delay_alu instid0(VALU_DEP_2)
	v_add_co_ci_u32_e32 v1, vcc_lo, s11, v1, vcc_lo
	s_waitcnt lgkmcnt(0)
	global_store_b16 v[0:1], v2, off
.LBB118_29:
	s_nop 0
	s_sendmsg sendmsg(MSG_DEALLOC_VGPRS)
	s_endpgm
	.section	.rodata,"a",@progbits
	.p2align	6, 0x0
	.amdhsa_kernel _ZN2at6native6mbtopk23computeBlockDigitCountsIhmjLi1EEEvNS_4cuda6detail10TensorInfoIKT_T0_EEjPjjS8_iijT1_PSB_Ps
		.amdhsa_group_segment_fixed_size 1024
		.amdhsa_private_segment_fixed_size 0
		.amdhsa_kernarg_size 736
		.amdhsa_user_sgpr_count 13
		.amdhsa_user_sgpr_dispatch_ptr 0
		.amdhsa_user_sgpr_queue_ptr 0
		.amdhsa_user_sgpr_kernarg_segment_ptr 1
		.amdhsa_user_sgpr_dispatch_id 0
		.amdhsa_user_sgpr_private_segment_size 0
		.amdhsa_wavefront_size32 1
		.amdhsa_uses_dynamic_stack 0
		.amdhsa_enable_private_segment 0
		.amdhsa_system_sgpr_workgroup_id_x 1
		.amdhsa_system_sgpr_workgroup_id_y 1
		.amdhsa_system_sgpr_workgroup_id_z 1
		.amdhsa_system_sgpr_workgroup_info 0
		.amdhsa_system_vgpr_workitem_id 0
		.amdhsa_next_free_vgpr 9
		.amdhsa_next_free_sgpr 20
		.amdhsa_reserve_vcc 1
		.amdhsa_float_round_mode_32 0
		.amdhsa_float_round_mode_16_64 0
		.amdhsa_float_denorm_mode_32 3
		.amdhsa_float_denorm_mode_16_64 3
		.amdhsa_dx10_clamp 1
		.amdhsa_ieee_mode 1
		.amdhsa_fp16_overflow 0
		.amdhsa_workgroup_processor_mode 1
		.amdhsa_memory_ordered 1
		.amdhsa_forward_progress 0
		.amdhsa_shared_vgpr_count 0
		.amdhsa_exception_fp_ieee_invalid_op 0
		.amdhsa_exception_fp_denorm_src 0
		.amdhsa_exception_fp_ieee_div_zero 0
		.amdhsa_exception_fp_ieee_overflow 0
		.amdhsa_exception_fp_ieee_underflow 0
		.amdhsa_exception_fp_ieee_inexact 0
		.amdhsa_exception_int_div_zero 0
	.end_amdhsa_kernel
	.section	.text._ZN2at6native6mbtopk23computeBlockDigitCountsIhmjLi1EEEvNS_4cuda6detail10TensorInfoIKT_T0_EEjPjjS8_iijT1_PSB_Ps,"axG",@progbits,_ZN2at6native6mbtopk23computeBlockDigitCountsIhmjLi1EEEvNS_4cuda6detail10TensorInfoIKT_T0_EEjPjjS8_iijT1_PSB_Ps,comdat
.Lfunc_end118:
	.size	_ZN2at6native6mbtopk23computeBlockDigitCountsIhmjLi1EEEvNS_4cuda6detail10TensorInfoIKT_T0_EEjPjjS8_iijT1_PSB_Ps, .Lfunc_end118-_ZN2at6native6mbtopk23computeBlockDigitCountsIhmjLi1EEEvNS_4cuda6detail10TensorInfoIKT_T0_EEjPjjS8_iijT1_PSB_Ps
                                        ; -- End function
	.section	.AMDGPU.csdata,"",@progbits
; Kernel info:
; codeLenInByte = 1232
; NumSgprs: 22
; NumVgprs: 9
; ScratchSize: 0
; MemoryBound: 0
; FloatMode: 240
; IeeeMode: 1
; LDSByteSize: 1024 bytes/workgroup (compile time only)
; SGPRBlocks: 2
; VGPRBlocks: 1
; NumSGPRsForWavesPerEU: 22
; NumVGPRsForWavesPerEU: 9
; Occupancy: 16
; WaveLimiterHint : 1
; COMPUTE_PGM_RSRC2:SCRATCH_EN: 0
; COMPUTE_PGM_RSRC2:USER_SGPR: 13
; COMPUTE_PGM_RSRC2:TRAP_HANDLER: 0
; COMPUTE_PGM_RSRC2:TGID_X_EN: 1
; COMPUTE_PGM_RSRC2:TGID_Y_EN: 1
; COMPUTE_PGM_RSRC2:TGID_Z_EN: 1
; COMPUTE_PGM_RSRC2:TIDIG_COMP_CNT: 0
	.section	.text._ZN2at6native6mbtopk10gatherTopKIhmLi1EEEvNS_4cuda6detail10TensorInfoIKT_T0_EES8_S8_bjS8_NS5_IS6_S8_EES8_NS5_IlS8_EES8_jjPS6_PjSD_j,"axG",@progbits,_ZN2at6native6mbtopk10gatherTopKIhmLi1EEEvNS_4cuda6detail10TensorInfoIKT_T0_EES8_S8_bjS8_NS5_IS6_S8_EES8_NS5_IlS8_EES8_jjPS6_PjSD_j,comdat
	.protected	_ZN2at6native6mbtopk10gatherTopKIhmLi1EEEvNS_4cuda6detail10TensorInfoIKT_T0_EES8_S8_bjS8_NS5_IS6_S8_EES8_NS5_IlS8_EES8_jjPS6_PjSD_j ; -- Begin function _ZN2at6native6mbtopk10gatherTopKIhmLi1EEEvNS_4cuda6detail10TensorInfoIKT_T0_EES8_S8_bjS8_NS5_IS6_S8_EES8_NS5_IlS8_EES8_jjPS6_PjSD_j
	.globl	_ZN2at6native6mbtopk10gatherTopKIhmLi1EEEvNS_4cuda6detail10TensorInfoIKT_T0_EES8_S8_bjS8_NS5_IS6_S8_EES8_NS5_IlS8_EES8_jjPS6_PjSD_j
	.p2align	8
	.type	_ZN2at6native6mbtopk10gatherTopKIhmLi1EEEvNS_4cuda6detail10TensorInfoIKT_T0_EES8_S8_bjS8_NS5_IS6_S8_EES8_NS5_IlS8_EES8_jjPS6_PjSD_j,@function
_ZN2at6native6mbtopk10gatherTopKIhmLi1EEEvNS_4cuda6detail10TensorInfoIKT_T0_EES8_S8_bjS8_NS5_IS6_S8_EES8_NS5_IlS8_EES8_jjPS6_PjSD_j: ; @_ZN2at6native6mbtopk10gatherTopKIhmLi1EEEvNS_4cuda6detail10TensorInfoIKT_T0_EES8_S8_bjS8_NS5_IS6_S8_EES8_NS5_IlS8_EES8_jjPS6_PjSD_j
; %bb.0:
	s_clause 0x1
	s_load_b64 s[2:3], s[0:1], 0x538
	s_load_b32 s4, s[0:1], 0x530
	s_waitcnt lgkmcnt(0)
	s_mul_i32 s3, s3, s15
	s_delay_alu instid0(SALU_CYCLE_1) | instskip(NEXT) | instid1(SALU_CYCLE_1)
	s_add_i32 s3, s3, s14
	s_mul_i32 s2, s3, s2
	s_delay_alu instid0(SALU_CYCLE_1) | instskip(NEXT) | instid1(SALU_CYCLE_1)
	s_add_i32 s2, s2, s13
	s_cmp_ge_u32 s2, s4
	s_cbranch_scc1 .LBB119_42
; %bb.1:
	s_load_b64 s[16:17], s[0:1], 0x510
	s_waitcnt lgkmcnt(0)
	v_cvt_f32_u32_e32 v1, s17
	s_sub_i32 s4, 0, s17
	s_lshl_b32 s33, s16, 8
	s_delay_alu instid0(VALU_DEP_1) | instskip(SKIP_2) | instid1(VALU_DEP_1)
	v_rcp_iflag_f32_e32 v1, v1
	s_waitcnt_depctr 0xfff
	v_mul_f32_e32 v1, 0x4f7ffffe, v1
	v_cvt_u32_f32_e32 v1, v1
	s_delay_alu instid0(VALU_DEP_1) | instskip(NEXT) | instid1(VALU_DEP_1)
	v_readfirstlane_b32 s3, v1
	s_mul_i32 s4, s4, s3
	s_delay_alu instid0(SALU_CYCLE_1) | instskip(NEXT) | instid1(SALU_CYCLE_1)
	s_mul_hi_u32 s4, s3, s4
	s_add_i32 s3, s3, s4
	s_load_b128 s[4:7], s[0:1], 0x1a0
	s_mul_hi_u32 s3, s2, s3
	s_delay_alu instid0(SALU_CYCLE_1) | instskip(SKIP_2) | instid1(SALU_CYCLE_1)
	s_mul_i32 s8, s3, s17
	s_add_i32 s9, s3, 1
	s_sub_i32 s8, s2, s8
	s_sub_i32 s10, s8, s17
	s_cmp_ge_u32 s8, s17
	s_cselect_b32 s3, s9, s3
	s_cselect_b32 s8, s10, s8
	s_add_i32 s9, s3, 1
	s_cmp_ge_u32 s8, s17
	s_cselect_b32 s35, s9, s3
	s_delay_alu instid0(SALU_CYCLE_1) | instskip(NEXT) | instid1(SALU_CYCLE_1)
	s_mul_i32 s26, s35, s17
	s_sub_i32 s34, s2, s26
	s_delay_alu instid0(SALU_CYCLE_1) | instskip(NEXT) | instid1(SALU_CYCLE_1)
	s_add_i32 s2, s34, 1
	s_cmp_lt_u32 s2, s17
	s_cbranch_scc1 .LBB119_3
; %bb.2:
	s_mul_i32 s2, s34, s33
	s_waitcnt lgkmcnt(0)
	s_sub_u32 s2, s4, s2
	s_subb_u32 s3, s5, 0
	s_add_u32 s2, s2, 0xff
	s_addc_u32 s3, s3, 0
	s_delay_alu instid0(SALU_CYCLE_1) | instskip(NEXT) | instid1(SALU_CYCLE_1)
	s_ashr_i32 s8, s3, 31
	s_lshr_b32 s8, s8, 24
	s_delay_alu instid0(SALU_CYCLE_1) | instskip(SKIP_1) | instid1(SALU_CYCLE_1)
	s_add_u32 s2, s2, s8
	s_addc_u32 s3, s3, 0
	v_alignbit_b32 v1, s3, s2, 8
	s_delay_alu instid0(VALU_DEP_1)
	v_readfirstlane_b32 s16, v1
.LBB119_3:
	s_load_b128 s[8:11], s[0:1], 0x518
	v_mov_b32_e32 v1, s35
	v_cmp_ne_u32_e64 s2, 0, v0
	v_cmp_eq_u32_e64 s3, 0, v0
	s_waitcnt lgkmcnt(0)
	global_load_u8 v4, v1, s[8:9]
	s_clause 0x3
	s_load_b64 s[20:21], s[0:1], 0x0
	s_load_b64 s[24:25], s[0:1], 0xd0
	;; [unrolled: 1-line block ×4, first 2 shown]
	s_and_saveexec_b32 s36, s3
	s_cbranch_execz .LBB119_19
; %bb.4:
	s_load_b64 s[8:9], s[0:1], 0x528
	s_mov_b32 s27, 0
	s_mov_b32 s37, 0
	s_lshl_b64 s[28:29], s[26:27], 2
	s_mov_b32 s26, 0
	s_add_u32 s12, s10, s28
	s_addc_u32 s13, s11, s29
	s_waitcnt lgkmcnt(0)
	s_add_u32 s14, s8, s28
	s_addc_u32 s15, s9, s29
	s_cmp_lt_u32 s17, 4
	s_cbranch_scc1 .LBB119_16
; %bb.5:
	s_mov_b32 s38, 0
.LBB119_6:                              ; =>This Inner Loop Header: Depth=1
	s_add_u32 s12, s10, s28
	s_addc_u32 s13, s11, s29
	s_add_u32 s30, s8, s28
	s_load_b128 s[12:15], s[12:13], 0x0
	s_addc_u32 s31, s9, s29
	s_cmp_ge_u32 s38, s34
	s_cbranch_scc0 .LBB119_13
; %bb.7:                                ;   in Loop: Header=BB119_6 Depth=1
	s_add_i32 s39, s38, 1
	s_delay_alu instid0(SALU_CYCLE_1)
	s_cmp_ge_u32 s39, s34
	s_cbranch_scc0 .LBB119_14
.LBB119_8:                              ;   in Loop: Header=BB119_6 Depth=1
	s_add_i32 s39, s39, 1
	s_delay_alu instid0(SALU_CYCLE_1)
	s_cmp_ge_u32 s39, s34
	s_cbranch_scc0 .LBB119_15
.LBB119_9:                              ;   in Loop: Header=BB119_6 Depth=1
	s_add_i32 s39, s39, 1
	s_delay_alu instid0(SALU_CYCLE_1)
	s_cmp_ge_u32 s39, s34
	s_cbranch_scc1 .LBB119_11
.LBB119_10:                             ;   in Loop: Header=BB119_6 Depth=1
	s_load_b32 s30, s[30:31], 0xc
	s_waitcnt lgkmcnt(0)
	s_add_i32 s27, s27, s15
	s_add_i32 s26, s30, s26
.LBB119_11:                             ;   in Loop: Header=BB119_6 Depth=1
	s_waitcnt lgkmcnt(0)
	s_add_i32 s12, s12, s37
	s_delay_alu instid0(SALU_CYCLE_1) | instskip(NEXT) | instid1(SALU_CYCLE_1)
	s_add_i32 s12, s12, s13
	s_add_i32 s12, s12, s14
	s_delay_alu instid0(SALU_CYCLE_1)
	s_add_i32 s37, s12, s15
	s_add_u32 s10, s10, 16
	s_addc_u32 s11, s11, 0
	s_add_u32 s8, s8, 16
	s_addc_u32 s9, s9, 0
	s_add_i32 s31, s39, 4
	s_add_u32 s14, s8, s28
	s_addc_u32 s15, s9, s29
	s_add_u32 s12, s10, s28
	s_addc_u32 s13, s11, s29
	s_add_i32 s30, s39, 1
	s_cmp_ge_u32 s31, s17
	s_cbranch_scc1 .LBB119_17
; %bb.12:                               ;   in Loop: Header=BB119_6 Depth=1
	s_mov_b32 s38, s30
	s_branch .LBB119_6
.LBB119_13:                             ;   in Loop: Header=BB119_6 Depth=1
	s_load_b32 s39, s[30:31], 0x0
	s_waitcnt lgkmcnt(0)
	s_add_i32 s27, s12, s27
	s_add_i32 s26, s39, s26
	;; [unrolled: 1-line block ×3, first 2 shown]
	s_delay_alu instid0(SALU_CYCLE_1)
	s_cmp_ge_u32 s39, s34
	s_cbranch_scc1 .LBB119_8
.LBB119_14:                             ;   in Loop: Header=BB119_6 Depth=1
	s_load_b32 s40, s[30:31], 0x4
	s_waitcnt lgkmcnt(0)
	s_add_i32 s27, s27, s13
	s_add_i32 s26, s40, s26
	s_add_i32 s39, s39, 1
	s_delay_alu instid0(SALU_CYCLE_1)
	s_cmp_ge_u32 s39, s34
	s_cbranch_scc1 .LBB119_9
.LBB119_15:                             ;   in Loop: Header=BB119_6 Depth=1
	s_load_b32 s40, s[30:31], 0x8
	s_waitcnt lgkmcnt(0)
	s_add_i32 s27, s27, s14
	s_add_i32 s26, s40, s26
	;; [unrolled: 1-line block ×3, first 2 shown]
	s_delay_alu instid0(SALU_CYCLE_1)
	s_cmp_ge_u32 s39, s34
	s_cbranch_scc0 .LBB119_10
	s_branch .LBB119_11
.LBB119_16:
	s_mov_b32 s8, 0
	s_delay_alu instid0(SALU_CYCLE_1)
	s_cmp_ge_u32 s8, s17
	s_cbranch_scc0 .LBB119_40
	s_branch .LBB119_18
.LBB119_17:
	s_add_i32 s8, s38, 4
	s_delay_alu instid0(SALU_CYCLE_1)
	s_cmp_ge_u32 s8, s17
	s_cbranch_scc0 .LBB119_40
.LBB119_18:
	v_dual_mov_b32 v1, s26 :: v_dual_mov_b32 v2, s37
	v_mov_b32_e32 v3, s27
	v_mov_b32_e32 v5, 0
	ds_store_b96 v5, v[1:3] offset:1056
.LBB119_19:
	s_or_b32 exec_lo, exec_lo, s36
	s_clause 0x1
	s_load_b128 s[8:11], s[0:1], 0x1b8
	s_load_b128 s[12:15], s[0:1], 0x360
	s_cmp_eq_u32 s16, 0
	s_waitcnt vmcnt(0) lgkmcnt(0)
	s_barrier
	buffer_gl0_inv
	s_cbranch_scc1 .LBB119_42
; %bb.20:
	v_dual_mov_b32 v5, 0 :: v_dual_add_nc_u32 v10, -1, v0
	s_mul_hi_u32 s26, s22, s35
	s_mul_i32 s27, s22, s35
	s_mul_i32 s28, s19, s35
	ds_load_b96 v[1:3], v5 offset:1056
	s_mul_hi_u32 s29, s18, s35
	s_mul_i32 s22, s18, s35
	s_clause 0x1
	s_load_b32 s30, s[0:1], 0x1b0
	s_load_b64 s[18:19], s[0:1], 0x508
	v_lshrrev_b32_e32 v6, 5, v0
	s_mul_i32 s17, s25, s35
	s_mul_hi_u32 s25, s24, s35
	s_mul_i32 s23, s23, s35
	s_mul_i32 s24, s24, s35
	v_add_lshl_u32 v8, v6, v0, 2
	s_add_i32 s25, s25, s17
	s_add_i32 s26, s26, s23
	;; [unrolled: 1-line block ×3, first 2 shown]
	s_add_u32 s20, s20, s24
	s_addc_u32 s21, s21, s25
	v_lshrrev_b32_e32 v11, 2, v0
	v_lshrrev_b32_e32 v12, 5, v10
	v_mbcnt_lo_u32_b32 v9, -1, 0
	s_add_u32 s10, s10, s27
	s_addc_u32 s11, s11, s26
	s_waitcnt lgkmcnt(0)
	v_add_nc_u32_e32 v1, v1, v2
	v_lshlrev_b32_e32 v2, 3, v0
	s_lshl_b64 s[0:1], s[22:23], 3
	v_add_lshl_u32 v10, v12, v10, 2
	s_add_u32 s14, s14, s0
	v_mad_u64_u32 v[6:7], null, s34, s33, v[0:1]
	s_addc_u32 s15, s15, s1
	v_cmp_gt_u32_e64 s0, 32, v0
	v_add_lshl_u32 v0, v11, v2, 2
	v_and_b32_e32 v11, 0xff, v4
	v_and_b32_e32 v12, 15, v9
	v_bfe_i32 v13, v9, 4, 1
	v_mov_b32_e32 v4, v6
	v_add_nc_u32_e32 v14, -1, v9
	s_bitcmp1_b32 s30, 0
                                        ; implicit-def: $vgpr15
	s_cselect_b32 s1, -1, 0
	s_branch .LBB119_23
.LBB119_21:                             ;   in Loop: Header=BB119_23 Depth=1
	s_or_b32 exec_lo, exec_lo, s17
	v_add_nc_u32_e32 v1, v2, v1
.LBB119_22:                             ;   in Loop: Header=BB119_23 Depth=1
	v_add_nc_u32_e32 v3, v16, v3
	v_add_nc_u32_e32 v4, 0x100, v4
	s_add_i32 s16, s16, -1
	s_delay_alu instid0(SALU_CYCLE_1)
	s_cmp_lg_u32 s16, 0
	s_cbranch_scc0 .LBB119_42
.LBB119_23:                             ; =>This Inner Loop Header: Depth=1
	v_mov_b32_e32 v2, v5
	v_mov_b32_e32 v6, v5
	s_mov_b32 s17, exec_lo
	v_cmpx_gt_u64_e64 s[4:5], v[4:5]
	s_cbranch_execz .LBB119_25
; %bb.24:                               ;   in Loop: Header=BB119_23 Depth=1
	v_mad_u64_u32 v[6:7], null, v4, s8, s[20:21]
	s_delay_alu instid0(VALU_DEP_1) | instskip(NEXT) | instid1(VALU_DEP_1)
	v_mov_b32_e32 v2, v7
	v_mad_u64_u32 v[15:16], null, v4, s9, v[2:3]
	s_delay_alu instid0(VALU_DEP_1)
	v_mov_b32_e32 v7, v15
	global_load_u8 v15, v[6:7], off
	s_waitcnt vmcnt(0)
	v_cmp_gt_u16_e32 vcc_lo, v15, v11
	v_cndmask_b32_e64 v2, 0, 1, vcc_lo
	v_cmp_lt_u16_e32 vcc_lo, v15, v11
	v_cndmask_b32_e64 v6, 0, 1, vcc_lo
	v_cmp_eq_u16_e32 vcc_lo, v15, v11
	s_delay_alu instid0(VALU_DEP_2) | instskip(SKIP_1) | instid1(VALU_DEP_2)
	v_cndmask_b32_e64 v2, v6, v2, s1
	v_cndmask_b32_e64 v6, 0, 1, vcc_lo
	v_and_b32_e32 v2, 1, v2
.LBB119_25:                             ;   in Loop: Header=BB119_23 Depth=1
	s_or_b32 exec_lo, exec_lo, s17
	ds_store_b32 v8, v2
	s_waitcnt lgkmcnt(0)
	s_waitcnt_vscnt null, 0x0
	s_barrier
	buffer_gl0_inv
	s_and_saveexec_b32 s17, s0
	s_cbranch_execz .LBB119_27
; %bb.26:                               ;   in Loop: Header=BB119_23 Depth=1
	ds_load_2addr_b32 v[16:17], v0 offset1:1
	ds_load_2addr_b32 v[18:19], v0 offset0:2 offset1:3
	ds_load_2addr_b32 v[20:21], v0 offset0:4 offset1:5
	;; [unrolled: 1-line block ×3, first 2 shown]
	v_cmp_ne_u32_e32 vcc_lo, 0, v12
	; wave barrier
	s_waitcnt lgkmcnt(3)
	v_add_nc_u32_e32 v7, v17, v16
	s_waitcnt lgkmcnt(2)
	s_delay_alu instid0(VALU_DEP_1) | instskip(SKIP_1) | instid1(VALU_DEP_1)
	v_add3_u32 v7, v7, v18, v19
	s_waitcnt lgkmcnt(1)
	v_add3_u32 v7, v7, v20, v21
	s_waitcnt lgkmcnt(0)
	s_delay_alu instid0(VALU_DEP_1) | instskip(NEXT) | instid1(VALU_DEP_1)
	v_add3_u32 v7, v7, v22, v23
	v_mov_b32_dpp v17, v7 row_shr:1 row_mask:0xf bank_mask:0xf
	s_delay_alu instid0(VALU_DEP_1) | instskip(SKIP_1) | instid1(VALU_DEP_2)
	v_cndmask_b32_e32 v17, 0, v17, vcc_lo
	v_cmp_lt_u32_e32 vcc_lo, 1, v12
	v_add_nc_u32_e32 v7, v17, v7
	s_delay_alu instid0(VALU_DEP_1) | instskip(NEXT) | instid1(VALU_DEP_1)
	v_mov_b32_dpp v17, v7 row_shr:2 row_mask:0xf bank_mask:0xf
	v_cndmask_b32_e32 v17, 0, v17, vcc_lo
	v_cmp_lt_u32_e32 vcc_lo, 3, v12
	s_delay_alu instid0(VALU_DEP_2) | instskip(NEXT) | instid1(VALU_DEP_1)
	v_add_nc_u32_e32 v7, v7, v17
	v_mov_b32_dpp v17, v7 row_shr:4 row_mask:0xf bank_mask:0xf
	s_delay_alu instid0(VALU_DEP_1) | instskip(SKIP_1) | instid1(VALU_DEP_2)
	v_cndmask_b32_e32 v17, 0, v17, vcc_lo
	v_cmp_lt_u32_e32 vcc_lo, 7, v12
	v_add_nc_u32_e32 v7, v7, v17
	s_delay_alu instid0(VALU_DEP_1) | instskip(NEXT) | instid1(VALU_DEP_1)
	v_mov_b32_dpp v17, v7 row_shr:8 row_mask:0xf bank_mask:0xf
	v_cndmask_b32_e32 v17, 0, v17, vcc_lo
	v_cmp_gt_i32_e32 vcc_lo, 0, v14
	s_delay_alu instid0(VALU_DEP_2)
	v_add_nc_u32_e32 v7, v7, v17
	v_cndmask_b32_e32 v18, v14, v9, vcc_lo
	ds_swizzle_b32 v17, v7 offset:swizzle(BROADCAST,32,15)
	v_lshlrev_b32_e32 v18, 2, v18
	s_waitcnt lgkmcnt(0)
	v_and_b32_e32 v17, v13, v17
	s_delay_alu instid0(VALU_DEP_1) | instskip(SKIP_3) | instid1(VALU_DEP_1)
	v_add_nc_u32_e32 v7, v7, v17
	ds_bpermute_b32 v7, v18, v7
	s_waitcnt lgkmcnt(0)
	v_add_nc_u32_e32 v7, v7, v16
	v_cndmask_b32_e64 v7, v7, v2, s3
	ds_store_b32 v0, v7
	; wave barrier
	ds_load_2addr_b32 v[16:17], v0 offset0:1 offset1:2
	ds_load_2addr_b32 v[18:19], v0 offset0:3 offset1:4
	;; [unrolled: 1-line block ×3, first 2 shown]
	ds_load_b32 v22, v0 offset:28
	s_waitcnt lgkmcnt(3)
	v_add_nc_u32_e32 v7, v16, v7
	s_delay_alu instid0(VALU_DEP_1) | instskip(SKIP_1) | instid1(VALU_DEP_1)
	v_add_nc_u32_e32 v16, v17, v7
	s_waitcnt lgkmcnt(2)
	v_add_nc_u32_e32 v17, v18, v16
	s_delay_alu instid0(VALU_DEP_1) | instskip(SKIP_1) | instid1(VALU_DEP_1)
	v_add_nc_u32_e32 v18, v19, v17
	;; [unrolled: 4-line block ×3, first 2 shown]
	s_waitcnt lgkmcnt(0)
	v_add_nc_u32_e32 v21, v22, v20
	ds_store_2addr_b32 v0, v7, v16 offset0:1 offset1:2
	ds_store_2addr_b32 v0, v17, v18 offset0:3 offset1:4
	ds_store_2addr_b32 v0, v19, v20 offset0:5 offset1:6
	ds_store_b32 v0, v21 offset:28
.LBB119_27:                             ;   in Loop: Header=BB119_23 Depth=1
	s_or_b32 exec_lo, exec_lo, s17
	v_mov_b32_e32 v7, 0
	s_waitcnt lgkmcnt(0)
	s_barrier
	buffer_gl0_inv
	s_and_saveexec_b32 s17, s2
	s_cbranch_execz .LBB119_29
; %bb.28:                               ;   in Loop: Header=BB119_23 Depth=1
	ds_load_b32 v7, v10
.LBB119_29:                             ;   in Loop: Header=BB119_23 Depth=1
	s_or_b32 exec_lo, exec_lo, s17
	ds_load_b32 v16, v5 offset:1048
	s_mov_b32 s17, exec_lo
	s_waitcnt lgkmcnt(0)
	s_barrier
	buffer_gl0_inv
	v_cmpx_ne_u32_e32 0, v2
	s_cbranch_execz .LBB119_31
; %bb.30:                               ;   in Loop: Header=BB119_23 Depth=1
	v_add_nc_u32_e32 v7, v7, v3
	s_delay_alu instid0(VALU_DEP_1) | instskip(NEXT) | instid1(VALU_DEP_1)
	v_mad_u64_u32 v[17:18], null, v7, s18, 0
	v_mov_b32_e32 v2, v18
	v_mad_u64_u32 v[19:20], null, v7, s12, s[10:11]
	s_delay_alu instid0(VALU_DEP_2) | instskip(NEXT) | instid1(VALU_DEP_2)
	v_mad_u64_u32 v[21:22], null, v7, s19, v[2:3]
	v_mov_b32_e32 v2, v20
	s_delay_alu instid0(VALU_DEP_2) | instskip(NEXT) | instid1(VALU_DEP_2)
	v_mov_b32_e32 v18, v21
	v_mad_u64_u32 v[20:21], null, v7, s13, v[2:3]
	s_delay_alu instid0(VALU_DEP_2) | instskip(NEXT) | instid1(VALU_DEP_1)
	v_lshlrev_b64 v[17:18], 3, v[17:18]
	v_add_co_u32 v17, vcc_lo, s14, v17
	s_delay_alu instid0(VALU_DEP_2)
	v_add_co_ci_u32_e32 v18, vcc_lo, s15, v18, vcc_lo
	global_store_b8 v[19:20], v15, off
	global_store_b64 v[17:18], v[4:5], off
.LBB119_31:                             ;   in Loop: Header=BB119_23 Depth=1
	s_or_b32 exec_lo, exec_lo, s17
	v_mov_b32_e32 v2, v5
	s_delay_alu instid0(VALU_DEP_1)
	v_cmp_le_u64_e32 vcc_lo, s[6:7], v[1:2]
	s_cbranch_vccnz .LBB119_22
; %bb.32:                               ;   in Loop: Header=BB119_23 Depth=1
	ds_store_b32 v8, v6
	s_waitcnt lgkmcnt(0)
	s_waitcnt_vscnt null, 0x0
	s_barrier
	buffer_gl0_inv
	s_and_saveexec_b32 s17, s0
	s_cbranch_execz .LBB119_34
; %bb.33:                               ;   in Loop: Header=BB119_23 Depth=1
	ds_load_2addr_b32 v[17:18], v0 offset1:1
	ds_load_2addr_b32 v[19:20], v0 offset0:2 offset1:3
	ds_load_2addr_b32 v[21:22], v0 offset0:4 offset1:5
	;; [unrolled: 1-line block ×3, first 2 shown]
	v_cmp_ne_u32_e32 vcc_lo, 0, v12
	; wave barrier
	s_waitcnt lgkmcnt(3)
	v_add_nc_u32_e32 v2, v18, v17
	s_waitcnt lgkmcnt(2)
	s_delay_alu instid0(VALU_DEP_1) | instskip(SKIP_1) | instid1(VALU_DEP_1)
	v_add3_u32 v2, v2, v19, v20
	s_waitcnt lgkmcnt(1)
	v_add3_u32 v2, v2, v21, v22
	s_waitcnt lgkmcnt(0)
	s_delay_alu instid0(VALU_DEP_1) | instskip(NEXT) | instid1(VALU_DEP_1)
	v_add3_u32 v2, v2, v23, v24
	v_mov_b32_dpp v7, v2 row_shr:1 row_mask:0xf bank_mask:0xf
	s_delay_alu instid0(VALU_DEP_1) | instskip(SKIP_1) | instid1(VALU_DEP_2)
	v_cndmask_b32_e32 v7, 0, v7, vcc_lo
	v_cmp_lt_u32_e32 vcc_lo, 1, v12
	v_add_nc_u32_e32 v2, v7, v2
	s_delay_alu instid0(VALU_DEP_1) | instskip(NEXT) | instid1(VALU_DEP_1)
	v_mov_b32_dpp v7, v2 row_shr:2 row_mask:0xf bank_mask:0xf
	v_cndmask_b32_e32 v7, 0, v7, vcc_lo
	v_cmp_lt_u32_e32 vcc_lo, 3, v12
	s_delay_alu instid0(VALU_DEP_2) | instskip(NEXT) | instid1(VALU_DEP_1)
	v_add_nc_u32_e32 v2, v2, v7
	v_mov_b32_dpp v7, v2 row_shr:4 row_mask:0xf bank_mask:0xf
	s_delay_alu instid0(VALU_DEP_1) | instskip(SKIP_1) | instid1(VALU_DEP_2)
	v_cndmask_b32_e32 v7, 0, v7, vcc_lo
	v_cmp_lt_u32_e32 vcc_lo, 7, v12
	v_add_nc_u32_e32 v2, v2, v7
	s_delay_alu instid0(VALU_DEP_1) | instskip(NEXT) | instid1(VALU_DEP_1)
	v_mov_b32_dpp v7, v2 row_shr:8 row_mask:0xf bank_mask:0xf
	v_cndmask_b32_e32 v7, 0, v7, vcc_lo
	v_cmp_gt_i32_e32 vcc_lo, 0, v14
	v_cndmask_b32_e32 v18, v14, v9, vcc_lo
	s_delay_alu instid0(VALU_DEP_1) | instskip(NEXT) | instid1(VALU_DEP_4)
	v_lshlrev_b32_e32 v18, 2, v18
	v_add_nc_u32_e32 v2, v2, v7
	ds_swizzle_b32 v7, v2 offset:swizzle(BROADCAST,32,15)
	s_waitcnt lgkmcnt(0)
	v_and_b32_e32 v7, v13, v7
	s_delay_alu instid0(VALU_DEP_1) | instskip(SKIP_3) | instid1(VALU_DEP_1)
	v_add_nc_u32_e32 v2, v2, v7
	ds_bpermute_b32 v2, v18, v2
	s_waitcnt lgkmcnt(0)
	v_add_nc_u32_e32 v2, v2, v17
	v_cndmask_b32_e64 v2, v2, v6, s3
	ds_store_b32 v0, v2
	; wave barrier
	ds_load_2addr_b32 v[17:18], v0 offset0:1 offset1:2
	ds_load_2addr_b32 v[19:20], v0 offset0:3 offset1:4
	;; [unrolled: 1-line block ×3, first 2 shown]
	ds_load_b32 v7, v0 offset:28
	s_waitcnt lgkmcnt(3)
	v_add_nc_u32_e32 v2, v17, v2
	s_delay_alu instid0(VALU_DEP_1) | instskip(SKIP_1) | instid1(VALU_DEP_1)
	v_add_nc_u32_e32 v17, v18, v2
	s_waitcnt lgkmcnt(2)
	v_add_nc_u32_e32 v18, v19, v17
	s_delay_alu instid0(VALU_DEP_1) | instskip(SKIP_1) | instid1(VALU_DEP_1)
	v_add_nc_u32_e32 v19, v20, v18
	;; [unrolled: 4-line block ×3, first 2 shown]
	s_waitcnt lgkmcnt(0)
	v_add_nc_u32_e32 v7, v7, v21
	ds_store_2addr_b32 v0, v2, v17 offset0:1 offset1:2
	ds_store_2addr_b32 v0, v18, v19 offset0:3 offset1:4
	;; [unrolled: 1-line block ×3, first 2 shown]
	ds_store_b32 v0, v7 offset:28
.LBB119_34:                             ;   in Loop: Header=BB119_23 Depth=1
	s_or_b32 exec_lo, exec_lo, s17
	v_mov_b32_e32 v7, 0
	s_waitcnt lgkmcnt(0)
	s_barrier
	buffer_gl0_inv
	s_and_saveexec_b32 s17, s2
	s_cbranch_execz .LBB119_36
; %bb.35:                               ;   in Loop: Header=BB119_23 Depth=1
	ds_load_b32 v7, v10
.LBB119_36:                             ;   in Loop: Header=BB119_23 Depth=1
	s_or_b32 exec_lo, exec_lo, s17
	ds_load_b32 v2, v5 offset:1048
	s_mov_b32 s17, exec_lo
	s_waitcnt lgkmcnt(0)
	s_barrier
	buffer_gl0_inv
	v_cmpx_ne_u32_e32 0, v6
	s_cbranch_execz .LBB119_21
; %bb.37:                               ;   in Loop: Header=BB119_23 Depth=1
	v_dual_mov_b32 v7, v5 :: v_dual_add_nc_u32 v6, v7, v1
	s_delay_alu instid0(VALU_DEP_1)
	v_cmp_gt_u64_e32 vcc_lo, s[6:7], v[6:7]
	s_and_b32 exec_lo, exec_lo, vcc_lo
	s_cbranch_execz .LBB119_21
; %bb.38:                               ;   in Loop: Header=BB119_23 Depth=1
	v_mad_u64_u32 v[17:18], null, v6, s18, 0
	v_mad_u64_u32 v[19:20], null, v6, s12, s[10:11]
	s_delay_alu instid0(VALU_DEP_2) | instskip(NEXT) | instid1(VALU_DEP_1)
	v_mov_b32_e32 v7, v18
	v_mad_u64_u32 v[21:22], null, v6, s19, v[7:8]
	s_delay_alu instid0(VALU_DEP_1) | instskip(NEXT) | instid1(VALU_DEP_1)
	v_dual_mov_b32 v7, v20 :: v_dual_mov_b32 v18, v21
	v_mad_u64_u32 v[20:21], null, v6, s13, v[7:8]
	s_delay_alu instid0(VALU_DEP_2) | instskip(NEXT) | instid1(VALU_DEP_1)
	v_lshlrev_b64 v[6:7], 3, v[17:18]
	v_add_co_u32 v6, vcc_lo, s14, v6
	s_delay_alu instid0(VALU_DEP_2)
	v_add_co_ci_u32_e32 v7, vcc_lo, s15, v7, vcc_lo
	global_store_b8 v[19:20], v15, off
	global_store_b64 v[6:7], v[4:5], off
	s_branch .LBB119_21
	.p2align	6
.LBB119_39:                             ;   in Loop: Header=BB119_40 Depth=1
	s_add_u32 s12, s12, 4
	s_addc_u32 s13, s13, 0
	s_waitcnt lgkmcnt(0)
	s_add_i32 s37, s9, s37
	s_add_u32 s14, s14, 4
	s_addc_u32 s15, s15, 0
	s_add_i32 s8, s8, 1
	s_delay_alu instid0(SALU_CYCLE_1)
	s_cmp_lt_u32 s8, s17
	s_cbranch_scc0 .LBB119_18
.LBB119_40:                             ; =>This Inner Loop Header: Depth=1
	s_load_b32 s9, s[12:13], 0x0
	s_cmp_ge_u32 s8, s34
	s_cbranch_scc1 .LBB119_39
; %bb.41:                               ;   in Loop: Header=BB119_40 Depth=1
	s_load_b32 s10, s[14:15], 0x0
	s_waitcnt lgkmcnt(0)
	s_add_i32 s27, s9, s27
	s_add_i32 s26, s10, s26
	s_branch .LBB119_39
.LBB119_42:
	s_nop 0
	s_sendmsg sendmsg(MSG_DEALLOC_VGPRS)
	s_endpgm
	.section	.rodata,"a",@progbits
	.p2align	6, 0x0
	.amdhsa_kernel _ZN2at6native6mbtopk10gatherTopKIhmLi1EEEvNS_4cuda6detail10TensorInfoIKT_T0_EES8_S8_bjS8_NS5_IS6_S8_EES8_NS5_IlS8_EES8_jjPS6_PjSD_j
		.amdhsa_group_segment_fixed_size 1068
		.amdhsa_private_segment_fixed_size 0
		.amdhsa_kernarg_size 1592
		.amdhsa_user_sgpr_count 13
		.amdhsa_user_sgpr_dispatch_ptr 0
		.amdhsa_user_sgpr_queue_ptr 0
		.amdhsa_user_sgpr_kernarg_segment_ptr 1
		.amdhsa_user_sgpr_dispatch_id 0
		.amdhsa_user_sgpr_private_segment_size 0
		.amdhsa_wavefront_size32 1
		.amdhsa_uses_dynamic_stack 0
		.amdhsa_enable_private_segment 0
		.amdhsa_system_sgpr_workgroup_id_x 1
		.amdhsa_system_sgpr_workgroup_id_y 1
		.amdhsa_system_sgpr_workgroup_id_z 1
		.amdhsa_system_sgpr_workgroup_info 0
		.amdhsa_system_vgpr_workitem_id 0
		.amdhsa_next_free_vgpr 25
		.amdhsa_next_free_sgpr 41
		.amdhsa_reserve_vcc 1
		.amdhsa_float_round_mode_32 0
		.amdhsa_float_round_mode_16_64 0
		.amdhsa_float_denorm_mode_32 3
		.amdhsa_float_denorm_mode_16_64 3
		.amdhsa_dx10_clamp 1
		.amdhsa_ieee_mode 1
		.amdhsa_fp16_overflow 0
		.amdhsa_workgroup_processor_mode 1
		.amdhsa_memory_ordered 1
		.amdhsa_forward_progress 0
		.amdhsa_shared_vgpr_count 0
		.amdhsa_exception_fp_ieee_invalid_op 0
		.amdhsa_exception_fp_denorm_src 0
		.amdhsa_exception_fp_ieee_div_zero 0
		.amdhsa_exception_fp_ieee_overflow 0
		.amdhsa_exception_fp_ieee_underflow 0
		.amdhsa_exception_fp_ieee_inexact 0
		.amdhsa_exception_int_div_zero 0
	.end_amdhsa_kernel
	.section	.text._ZN2at6native6mbtopk10gatherTopKIhmLi1EEEvNS_4cuda6detail10TensorInfoIKT_T0_EES8_S8_bjS8_NS5_IS6_S8_EES8_NS5_IlS8_EES8_jjPS6_PjSD_j,"axG",@progbits,_ZN2at6native6mbtopk10gatherTopKIhmLi1EEEvNS_4cuda6detail10TensorInfoIKT_T0_EES8_S8_bjS8_NS5_IS6_S8_EES8_NS5_IlS8_EES8_jjPS6_PjSD_j,comdat
.Lfunc_end119:
	.size	_ZN2at6native6mbtopk10gatherTopKIhmLi1EEEvNS_4cuda6detail10TensorInfoIKT_T0_EES8_S8_bjS8_NS5_IS6_S8_EES8_NS5_IlS8_EES8_jjPS6_PjSD_j, .Lfunc_end119-_ZN2at6native6mbtopk10gatherTopKIhmLi1EEEvNS_4cuda6detail10TensorInfoIKT_T0_EES8_S8_bjS8_NS5_IS6_S8_EES8_NS5_IlS8_EES8_jjPS6_PjSD_j
                                        ; -- End function
	.section	.AMDGPU.csdata,"",@progbits
; Kernel info:
; codeLenInByte = 2532
; NumSgprs: 43
; NumVgprs: 25
; ScratchSize: 0
; MemoryBound: 0
; FloatMode: 240
; IeeeMode: 1
; LDSByteSize: 1068 bytes/workgroup (compile time only)
; SGPRBlocks: 5
; VGPRBlocks: 3
; NumSGPRsForWavesPerEU: 43
; NumVGPRsForWavesPerEU: 25
; Occupancy: 16
; WaveLimiterHint : 1
; COMPUTE_PGM_RSRC2:SCRATCH_EN: 0
; COMPUTE_PGM_RSRC2:USER_SGPR: 13
; COMPUTE_PGM_RSRC2:TRAP_HANDLER: 0
; COMPUTE_PGM_RSRC2:TGID_X_EN: 1
; COMPUTE_PGM_RSRC2:TGID_Y_EN: 1
; COMPUTE_PGM_RSRC2:TGID_Z_EN: 1
; COMPUTE_PGM_RSRC2:TIDIG_COMP_CNT: 0
	.section	.text._ZN2at6native6sbtopk10gatherTopKIhmLi1ELb0EEEvNS_4cuda6detail10TensorInfoIKT_T0_EES8_S8_bS8_S8_NS5_IS6_S8_EES8_NS5_IlS8_EES8_PS6_,"axG",@progbits,_ZN2at6native6sbtopk10gatherTopKIhmLi1ELb0EEEvNS_4cuda6detail10TensorInfoIKT_T0_EES8_S8_bS8_S8_NS5_IS6_S8_EES8_NS5_IlS8_EES8_PS6_,comdat
	.protected	_ZN2at6native6sbtopk10gatherTopKIhmLi1ELb0EEEvNS_4cuda6detail10TensorInfoIKT_T0_EES8_S8_bS8_S8_NS5_IS6_S8_EES8_NS5_IlS8_EES8_PS6_ ; -- Begin function _ZN2at6native6sbtopk10gatherTopKIhmLi1ELb0EEEvNS_4cuda6detail10TensorInfoIKT_T0_EES8_S8_bS8_S8_NS5_IS6_S8_EES8_NS5_IlS8_EES8_PS6_
	.globl	_ZN2at6native6sbtopk10gatherTopKIhmLi1ELb0EEEvNS_4cuda6detail10TensorInfoIKT_T0_EES8_S8_bS8_S8_NS5_IS6_S8_EES8_NS5_IlS8_EES8_PS6_
	.p2align	8
	.type	_ZN2at6native6sbtopk10gatherTopKIhmLi1ELb0EEEvNS_4cuda6detail10TensorInfoIKT_T0_EES8_S8_bS8_S8_NS5_IS6_S8_EES8_NS5_IlS8_EES8_PS6_,@function
_ZN2at6native6sbtopk10gatherTopKIhmLi1ELb0EEEvNS_4cuda6detail10TensorInfoIKT_T0_EES8_S8_bS8_S8_NS5_IS6_S8_EES8_NS5_IlS8_EES8_PS6_: ; @_ZN2at6native6sbtopk10gatherTopKIhmLi1ELb0EEEvNS_4cuda6detail10TensorInfoIKT_T0_EES8_S8_bS8_S8_NS5_IS6_S8_EES8_NS5_IlS8_EES8_PS6_
; %bb.0:
	s_clause 0x1
	s_load_b64 s[10:11], s[0:1], 0x520
	s_load_b128 s[36:39], s[0:1], 0x1b8
	s_add_u32 s8, s0, 0x520
	s_addc_u32 s9, s1, 0
	s_mov_b32 s41, 0
	s_waitcnt lgkmcnt(0)
	s_mul_i32 s2, s11, s15
	s_delay_alu instid0(SALU_CYCLE_1) | instskip(NEXT) | instid1(SALU_CYCLE_1)
	s_add_i32 s2, s2, s14
	s_mul_i32 s2, s2, s10
	s_delay_alu instid0(SALU_CYCLE_1) | instskip(NEXT) | instid1(SALU_CYCLE_1)
	s_add_i32 s40, s2, s13
	v_cmp_ge_u64_e64 s2, s[40:41], s[36:37]
	s_delay_alu instid0(VALU_DEP_1)
	s_and_b32 vcc_lo, exec_lo, s2
	s_cbranch_vccnz .LBB120_519
; %bb.1:
	s_clause 0x6
	s_load_b64 s[42:43], s[0:1], 0x440
	s_load_b64 s[36:37], s[0:1], 0x370
	;; [unrolled: 1-line block ×3, first 2 shown]
	s_load_b128 s[28:31], s[0:1], 0x1a0
	s_load_b64 s[44:45], s[0:1], 0x1c8
	s_load_b64 s[2:3], s[0:1], 0xd0
	;; [unrolled: 1-line block ×3, first 2 shown]
	v_cmp_eq_u32_e64 s5, 0, v0
	s_delay_alu instid0(VALU_DEP_1)
	s_and_saveexec_b32 s4, s5
	s_cbranch_execz .LBB120_3
; %bb.2:
	s_waitcnt lgkmcnt(0)
	v_dual_mov_b32 v1, 0 :: v_dual_mov_b32 v4, s29
	s_delay_alu instid0(VALU_DEP_1)
	v_dual_mov_b32 v3, s28 :: v_dual_mov_b32 v2, v1
	ds_store_b32 v1, v1 offset:5144
	ds_store_b128 v1, v[1:4] offset:5120
.LBB120_3:
	s_or_b32 exec_lo, exec_lo, s4
	v_dual_mov_b32 v13, 0 :: v_dual_lshlrev_b32 v14, 2, v0
	v_mad_u64_u32 v[2:3], null, v0, s38, 0
	s_load_b32 s4, s[0:1], 0x1b0
	s_waitcnt lgkmcnt(0)
	s_delay_alu instid0(VALU_DEP_2)
	v_or_b32_e32 v9, 3, v14
	s_barrier
	buffer_gl0_inv
	s_load_b32 s7, s[8:9], 0xc
	v_or_b32_e32 v12, 2, v14
	v_mad_u64_u32 v[16:17], null, s38, v9, 0
	v_mov_b32_e32 v1, v3
	v_mbcnt_lo_u32_b32 v30, -1, 0
	s_delay_alu instid0(VALU_DEP_4) | instskip(SKIP_1) | instid1(VALU_DEP_3)
	v_mad_u64_u32 v[18:19], null, s38, v12, 0
	s_mul_i32 s3, s3, s40
	v_mad_u64_u32 v[3:4], null, v0, s39, v[1:2]
	s_delay_alu instid0(VALU_DEP_3) | instskip(SKIP_3) | instid1(VALU_DEP_4)
	v_lshlrev_b64 v[4:5], v30, -1
	s_mul_hi_u32 s6, s2, s40
	s_mul_i32 s69, s2, s40
	v_mad_u64_u32 v[20:21], null, s38, v14, s[38:39]
	v_dual_mov_b32 v5, v19 :: v_dual_mov_b32 v36, 0
	s_delay_alu instid0(VALU_DEP_3)
	v_not_b32_e32 v29, v4
	v_mov_b32_e32 v4, v17
	s_add_i32 s70, s6, s3
	s_add_u32 s50, s34, s69
	v_cmp_gt_u32_e32 vcc_lo, 32, v0
	s_addc_u32 s51, s35, s70
	v_cmp_gt_i32_e64 s3, 4, v30
	v_lshrrev_b32_e32 v6, 3, v0
	s_bitcmp1_b32 s4, 0
	v_mad_u64_u32 v[7:8], null, s39, v9, v[4:5]
	s_cselect_b32 s4, -1, 0
	s_waitcnt lgkmcnt(0)
	s_and_b32 s33, s7, 0xffff
	s_xor_b32 s71, s4, -1
	s_and_b32 s72, vcc_lo, s3
	v_dual_mov_b32 v6, v21 :: v_dual_and_b32 v31, 0x7c, v6
	s_bfe_u32 s11, s7, 0xb0005
	s_add_u32 s75, s33, -1
	s_addc_u32 s76, 0, -1
	s_add_u32 s77, s75, s28
	s_addc_u32 s27, s76, s29
	s_cmp_lt_u32 s13, s10
	v_mad_u64_u32 v[8:9], null, s39, v12, v[5:6]
	v_mad_u64_u32 v[4:5], null, s39, v14, v[6:7]
	v_cmp_gt_u16_e64 s74, s7, 31
	s_cselect_b32 s7, 12, 18
	v_mov_b32_e32 v1, v13
	s_add_u32 s52, s8, s7
	s_addc_u32 s53, s9, 0
	s_add_i32 s7, s11, -1
	s_delay_alu instid0(VALU_DEP_3)
	v_mov_b32_e32 v32, v4
	s_bfe_u32 s78, s33, 0x30005
	v_add_co_u32 v10, vcc_lo, s50, v2
	s_cmp_gt_u32 s7, 6
	v_cmp_lt_u64_e64 s73, 0xc00, s[28:29]
	v_cmp_gt_u64_e64 s3, s[28:29], v[0:1]
	v_lshlrev_b64 v[21:22], 2, v[2:3]
	v_mov_b32_e32 v23, s30
	v_cmp_eq_u32_e64 s2, 0, v30
	v_add_co_ci_u32_e32 v11, vcc_lo, s51, v3, vcc_lo
	v_dual_mov_b32 v15, v13 :: v_dual_mov_b32 v24, s31
	v_cmp_gt_u32_e64 s6, 2, v0
	s_cselect_b32 s79, -1, 0
	s_and_b32 s80, s11, 0x7f8
	v_dual_mov_b32 v17, v7 :: v_dual_mov_b32 v34, 0
	v_mov_b32_e32 v19, v8
	v_lshl_or_b32 v33, v30, 3, 0xc00
	v_mov_b32_e32 v35, 0
	s_cmp_lg_u32 s78, 0
	s_mul_i32 s7, s39, s33
	s_mul_hi_u32 s8, s38, s33
	s_mov_b32 s49, 0
	s_mov_b32 s82, 6
	s_cselect_b32 s81, -1, 0
	s_lshl_b64 s[54:55], s[38:39], 2
	s_add_i32 s41, s8, s7
	s_mul_i32 s68, s38, s33
	s_mov_b32 s83, 0
	s_mov_b32 s85, 0
                                        ; implicit-def: $sgpr84
                                        ; implicit-def: $sgpr88
                                        ; implicit-def: $sgpr87
                                        ; implicit-def: $sgpr89
                                        ; implicit-def: $sgpr86
                                        ; implicit-def: $sgpr90
                                        ; implicit-def: $sgpr92
                                        ; implicit-def: $sgpr91
                                        ; implicit-def: $sgpr93
                                        ; implicit-def: $sgpr94
	s_branch .LBB120_6
.LBB120_4:                              ;   in Loop: Header=BB120_6 Depth=1
	s_or_b32 exec_lo, exec_lo, s10
	v_dual_mov_b32 v34, v26 :: v_dual_mov_b32 v35, v25
	v_dual_mov_b32 v24, v3 :: v_dual_mov_b32 v23, v2
	v_mov_b32_e32 v36, v27
	s_and_not1_b32 s10, s94, exec_lo
	s_and_b32 s9, s9, exec_lo
	s_and_not1_b32 s93, s93, exec_lo
	s_or_b32 s94, s10, s9
	s_and_not1_b32 s91, s91, exec_lo
	s_and_not1_b32 s92, s92, exec_lo
	;; [unrolled: 1-line block ×3, first 2 shown]
	s_or_not1_b32 s8, s8, exec_lo
.LBB120_5:                              ;   in Loop: Header=BB120_6 Depth=1
	s_or_b32 exec_lo, exec_lo, s7
	s_delay_alu instid0(SALU_CYCLE_1) | instskip(NEXT) | instid1(SALU_CYCLE_1)
	s_and_b32 s7, exec_lo, s8
	s_or_b32 s83, s7, s83
	s_and_not1_b32 s7, s86, exec_lo
	s_and_b32 s8, s94, exec_lo
	s_and_not1_b32 s9, s89, exec_lo
	s_or_b32 s86, s7, s8
	s_and_b32 s7, s93, exec_lo
	s_and_not1_b32 s8, s87, exec_lo
	s_and_b32 s10, s91, exec_lo
	s_or_b32 s89, s9, s7
	s_or_b32 s87, s8, s10
	s_and_not1_b32 s7, s88, exec_lo
	s_and_b32 s8, s92, exec_lo
	s_and_not1_b32 s9, s84, exec_lo
	s_and_b32 s10, s90, exec_lo
	s_or_b32 s88, s7, s8
	s_or_b32 s84, s9, s10
	s_and_not1_b32 exec_lo, exec_lo, s83
	s_cbranch_execz .LBB120_459
.LBB120_6:                              ; =>This Loop Header: Depth=1
                                        ;     Child Loop BB120_11 Depth 2
                                        ;     Child Loop BB120_29 Depth 2
	;; [unrolled: 1-line block ×24, first 2 shown]
	ds_load_b128 v[2:5], v13 offset:5120
	s_waitcnt lgkmcnt(0)
	v_readfirstlane_b32 s57, v3
	v_readfirstlane_b32 s56, v2
	s_delay_alu instid0(VALU_DEP_1)
	s_cmp_lg_u64 s[56:57], 0
	s_cbranch_scc1 .LBB120_36
; %bb.7:                                ;   in Loop: Header=BB120_6 Depth=1
	s_and_b32 vcc_lo, exec_lo, s73
	s_cbranch_vccz .LBB120_19
; %bb.8:                                ;   in Loop: Header=BB120_6 Depth=1
	v_cmp_gt_u64_e32 vcc_lo, 0xc01, v[4:5]
	s_mov_b32 s9, 0
	s_mov_b32 s7, 0
	s_cbranch_vccz .LBB120_20
; %bb.9:                                ;   in Loop: Header=BB120_6 Depth=1
	global_load_u16 v6, v13, s[52:53]
	global_load_u8 v7, v[10:11], off
	s_mov_b32 s11, 0
	s_waitcnt vmcnt(1)
	v_readfirstlane_b32 s7, v6
	v_and_b32_e32 v6, 0xffff, v6
	s_delay_alu instid0(VALU_DEP_2) | instskip(NEXT) | instid1(SALU_CYCLE_1)
	s_and_b32 s7, 0xffff, s7
	v_add_nc_u32_e32 v8, s7, v0
	s_mul_i32 s8, s39, s7
	s_mul_hi_u32 s10, s38, s7
	s_mul_i32 s12, s38, s7
	s_add_i32 s10, s10, s8
	v_mad_u64_u32 v[2:3], null, s38, v8, s[50:51]
	s_delay_alu instid0(VALU_DEP_1) | instskip(NEXT) | instid1(VALU_DEP_1)
	v_mad_u64_u32 v[4:5], null, s39, v8, v[3:4]
	v_mov_b32_e32 v3, v4
	v_dual_mov_b32 v5, v1 :: v_dual_mov_b32 v4, v0
	s_branch .LBB120_11
.LBB120_10:                             ;   in Loop: Header=BB120_11 Depth=2
	s_or_b32 exec_lo, exec_lo, s8
	v_add_co_u32 v2, vcc_lo, v2, s12
	v_add_co_ci_u32_e32 v3, vcc_lo, s10, v3, vcc_lo
	v_mov_b32_e32 v7, v8
	s_and_not1_b32 exec_lo, exec_lo, s11
	s_cbranch_execz .LBB120_21
.LBB120_11:                             ;   Parent Loop BB120_6 Depth=1
                                        ; =>  This Inner Loop Header: Depth=2
	s_delay_alu instid0(VALU_DEP_1) | instskip(NEXT) | instid1(VALU_DEP_2)
	v_add_co_u32 v4, vcc_lo, v4, v6
	v_add_co_ci_u32_e32 v5, vcc_lo, 0, v5, vcc_lo
	s_waitcnt lgkmcnt(0)
	v_dual_mov_b32 v9, 0 :: v_dual_mov_b32 v8, 0
	s_mov_b32 s8, exec_lo
	s_delay_alu instid0(VALU_DEP_2)
	v_cmp_le_u64_e32 vcc_lo, s[28:29], v[4:5]
	v_cmpx_gt_u64_e64 s[28:29], v[4:5]
	s_cbranch_execz .LBB120_13
; %bb.12:                               ;   in Loop: Header=BB120_11 Depth=2
	global_load_u8 v8, v[2:3], off
.LBB120_13:                             ;   in Loop: Header=BB120_11 Depth=2
	s_or_b32 exec_lo, exec_lo, s8
	s_waitcnt vmcnt(0)
	v_and_b32_e32 v12, v7, v34
	s_delay_alu instid0(VALU_DEP_1) | instskip(NEXT) | instid1(VALU_DEP_1)
	v_and_b32_e32 v12, 0xff, v12
	v_cmp_eq_u32_e64 s7, v12, v35
	s_delay_alu instid0(VALU_DEP_1) | instskip(SKIP_1) | instid1(SALU_CYCLE_1)
	s_cmp_lg_u32 s7, 0
	s_cselect_b32 s8, -1, 0
	s_and_b32 s8, s2, s8
	s_delay_alu instid0(SALU_CYCLE_1)
	s_and_saveexec_b32 s13, s8
	s_cbranch_execz .LBB120_17
; %bb.14:                               ;   in Loop: Header=BB120_11 Depth=2
	s_mov_b32 s16, exec_lo
	s_bcnt1_i32_b32 s14, s7
	v_mbcnt_lo_u32_b32 v9, s16, 0
	s_mov_b32 s15, exec_lo
                                        ; implicit-def: $vgpr12
	s_delay_alu instid0(VALU_DEP_1)
	v_cmpx_eq_u32_e32 0, v9
	s_cbranch_execz .LBB120_16
; %bb.15:                               ;   in Loop: Header=BB120_11 Depth=2
	s_bcnt1_i32_b32 s8, s16
	s_delay_alu instid0(SALU_CYCLE_1) | instskip(NEXT) | instid1(SALU_CYCLE_1)
	s_mul_i32 s8, s14, s8
	v_mov_b32_e32 v12, s8
	ds_add_rtn_u32 v12, v13, v12 offset:5144
.LBB120_16:                             ;   in Loop: Header=BB120_11 Depth=2
	s_or_b32 exec_lo, exec_lo, s15
	s_waitcnt lgkmcnt(0)
	v_readfirstlane_b32 s8, v12
	s_delay_alu instid0(VALU_DEP_1)
	v_mad_u32_u24 v9, s14, v9, s8
.LBB120_17:                             ;   in Loop: Header=BB120_11 Depth=2
	s_or_b32 exec_lo, exec_lo, s13
	ds_bpermute_b32 v9, v13, v9
	s_and_b32 s8, exec_lo, vcc_lo
	s_delay_alu instid0(SALU_CYCLE_1)
	s_or_b32 s11, s8, s11
	s_and_saveexec_b32 s8, s7
	s_cbranch_execz .LBB120_10
; %bb.18:                               ;   in Loop: Header=BB120_11 Depth=2
	v_and_b32_e32 v12, s7, v29
	s_waitcnt lgkmcnt(0)
	s_delay_alu instid0(VALU_DEP_1)
	v_bcnt_u32_b32 v9, v12, v9
	ds_store_b8 v9, v7
	s_branch .LBB120_10
.LBB120_19:                             ;   in Loop: Header=BB120_6 Depth=1
	s_mov_b32 s7, 0
                                        ; implicit-def: $sgpr56_sgpr57
	s_cbranch_execnz .LBB120_24
	s_branch .LBB120_34
.LBB120_20:                             ;   in Loop: Header=BB120_6 Depth=1
	s_mov_b64 s[56:57], 0
	s_and_b32 vcc_lo, exec_lo, s9
	s_cbranch_vccnz .LBB120_24
	s_branch .LBB120_34
.LBB120_21:                             ;   in Loop: Header=BB120_6 Depth=1
	s_or_b32 exec_lo, exec_lo, s11
	s_waitcnt lgkmcnt(0)
	s_barrier
	buffer_gl0_inv
	s_and_saveexec_b32 s7, s5
	s_cbranch_execz .LBB120_23
; %bb.22:                               ;   in Loop: Header=BB120_6 Depth=1
	ds_load_b32 v2, v13 offset:5144
	s_waitcnt lgkmcnt(0)
	v_ashrrev_i32_e32 v3, 31, v2
	ds_store_b64 v13, v[2:3] offset:5120
.LBB120_23:                             ;   in Loop: Header=BB120_6 Depth=1
	s_or_b32 exec_lo, exec_lo, s7
	s_waitcnt lgkmcnt(0)
	s_mov_b32 s7, -1
	s_barrier
	s_mov_b64 s[56:57], 0
	s_and_b32 vcc_lo, exec_lo, s9
	s_cbranch_vccz .LBB120_34
.LBB120_24:                             ;   in Loop: Header=BB120_6 Depth=1
	v_mov_b32_e32 v6, 0
	s_and_saveexec_b32 s7, s3
	s_cbranch_execz .LBB120_26
; %bb.25:                               ;   in Loop: Header=BB120_6 Depth=1
	global_load_u8 v6, v[10:11], off
.LBB120_26:                             ;   in Loop: Header=BB120_6 Depth=1
	s_or_b32 exec_lo, exec_lo, s7
	s_and_saveexec_b32 s8, s3
	s_cbranch_execz .LBB120_31
; %bb.27:                               ;   in Loop: Header=BB120_6 Depth=1
	global_load_u16 v8, v13, s[52:53]
	s_mov_b32 s12, 0
	s_waitcnt vmcnt(0)
	v_readfirstlane_b32 s7, v8
	v_and_b32_e32 v8, 0xffff, v8
	s_delay_alu instid0(VALU_DEP_2) | instskip(NEXT) | instid1(SALU_CYCLE_1)
	s_and_b32 s9, 0xffff, s7
	v_add_nc_u32_e32 v7, s9, v0
	s_mul_i32 s7, s39, s9
	s_mul_hi_u32 s10, s38, s9
	s_mul_i32 s11, s38, s9
	s_add_i32 s10, s10, s7
	v_mad_u64_u32 v[2:3], null, s38, v7, s[50:51]
	s_delay_alu instid0(VALU_DEP_1) | instskip(SKIP_1) | instid1(VALU_DEP_2)
	v_mad_u64_u32 v[4:5], null, s39, v7, v[3:4]
	v_mov_b32_e32 v7, v0
	v_mov_b32_e32 v3, v4
	v_dual_mov_b32 v5, v1 :: v_dual_mov_b32 v4, v0
	s_branch .LBB120_29
	.p2align	6
.LBB120_28:                             ;   in Loop: Header=BB120_29 Depth=2
	s_or_b32 exec_lo, exec_lo, s13
	s_delay_alu instid0(SALU_CYCLE_1)
	s_and_b32 s7, exec_lo, vcc_lo
	v_add_co_u32 v2, vcc_lo, v2, s11
	ds_store_b8 v7, v6
	s_waitcnt vmcnt(0)
	v_dual_mov_b32 v6, v9 :: v_dual_add_nc_u32 v7, s9, v7
	v_add_co_ci_u32_e32 v3, vcc_lo, s10, v3, vcc_lo
	s_or_b32 s12, s7, s12
	s_delay_alu instid0(SALU_CYCLE_1)
	s_and_not1_b32 exec_lo, exec_lo, s12
	s_cbranch_execz .LBB120_31
.LBB120_29:                             ;   Parent Loop BB120_6 Depth=1
                                        ; =>  This Inner Loop Header: Depth=2
	s_delay_alu instid0(VALU_DEP_1) | instskip(NEXT) | instid1(VALU_DEP_2)
	v_add_co_u32 v4, vcc_lo, v4, v8
	v_add_co_ci_u32_e32 v5, vcc_lo, 0, v5, vcc_lo
	v_mov_b32_e32 v9, 0
	s_mov_b32 s13, exec_lo
	s_delay_alu instid0(VALU_DEP_2)
	v_cmp_le_u64_e32 vcc_lo, s[28:29], v[4:5]
	v_cmpx_gt_u64_e64 s[28:29], v[4:5]
	s_cbranch_execz .LBB120_28
; %bb.30:                               ;   in Loop: Header=BB120_29 Depth=2
	global_load_u8 v9, v[2:3], off
	s_branch .LBB120_28
.LBB120_31:                             ;   in Loop: Header=BB120_6 Depth=1
	s_or_b32 exec_lo, exec_lo, s8
	s_waitcnt vmcnt(0) lgkmcnt(0)
	s_barrier
	buffer_gl0_inv
	s_and_saveexec_b32 s7, s5
	s_cbranch_execz .LBB120_33
; %bb.32:                               ;   in Loop: Header=BB120_6 Depth=1
	v_dual_mov_b32 v2, s28 :: v_dual_mov_b32 v3, s29
	ds_store_b64 v13, v[2:3] offset:5120
.LBB120_33:                             ;   in Loop: Header=BB120_6 Depth=1
	s_or_b32 exec_lo, exec_lo, s7
	s_mov_b32 s7, -1
	s_waitcnt lgkmcnt(0)
	s_barrier
                                        ; implicit-def: $sgpr56_sgpr57
.LBB120_34:                             ;   in Loop: Header=BB120_6 Depth=1
	s_and_b32 vcc_lo, exec_lo, s7
	s_cbranch_vccz .LBB120_36
; %bb.35:                               ;   in Loop: Header=BB120_6 Depth=1
	buffer_gl0_inv
	ds_load_b64 v[2:3], v13 offset:5120
	s_waitcnt lgkmcnt(0)
	v_readfirstlane_b32 s56, v2
.LBB120_36:                             ;   in Loop: Header=BB120_6 Depth=1
	s_delay_alu instid0(VALU_DEP_1)
	s_cmp_lt_i32 s56, 1
	s_cbranch_scc0 .LBB120_51
; %bb.37:                               ;   in Loop: Header=BB120_6 Depth=1
	global_load_u16 v2, v13, s[52:53]
	s_mov_b32 s8, s49
	s_mov_b32 s9, s29
	s_waitcnt vmcnt(0)
	v_readfirstlane_b32 s7, v2
	s_delay_alu instid0(VALU_DEP_1) | instskip(NEXT) | instid1(SALU_CYCLE_1)
	s_and_b32 s48, s7, 0xffff
	s_lshl_b32 s57, s48, 2
	s_cmp_lg_u64 s[8:9], 0
	s_cbranch_scc0 .LBB120_71
; %bb.38:                               ;   in Loop: Header=BB120_6 Depth=1
	v_cvt_f32_u32_e32 v2, s57
	s_sub_u32 s9, 0, s57
	s_subb_u32 s10, 0, 0
	s_delay_alu instid0(VALU_DEP_1) | instskip(NEXT) | instid1(VALU_DEP_1)
	v_fmac_f32_e64 v2, 0, 0x4f800000
	v_rcp_f32_e32 v2, v2
	s_waitcnt_depctr 0xfff
	v_mul_f32_e32 v2, 0x5f7ffffc, v2
	s_delay_alu instid0(VALU_DEP_1) | instskip(NEXT) | instid1(VALU_DEP_1)
	v_mul_f32_e32 v3, 0x2f800000, v2
	v_trunc_f32_e32 v3, v3
	s_delay_alu instid0(VALU_DEP_1) | instskip(SKIP_1) | instid1(VALU_DEP_2)
	v_fmac_f32_e32 v2, 0xcf800000, v3
	v_cvt_u32_f32_e32 v3, v3
	v_cvt_u32_f32_e32 v2, v2
	s_delay_alu instid0(VALU_DEP_2) | instskip(NEXT) | instid1(VALU_DEP_2)
	v_readfirstlane_b32 s7, v3
	v_readfirstlane_b32 s8, v2
	s_delay_alu instid0(VALU_DEP_2) | instskip(NEXT) | instid1(VALU_DEP_1)
	s_mul_i32 s11, s9, s7
	s_mul_hi_u32 s13, s9, s8
	s_mul_i32 s12, s10, s8
	s_add_i32 s11, s13, s11
	s_mul_i32 s14, s9, s8
	s_add_i32 s11, s11, s12
	s_mul_hi_u32 s13, s8, s14
	s_mul_hi_u32 s15, s7, s14
	s_mul_i32 s12, s7, s14
	s_mul_hi_u32 s14, s8, s11
	s_mul_i32 s8, s8, s11
	s_mul_hi_u32 s16, s7, s11
	s_add_u32 s8, s13, s8
	s_addc_u32 s13, 0, s14
	s_add_u32 s8, s8, s12
	s_mul_i32 s11, s7, s11
	s_addc_u32 s8, s13, s15
	s_addc_u32 s12, s16, 0
	s_add_u32 s8, s8, s11
	s_addc_u32 s11, 0, s12
	v_add_co_u32 v2, s8, v2, s8
	s_delay_alu instid0(VALU_DEP_1) | instskip(SKIP_1) | instid1(VALU_DEP_1)
	s_cmp_lg_u32 s8, 0
	s_addc_u32 s7, s7, s11
	v_readfirstlane_b32 s8, v2
	s_mul_i32 s11, s9, s7
	s_delay_alu instid0(VALU_DEP_1)
	s_mul_hi_u32 s12, s9, s8
	s_mul_i32 s10, s10, s8
	s_add_i32 s11, s12, s11
	s_mul_i32 s9, s9, s8
	s_add_i32 s11, s11, s10
	s_mul_hi_u32 s12, s7, s9
	s_mul_i32 s13, s7, s9
	s_mul_hi_u32 s9, s8, s9
	s_mul_hi_u32 s14, s8, s11
	s_mul_i32 s8, s8, s11
	s_mul_hi_u32 s10, s7, s11
	s_add_u32 s8, s9, s8
	s_addc_u32 s9, 0, s14
	s_add_u32 s8, s8, s13
	s_mul_i32 s11, s7, s11
	s_addc_u32 s8, s9, s12
	s_addc_u32 s9, s10, 0
	s_add_u32 s8, s8, s11
	s_addc_u32 s9, 0, s9
	v_add_co_u32 v2, s8, v2, s8
	s_delay_alu instid0(VALU_DEP_1) | instskip(SKIP_1) | instid1(VALU_DEP_1)
	s_cmp_lg_u32 s8, 0
	s_addc_u32 s7, s7, s9
	v_readfirstlane_b32 s8, v2
	s_mul_i32 s10, s28, s7
	s_mul_hi_u32 s9, s28, s7
	s_mul_hi_u32 s11, s29, s7
	s_mul_i32 s7, s29, s7
	s_mul_hi_u32 s12, s28, s8
	s_mul_hi_u32 s13, s29, s8
	s_mul_i32 s8, s29, s8
	s_add_u32 s10, s12, s10
	s_addc_u32 s9, 0, s9
	s_add_u32 s8, s10, s8
	s_addc_u32 s8, s9, s13
	s_addc_u32 s9, s11, 0
	s_add_u32 s7, s8, s7
	s_addc_u32 s8, 0, s9
	s_mul_hi_u32 s9, s57, s7
	s_mul_i32 s7, s57, s7
	s_mul_i32 s8, s57, s8
	v_sub_co_u32 v2, s7, s28, s7
	s_add_i32 s9, s9, s8
	s_cmp_lg_u32 s7, 0
	s_delay_alu instid0(VALU_DEP_1) | instskip(SKIP_2) | instid1(VALU_DEP_1)
	v_sub_co_u32 v3, s7, v2, s57
	s_subb_u32 s8, s29, s9
	s_cmp_lg_u32 s7, 0
	v_cmp_le_u32_e32 vcc_lo, s57, v3
	v_sub_co_u32 v4, s7, v3, s57
	s_subb_u32 s9, s8, 0
	s_cmp_lg_u32 s7, 0
	v_cndmask_b32_e64 v5, 0, -1, vcc_lo
	s_subb_u32 s7, s9, 0
	s_cmp_eq_u32 s9, 0
	v_mov_b32_e32 v7, s7
	s_cselect_b32 vcc_lo, -1, 0
	s_cmp_eq_u32 s8, 0
	v_cndmask_b32_e32 v5, -1, v5, vcc_lo
	v_cmp_le_u32_e32 vcc_lo, s57, v2
	s_cselect_b32 s7, -1, 0
	v_cndmask_b32_e64 v6, 0, -1, vcc_lo
	s_delay_alu instid0(VALU_DEP_3) | instskip(NEXT) | instid1(VALU_DEP_2)
	v_cmp_ne_u32_e32 vcc_lo, 0, v5
	v_cndmask_b32_e64 v5, -1, v6, s7
	v_cndmask_b32_e32 v6, s9, v7, vcc_lo
	v_cndmask_b32_e32 v4, v3, v4, vcc_lo
	s_delay_alu instid0(VALU_DEP_3) | instskip(NEXT) | instid1(VALU_DEP_3)
	v_cmp_ne_u32_e32 vcc_lo, 0, v5
	v_cndmask_b32_e32 v3, s8, v6, vcc_lo
	s_delay_alu instid0(VALU_DEP_3)
	v_cndmask_b32_e32 v2, v2, v4, vcc_lo
	s_cbranch_execnz .LBB120_40
.LBB120_39:                             ;   in Loop: Header=BB120_6 Depth=1
	v_cvt_f32_u32_e32 v2, s57
	s_sub_i32 s7, 0, s57
	s_delay_alu instid0(VALU_DEP_1) | instskip(SKIP_2) | instid1(VALU_DEP_1)
	v_rcp_iflag_f32_e32 v2, v2
	s_waitcnt_depctr 0xfff
	v_mul_f32_e32 v2, 0x4f7ffffe, v2
	v_cvt_u32_f32_e32 v2, v2
	s_delay_alu instid0(VALU_DEP_1) | instskip(NEXT) | instid1(VALU_DEP_1)
	v_mul_lo_u32 v3, s7, v2
	v_mul_hi_u32 v3, v2, v3
	s_delay_alu instid0(VALU_DEP_1) | instskip(NEXT) | instid1(VALU_DEP_1)
	v_add_nc_u32_e32 v2, v2, v3
	v_mul_hi_u32 v2, s28, v2
	s_delay_alu instid0(VALU_DEP_1) | instskip(NEXT) | instid1(VALU_DEP_1)
	v_mul_lo_u32 v2, v2, s57
	v_sub_nc_u32_e32 v2, s28, v2
	s_delay_alu instid0(VALU_DEP_1) | instskip(SKIP_1) | instid1(VALU_DEP_2)
	v_subrev_nc_u32_e32 v3, s57, v2
	v_cmp_le_u32_e32 vcc_lo, s57, v2
	v_cndmask_b32_e32 v2, v2, v3, vcc_lo
	s_delay_alu instid0(VALU_DEP_1) | instskip(SKIP_1) | instid1(VALU_DEP_2)
	v_subrev_nc_u32_e32 v3, s57, v2
	v_cmp_le_u32_e32 vcc_lo, s57, v2
	v_cndmask_b32_e32 v12, v2, v3, vcc_lo
	s_delay_alu instid0(VALU_DEP_1)
	v_dual_mov_b32 v2, v12 :: v_dual_mov_b32 v3, v13
.LBB120_40:                             ;   in Loop: Header=BB120_6 Depth=1
	s_delay_alu instid0(VALU_DEP_1) | instskip(NEXT) | instid1(VALU_DEP_2)
	v_sub_co_u32 v25, vcc_lo, s28, v2
	v_sub_co_ci_u32_e32 v26, vcc_lo, s29, v3, vcc_lo
	v_mov_b32_e32 v2, 0
	v_mov_b32_e32 v3, 0
	s_mov_b64 s[58:59], 0
	s_mov_b32 s95, exec_lo
	s_delay_alu instid0(VALU_DEP_1)
	v_dual_mov_b32 v5, v3 :: v_dual_mov_b32 v4, v2
	v_dual_mov_b32 v7, v3 :: v_dual_mov_b32 v6, v2
	;; [unrolled: 1-line block ×3, first 2 shown]
	v_cmpx_gt_u64_e64 v[25:26], v[14:15]
	s_cbranch_execz .LBB120_44
; %bb.41:                               ;   in Loop: Header=BB120_6 Depth=1
	v_dual_mov_b32 v28, v15 :: v_dual_mov_b32 v27, v14
	s_mul_i32 s7, s55, s48
	s_mul_hi_u32 s8, s54, s48
	s_and_b32 s96, s82, 0xfe
	s_add_i32 s97, s8, s7
	s_mul_i32 s98, s54, s48
	s_mov_b32 s99, 0
	s_mov_b64 s[60:61], s[50:51]
	s_mov_b64 s[62:63], 0
	;; [unrolled: 1-line block ×4, first 2 shown]
.LBB120_42:                             ;   Parent Loop BB120_6 Depth=1
                                        ; =>  This Inner Loop Header: Depth=2
	v_add_co_u32 v2, vcc_lo, s60, v21
	v_add_co_ci_u32_e32 v3, vcc_lo, s61, v22, vcc_lo
	v_add_co_u32 v4, vcc_lo, s60, v20
	v_add_co_ci_u32_e32 v5, vcc_lo, s61, v32, vcc_lo
	;; [unrolled: 2-line block ×4, first 2 shown]
	s_clause 0x3
	global_load_u8 v2, v[2:3], off
	global_load_u8 v3, v[4:5], off
	;; [unrolled: 1-line block ×4, first 2 shown]
	v_add_co_u32 v27, vcc_lo, v27, s57
	v_add_co_ci_u32_e32 v28, vcc_lo, 0, v28, vcc_lo
	s_delay_alu instid0(VALU_DEP_1)
	v_cmp_ge_u64_e32 vcc_lo, v[27:28], v[25:26]
	s_waitcnt vmcnt(3)
	v_and_b32_e32 v6, v34, v2
	v_bfe_u32 v2, v2, s96, 2
	s_waitcnt vmcnt(2)
	v_and_b32_e32 v7, v34, v3
	v_bfe_u32 v3, v3, s96, 2
	;; [unrolled: 3-line block ×3, first 2 shown]
	v_cmp_eq_u32_e64 s7, v6, v35
	v_cmp_eq_u32_e64 s11, 0, v2
	s_waitcnt vmcnt(0)
	v_and_b32_e32 v9, v34, v5
	v_bfe_u32 v5, v5, s96, 2
	v_cmp_eq_u32_e64 s8, v7, v35
	v_cmp_eq_u32_e64 s12, 0, v3
	;; [unrolled: 1-line block ×4, first 2 shown]
	s_and_b32 s11, s7, s11
	v_cmp_eq_u32_e64 s10, v9, v35
	v_cmp_eq_u32_e64 s14, 0, v5
	;; [unrolled: 1-line block ×5, first 2 shown]
	v_cndmask_b32_e64 v2, 0, 1, s11
	s_and_b32 s11, s8, s12
	v_cmp_eq_u32_e64 s16, 1, v3
	v_cmp_eq_u32_e64 s20, 2, v3
	v_cmp_eq_u32_e64 s24, 3, v3
	v_cndmask_b32_e64 v3, 0, 1, s11
	s_and_b32 s11, s9, s13
	v_cmp_eq_u32_e64 s17, 1, v4
	v_cmp_eq_u32_e64 s21, 2, v4
	v_cmp_eq_u32_e64 s25, 3, v4
	;; [unrolled: 5-line block ×3, first 2 shown]
	v_cndmask_b32_e64 v5, 0, 1, s11
	v_cmp_ne_u32_e64 s11, 0, v2
	v_cmp_ne_u32_e64 s12, 0, v3
	;; [unrolled: 1-line block ×3, first 2 shown]
	s_delay_alu instid0(VALU_DEP_4) | instskip(NEXT) | instid1(VALU_DEP_4)
	v_cmp_ne_u32_e64 s14, 0, v5
	s_bcnt1_i32_b32 s11, s11
	s_delay_alu instid0(VALU_DEP_3) | instskip(NEXT) | instid1(VALU_DEP_2)
	s_bcnt1_i32_b32 s12, s12
	s_bcnt1_i32_b32 s13, s13
	s_add_i32 s11, s12, s11
	s_bcnt1_i32_b32 s14, s14
	s_add_i32 s11, s11, s13
	s_delay_alu instid0(SALU_CYCLE_1) | instskip(NEXT) | instid1(SALU_CYCLE_1)
	s_add_i32 s11, s11, s14
	s_add_u32 s66, s66, s11
	s_addc_u32 s67, s67, 0
	s_and_b32 s11, s7, s15
	v_mov_b32_e32 v2, s66
	v_cndmask_b32_e64 v4, 0, 1, s11
	s_and_b32 s11, s8, s16
	v_mov_b32_e32 v3, s67
	v_cndmask_b32_e64 v5, 0, 1, s11
	s_and_b32 s11, s9, s17
	s_delay_alu instid0(SALU_CYCLE_1) | instskip(SKIP_1) | instid1(VALU_DEP_2)
	v_cndmask_b32_e64 v6, 0, 1, s11
	s_and_b32 s11, s10, s18
	v_cmp_ne_u32_e64 s12, 0, v5
	v_cndmask_b32_e64 v7, 0, 1, s11
	v_cmp_ne_u32_e64 s11, 0, v4
	v_cmp_ne_u32_e64 s13, 0, v6
	s_delay_alu instid0(VALU_DEP_4) | instskip(NEXT) | instid1(VALU_DEP_3)
	s_bcnt1_i32_b32 s12, s12
	v_cmp_ne_u32_e64 s14, 0, v7
	s_delay_alu instid0(VALU_DEP_3) | instskip(NEXT) | instid1(VALU_DEP_2)
	s_bcnt1_i32_b32 s11, s11
	s_bcnt1_i32_b32 s13, s13
	s_add_i32 s11, s12, s11
	s_delay_alu instid0(VALU_DEP_1) | instskip(SKIP_1) | instid1(SALU_CYCLE_1)
	s_bcnt1_i32_b32 s14, s14
	s_add_i32 s11, s11, s13
	s_add_i32 s11, s11, s14
	s_delay_alu instid0(SALU_CYCLE_1) | instskip(SKIP_2) | instid1(SALU_CYCLE_1)
	s_add_u32 s64, s64, s11
	s_addc_u32 s65, s65, 0
	s_and_b32 s11, s7, s19
	v_cndmask_b32_e64 v4, 0, 1, s11
	s_and_b32 s11, s8, s20
	s_delay_alu instid0(SALU_CYCLE_1) | instskip(SKIP_1) | instid1(SALU_CYCLE_1)
	v_cndmask_b32_e64 v5, 0, 1, s11
	s_and_b32 s11, s9, s21
	v_cndmask_b32_e64 v6, 0, 1, s11
	s_and_b32 s11, s10, s22
	s_delay_alu instid0(VALU_DEP_2) | instskip(SKIP_3) | instid1(VALU_DEP_4)
	v_cmp_ne_u32_e64 s12, 0, v5
	v_cndmask_b32_e64 v7, 0, 1, s11
	v_cmp_ne_u32_e64 s11, 0, v4
	v_cmp_ne_u32_e64 s13, 0, v6
	s_bcnt1_i32_b32 s12, s12
	s_delay_alu instid0(VALU_DEP_3) | instskip(NEXT) | instid1(VALU_DEP_3)
	v_cmp_ne_u32_e64 s14, 0, v7
	s_bcnt1_i32_b32 s11, s11
	s_delay_alu instid0(VALU_DEP_2) | instskip(SKIP_1) | instid1(VALU_DEP_1)
	s_bcnt1_i32_b32 s13, s13
	s_add_i32 s11, s12, s11
	s_bcnt1_i32_b32 s14, s14
	s_add_i32 s11, s11, s13
	s_delay_alu instid0(SALU_CYCLE_1) | instskip(NEXT) | instid1(SALU_CYCLE_1)
	s_add_i32 s11, s11, s14
	s_add_u32 s62, s62, s11
	s_addc_u32 s63, s63, 0
	s_and_b32 s7, s7, s23
	s_delay_alu instid0(SALU_CYCLE_1) | instskip(SKIP_1) | instid1(SALU_CYCLE_1)
	v_cndmask_b32_e64 v4, 0, 1, s7
	s_and_b32 s7, s8, s24
	v_cndmask_b32_e64 v5, 0, 1, s7
	s_and_b32 s7, s9, s25
	s_delay_alu instid0(SALU_CYCLE_1) | instskip(SKIP_1) | instid1(VALU_DEP_2)
	v_cndmask_b32_e64 v6, 0, 1, s7
	s_and_b32 s7, s10, s26
	v_cmp_ne_u32_e64 s8, 0, v5
	v_cndmask_b32_e64 v7, 0, 1, s7
	v_cmp_ne_u32_e64 s7, 0, v4
	v_mov_b32_e32 v4, s64
	v_cmp_ne_u32_e64 s9, 0, v6
	s_bcnt1_i32_b32 s8, s8
	v_cmp_ne_u32_e64 s10, 0, v7
	s_bcnt1_i32_b32 s7, s7
	v_mov_b32_e32 v5, s65
	s_bcnt1_i32_b32 s9, s9
	s_add_i32 s7, s8, s7
	s_bcnt1_i32_b32 s8, s10
	s_add_i32 s7, s7, s9
	v_dual_mov_b32 v6, s62 :: v_dual_mov_b32 v7, s63
	s_add_i32 s7, s7, s8
	s_delay_alu instid0(SALU_CYCLE_1) | instskip(SKIP_1) | instid1(SALU_CYCLE_1)
	s_add_u32 s58, s58, s7
	s_addc_u32 s59, s59, 0
	v_dual_mov_b32 v8, s58 :: v_dual_mov_b32 v9, s59
	s_add_u32 s60, s60, s98
	s_addc_u32 s61, s61, s97
	s_or_b32 s99, vcc_lo, s99
	s_delay_alu instid0(SALU_CYCLE_1)
	s_and_not1_b32 exec_lo, exec_lo, s99
	s_cbranch_execnz .LBB120_42
; %bb.43:                               ;   in Loop: Header=BB120_6 Depth=1
	s_or_b32 exec_lo, exec_lo, s99
.LBB120_44:                             ;   in Loop: Header=BB120_6 Depth=1
	s_delay_alu instid0(SALU_CYCLE_1) | instskip(SKIP_3) | instid1(VALU_DEP_2)
	s_or_b32 exec_lo, exec_lo, s95
	v_add_co_u32 v25, vcc_lo, v25, v0
	v_add_co_ci_u32_e32 v26, vcc_lo, 0, v26, vcc_lo
	v_mov_b32_e32 v27, 0
	v_cmp_gt_u64_e32 vcc_lo, s[28:29], v[25:26]
	s_and_saveexec_b32 s7, vcc_lo
	s_cbranch_execz .LBB120_46
; %bb.45:                               ;   in Loop: Header=BB120_6 Depth=1
	v_mad_u64_u32 v[27:28], null, v25, s38, s[50:51]
	v_mul_lo_u32 v12, v25, s39
	v_mul_lo_u32 v37, v26, s38
	s_delay_alu instid0(VALU_DEP_1)
	v_add3_u32 v28, v37, v28, v12
	global_load_u8 v27, v[27:28], off
.LBB120_46:                             ;   in Loop: Header=BB120_6 Depth=1
	s_or_b32 exec_lo, exec_lo, s7
	s_and_saveexec_b32 s10, vcc_lo
	s_cbranch_execz .LBB120_53
; %bb.47:                               ;   in Loop: Header=BB120_6 Depth=1
	s_and_b32 s12, s82, 0xfe
	s_mov_b32 s11, 0
	s_branch .LBB120_49
.LBB120_48:                             ;   in Loop: Header=BB120_49 Depth=2
	s_or_b32 exec_lo, exec_lo, s8
	s_waitcnt vmcnt(0)
	v_and_b32_e32 v27, 0xff, v27
	s_and_b32 s9, exec_lo, vcc_lo
	s_delay_alu instid0(SALU_CYCLE_1) | instskip(NEXT) | instid1(VALU_DEP_1)
	s_or_b32 s11, s9, s11
	v_and_b32_e32 v28, v34, v27
	v_bfe_u32 v27, v27, s12, 2
	s_delay_alu instid0(VALU_DEP_2) | instskip(NEXT) | instid1(VALU_DEP_2)
	v_cmp_eq_u32_e64 s7, v28, v35
	v_cmp_eq_u32_e64 s8, 0, v27
	v_cmp_eq_u32_e32 vcc_lo, 1, v27
	v_cmp_eq_u32_e64 s9, 2, v27
	s_delay_alu instid0(VALU_DEP_3) | instskip(NEXT) | instid1(SALU_CYCLE_1)
	s_and_b32 s8, s7, s8
	v_cndmask_b32_e64 v28, 0, 1, s8
	s_and_b32 s8, s7, vcc_lo
	v_cmp_eq_u32_e32 vcc_lo, 3, v27
	v_cndmask_b32_e64 v37, 0, 1, s8
	s_and_b32 s8, s7, s9
	s_delay_alu instid0(SALU_CYCLE_1) | instskip(SKIP_1) | instid1(VALU_DEP_3)
	v_cndmask_b32_e64 v27, 0, 1, s8
	v_cmp_ne_u32_e64 s8, 0, v28
	v_cmp_ne_u32_e64 s9, 0, v37
	s_and_b32 s7, s7, vcc_lo
	s_delay_alu instid0(SALU_CYCLE_1) | instskip(NEXT) | instid1(VALU_DEP_3)
	v_cndmask_b32_e64 v28, 0, 1, s7
	s_bcnt1_i32_b32 s7, s8
	v_cmp_ne_u32_e32 vcc_lo, 0, v27
	v_mov_b32_e32 v27, v12
	v_add_co_u32 v2, s7, v2, s7
	s_bcnt1_i32_b32 s8, s9
	v_add_co_ci_u32_e64 v3, s7, 0, v3, s7
	v_add_co_u32 v4, s7, v4, s8
	s_delay_alu instid0(VALU_DEP_1) | instskip(SKIP_3) | instid1(VALU_DEP_1)
	v_add_co_ci_u32_e64 v5, s7, 0, v5, s7
	s_bcnt1_i32_b32 s7, vcc_lo
	v_cmp_ne_u32_e32 vcc_lo, 0, v28
	v_add_co_u32 v6, s7, v6, s7
	v_add_co_ci_u32_e64 v7, s7, 0, v7, s7
	s_bcnt1_i32_b32 s7, vcc_lo
	s_delay_alu instid0(SALU_CYCLE_1)
	v_add_co_u32 v8, vcc_lo, v8, s7
	v_add_co_ci_u32_e32 v9, vcc_lo, 0, v9, vcc_lo
	s_and_not1_b32 exec_lo, exec_lo, s11
	s_cbranch_execz .LBB120_52
.LBB120_49:                             ;   Parent Loop BB120_6 Depth=1
                                        ; =>  This Inner Loop Header: Depth=2
	v_add_co_u32 v25, vcc_lo, v25, s48
	v_add_co_ci_u32_e32 v26, vcc_lo, 0, v26, vcc_lo
	v_mov_b32_e32 v12, 0
	s_mov_b32 s8, exec_lo
	s_delay_alu instid0(VALU_DEP_2)
	v_cmp_le_u64_e32 vcc_lo, s[28:29], v[25:26]
	v_cmpx_gt_u64_e64 s[28:29], v[25:26]
	s_cbranch_execz .LBB120_48
; %bb.50:                               ;   in Loop: Header=BB120_49 Depth=2
	v_mad_u64_u32 v[37:38], null, v25, s38, s[50:51]
	v_mul_lo_u32 v12, v25, s39
	v_mul_lo_u32 v28, v26, s38
	s_delay_alu instid0(VALU_DEP_1)
	v_add3_u32 v38, v28, v38, v12
	global_load_u8 v12, v[37:38], off
	s_branch .LBB120_48
.LBB120_51:                             ;   in Loop: Header=BB120_6 Depth=1
                                        ; implicit-def: $vgpr8_vgpr9
                                        ; implicit-def: $vgpr4_vgpr5
	s_cbranch_execnz .LBB120_54
	s_branch .LBB120_63
.LBB120_52:                             ;   in Loop: Header=BB120_6 Depth=1
	s_or_b32 exec_lo, exec_lo, s11
.LBB120_53:                             ;   in Loop: Header=BB120_6 Depth=1
	s_delay_alu instid0(SALU_CYCLE_1)
	s_or_b32 exec_lo, exec_lo, s10
	s_branch .LBB120_63
.LBB120_54:                             ;   in Loop: Header=BB120_6 Depth=1
	global_load_u16 v12, v13, s[52:53]
	s_mov_b64 s[58:59], 0
	s_mov_b32 s66, exec_lo
	s_waitcnt vmcnt(0)
	v_readfirstlane_b32 s7, v12
	s_delay_alu instid0(VALU_DEP_1) | instskip(NEXT) | instid1(SALU_CYCLE_1)
	s_and_b32 s7, 0xffff, s7
	s_lshl_b32 s57, s7, 2
	s_delay_alu instid0(SALU_CYCLE_1) | instskip(SKIP_1) | instid1(VALU_DEP_1)
	v_cvt_f32_u32_e32 v2, s57
	s_sub_i32 s8, 0, s57
	v_rcp_iflag_f32_e32 v2, v2
	s_waitcnt_depctr 0xfff
	v_mul_f32_e32 v2, 0x4f7ffffe, v2
	s_delay_alu instid0(VALU_DEP_1) | instskip(NEXT) | instid1(VALU_DEP_1)
	v_cvt_u32_f32_e32 v2, v2
	v_readfirstlane_b32 s7, v2
	v_mov_b32_e32 v2, 0
	v_mov_b32_e32 v3, 0
	s_delay_alu instid0(VALU_DEP_3) | instskip(NEXT) | instid1(VALU_DEP_1)
	s_mul_i32 s8, s8, s7
	v_dual_mov_b32 v5, v3 :: v_dual_mov_b32 v4, v2
	s_mul_hi_u32 s8, s7, s8
	v_dual_mov_b32 v7, v3 :: v_dual_mov_b32 v6, v2
	s_add_i32 s7, s7, s8
	v_dual_mov_b32 v9, v3 :: v_dual_mov_b32 v8, v2
	s_mul_hi_u32 s7, s56, s7
	s_delay_alu instid0(SALU_CYCLE_1) | instskip(NEXT) | instid1(SALU_CYCLE_1)
	s_mul_i32 s7, s7, s57
	s_sub_i32 s7, s56, s7
	s_delay_alu instid0(SALU_CYCLE_1) | instskip(SKIP_2) | instid1(SALU_CYCLE_1)
	s_sub_i32 s8, s7, s57
	s_cmp_ge_u32 s7, s57
	s_cselect_b32 s7, s8, s7
	s_sub_i32 s8, s7, s57
	s_cmp_ge_u32 s7, s57
	s_cselect_b32 s7, s8, s7
	s_delay_alu instid0(SALU_CYCLE_1) | instskip(NEXT) | instid1(SALU_CYCLE_1)
	s_sub_i32 s48, s56, s7
	v_cmpx_gt_u32_e64 s48, v14
	s_cbranch_execz .LBB120_58
; %bb.55:                               ;   in Loop: Header=BB120_6 Depth=1
	v_dual_mov_b32 v27, v14 :: v_dual_mov_b32 v26, v15
	v_mov_b32_e32 v25, v14
	s_and_b32 s95, s82, 0xfe
	s_mov_b32 s67, 0
	s_mov_b64 s[60:61], 0
	s_mov_b64 s[62:63], 0
	;; [unrolled: 1-line block ×3, first 2 shown]
.LBB120_56:                             ;   Parent Loop BB120_6 Depth=1
                                        ; =>  This Inner Loop Header: Depth=2
	ds_load_b32 v2, v27
	v_add_co_u32 v25, vcc_lo, v25, s57
	v_add_co_ci_u32_e32 v26, vcc_lo, 0, v26, vcc_lo
	s_delay_alu instid0(VALU_DEP_1)
	v_cmp_le_u64_e32 vcc_lo, s[48:49], v[25:26]
	s_waitcnt lgkmcnt(0)
	v_and_b32_e32 v3, 0xff, v2
	v_bfe_u32 v4, v2, 8, 8
	v_bfe_u32 v5, v2, 16, 8
	v_lshrrev_b32_e32 v2, 24, v2
	s_delay_alu instid0(VALU_DEP_4)
	v_and_b32_e32 v6, v34, v3
	v_bfe_u32 v3, v3, s95, 2
	v_and_b32_e32 v7, v34, v4
	v_bfe_u32 v4, v4, s95, 2
	;; [unrolled: 2-line block ×3, first 2 shown]
	v_cmp_eq_u32_e64 s7, v6, v35
	v_cmp_eq_u32_e64 s11, 0, v3
	v_and_b32_e32 v9, v34, v2
	v_bfe_u32 v2, v2, s95, 2
	v_cmp_eq_u32_e64 s8, v7, v35
	v_cmp_eq_u32_e64 s12, 0, v4
	v_cmp_eq_u32_e64 s9, v8, v35
	v_cmp_eq_u32_e64 s13, 0, v5
	s_and_b32 s11, s7, s11
	v_cmp_eq_u32_e64 s10, v9, v35
	v_cmp_eq_u32_e64 s14, 0, v2
	;; [unrolled: 1-line block ×5, first 2 shown]
	v_cndmask_b32_e64 v2, 0, 1, s11
	s_and_b32 s11, s8, s12
	v_cmp_eq_u32_e64 s15, 1, v3
	v_cmp_eq_u32_e64 s19, 2, v3
	v_cmp_eq_u32_e64 s23, 3, v3
	v_cndmask_b32_e64 v3, 0, 1, s11
	s_and_b32 s11, s9, s13
	v_cmp_eq_u32_e64 s16, 1, v4
	v_cmp_eq_u32_e64 s20, 2, v4
	v_cmp_eq_u32_e64 s24, 3, v4
	;; [unrolled: 5-line block ×3, first 2 shown]
	v_cndmask_b32_e64 v5, 0, 1, s11
	v_cmp_ne_u32_e64 s11, 0, v2
	v_cmp_ne_u32_e64 s12, 0, v3
	;; [unrolled: 1-line block ×3, first 2 shown]
	s_delay_alu instid0(VALU_DEP_4) | instskip(NEXT) | instid1(VALU_DEP_4)
	v_cmp_ne_u32_e64 s14, 0, v5
	s_bcnt1_i32_b32 s11, s11
	s_delay_alu instid0(VALU_DEP_3) | instskip(NEXT) | instid1(VALU_DEP_2)
	s_bcnt1_i32_b32 s12, s12
	s_bcnt1_i32_b32 s13, s13
	s_add_i32 s11, s12, s11
	s_bcnt1_i32_b32 s14, s14
	s_add_i32 s11, s11, s13
	s_delay_alu instid0(SALU_CYCLE_1) | instskip(NEXT) | instid1(SALU_CYCLE_1)
	s_add_i32 s11, s11, s14
	s_add_u32 s64, s64, s11
	s_addc_u32 s65, s65, 0
	s_and_b32 s11, s7, s15
	v_add_nc_u32_e32 v27, s57, v27
	v_cndmask_b32_e64 v2, 0, 1, s11
	s_and_b32 s11, s8, s16
	s_delay_alu instid0(SALU_CYCLE_1) | instskip(SKIP_1) | instid1(SALU_CYCLE_1)
	v_cndmask_b32_e64 v3, 0, 1, s11
	s_and_b32 s11, s9, s17
	v_cndmask_b32_e64 v4, 0, 1, s11
	s_and_b32 s11, s10, s18
	s_delay_alu instid0(VALU_DEP_2) | instskip(SKIP_3) | instid1(VALU_DEP_4)
	v_cmp_ne_u32_e64 s12, 0, v3
	v_cndmask_b32_e64 v5, 0, 1, s11
	v_cmp_ne_u32_e64 s11, 0, v2
	v_cmp_ne_u32_e64 s13, 0, v4
	s_bcnt1_i32_b32 s12, s12
	s_delay_alu instid0(VALU_DEP_3) | instskip(NEXT) | instid1(VALU_DEP_3)
	v_cmp_ne_u32_e64 s14, 0, v5
	s_bcnt1_i32_b32 s11, s11
	s_delay_alu instid0(VALU_DEP_2) | instskip(SKIP_1) | instid1(VALU_DEP_1)
	s_bcnt1_i32_b32 s13, s13
	s_add_i32 s11, s12, s11
	s_bcnt1_i32_b32 s14, s14
	s_add_i32 s11, s11, s13
	s_delay_alu instid0(SALU_CYCLE_1) | instskip(NEXT) | instid1(SALU_CYCLE_1)
	s_add_i32 s11, s11, s14
	s_add_u32 s62, s62, s11
	s_addc_u32 s63, s63, 0
	s_and_b32 s11, s7, s19
	s_delay_alu instid0(SALU_CYCLE_1) | instskip(SKIP_1) | instid1(SALU_CYCLE_1)
	v_cndmask_b32_e64 v2, 0, 1, s11
	s_and_b32 s11, s8, s20
	v_cndmask_b32_e64 v3, 0, 1, s11
	s_and_b32 s11, s9, s21
	s_delay_alu instid0(SALU_CYCLE_1) | instskip(SKIP_1) | instid1(VALU_DEP_2)
	v_cndmask_b32_e64 v4, 0, 1, s11
	s_and_b32 s11, s10, s22
	v_cmp_ne_u32_e64 s12, 0, v3
	v_cndmask_b32_e64 v5, 0, 1, s11
	v_cmp_ne_u32_e64 s11, 0, v2
	v_cmp_ne_u32_e64 s13, 0, v4
	s_delay_alu instid0(VALU_DEP_4) | instskip(NEXT) | instid1(VALU_DEP_3)
	s_bcnt1_i32_b32 s12, s12
	v_cmp_ne_u32_e64 s14, 0, v5
	s_delay_alu instid0(VALU_DEP_3) | instskip(NEXT) | instid1(VALU_DEP_2)
	s_bcnt1_i32_b32 s11, s11
	s_bcnt1_i32_b32 s13, s13
	s_add_i32 s11, s12, s11
	s_delay_alu instid0(VALU_DEP_1) | instskip(SKIP_1) | instid1(SALU_CYCLE_1)
	s_bcnt1_i32_b32 s14, s14
	s_add_i32 s11, s11, s13
	s_add_i32 s11, s11, s14
	s_delay_alu instid0(SALU_CYCLE_1)
	s_add_u32 s60, s60, s11
	s_addc_u32 s61, s61, 0
	s_and_b32 s7, s7, s23
	v_mov_b32_e32 v6, s60
	v_cndmask_b32_e64 v2, 0, 1, s7
	s_and_b32 s7, s8, s24
	v_mov_b32_e32 v7, s61
	v_cndmask_b32_e64 v3, 0, 1, s7
	s_and_b32 s7, s9, s25
	s_delay_alu instid0(SALU_CYCLE_1) | instskip(SKIP_1) | instid1(VALU_DEP_2)
	v_cndmask_b32_e64 v4, 0, 1, s7
	s_and_b32 s7, s10, s26
	v_cmp_ne_u32_e64 s8, 0, v3
	v_cndmask_b32_e64 v5, 0, 1, s7
	v_cmp_ne_u32_e64 s7, 0, v2
	v_mov_b32_e32 v2, s64
	v_cmp_ne_u32_e64 s9, 0, v4
	s_bcnt1_i32_b32 s8, s8
	v_cmp_ne_u32_e64 s10, 0, v5
	s_bcnt1_i32_b32 s7, s7
	v_mov_b32_e32 v4, s62
	s_bcnt1_i32_b32 s9, s9
	s_add_i32 s7, s8, s7
	s_bcnt1_i32_b32 s8, s10
	s_add_i32 s7, s7, s9
	v_mov_b32_e32 v3, s65
	s_add_i32 s7, s7, s8
	v_mov_b32_e32 v5, s63
	s_add_u32 s58, s58, s7
	s_addc_u32 s59, s59, 0
	s_delay_alu instid0(SALU_CYCLE_1) | instskip(SKIP_1) | instid1(SALU_CYCLE_1)
	v_dual_mov_b32 v8, s58 :: v_dual_mov_b32 v9, s59
	s_or_b32 s67, vcc_lo, s67
	s_and_not1_b32 exec_lo, exec_lo, s67
	s_cbranch_execnz .LBB120_56
; %bb.57:                               ;   in Loop: Header=BB120_6 Depth=1
	s_or_b32 exec_lo, exec_lo, s67
.LBB120_58:                             ;   in Loop: Header=BB120_6 Depth=1
	s_delay_alu instid0(SALU_CYCLE_1) | instskip(SKIP_3) | instid1(VALU_DEP_1)
	s_or_b32 exec_lo, exec_lo, s66
	v_and_b32_e32 v27, 0xffff, v12
	v_add_nc_u32_e32 v12, s48, v0
	s_mov_b32 s14, exec_lo
	v_cmpx_gt_u32_e64 s56, v12
	s_cbranch_execz .LBB120_62
; %bb.59:                               ;   in Loop: Header=BB120_6 Depth=1
	v_dual_mov_b32 v26, v13 :: v_dual_mov_b32 v25, v12
	s_mov_b32 s13, 0
	s_and_b32 s12, s56, 0x7fffffff
	s_and_b32 s16, s82, 0xfe
	s_mov_b32 s15, s13
.LBB120_60:                             ;   Parent Loop BB120_6 Depth=1
                                        ; =>  This Inner Loop Header: Depth=2
	ds_load_u8 v28, v12
	v_add_co_u32 v25, vcc_lo, v25, v27
	v_add_co_ci_u32_e32 v26, vcc_lo, 0, v26, vcc_lo
	v_add_nc_u32_e32 v12, v12, v27
	s_delay_alu instid0(VALU_DEP_2) | instskip(SKIP_3) | instid1(VALU_DEP_2)
	v_cmp_le_u64_e32 vcc_lo, s[12:13], v[25:26]
	s_waitcnt lgkmcnt(0)
	v_and_b32_e32 v37, v34, v28
	v_bfe_u32 v28, v28, s16, 2
	v_cmp_eq_u32_e64 s7, v37, v35
	s_delay_alu instid0(VALU_DEP_2) | instskip(SKIP_3) | instid1(VALU_DEP_4)
	v_cmp_eq_u32_e64 s8, 0, v28
	v_cmp_eq_u32_e64 s9, 1, v28
	;; [unrolled: 1-line block ×4, first 2 shown]
	s_and_b32 s8, s7, s8
	s_delay_alu instid0(SALU_CYCLE_1) | instskip(SKIP_1) | instid1(SALU_CYCLE_1)
	v_cndmask_b32_e64 v28, 0, 1, s8
	s_and_b32 s8, s7, s9
	v_cndmask_b32_e64 v37, 0, 1, s8
	s_and_b32 s8, s7, s10
	s_and_b32 s7, s7, s11
	v_cndmask_b32_e64 v38, 0, 1, s8
	v_cndmask_b32_e64 v39, 0, 1, s7
	v_cmp_ne_u32_e64 s7, 0, v28
	v_cmp_ne_u32_e64 s8, 0, v37
	s_delay_alu instid0(VALU_DEP_4) | instskip(NEXT) | instid1(VALU_DEP_4)
	v_cmp_ne_u32_e64 s9, 0, v38
	v_cmp_ne_u32_e64 s10, 0, v39
	s_delay_alu instid0(VALU_DEP_4) | instskip(NEXT) | instid1(VALU_DEP_3)
	s_bcnt1_i32_b32 s7, s7
	s_bcnt1_i32_b32 s8, s8
	v_add_co_u32 v2, s7, v2, s7
	s_delay_alu instid0(VALU_DEP_1)
	v_add_co_ci_u32_e64 v3, s7, 0, v3, s7
	v_add_co_u32 v4, s7, v4, s8
	s_bcnt1_i32_b32 s9, s9
	v_add_co_ci_u32_e64 v5, s7, 0, v5, s7
	v_add_co_u32 v6, s7, v6, s9
	s_bcnt1_i32_b32 s10, s10
	v_add_co_ci_u32_e64 v7, s7, 0, v7, s7
	v_add_co_u32 v8, s7, v8, s10
	s_delay_alu instid0(VALU_DEP_1) | instskip(SKIP_1) | instid1(SALU_CYCLE_1)
	v_add_co_ci_u32_e64 v9, s7, 0, v9, s7
	s_or_b32 s15, vcc_lo, s15
	s_and_not1_b32 exec_lo, exec_lo, s15
	s_cbranch_execnz .LBB120_60
; %bb.61:                               ;   in Loop: Header=BB120_6 Depth=1
	s_or_b32 exec_lo, exec_lo, s15
.LBB120_62:                             ;   in Loop: Header=BB120_6 Depth=1
	s_delay_alu instid0(SALU_CYCLE_1)
	s_or_b32 exec_lo, exec_lo, s14
.LBB120_63:                             ;   in Loop: Header=BB120_6 Depth=1
	s_lshl_b32 s7, s85, 7
	s_and_saveexec_b32 s8, s2
	s_cbranch_execz .LBB120_65
; %bb.64:                               ;   in Loop: Header=BB120_6 Depth=1
	v_or_b32_e32 v12, s7, v31
	s_delay_alu instid0(VALU_DEP_1)
	v_lshlrev_b32_e32 v12, 3, v12
	ds_store_b128 v12, v[2:5] offset:3072
	ds_store_b128 v12, v[6:9] offset:3088
.LBB120_65:                             ;   in Loop: Header=BB120_6 Depth=1
	s_or_b32 exec_lo, exec_lo, s8
	s_waitcnt vmcnt(0) lgkmcnt(0)
	s_barrier
	buffer_gl0_inv
	s_and_saveexec_b32 s8, s72
	s_cbranch_execz .LBB120_76
; %bb.66:                               ;   in Loop: Header=BB120_6 Depth=1
	v_mov_b32_e32 v2, 0
	v_mov_b32_e32 v3, 0
	s_and_not1_b32 vcc_lo, exec_lo, s74
	s_cbranch_vccnz .LBB120_75
; %bb.67:                               ;   in Loop: Header=BB120_6 Depth=1
	v_mov_b32_e32 v2, 0
	v_mov_b32_e32 v3, 0
	s_and_not1_b32 vcc_lo, exec_lo, s79
	s_cbranch_vccnz .LBB120_72
; %bb.68:                               ;   in Loop: Header=BB120_6 Depth=1
	v_lshl_add_u32 v4, s85, 10, v33
	s_mov_b32 s9, 0
	s_set_inst_prefetch_distance 0x1
	.p2align	6
.LBB120_69:                             ;   Parent Loop BB120_6 Depth=1
                                        ; =>  This Inner Loop Header: Depth=2
	ds_load_2addr_b64 v[5:8], v4 offset1:4
	ds_load_2addr_b64 v[25:28], v4 offset0:8 offset1:12
	ds_load_2addr_b64 v[37:40], v4 offset0:16 offset1:20
	s_add_i32 s9, s9, 8
	s_delay_alu instid0(SALU_CYCLE_1) | instskip(SKIP_3) | instid1(VALU_DEP_2)
	s_cmp_eq_u32 s80, s9
	s_waitcnt lgkmcnt(2)
	v_add_co_u32 v2, vcc_lo, v5, v2
	v_add_co_ci_u32_e32 v3, vcc_lo, v6, v3, vcc_lo
	v_add_co_u32 v2, vcc_lo, v7, v2
	s_delay_alu instid0(VALU_DEP_2)
	v_add_co_ci_u32_e32 v3, vcc_lo, v8, v3, vcc_lo
	ds_load_2addr_b64 v[5:8], v4 offset0:24 offset1:28
	s_waitcnt lgkmcnt(2)
	v_add_co_u32 v2, vcc_lo, v25, v2
	v_add_co_ci_u32_e32 v3, vcc_lo, v26, v3, vcc_lo
	v_add_nc_u32_e32 v4, 0x100, v4
	s_delay_alu instid0(VALU_DEP_3) | instskip(NEXT) | instid1(VALU_DEP_3)
	v_add_co_u32 v2, vcc_lo, v27, v2
	v_add_co_ci_u32_e32 v3, vcc_lo, v28, v3, vcc_lo
	s_waitcnt lgkmcnt(1)
	s_delay_alu instid0(VALU_DEP_2) | instskip(NEXT) | instid1(VALU_DEP_2)
	v_add_co_u32 v2, vcc_lo, v37, v2
	v_add_co_ci_u32_e32 v3, vcc_lo, v38, v3, vcc_lo
	s_delay_alu instid0(VALU_DEP_2) | instskip(NEXT) | instid1(VALU_DEP_2)
	v_add_co_u32 v2, vcc_lo, v39, v2
	v_add_co_ci_u32_e32 v3, vcc_lo, v40, v3, vcc_lo
	s_waitcnt lgkmcnt(0)
	s_delay_alu instid0(VALU_DEP_2) | instskip(NEXT) | instid1(VALU_DEP_2)
	v_add_co_u32 v2, vcc_lo, v5, v2
	v_add_co_ci_u32_e32 v3, vcc_lo, v6, v3, vcc_lo
	s_delay_alu instid0(VALU_DEP_2) | instskip(NEXT) | instid1(VALU_DEP_2)
	v_add_co_u32 v2, vcc_lo, v7, v2
	v_add_co_ci_u32_e32 v3, vcc_lo, v8, v3, vcc_lo
	s_cbranch_scc0 .LBB120_69
; %bb.70:                               ;   in Loop: Header=BB120_6 Depth=1
	s_set_inst_prefetch_distance 0x2
	s_mov_b32 s9, s80
	s_and_not1_b32 vcc_lo, exec_lo, s81
	s_cbranch_vccz .LBB120_73
	s_branch .LBB120_75
.LBB120_71:                             ;   in Loop: Header=BB120_6 Depth=1
                                        ; implicit-def: $vgpr2_vgpr3
	s_branch .LBB120_39
.LBB120_72:                             ;   in Loop: Header=BB120_6 Depth=1
	s_mov_b32 s9, 0
	s_and_not1_b32 vcc_lo, exec_lo, s81
	s_cbranch_vccnz .LBB120_75
.LBB120_73:                             ;   in Loop: Header=BB120_6 Depth=1
	s_lshl_b32 s10, s85, 10
	s_lshl_b32 s9, s9, 5
	s_delay_alu instid0(SALU_CYCLE_1)
	v_add3_u32 v4, s10, s9, v33
	s_mov_b32 s9, s78
.LBB120_74:                             ;   Parent Loop BB120_6 Depth=1
                                        ; =>  This Inner Loop Header: Depth=2
	ds_load_b64 v[5:6], v4
	v_add_nc_u32_e32 v4, 32, v4
	s_add_i32 s9, s9, -1
	s_delay_alu instid0(SALU_CYCLE_1)
	s_cmp_lg_u32 s9, 0
	s_waitcnt lgkmcnt(0)
	v_add_co_u32 v2, vcc_lo, v5, v2
	v_add_co_ci_u32_e32 v3, vcc_lo, v6, v3, vcc_lo
	s_cbranch_scc1 .LBB120_74
.LBB120_75:                             ;   in Loop: Header=BB120_6 Depth=1
	v_add_lshl_u32 v4, s7, v30, 3
	ds_store_b64 v4, v[2:3] offset:3072
.LBB120_76:                             ;   in Loop: Header=BB120_6 Depth=1
	s_or_b32 exec_lo, exec_lo, s8
	s_lshl_b32 s7, s7, 3
	s_waitcnt lgkmcnt(0)
	v_mov_b32_e32 v6, s7
	s_barrier
	buffer_gl0_inv
	s_and_b32 s22, s82, 0xfe
	v_cmp_eq_u64_e64 s7, 1, v[23:24]
	ds_load_b128 v[2:5], v6 offset:3072
	ds_load_b128 v[6:9], v6 offset:3088
	s_lshl_b32 s20, 3, s22
	s_and_not1_b32 vcc_lo, exec_lo, s71
	s_not_b32 s21, s20
	s_waitcnt lgkmcnt(1)
	v_readfirstlane_b32 s11, v3
	v_readfirstlane_b32 s10, v2
	;; [unrolled: 1-line block ×4, first 2 shown]
	s_waitcnt lgkmcnt(0)
	v_readfirstlane_b32 s15, v7
	v_readfirstlane_b32 s14, v6
	;; [unrolled: 1-line block ×4, first 2 shown]
	s_cbranch_vccnz .LBB120_91
; %bb.77:                               ;   in Loop: Header=BB120_6 Depth=1
	s_cmp_eq_u64 s[10:11], 1
	v_dual_mov_b32 v25, v35 :: v_dual_mov_b32 v26, v34
	v_mov_b32_e32 v27, v36
	s_cselect_b32 s8, -1, 0
                                        ; implicit-def: $sgpr23
                                        ; implicit-def: $sgpr56
                                        ; implicit-def: $sgpr48
	s_delay_alu instid0(SALU_CYCLE_1)
	s_and_b32 s59, s8, s7
	s_mov_b32 s8, -1
	s_and_saveexec_b32 s24, s59
	s_cbranch_execz .LBB120_109
; %bb.78:                               ;   in Loop: Header=BB120_6 Depth=1
	ds_load_b64 v[2:3], v13 offset:5120
	s_waitcnt lgkmcnt(0)
	s_barrier
	buffer_gl0_inv
	v_readfirstlane_b32 s18, v2
	v_readfirstlane_b32 s19, v3
	s_and_saveexec_b32 s8, s6
	s_cbranch_execz .LBB120_80
; %bb.79:                               ;   in Loop: Header=BB120_6 Depth=1
	ds_store_b8 v0, v13 offset:3072
.LBB120_80:                             ;   in Loop: Header=BB120_6 Depth=1
	s_or_b32 exec_lo, exec_lo, s8
	v_and_b32_e32 v25, s21, v35
	v_or_b32_e32 v26, s20, v34
	s_cmp_eq_u64 s[18:19], 0
	s_waitcnt lgkmcnt(0)
	s_barrier
	buffer_gl0_inv
	s_cbranch_scc1 .LBB120_93
; %bb.81:                               ;   in Loop: Header=BB120_6 Depth=1
	s_add_u32 s23, s75, s18
	s_addc_u32 s9, s76, s19
	s_mov_b32 s8, s49
	s_delay_alu instid0(SALU_CYCLE_1)
	s_cmp_lg_u64 s[8:9], 0
	s_cbranch_scc0 .LBB120_135
; %bb.82:                               ;   in Loop: Header=BB120_6 Depth=1
	v_cvt_f32_u32_e32 v2, s33
	s_sub_u32 s26, 0, s33
	s_subb_u32 s48, 0, 0
	s_delay_alu instid0(VALU_DEP_1) | instskip(NEXT) | instid1(VALU_DEP_1)
	v_fmac_f32_e64 v2, 0, 0x4f800000
	v_rcp_f32_e32 v2, v2
	s_waitcnt_depctr 0xfff
	v_mul_f32_e32 v2, 0x5f7ffffc, v2
	s_delay_alu instid0(VALU_DEP_1) | instskip(NEXT) | instid1(VALU_DEP_1)
	v_mul_f32_e32 v3, 0x2f800000, v2
	v_trunc_f32_e32 v3, v3
	s_delay_alu instid0(VALU_DEP_1) | instskip(SKIP_1) | instid1(VALU_DEP_2)
	v_fmac_f32_e32 v2, 0xcf800000, v3
	v_cvt_u32_f32_e32 v3, v3
	v_cvt_u32_f32_e32 v2, v2
	s_delay_alu instid0(VALU_DEP_2) | instskip(NEXT) | instid1(VALU_DEP_2)
	v_readfirstlane_b32 s8, v3
	v_readfirstlane_b32 s25, v2
	s_delay_alu instid0(VALU_DEP_2) | instskip(NEXT) | instid1(VALU_DEP_1)
	s_mul_i32 s56, s26, s8
	s_mul_hi_u32 s58, s26, s25
	s_mul_i32 s57, s48, s25
	s_add_i32 s56, s58, s56
	s_mul_i32 s60, s26, s25
	s_add_i32 s56, s56, s57
	s_mul_hi_u32 s58, s25, s60
	s_mul_hi_u32 s61, s8, s60
	s_mul_i32 s57, s8, s60
	s_mul_hi_u32 s60, s25, s56
	s_mul_i32 s25, s25, s56
	s_mul_hi_u32 s62, s8, s56
	s_add_u32 s25, s58, s25
	s_addc_u32 s58, 0, s60
	s_add_u32 s25, s25, s57
	s_mul_i32 s56, s8, s56
	s_addc_u32 s25, s58, s61
	s_addc_u32 s57, s62, 0
	s_add_u32 s25, s25, s56
	s_addc_u32 s56, 0, s57
	v_add_co_u32 v2, s25, v2, s25
	s_delay_alu instid0(VALU_DEP_1) | instskip(SKIP_1) | instid1(VALU_DEP_1)
	s_cmp_lg_u32 s25, 0
	s_addc_u32 s8, s8, s56
	v_readfirstlane_b32 s25, v2
	s_mul_i32 s56, s26, s8
	s_delay_alu instid0(VALU_DEP_1)
	s_mul_hi_u32 s57, s26, s25
	s_mul_i32 s48, s48, s25
	s_add_i32 s56, s57, s56
	s_mul_i32 s26, s26, s25
	s_add_i32 s56, s56, s48
	s_mul_hi_u32 s57, s8, s26
	s_mul_i32 s58, s8, s26
	s_mul_hi_u32 s26, s25, s26
	s_mul_hi_u32 s60, s25, s56
	s_mul_i32 s25, s25, s56
	s_mul_hi_u32 s48, s8, s56
	s_add_u32 s25, s26, s25
	s_addc_u32 s26, 0, s60
	s_add_u32 s25, s25, s58
	s_mul_i32 s56, s8, s56
	s_addc_u32 s25, s26, s57
	s_addc_u32 s26, s48, 0
	s_add_u32 s25, s25, s56
	s_addc_u32 s26, 0, s26
	v_add_co_u32 v2, s25, v2, s25
	s_delay_alu instid0(VALU_DEP_1) | instskip(SKIP_1) | instid1(VALU_DEP_1)
	s_cmp_lg_u32 s25, 0
	s_addc_u32 s8, s8, s26
	v_readfirstlane_b32 s25, v2
	s_mul_i32 s48, s23, s8
	s_mul_hi_u32 s26, s23, s8
	s_mul_hi_u32 s56, s9, s8
	s_mul_i32 s8, s9, s8
	s_mul_hi_u32 s57, s23, s25
	s_mul_hi_u32 s58, s9, s25
	s_mul_i32 s25, s9, s25
	s_add_u32 s48, s57, s48
	s_addc_u32 s26, 0, s26
	s_add_u32 s25, s48, s25
	s_addc_u32 s25, s26, s58
	s_addc_u32 s26, s56, 0
	s_add_u32 s8, s25, s8
	s_addc_u32 s25, 0, s26
	s_mul_hi_u32 s26, s33, s8
	s_mul_i32 s8, s33, s8
	s_mul_i32 s25, s33, s25
	v_sub_co_u32 v2, s8, s23, s8
	s_add_i32 s26, s26, s25
	s_cmp_lg_u32 s8, 0
	s_delay_alu instid0(VALU_DEP_1) | instskip(SKIP_2) | instid1(VALU_DEP_1)
	v_sub_co_u32 v3, s8, v2, s33
	s_subb_u32 s25, s9, s26
	s_cmp_lg_u32 s8, 0
	v_cmp_le_u32_e32 vcc_lo, s33, v3
	v_sub_co_u32 v4, s8, v3, s33
	s_subb_u32 s26, s25, 0
	s_cmp_lg_u32 s8, 0
	v_cndmask_b32_e64 v5, 0, -1, vcc_lo
	s_subb_u32 s8, s26, 0
	s_cmp_eq_u32 s26, 0
	v_mov_b32_e32 v7, s8
	s_cselect_b32 vcc_lo, -1, 0
	s_cmp_eq_u32 s25, 0
	v_cndmask_b32_e32 v5, -1, v5, vcc_lo
	v_cmp_le_u32_e32 vcc_lo, s33, v2
	s_cselect_b32 s8, -1, 0
	v_cndmask_b32_e64 v6, 0, -1, vcc_lo
	s_delay_alu instid0(VALU_DEP_3) | instskip(NEXT) | instid1(VALU_DEP_2)
	v_cmp_ne_u32_e32 vcc_lo, 0, v5
	v_cndmask_b32_e64 v5, -1, v6, s8
	v_cndmask_b32_e32 v6, s26, v7, vcc_lo
	v_cndmask_b32_e32 v4, v3, v4, vcc_lo
	s_delay_alu instid0(VALU_DEP_3) | instskip(NEXT) | instid1(VALU_DEP_3)
	v_cmp_ne_u32_e32 vcc_lo, 0, v5
	v_cndmask_b32_e32 v3, s25, v6, vcc_lo
	s_delay_alu instid0(VALU_DEP_3)
	v_cndmask_b32_e32 v2, v2, v4, vcc_lo
	s_cbranch_execnz .LBB120_84
.LBB120_83:                             ;   in Loop: Header=BB120_6 Depth=1
	v_cvt_f32_u32_e32 v2, s33
	s_sub_i32 s8, 0, s33
	s_delay_alu instid0(VALU_DEP_1) | instskip(SKIP_2) | instid1(VALU_DEP_1)
	v_rcp_iflag_f32_e32 v2, v2
	s_waitcnt_depctr 0xfff
	v_mul_f32_e32 v2, 0x4f7ffffe, v2
	v_cvt_u32_f32_e32 v2, v2
	s_delay_alu instid0(VALU_DEP_1) | instskip(NEXT) | instid1(VALU_DEP_1)
	v_mul_lo_u32 v3, s8, v2
	v_mul_hi_u32 v3, v2, v3
	s_delay_alu instid0(VALU_DEP_1) | instskip(NEXT) | instid1(VALU_DEP_1)
	v_add_nc_u32_e32 v2, v2, v3
	v_mul_hi_u32 v2, s23, v2
	s_delay_alu instid0(VALU_DEP_1) | instskip(NEXT) | instid1(VALU_DEP_1)
	v_mul_lo_u32 v2, v2, s33
	v_sub_nc_u32_e32 v2, s23, v2
	s_delay_alu instid0(VALU_DEP_1) | instskip(SKIP_1) | instid1(VALU_DEP_2)
	v_subrev_nc_u32_e32 v3, s33, v2
	v_cmp_le_u32_e32 vcc_lo, s33, v2
	v_cndmask_b32_e32 v2, v2, v3, vcc_lo
	s_delay_alu instid0(VALU_DEP_1) | instskip(SKIP_1) | instid1(VALU_DEP_2)
	v_subrev_nc_u32_e32 v3, s33, v2
	v_cmp_le_u32_e32 vcc_lo, s33, v2
	v_cndmask_b32_e32 v12, v2, v3, vcc_lo
	s_delay_alu instid0(VALU_DEP_1)
	v_dual_mov_b32 v2, v12 :: v_dual_mov_b32 v3, v13
.LBB120_84:                             ;   in Loop: Header=BB120_6 Depth=1
	s_delay_alu instid0(VALU_DEP_1) | instskip(NEXT) | instid1(VALU_DEP_2)
	v_sub_co_u32 v2, vcc_lo, s23, v2
	v_sub_co_ci_u32_e32 v3, vcc_lo, s9, v3, vcc_lo
	s_mov_b32 s8, 0
	s_mov_b32 s9, exec_lo
                                        ; implicit-def: $vgpr27
	s_delay_alu instid0(VALU_DEP_1)
	v_cmpx_gt_u64_e64 v[2:3], v[0:1]
	s_cbranch_execz .LBB120_95
; %bb.85:                               ;   in Loop: Header=BB120_6 Depth=1
	v_dual_mov_b32 v6, v0 :: v_dual_mov_b32 v5, v1
	v_mov_b32_e32 v4, v0
	s_mov_b32 s23, 0
                                        ; implicit-def: $sgpr25
	s_set_inst_prefetch_distance 0x1
	s_branch .LBB120_87
	.p2align	6
.LBB120_86:                             ;   in Loop: Header=BB120_87 Depth=2
	s_or_b32 exec_lo, exec_lo, s8
	s_waitcnt lgkmcnt(0)
	s_barrier
	buffer_gl0_inv
	ds_load_u16 v7, v13 offset:3072
	v_add_co_u32 v4, vcc_lo, v4, s33
	v_add_co_ci_u32_e32 v5, vcc_lo, 0, v5, vcc_lo
	v_add_nc_u32_e32 v6, s33, v6
	s_waitcnt lgkmcnt(0)
	s_barrier
	s_delay_alu instid0(VALU_DEP_2) | instskip(SKIP_2) | instid1(VALU_DEP_1)
	v_cmp_ge_u64_e32 vcc_lo, v[4:5], v[2:3]
	buffer_gl0_inv
	v_and_b32_e32 v8, 0xff, v7
	v_cmp_ne_u16_e64 s8, 0, v8
	s_delay_alu instid0(VALU_DEP_1) | instskip(NEXT) | instid1(SALU_CYCLE_1)
	s_or_b32 s26, vcc_lo, s8
	s_and_b32 s26, exec_lo, s26
	s_delay_alu instid0(SALU_CYCLE_1) | instskip(SKIP_2) | instid1(SALU_CYCLE_1)
	s_or_b32 s23, s26, s23
	s_and_not1_b32 s25, s25, exec_lo
	s_and_b32 s8, s8, exec_lo
	s_or_b32 s25, s25, s8
	s_and_not1_b32 exec_lo, exec_lo, s23
	s_cbranch_execz .LBB120_94
.LBB120_87:                             ;   Parent Loop BB120_6 Depth=1
                                        ; =>  This Inner Loop Header: Depth=2
	s_delay_alu instid0(VALU_DEP_1)
	v_cmp_gt_u64_e32 vcc_lo, s[18:19], v[4:5]
	v_mov_b32_e32 v7, 0
	s_and_saveexec_b32 s8, vcc_lo
	s_cbranch_execz .LBB120_89
; %bb.88:                               ;   in Loop: Header=BB120_87 Depth=2
	ds_load_u8 v7, v6
.LBB120_89:                             ;   in Loop: Header=BB120_87 Depth=2
	s_or_b32 exec_lo, exec_lo, s8
	s_waitcnt lgkmcnt(0)
	v_and_b32_e32 v8, v7, v26
	s_delay_alu instid0(VALU_DEP_1) | instskip(NEXT) | instid1(VALU_DEP_1)
	v_and_b32_e32 v8, 0xff, v8
	v_cmp_eq_u32_e64 s8, v8, v25
	s_delay_alu instid0(VALU_DEP_1) | instskip(NEXT) | instid1(SALU_CYCLE_1)
	s_and_b32 s26, vcc_lo, s8
	s_and_saveexec_b32 s8, s26
	s_cbranch_execz .LBB120_86
; %bb.90:                               ;   in Loop: Header=BB120_87 Depth=2
	v_lshlrev_b16 v7, 8, v7
	s_delay_alu instid0(VALU_DEP_1)
	v_or_b32_e32 v7, 1, v7
	ds_store_b16 v13, v7 offset:3072
	s_branch .LBB120_86
.LBB120_91:                             ;   in Loop: Header=BB120_6 Depth=1
	s_mov_b32 s25, 0
	s_mov_b32 s24, 0
                                        ; implicit-def: $sgpr48
                                        ; implicit-def: $sgpr56
                                        ; implicit-def: $sgpr23
                                        ; implicit-def: $vgpr6
                                        ; implicit-def: $vgpr2_vgpr3
                                        ; implicit-def: $vgpr25
                                        ; implicit-def: $vgpr26
                                        ; implicit-def: $vgpr27
	s_cbranch_execnz .LBB120_267
.LBB120_92:                             ;   in Loop: Header=BB120_6 Depth=1
	s_mov_b32 s18, s23
	s_mov_b32 s19, s23
	s_and_saveexec_b32 s7, s25
	s_cbranch_execnz .LBB120_455
	s_branch .LBB120_456
.LBB120_93:                             ;   in Loop: Header=BB120_6 Depth=1
	s_mov_b32 s23, -1
	s_mov_b32 s8, 0
                                        ; implicit-def: $sgpr48
                                        ; implicit-def: $vgpr27
	s_mov_b32 s56, s23
	s_cbranch_execnz .LBB120_96
	s_branch .LBB120_108
.LBB120_94:                             ;   in Loop: Header=BB120_6 Depth=1
	s_set_inst_prefetch_distance 0x2
	s_or_b32 exec_lo, exec_lo, s23
	v_lshrrev_b16 v27, 8, v7
	s_and_b32 s8, s25, exec_lo
.LBB120_95:                             ;   in Loop: Header=BB120_6 Depth=1
	s_or_b32 exec_lo, exec_lo, s9
	s_mov_b32 s48, -1
	s_mov_b32 s23, 0
	s_delay_alu instid0(SALU_CYCLE_1)
	s_mov_b32 s56, s23
	s_branch .LBB120_108
.LBB120_96:                             ;   in Loop: Header=BB120_6 Depth=1
	s_mov_b32 s26, s49
	s_delay_alu instid0(SALU_CYCLE_1)
	s_cmp_lg_u64 s[26:27], 0
	s_cbranch_scc0 .LBB120_136
; %bb.97:                               ;   in Loop: Header=BB120_6 Depth=1
	v_cvt_f32_u32_e32 v2, s33
	s_sub_u32 s18, 0, s33
	s_subb_u32 s19, 0, 0
	s_delay_alu instid0(VALU_DEP_1) | instskip(NEXT) | instid1(VALU_DEP_1)
	v_fmac_f32_e64 v2, 0, 0x4f800000
	v_rcp_f32_e32 v2, v2
	s_waitcnt_depctr 0xfff
	v_mul_f32_e32 v2, 0x5f7ffffc, v2
	s_delay_alu instid0(VALU_DEP_1) | instskip(NEXT) | instid1(VALU_DEP_1)
	v_mul_f32_e32 v3, 0x2f800000, v2
	v_trunc_f32_e32 v3, v3
	s_delay_alu instid0(VALU_DEP_1) | instskip(SKIP_1) | instid1(VALU_DEP_2)
	v_fmac_f32_e32 v2, 0xcf800000, v3
	v_cvt_u32_f32_e32 v3, v3
	v_cvt_u32_f32_e32 v2, v2
	s_delay_alu instid0(VALU_DEP_2) | instskip(NEXT) | instid1(VALU_DEP_2)
	v_readfirstlane_b32 s8, v3
	v_readfirstlane_b32 s9, v2
	s_delay_alu instid0(VALU_DEP_2) | instskip(NEXT) | instid1(VALU_DEP_1)
	s_mul_i32 s23, s18, s8
	s_mul_hi_u32 s26, s18, s9
	s_mul_i32 s25, s19, s9
	s_add_i32 s23, s26, s23
	s_mul_i32 s48, s18, s9
	s_add_i32 s23, s23, s25
	s_mul_hi_u32 s26, s9, s48
	s_mul_hi_u32 s56, s8, s48
	s_mul_i32 s25, s8, s48
	s_mul_hi_u32 s48, s9, s23
	s_mul_i32 s9, s9, s23
	s_mul_hi_u32 s57, s8, s23
	s_add_u32 s9, s26, s9
	s_addc_u32 s26, 0, s48
	s_add_u32 s9, s9, s25
	s_mul_i32 s23, s8, s23
	s_addc_u32 s9, s26, s56
	s_addc_u32 s25, s57, 0
	s_add_u32 s9, s9, s23
	s_addc_u32 s23, 0, s25
	v_add_co_u32 v2, s9, v2, s9
	s_delay_alu instid0(VALU_DEP_1) | instskip(SKIP_1) | instid1(VALU_DEP_1)
	s_cmp_lg_u32 s9, 0
	s_addc_u32 s8, s8, s23
	v_readfirstlane_b32 s9, v2
	s_mul_i32 s23, s18, s8
	s_delay_alu instid0(VALU_DEP_1)
	s_mul_hi_u32 s25, s18, s9
	s_mul_i32 s19, s19, s9
	s_add_i32 s23, s25, s23
	s_mul_i32 s18, s18, s9
	s_add_i32 s23, s23, s19
	s_mul_hi_u32 s25, s8, s18
	s_mul_i32 s26, s8, s18
	s_mul_hi_u32 s18, s9, s18
	s_mul_hi_u32 s48, s9, s23
	s_mul_i32 s9, s9, s23
	s_mul_hi_u32 s19, s8, s23
	s_add_u32 s9, s18, s9
	s_addc_u32 s18, 0, s48
	s_add_u32 s9, s9, s26
	s_mul_i32 s23, s8, s23
	s_addc_u32 s9, s18, s25
	s_addc_u32 s18, s19, 0
	s_add_u32 s9, s9, s23
	s_addc_u32 s18, 0, s18
	v_add_co_u32 v2, s9, v2, s9
	s_delay_alu instid0(VALU_DEP_1) | instskip(SKIP_1) | instid1(VALU_DEP_1)
	s_cmp_lg_u32 s9, 0
	s_addc_u32 s8, s8, s18
	v_readfirstlane_b32 s9, v2
	s_mul_i32 s19, s77, s8
	s_mul_hi_u32 s18, s77, s8
	s_mul_hi_u32 s23, s27, s8
	s_mul_i32 s8, s27, s8
	s_mul_hi_u32 s25, s77, s9
	s_mul_hi_u32 s26, s27, s9
	s_mul_i32 s9, s27, s9
	s_add_u32 s19, s25, s19
	s_addc_u32 s18, 0, s18
	s_add_u32 s9, s19, s9
	s_addc_u32 s9, s18, s26
	s_addc_u32 s18, s23, 0
	s_add_u32 s8, s9, s8
	s_addc_u32 s9, 0, s18
	s_mul_hi_u32 s18, s33, s8
	s_mul_i32 s8, s33, s8
	s_mul_i32 s9, s33, s9
	v_sub_co_u32 v2, s8, s77, s8
	s_add_i32 s18, s18, s9
	s_cmp_lg_u32 s8, 0
	s_delay_alu instid0(VALU_DEP_1) | instskip(SKIP_2) | instid1(VALU_DEP_1)
	v_sub_co_u32 v3, s8, v2, s33
	s_subb_u32 s9, s27, s18
	s_cmp_lg_u32 s8, 0
	v_cmp_le_u32_e32 vcc_lo, s33, v3
	v_sub_co_u32 v4, s8, v3, s33
	s_subb_u32 s18, s9, 0
	s_cmp_lg_u32 s8, 0
	v_cndmask_b32_e64 v5, 0, -1, vcc_lo
	s_subb_u32 s8, s18, 0
	s_cmp_eq_u32 s18, 0
	v_mov_b32_e32 v7, s8
	s_cselect_b32 vcc_lo, -1, 0
	s_cmp_eq_u32 s9, 0
	v_cndmask_b32_e32 v5, -1, v5, vcc_lo
	v_cmp_le_u32_e32 vcc_lo, s33, v2
	s_cselect_b32 s8, -1, 0
	v_cndmask_b32_e64 v6, 0, -1, vcc_lo
	s_delay_alu instid0(VALU_DEP_3) | instskip(NEXT) | instid1(VALU_DEP_2)
	v_cmp_ne_u32_e32 vcc_lo, 0, v5
	v_cndmask_b32_e64 v5, -1, v6, s8
	v_cndmask_b32_e32 v6, s18, v7, vcc_lo
	v_cndmask_b32_e32 v4, v3, v4, vcc_lo
	s_delay_alu instid0(VALU_DEP_3) | instskip(NEXT) | instid1(VALU_DEP_3)
	v_cmp_ne_u32_e32 vcc_lo, 0, v5
	v_cndmask_b32_e32 v3, s9, v6, vcc_lo
	s_delay_alu instid0(VALU_DEP_3)
	v_cndmask_b32_e32 v2, v2, v4, vcc_lo
	s_cbranch_execnz .LBB120_99
.LBB120_98:                             ;   in Loop: Header=BB120_6 Depth=1
	v_cvt_f32_u32_e32 v2, s33
	s_sub_i32 s8, 0, s33
	s_delay_alu instid0(VALU_DEP_1) | instskip(SKIP_2) | instid1(VALU_DEP_1)
	v_rcp_iflag_f32_e32 v2, v2
	s_waitcnt_depctr 0xfff
	v_mul_f32_e32 v2, 0x4f7ffffe, v2
	v_cvt_u32_f32_e32 v2, v2
	s_delay_alu instid0(VALU_DEP_1) | instskip(NEXT) | instid1(VALU_DEP_1)
	v_mul_lo_u32 v3, s8, v2
	v_mul_hi_u32 v3, v2, v3
	s_delay_alu instid0(VALU_DEP_1) | instskip(NEXT) | instid1(VALU_DEP_1)
	v_add_nc_u32_e32 v2, v2, v3
	v_mul_hi_u32 v2, s77, v2
	s_delay_alu instid0(VALU_DEP_1) | instskip(NEXT) | instid1(VALU_DEP_1)
	v_mul_lo_u32 v2, v2, s33
	v_sub_nc_u32_e32 v2, s77, v2
	s_delay_alu instid0(VALU_DEP_1) | instskip(SKIP_1) | instid1(VALU_DEP_2)
	v_subrev_nc_u32_e32 v3, s33, v2
	v_cmp_le_u32_e32 vcc_lo, s33, v2
	v_cndmask_b32_e32 v2, v2, v3, vcc_lo
	s_delay_alu instid0(VALU_DEP_1) | instskip(SKIP_1) | instid1(VALU_DEP_2)
	v_subrev_nc_u32_e32 v3, s33, v2
	v_cmp_le_u32_e32 vcc_lo, s33, v2
	v_cndmask_b32_e32 v12, v2, v3, vcc_lo
	s_delay_alu instid0(VALU_DEP_1)
	v_dual_mov_b32 v2, v12 :: v_dual_mov_b32 v3, v13
.LBB120_99:                             ;   in Loop: Header=BB120_6 Depth=1
	s_delay_alu instid0(VALU_DEP_1) | instskip(NEXT) | instid1(VALU_DEP_2)
	v_sub_co_u32 v2, vcc_lo, s77, v2
	v_sub_co_ci_u32_e32 v3, vcc_lo, s27, v3, vcc_lo
	s_mov_b32 s8, 0
	s_mov_b32 s9, exec_lo
                                        ; implicit-def: $vgpr27
	s_delay_alu instid0(VALU_DEP_1)
	v_cmpx_gt_u64_e64 v[2:3], v[0:1]
	s_cbranch_execz .LBB120_107
; %bb.100:                              ;   in Loop: Header=BB120_6 Depth=1
	v_dual_mov_b32 v4, v10 :: v_dual_mov_b32 v5, v11
	v_dual_mov_b32 v7, v1 :: v_dual_mov_b32 v6, v0
	s_mov_b32 s18, 0
                                        ; implicit-def: $sgpr19
	s_set_inst_prefetch_distance 0x1
	s_branch .LBB120_102
	.p2align	6
.LBB120_101:                            ;   in Loop: Header=BB120_102 Depth=2
	s_or_b32 exec_lo, exec_lo, s8
	s_waitcnt lgkmcnt(0)
	s_barrier
	buffer_gl0_inv
	ds_load_u16 v8, v13 offset:3072
	v_add_co_u32 v6, vcc_lo, v6, s33
	v_add_co_ci_u32_e32 v7, vcc_lo, 0, v7, vcc_lo
	s_waitcnt lgkmcnt(0)
	s_barrier
	buffer_gl0_inv
	v_cmp_ge_u64_e32 vcc_lo, v[6:7], v[2:3]
	v_and_b32_e32 v9, 0xff, v8
	s_delay_alu instid0(VALU_DEP_1) | instskip(NEXT) | instid1(VALU_DEP_1)
	v_cmp_ne_u16_e64 s8, 0, v9
	s_or_b32 s23, vcc_lo, s8
	v_add_co_u32 v4, vcc_lo, v4, s68
	s_and_b32 s23, exec_lo, s23
	v_add_co_ci_u32_e32 v5, vcc_lo, s41, v5, vcc_lo
	s_or_b32 s18, s23, s18
	s_and_not1_b32 s19, s19, exec_lo
	s_and_b32 s8, s8, exec_lo
	s_delay_alu instid0(SALU_CYCLE_1)
	s_or_b32 s19, s19, s8
	s_and_not1_b32 exec_lo, exec_lo, s18
	s_cbranch_execz .LBB120_106
.LBB120_102:                            ;   Parent Loop BB120_6 Depth=1
                                        ; =>  This Inner Loop Header: Depth=2
	s_delay_alu instid0(VALU_DEP_1)
	v_cmp_gt_u64_e32 vcc_lo, s[28:29], v[6:7]
	v_mov_b32_e32 v8, 0
	s_and_saveexec_b32 s8, vcc_lo
	s_cbranch_execz .LBB120_104
; %bb.103:                              ;   in Loop: Header=BB120_102 Depth=2
	global_load_u8 v8, v[4:5], off
.LBB120_104:                            ;   in Loop: Header=BB120_102 Depth=2
	s_or_b32 exec_lo, exec_lo, s8
	s_waitcnt vmcnt(0)
	v_and_b32_e32 v9, v8, v26
	s_delay_alu instid0(VALU_DEP_1) | instskip(NEXT) | instid1(VALU_DEP_1)
	v_and_b32_e32 v9, 0xff, v9
	v_cmp_eq_u32_e64 s8, v9, v25
	s_delay_alu instid0(VALU_DEP_1) | instskip(NEXT) | instid1(SALU_CYCLE_1)
	s_and_b32 s23, vcc_lo, s8
	s_and_saveexec_b32 s8, s23
	s_cbranch_execz .LBB120_101
; %bb.105:                              ;   in Loop: Header=BB120_102 Depth=2
	v_lshlrev_b16 v8, 8, v8
	s_delay_alu instid0(VALU_DEP_1)
	v_or_b32_e32 v8, 1, v8
	ds_store_b16 v13, v8 offset:3072
	s_branch .LBB120_101
.LBB120_106:                            ;   in Loop: Header=BB120_6 Depth=1
	s_set_inst_prefetch_distance 0x2
	s_or_b32 exec_lo, exec_lo, s18
	v_lshrrev_b16 v27, 8, v8
	s_and_b32 s8, s19, exec_lo
.LBB120_107:                            ;   in Loop: Header=BB120_6 Depth=1
	s_or_b32 exec_lo, exec_lo, s9
	s_mov_b32 s56, -1
	s_mov_b32 s23, 0
	s_mov_b32 s48, 0
.LBB120_108:                            ;   in Loop: Header=BB120_6 Depth=1
	s_or_not1_b32 s8, s8, exec_lo
.LBB120_109:                            ;   in Loop: Header=BB120_6 Depth=1
	s_or_b32 exec_lo, exec_lo, s24
	s_mov_b32 s57, 0
	s_mov_b32 s25, 0
	;; [unrolled: 1-line block ×3, first 2 shown]
                                        ; implicit-def: $vgpr6
                                        ; implicit-def: $vgpr2_vgpr3
	s_and_saveexec_b32 s58, s8
	s_cbranch_execz .LBB120_266
; %bb.110:                              ;   in Loop: Header=BB120_6 Depth=1
	v_mov_b32_e32 v2, 1
	v_dual_mov_b32 v3, 0 :: v_dual_mov_b32 v6, 1
	s_xor_b32 s9, s59, -1
	s_delay_alu instid0(SALU_CYCLE_1)
	s_and_saveexec_b32 s8, s9
	s_cbranch_execz .LBB120_120
; %bb.111:                              ;   in Loop: Header=BB120_6 Depth=1
	s_mov_b32 s18, exec_lo
                                        ; implicit-def: $sgpr19
                                        ; implicit-def: $sgpr9
	v_cmpx_ge_u64_e64 s[10:11], v[23:24]
	s_xor_b32 s18, exec_lo, s18
	s_cbranch_execz .LBB120_117
; %bb.112:                              ;   in Loop: Header=BB120_6 Depth=1
	ds_load_b64 v[2:3], v13 offset:5120
	s_waitcnt lgkmcnt(0)
	v_cmp_ne_u64_e32 vcc_lo, 0, v[2:3]
	s_cbranch_vccnz .LBB120_116
; %bb.113:                              ;   in Loop: Header=BB120_6 Depth=1
	s_and_saveexec_b32 s9, s5
	s_cbranch_execz .LBB120_115
; %bb.114:                              ;   in Loop: Header=BB120_6 Depth=1
	v_dual_mov_b32 v2, s10 :: v_dual_mov_b32 v3, s11
	ds_store_b64 v13, v[2:3] offset:5128
.LBB120_115:                            ;   in Loop: Header=BB120_6 Depth=1
	s_or_b32 exec_lo, exec_lo, s9
	s_waitcnt lgkmcnt(0)
	s_barrier
	buffer_gl0_inv
.LBB120_116:                            ;   in Loop: Header=BB120_6 Depth=1
	v_and_b32_e32 v25, s21, v25
	v_or_b32_e32 v26, s20, v26
	s_mov_b32 s9, 0
	s_mov_b32 s19, 8
.LBB120_117:                            ;   in Loop: Header=BB120_6 Depth=1
	s_or_saveexec_b32 s18, s18
	v_mov_b32_e32 v2, v23
	v_dual_mov_b32 v6, s19 :: v_dual_mov_b32 v3, v24
	s_xor_b32 exec_lo, exec_lo, s18
; %bb.118:                              ;   in Loop: Header=BB120_6 Depth=1
	v_sub_co_u32 v2, vcc_lo, v23, s10
	v_subrev_co_ci_u32_e32 v3, vcc_lo, s11, v24, vcc_lo
	v_mov_b32_e32 v6, 0
	s_or_b32 s9, s9, exec_lo
; %bb.119:                              ;   in Loop: Header=BB120_6 Depth=1
	s_or_b32 exec_lo, exec_lo, s18
	s_delay_alu instid0(SALU_CYCLE_1)
	s_and_b32 s24, s9, exec_lo
.LBB120_120:                            ;   in Loop: Header=BB120_6 Depth=1
	s_or_b32 exec_lo, exec_lo, s8
	s_mov_b32 s25, -1
                                        ; implicit-def: $sgpr9
                                        ; implicit-def: $sgpr18
                                        ; implicit-def: $sgpr19
	s_and_saveexec_b32 s8, s24
	s_delay_alu instid0(SALU_CYCLE_1)
	s_xor_b32 s24, exec_lo, s8
	s_cbranch_execz .LBB120_263
; %bb.121:                              ;   in Loop: Header=BB120_6 Depth=1
	v_cmp_eq_u64_e32 vcc_lo, 1, v[2:3]
	s_cmp_eq_u64 s[12:13], 1
                                        ; implicit-def: $sgpr25
                                        ; implicit-def: $sgpr60
                                        ; implicit-def: $sgpr59
	s_cselect_b32 s8, -1, 0
	s_delay_alu instid0(SALU_CYCLE_1)
	s_and_b32 s62, s8, vcc_lo
	s_mov_b32 s8, -1
	s_and_saveexec_b32 s61, s62
	s_cbranch_execz .LBB120_153
; %bb.122:                              ;   in Loop: Header=BB120_6 Depth=1
	ds_load_b64 v[4:5], v13 offset:5120
	s_waitcnt lgkmcnt(0)
	s_barrier
	buffer_gl0_inv
	v_readfirstlane_b32 s18, v4
	v_readfirstlane_b32 s19, v5
	s_and_saveexec_b32 s8, s6
	s_cbranch_execz .LBB120_124
; %bb.123:                              ;   in Loop: Header=BB120_6 Depth=1
	ds_store_b8 v0, v13 offset:3072
.LBB120_124:                            ;   in Loop: Header=BB120_6 Depth=1
	s_or_b32 exec_lo, exec_lo, s8
	s_lshl_b32 s8, 1, s22
	v_or_b32_e32 v26, s20, v26
	v_and_or_b32 v25, v25, s21, s8
	s_cmp_eq_u64 s[18:19], 0
	s_waitcnt lgkmcnt(0)
	s_barrier
	buffer_gl0_inv
	s_cbranch_scc1 .LBB120_137
; %bb.125:                              ;   in Loop: Header=BB120_6 Depth=1
	s_add_u32 s25, s75, s18
	s_addc_u32 s9, s76, s19
	s_mov_b32 s8, s49
	s_delay_alu instid0(SALU_CYCLE_1)
	s_cmp_lg_u64 s[8:9], 0
	s_cbranch_scc0 .LBB120_179
; %bb.126:                              ;   in Loop: Header=BB120_6 Depth=1
	v_cvt_f32_u32_e32 v4, s33
	s_sub_u32 s59, 0, s33
	s_subb_u32 s60, 0, 0
	s_delay_alu instid0(VALU_DEP_1) | instskip(NEXT) | instid1(VALU_DEP_1)
	v_fmac_f32_e64 v4, 0, 0x4f800000
	v_rcp_f32_e32 v4, v4
	s_waitcnt_depctr 0xfff
	v_mul_f32_e32 v4, 0x5f7ffffc, v4
	s_delay_alu instid0(VALU_DEP_1) | instskip(NEXT) | instid1(VALU_DEP_1)
	v_mul_f32_e32 v5, 0x2f800000, v4
	v_trunc_f32_e32 v5, v5
	s_delay_alu instid0(VALU_DEP_1) | instskip(SKIP_1) | instid1(VALU_DEP_2)
	v_fmac_f32_e32 v4, 0xcf800000, v5
	v_cvt_u32_f32_e32 v5, v5
	v_cvt_u32_f32_e32 v4, v4
	s_delay_alu instid0(VALU_DEP_2) | instskip(NEXT) | instid1(VALU_DEP_2)
	v_readfirstlane_b32 s8, v5
	v_readfirstlane_b32 s26, v4
	s_delay_alu instid0(VALU_DEP_2) | instskip(NEXT) | instid1(VALU_DEP_1)
	s_mul_i32 s63, s59, s8
	s_mul_hi_u32 s65, s59, s26
	s_mul_i32 s64, s60, s26
	s_add_i32 s63, s65, s63
	s_mul_i32 s66, s59, s26
	s_add_i32 s63, s63, s64
	s_mul_hi_u32 s65, s26, s66
	s_mul_hi_u32 s67, s8, s66
	s_mul_i32 s64, s8, s66
	s_mul_hi_u32 s66, s26, s63
	s_mul_i32 s26, s26, s63
	s_mul_hi_u32 s95, s8, s63
	s_add_u32 s26, s65, s26
	s_addc_u32 s65, 0, s66
	s_add_u32 s26, s26, s64
	s_mul_i32 s63, s8, s63
	s_addc_u32 s26, s65, s67
	s_addc_u32 s64, s95, 0
	s_add_u32 s26, s26, s63
	s_addc_u32 s63, 0, s64
	v_add_co_u32 v4, s26, v4, s26
	s_delay_alu instid0(VALU_DEP_1) | instskip(SKIP_1) | instid1(VALU_DEP_1)
	s_cmp_lg_u32 s26, 0
	s_addc_u32 s8, s8, s63
	v_readfirstlane_b32 s26, v4
	s_mul_i32 s63, s59, s8
	s_delay_alu instid0(VALU_DEP_1)
	s_mul_hi_u32 s64, s59, s26
	s_mul_i32 s60, s60, s26
	s_add_i32 s63, s64, s63
	s_mul_i32 s59, s59, s26
	s_add_i32 s63, s63, s60
	s_mul_hi_u32 s64, s8, s59
	s_mul_i32 s65, s8, s59
	s_mul_hi_u32 s59, s26, s59
	s_mul_hi_u32 s66, s26, s63
	s_mul_i32 s26, s26, s63
	s_mul_hi_u32 s60, s8, s63
	s_add_u32 s26, s59, s26
	s_addc_u32 s59, 0, s66
	s_add_u32 s26, s26, s65
	s_mul_i32 s63, s8, s63
	s_addc_u32 s26, s59, s64
	s_addc_u32 s59, s60, 0
	s_add_u32 s26, s26, s63
	s_addc_u32 s59, 0, s59
	v_add_co_u32 v4, s26, v4, s26
	s_delay_alu instid0(VALU_DEP_1) | instskip(SKIP_1) | instid1(VALU_DEP_1)
	s_cmp_lg_u32 s26, 0
	s_addc_u32 s8, s8, s59
	v_readfirstlane_b32 s26, v4
	s_mul_i32 s60, s25, s8
	s_mul_hi_u32 s59, s25, s8
	s_mul_hi_u32 s63, s9, s8
	s_mul_i32 s8, s9, s8
	s_mul_hi_u32 s64, s25, s26
	s_mul_hi_u32 s65, s9, s26
	s_mul_i32 s26, s9, s26
	s_add_u32 s60, s64, s60
	s_addc_u32 s59, 0, s59
	s_add_u32 s26, s60, s26
	s_addc_u32 s26, s59, s65
	s_addc_u32 s59, s63, 0
	s_add_u32 s8, s26, s8
	s_addc_u32 s26, 0, s59
	s_mul_hi_u32 s59, s33, s8
	s_mul_i32 s8, s33, s8
	s_mul_i32 s26, s33, s26
	v_sub_co_u32 v4, s8, s25, s8
	s_add_i32 s59, s59, s26
	s_cmp_lg_u32 s8, 0
	s_delay_alu instid0(VALU_DEP_1) | instskip(SKIP_2) | instid1(VALU_DEP_1)
	v_sub_co_u32 v5, s8, v4, s33
	s_subb_u32 s26, s9, s59
	s_cmp_lg_u32 s8, 0
	v_cmp_le_u32_e32 vcc_lo, s33, v5
	v_sub_co_u32 v6, s8, v5, s33
	s_subb_u32 s59, s26, 0
	s_cmp_lg_u32 s8, 0
	v_cndmask_b32_e64 v7, 0, -1, vcc_lo
	s_subb_u32 s8, s59, 0
	s_cmp_eq_u32 s59, 0
	v_mov_b32_e32 v9, s8
	s_cselect_b32 vcc_lo, -1, 0
	s_cmp_eq_u32 s26, 0
	v_cndmask_b32_e32 v7, -1, v7, vcc_lo
	v_cmp_le_u32_e32 vcc_lo, s33, v4
	s_cselect_b32 s8, -1, 0
	v_cndmask_b32_e64 v8, 0, -1, vcc_lo
	s_delay_alu instid0(VALU_DEP_3) | instskip(NEXT) | instid1(VALU_DEP_2)
	v_cmp_ne_u32_e32 vcc_lo, 0, v7
	v_cndmask_b32_e64 v7, -1, v8, s8
	v_cndmask_b32_e32 v8, s59, v9, vcc_lo
	v_cndmask_b32_e32 v6, v5, v6, vcc_lo
	s_delay_alu instid0(VALU_DEP_3) | instskip(NEXT) | instid1(VALU_DEP_3)
	v_cmp_ne_u32_e32 vcc_lo, 0, v7
	v_cndmask_b32_e32 v5, s26, v8, vcc_lo
	s_delay_alu instid0(VALU_DEP_3)
	v_cndmask_b32_e32 v4, v4, v6, vcc_lo
	s_cbranch_execnz .LBB120_128
.LBB120_127:                            ;   in Loop: Header=BB120_6 Depth=1
	v_cvt_f32_u32_e32 v4, s33
	s_sub_i32 s8, 0, s33
	s_delay_alu instid0(VALU_DEP_1) | instskip(SKIP_2) | instid1(VALU_DEP_1)
	v_rcp_iflag_f32_e32 v4, v4
	s_waitcnt_depctr 0xfff
	v_mul_f32_e32 v4, 0x4f7ffffe, v4
	v_cvt_u32_f32_e32 v4, v4
	s_delay_alu instid0(VALU_DEP_1) | instskip(NEXT) | instid1(VALU_DEP_1)
	v_mul_lo_u32 v5, s8, v4
	v_mul_hi_u32 v5, v4, v5
	s_delay_alu instid0(VALU_DEP_1) | instskip(NEXT) | instid1(VALU_DEP_1)
	v_add_nc_u32_e32 v4, v4, v5
	v_mul_hi_u32 v4, s25, v4
	s_delay_alu instid0(VALU_DEP_1) | instskip(NEXT) | instid1(VALU_DEP_1)
	v_mul_lo_u32 v4, v4, s33
	v_sub_nc_u32_e32 v4, s25, v4
	s_delay_alu instid0(VALU_DEP_1) | instskip(SKIP_1) | instid1(VALU_DEP_2)
	v_subrev_nc_u32_e32 v5, s33, v4
	v_cmp_le_u32_e32 vcc_lo, s33, v4
	v_cndmask_b32_e32 v4, v4, v5, vcc_lo
	s_delay_alu instid0(VALU_DEP_1) | instskip(SKIP_1) | instid1(VALU_DEP_2)
	v_subrev_nc_u32_e32 v5, s33, v4
	v_cmp_le_u32_e32 vcc_lo, s33, v4
	v_cndmask_b32_e32 v12, v4, v5, vcc_lo
	s_delay_alu instid0(VALU_DEP_1)
	v_dual_mov_b32 v4, v12 :: v_dual_mov_b32 v5, v13
.LBB120_128:                            ;   in Loop: Header=BB120_6 Depth=1
	s_delay_alu instid0(VALU_DEP_1) | instskip(NEXT) | instid1(VALU_DEP_2)
	v_sub_co_u32 v4, vcc_lo, s25, v4
	v_sub_co_ci_u32_e32 v5, vcc_lo, s9, v5, vcc_lo
	s_mov_b32 s8, 0
	s_mov_b32 s9, exec_lo
                                        ; implicit-def: $vgpr27
	s_delay_alu instid0(VALU_DEP_1)
	v_cmpx_gt_u64_e64 v[4:5], v[0:1]
	s_cbranch_execz .LBB120_139
; %bb.129:                              ;   in Loop: Header=BB120_6 Depth=1
	v_dual_mov_b32 v8, v0 :: v_dual_mov_b32 v7, v1
	v_mov_b32_e32 v6, v0
	s_mov_b32 s25, 0
                                        ; implicit-def: $sgpr26
	s_set_inst_prefetch_distance 0x1
	s_branch .LBB120_131
	.p2align	6
.LBB120_130:                            ;   in Loop: Header=BB120_131 Depth=2
	s_or_b32 exec_lo, exec_lo, s8
	s_waitcnt lgkmcnt(0)
	s_barrier
	buffer_gl0_inv
	ds_load_u16 v9, v13 offset:3072
	v_add_co_u32 v6, vcc_lo, v6, s33
	v_add_co_ci_u32_e32 v7, vcc_lo, 0, v7, vcc_lo
	v_add_nc_u32_e32 v8, s33, v8
	s_waitcnt lgkmcnt(0)
	s_barrier
	s_delay_alu instid0(VALU_DEP_2) | instskip(SKIP_2) | instid1(VALU_DEP_1)
	v_cmp_ge_u64_e32 vcc_lo, v[6:7], v[4:5]
	buffer_gl0_inv
	v_and_b32_e32 v12, 0xff, v9
	v_cmp_ne_u16_e64 s8, 0, v12
	s_delay_alu instid0(VALU_DEP_1) | instskip(NEXT) | instid1(SALU_CYCLE_1)
	s_or_b32 s59, vcc_lo, s8
	s_and_b32 s59, exec_lo, s59
	s_delay_alu instid0(SALU_CYCLE_1) | instskip(SKIP_2) | instid1(SALU_CYCLE_1)
	s_or_b32 s25, s59, s25
	s_and_not1_b32 s26, s26, exec_lo
	s_and_b32 s8, s8, exec_lo
	s_or_b32 s26, s26, s8
	s_and_not1_b32 exec_lo, exec_lo, s25
	s_cbranch_execz .LBB120_138
.LBB120_131:                            ;   Parent Loop BB120_6 Depth=1
                                        ; =>  This Inner Loop Header: Depth=2
	s_delay_alu instid0(VALU_DEP_1)
	v_cmp_gt_u64_e32 vcc_lo, s[18:19], v[6:7]
	v_mov_b32_e32 v9, 0
	s_and_saveexec_b32 s8, vcc_lo
	s_cbranch_execz .LBB120_133
; %bb.132:                              ;   in Loop: Header=BB120_131 Depth=2
	ds_load_u8 v9, v8
.LBB120_133:                            ;   in Loop: Header=BB120_131 Depth=2
	s_or_b32 exec_lo, exec_lo, s8
	s_waitcnt lgkmcnt(0)
	v_and_b32_e32 v12, v9, v26
	s_delay_alu instid0(VALU_DEP_1) | instskip(NEXT) | instid1(VALU_DEP_1)
	v_and_b32_e32 v12, 0xff, v12
	v_cmp_eq_u32_e64 s8, v12, v25
	s_delay_alu instid0(VALU_DEP_1) | instskip(NEXT) | instid1(SALU_CYCLE_1)
	s_and_b32 s59, vcc_lo, s8
	s_and_saveexec_b32 s8, s59
	s_cbranch_execz .LBB120_130
; %bb.134:                              ;   in Loop: Header=BB120_131 Depth=2
	v_lshlrev_b16 v9, 8, v9
	s_delay_alu instid0(VALU_DEP_1)
	v_or_b32_e32 v9, 1, v9
	ds_store_b16 v13, v9 offset:3072
	s_branch .LBB120_130
.LBB120_135:                            ;   in Loop: Header=BB120_6 Depth=1
                                        ; implicit-def: $vgpr2_vgpr3
	s_branch .LBB120_83
.LBB120_136:                            ;   in Loop: Header=BB120_6 Depth=1
                                        ; implicit-def: $vgpr2_vgpr3
	s_branch .LBB120_98
.LBB120_137:                            ;   in Loop: Header=BB120_6 Depth=1
	s_mov_b32 s25, -1
	s_mov_b32 s8, 0
                                        ; implicit-def: $sgpr59
                                        ; implicit-def: $vgpr27
	s_mov_b32 s60, s25
	s_cbranch_execnz .LBB120_140
	s_branch .LBB120_152
.LBB120_138:                            ;   in Loop: Header=BB120_6 Depth=1
	s_set_inst_prefetch_distance 0x2
	s_or_b32 exec_lo, exec_lo, s25
	v_lshrrev_b16 v27, 8, v9
	s_and_b32 s8, s26, exec_lo
.LBB120_139:                            ;   in Loop: Header=BB120_6 Depth=1
	s_or_b32 exec_lo, exec_lo, s9
	s_mov_b32 s59, -1
	s_mov_b32 s25, 0
	s_delay_alu instid0(SALU_CYCLE_1)
	s_mov_b32 s60, s25
	s_branch .LBB120_152
.LBB120_140:                            ;   in Loop: Header=BB120_6 Depth=1
	s_mov_b32 s26, s49
	s_delay_alu instid0(SALU_CYCLE_1)
	s_cmp_lg_u64 s[26:27], 0
	s_cbranch_scc0 .LBB120_180
; %bb.141:                              ;   in Loop: Header=BB120_6 Depth=1
	v_cvt_f32_u32_e32 v4, s33
	s_sub_u32 s18, 0, s33
	s_subb_u32 s19, 0, 0
	s_delay_alu instid0(VALU_DEP_1) | instskip(NEXT) | instid1(VALU_DEP_1)
	v_fmac_f32_e64 v4, 0, 0x4f800000
	v_rcp_f32_e32 v4, v4
	s_waitcnt_depctr 0xfff
	v_mul_f32_e32 v4, 0x5f7ffffc, v4
	s_delay_alu instid0(VALU_DEP_1) | instskip(NEXT) | instid1(VALU_DEP_1)
	v_mul_f32_e32 v5, 0x2f800000, v4
	v_trunc_f32_e32 v5, v5
	s_delay_alu instid0(VALU_DEP_1) | instskip(SKIP_1) | instid1(VALU_DEP_2)
	v_fmac_f32_e32 v4, 0xcf800000, v5
	v_cvt_u32_f32_e32 v5, v5
	v_cvt_u32_f32_e32 v4, v4
	s_delay_alu instid0(VALU_DEP_2) | instskip(NEXT) | instid1(VALU_DEP_2)
	v_readfirstlane_b32 s8, v5
	v_readfirstlane_b32 s9, v4
	s_delay_alu instid0(VALU_DEP_2) | instskip(NEXT) | instid1(VALU_DEP_1)
	s_mul_i32 s25, s18, s8
	s_mul_hi_u32 s59, s18, s9
	s_mul_i32 s26, s19, s9
	s_add_i32 s25, s59, s25
	s_mul_i32 s60, s18, s9
	s_add_i32 s25, s25, s26
	s_mul_hi_u32 s59, s9, s60
	s_mul_hi_u32 s63, s8, s60
	s_mul_i32 s26, s8, s60
	s_mul_hi_u32 s60, s9, s25
	s_mul_i32 s9, s9, s25
	s_mul_hi_u32 s64, s8, s25
	s_add_u32 s9, s59, s9
	s_addc_u32 s59, 0, s60
	s_add_u32 s9, s9, s26
	s_mul_i32 s25, s8, s25
	s_addc_u32 s9, s59, s63
	s_addc_u32 s26, s64, 0
	s_add_u32 s9, s9, s25
	s_addc_u32 s25, 0, s26
	v_add_co_u32 v4, s9, v4, s9
	s_delay_alu instid0(VALU_DEP_1) | instskip(SKIP_1) | instid1(VALU_DEP_1)
	s_cmp_lg_u32 s9, 0
	s_addc_u32 s8, s8, s25
	v_readfirstlane_b32 s9, v4
	s_mul_i32 s25, s18, s8
	s_delay_alu instid0(VALU_DEP_1)
	s_mul_hi_u32 s26, s18, s9
	s_mul_i32 s19, s19, s9
	s_add_i32 s25, s26, s25
	s_mul_i32 s18, s18, s9
	s_add_i32 s25, s25, s19
	s_mul_hi_u32 s26, s8, s18
	s_mul_i32 s59, s8, s18
	s_mul_hi_u32 s18, s9, s18
	s_mul_hi_u32 s60, s9, s25
	s_mul_i32 s9, s9, s25
	s_mul_hi_u32 s19, s8, s25
	s_add_u32 s9, s18, s9
	s_addc_u32 s18, 0, s60
	s_add_u32 s9, s9, s59
	s_mul_i32 s25, s8, s25
	s_addc_u32 s9, s18, s26
	s_addc_u32 s18, s19, 0
	s_add_u32 s9, s9, s25
	s_addc_u32 s18, 0, s18
	v_add_co_u32 v4, s9, v4, s9
	s_delay_alu instid0(VALU_DEP_1) | instskip(SKIP_1) | instid1(VALU_DEP_1)
	s_cmp_lg_u32 s9, 0
	s_addc_u32 s8, s8, s18
	v_readfirstlane_b32 s9, v4
	s_mul_i32 s19, s77, s8
	s_mul_hi_u32 s18, s77, s8
	s_mul_hi_u32 s25, s27, s8
	s_mul_i32 s8, s27, s8
	s_mul_hi_u32 s26, s77, s9
	s_mul_hi_u32 s59, s27, s9
	s_mul_i32 s9, s27, s9
	s_add_u32 s19, s26, s19
	s_addc_u32 s18, 0, s18
	s_add_u32 s9, s19, s9
	s_addc_u32 s9, s18, s59
	s_addc_u32 s18, s25, 0
	s_add_u32 s8, s9, s8
	s_addc_u32 s9, 0, s18
	s_mul_hi_u32 s18, s33, s8
	s_mul_i32 s8, s33, s8
	s_mul_i32 s9, s33, s9
	v_sub_co_u32 v4, s8, s77, s8
	s_add_i32 s18, s18, s9
	s_cmp_lg_u32 s8, 0
	s_delay_alu instid0(VALU_DEP_1) | instskip(SKIP_2) | instid1(VALU_DEP_1)
	v_sub_co_u32 v5, s8, v4, s33
	s_subb_u32 s9, s27, s18
	s_cmp_lg_u32 s8, 0
	v_cmp_le_u32_e32 vcc_lo, s33, v5
	v_sub_co_u32 v6, s8, v5, s33
	s_subb_u32 s18, s9, 0
	s_cmp_lg_u32 s8, 0
	v_cndmask_b32_e64 v7, 0, -1, vcc_lo
	s_subb_u32 s8, s18, 0
	s_cmp_eq_u32 s18, 0
	v_mov_b32_e32 v9, s8
	s_cselect_b32 vcc_lo, -1, 0
	s_cmp_eq_u32 s9, 0
	v_cndmask_b32_e32 v7, -1, v7, vcc_lo
	v_cmp_le_u32_e32 vcc_lo, s33, v4
	s_cselect_b32 s8, -1, 0
	v_cndmask_b32_e64 v8, 0, -1, vcc_lo
	s_delay_alu instid0(VALU_DEP_3) | instskip(NEXT) | instid1(VALU_DEP_2)
	v_cmp_ne_u32_e32 vcc_lo, 0, v7
	v_cndmask_b32_e64 v7, -1, v8, s8
	v_cndmask_b32_e32 v8, s18, v9, vcc_lo
	v_cndmask_b32_e32 v6, v5, v6, vcc_lo
	s_delay_alu instid0(VALU_DEP_3) | instskip(NEXT) | instid1(VALU_DEP_3)
	v_cmp_ne_u32_e32 vcc_lo, 0, v7
	v_cndmask_b32_e32 v5, s9, v8, vcc_lo
	s_delay_alu instid0(VALU_DEP_3)
	v_cndmask_b32_e32 v4, v4, v6, vcc_lo
	s_cbranch_execnz .LBB120_143
.LBB120_142:                            ;   in Loop: Header=BB120_6 Depth=1
	v_cvt_f32_u32_e32 v4, s33
	s_sub_i32 s8, 0, s33
	s_delay_alu instid0(VALU_DEP_1) | instskip(SKIP_2) | instid1(VALU_DEP_1)
	v_rcp_iflag_f32_e32 v4, v4
	s_waitcnt_depctr 0xfff
	v_mul_f32_e32 v4, 0x4f7ffffe, v4
	v_cvt_u32_f32_e32 v4, v4
	s_delay_alu instid0(VALU_DEP_1) | instskip(NEXT) | instid1(VALU_DEP_1)
	v_mul_lo_u32 v5, s8, v4
	v_mul_hi_u32 v5, v4, v5
	s_delay_alu instid0(VALU_DEP_1) | instskip(NEXT) | instid1(VALU_DEP_1)
	v_add_nc_u32_e32 v4, v4, v5
	v_mul_hi_u32 v4, s77, v4
	s_delay_alu instid0(VALU_DEP_1) | instskip(NEXT) | instid1(VALU_DEP_1)
	v_mul_lo_u32 v4, v4, s33
	v_sub_nc_u32_e32 v4, s77, v4
	s_delay_alu instid0(VALU_DEP_1) | instskip(SKIP_1) | instid1(VALU_DEP_2)
	v_subrev_nc_u32_e32 v5, s33, v4
	v_cmp_le_u32_e32 vcc_lo, s33, v4
	v_cndmask_b32_e32 v4, v4, v5, vcc_lo
	s_delay_alu instid0(VALU_DEP_1) | instskip(SKIP_1) | instid1(VALU_DEP_2)
	v_subrev_nc_u32_e32 v5, s33, v4
	v_cmp_le_u32_e32 vcc_lo, s33, v4
	v_cndmask_b32_e32 v12, v4, v5, vcc_lo
	s_delay_alu instid0(VALU_DEP_1)
	v_dual_mov_b32 v4, v12 :: v_dual_mov_b32 v5, v13
.LBB120_143:                            ;   in Loop: Header=BB120_6 Depth=1
	s_delay_alu instid0(VALU_DEP_1) | instskip(NEXT) | instid1(VALU_DEP_2)
	v_sub_co_u32 v4, vcc_lo, s77, v4
	v_sub_co_ci_u32_e32 v5, vcc_lo, s27, v5, vcc_lo
	s_mov_b32 s8, 0
	s_mov_b32 s9, exec_lo
                                        ; implicit-def: $vgpr27
	s_delay_alu instid0(VALU_DEP_1)
	v_cmpx_gt_u64_e64 v[4:5], v[0:1]
	s_cbranch_execz .LBB120_151
; %bb.144:                              ;   in Loop: Header=BB120_6 Depth=1
	v_dual_mov_b32 v6, v10 :: v_dual_mov_b32 v7, v11
	v_dual_mov_b32 v9, v1 :: v_dual_mov_b32 v8, v0
	s_mov_b32 s18, 0
                                        ; implicit-def: $sgpr19
	s_set_inst_prefetch_distance 0x1
	s_branch .LBB120_146
	.p2align	6
.LBB120_145:                            ;   in Loop: Header=BB120_146 Depth=2
	s_or_b32 exec_lo, exec_lo, s8
	s_waitcnt lgkmcnt(0)
	s_barrier
	buffer_gl0_inv
	ds_load_u16 v12, v13 offset:3072
	v_add_co_u32 v8, vcc_lo, v8, s33
	v_add_co_ci_u32_e32 v9, vcc_lo, 0, v9, vcc_lo
	s_waitcnt lgkmcnt(0)
	s_barrier
	buffer_gl0_inv
	v_cmp_ge_u64_e32 vcc_lo, v[8:9], v[4:5]
	v_and_b32_e32 v27, 0xff, v12
	s_delay_alu instid0(VALU_DEP_1) | instskip(NEXT) | instid1(VALU_DEP_1)
	v_cmp_ne_u16_e64 s8, 0, v27
	s_or_b32 s25, vcc_lo, s8
	v_add_co_u32 v6, vcc_lo, v6, s68
	s_and_b32 s25, exec_lo, s25
	v_add_co_ci_u32_e32 v7, vcc_lo, s41, v7, vcc_lo
	s_or_b32 s18, s25, s18
	s_and_not1_b32 s19, s19, exec_lo
	s_and_b32 s8, s8, exec_lo
	s_delay_alu instid0(SALU_CYCLE_1)
	s_or_b32 s19, s19, s8
	s_and_not1_b32 exec_lo, exec_lo, s18
	s_cbranch_execz .LBB120_150
.LBB120_146:                            ;   Parent Loop BB120_6 Depth=1
                                        ; =>  This Inner Loop Header: Depth=2
	s_delay_alu instid0(VALU_DEP_1)
	v_cmp_gt_u64_e32 vcc_lo, s[28:29], v[8:9]
	v_mov_b32_e32 v12, 0
	s_and_saveexec_b32 s8, vcc_lo
	s_cbranch_execz .LBB120_148
; %bb.147:                              ;   in Loop: Header=BB120_146 Depth=2
	global_load_u8 v12, v[6:7], off
.LBB120_148:                            ;   in Loop: Header=BB120_146 Depth=2
	s_or_b32 exec_lo, exec_lo, s8
	s_waitcnt vmcnt(0)
	v_and_b32_e32 v27, v12, v26
	s_delay_alu instid0(VALU_DEP_1) | instskip(NEXT) | instid1(VALU_DEP_1)
	v_and_b32_e32 v27, 0xff, v27
	v_cmp_eq_u32_e64 s8, v27, v25
	s_delay_alu instid0(VALU_DEP_1) | instskip(NEXT) | instid1(SALU_CYCLE_1)
	s_and_b32 s25, vcc_lo, s8
	s_and_saveexec_b32 s8, s25
	s_cbranch_execz .LBB120_145
; %bb.149:                              ;   in Loop: Header=BB120_146 Depth=2
	v_lshlrev_b16 v12, 8, v12
	s_delay_alu instid0(VALU_DEP_1)
	v_or_b32_e32 v12, 1, v12
	ds_store_b16 v13, v12 offset:3072
	s_branch .LBB120_145
.LBB120_150:                            ;   in Loop: Header=BB120_6 Depth=1
	s_set_inst_prefetch_distance 0x2
	s_or_b32 exec_lo, exec_lo, s18
	v_lshrrev_b16 v27, 8, v12
	s_and_b32 s8, s19, exec_lo
.LBB120_151:                            ;   in Loop: Header=BB120_6 Depth=1
	s_or_b32 exec_lo, exec_lo, s9
	s_mov_b32 s60, -1
	s_mov_b32 s25, 0
	s_mov_b32 s59, 0
.LBB120_152:                            ;   in Loop: Header=BB120_6 Depth=1
	s_or_not1_b32 s8, s8, exec_lo
.LBB120_153:                            ;   in Loop: Header=BB120_6 Depth=1
	s_or_b32 exec_lo, exec_lo, s61
	s_mov_b32 s26, 0
                                        ; implicit-def: $vgpr6
	s_and_saveexec_b32 s61, s8
	s_cbranch_execz .LBB120_262
; %bb.154:                              ;   in Loop: Header=BB120_6 Depth=1
	v_mov_b32_e32 v4, 1
	v_dual_mov_b32 v5, 0 :: v_dual_mov_b32 v6, 1
	s_xor_b32 s9, s62, -1
	s_delay_alu instid0(SALU_CYCLE_1)
	s_and_saveexec_b32 s8, s9
	s_cbranch_execz .LBB120_164
; %bb.155:                              ;   in Loop: Header=BB120_6 Depth=1
	s_mov_b32 s18, exec_lo
                                        ; implicit-def: $sgpr19
                                        ; implicit-def: $sgpr9
	v_cmpx_ge_u64_e64 s[12:13], v[2:3]
	s_xor_b32 s18, exec_lo, s18
	s_cbranch_execz .LBB120_161
; %bb.156:                              ;   in Loop: Header=BB120_6 Depth=1
	ds_load_b64 v[4:5], v13 offset:5120
	s_waitcnt lgkmcnt(0)
	v_cmp_ne_u64_e32 vcc_lo, 0, v[4:5]
	s_cbranch_vccnz .LBB120_160
; %bb.157:                              ;   in Loop: Header=BB120_6 Depth=1
	s_and_saveexec_b32 s9, s5
	s_cbranch_execz .LBB120_159
; %bb.158:                              ;   in Loop: Header=BB120_6 Depth=1
	v_dual_mov_b32 v4, s12 :: v_dual_mov_b32 v5, s13
	ds_store_b64 v13, v[4:5] offset:5128
.LBB120_159:                            ;   in Loop: Header=BB120_6 Depth=1
	s_or_b32 exec_lo, exec_lo, s9
	s_waitcnt lgkmcnt(0)
	s_barrier
	buffer_gl0_inv
.LBB120_160:                            ;   in Loop: Header=BB120_6 Depth=1
	s_lshl_b32 s9, 1, s22
	v_or_b32_e32 v26, s20, v26
	v_and_or_b32 v25, v25, s21, s9
	s_mov_b32 s9, 0
	s_mov_b32 s19, 8
.LBB120_161:                            ;   in Loop: Header=BB120_6 Depth=1
	s_or_saveexec_b32 s18, s18
	v_mov_b32_e32 v6, s19
	s_xor_b32 exec_lo, exec_lo, s18
; %bb.162:                              ;   in Loop: Header=BB120_6 Depth=1
	v_sub_co_u32 v2, vcc_lo, v2, s12
	v_subrev_co_ci_u32_e32 v3, vcc_lo, s13, v3, vcc_lo
	v_mov_b32_e32 v6, 0
	s_or_b32 s9, s9, exec_lo
; %bb.163:                              ;   in Loop: Header=BB120_6 Depth=1
	s_or_b32 exec_lo, exec_lo, s18
	s_delay_alu instid0(VALU_DEP_2)
	v_dual_mov_b32 v5, v3 :: v_dual_mov_b32 v4, v2
	s_and_b32 s26, s9, exec_lo
.LBB120_164:                            ;   in Loop: Header=BB120_6 Depth=1
	s_or_b32 exec_lo, exec_lo, s8
	s_mov_b32 s8, -1
                                        ; implicit-def: $sgpr9
                                        ; implicit-def: $sgpr18
                                        ; implicit-def: $sgpr19
	s_and_saveexec_b32 s62, s26
	s_cbranch_execz .LBB120_261
; %bb.165:                              ;   in Loop: Header=BB120_6 Depth=1
	v_cmp_eq_u64_e32 vcc_lo, 1, v[4:5]
	s_cmp_eq_u64 s[14:15], 1
                                        ; implicit-def: $sgpr63
                                        ; implicit-def: $sgpr65
                                        ; implicit-def: $sgpr64
	s_cselect_b32 s8, -1, 0
	s_delay_alu instid0(SALU_CYCLE_1)
	s_and_b32 s67, s8, vcc_lo
	s_mov_b32 s8, -1
	s_and_saveexec_b32 s66, s67
	s_cbranch_execz .LBB120_197
; %bb.166:                              ;   in Loop: Header=BB120_6 Depth=1
	ds_load_b64 v[2:3], v13 offset:5120
	s_waitcnt lgkmcnt(0)
	s_barrier
	buffer_gl0_inv
	v_readfirstlane_b32 s18, v2
	v_readfirstlane_b32 s19, v3
	s_and_saveexec_b32 s8, s6
	s_cbranch_execz .LBB120_168
; %bb.167:                              ;   in Loop: Header=BB120_6 Depth=1
	ds_store_b8 v0, v13 offset:3072
.LBB120_168:                            ;   in Loop: Header=BB120_6 Depth=1
	s_or_b32 exec_lo, exec_lo, s8
	s_lshl_b32 s8, 2, s22
	v_or_b32_e32 v26, s20, v26
	v_and_or_b32 v25, v25, s21, s8
	s_cmp_eq_u64 s[18:19], 0
	s_waitcnt lgkmcnt(0)
	s_barrier
	buffer_gl0_inv
	s_cbranch_scc1 .LBB120_181
; %bb.169:                              ;   in Loop: Header=BB120_6 Depth=1
	s_add_u32 s26, s75, s18
	s_addc_u32 s9, s76, s19
	s_mov_b32 s8, s49
	s_delay_alu instid0(SALU_CYCLE_1)
	s_cmp_lg_u64 s[8:9], 0
	s_cbranch_scc0 .LBB120_215
; %bb.170:                              ;   in Loop: Header=BB120_6 Depth=1
	v_cvt_f32_u32_e32 v2, s33
	s_sub_u32 s64, 0, s33
	s_subb_u32 s65, 0, 0
	s_delay_alu instid0(VALU_DEP_1) | instskip(NEXT) | instid1(VALU_DEP_1)
	v_fmac_f32_e64 v2, 0, 0x4f800000
	v_rcp_f32_e32 v2, v2
	s_waitcnt_depctr 0xfff
	v_mul_f32_e32 v2, 0x5f7ffffc, v2
	s_delay_alu instid0(VALU_DEP_1) | instskip(NEXT) | instid1(VALU_DEP_1)
	v_mul_f32_e32 v3, 0x2f800000, v2
	v_trunc_f32_e32 v3, v3
	s_delay_alu instid0(VALU_DEP_1) | instskip(SKIP_1) | instid1(VALU_DEP_2)
	v_fmac_f32_e32 v2, 0xcf800000, v3
	v_cvt_u32_f32_e32 v3, v3
	v_cvt_u32_f32_e32 v2, v2
	s_delay_alu instid0(VALU_DEP_2) | instskip(NEXT) | instid1(VALU_DEP_2)
	v_readfirstlane_b32 s8, v3
	v_readfirstlane_b32 s63, v2
	s_delay_alu instid0(VALU_DEP_2) | instskip(NEXT) | instid1(VALU_DEP_1)
	s_mul_i32 s95, s64, s8
	s_mul_hi_u32 s97, s64, s63
	s_mul_i32 s96, s65, s63
	s_add_i32 s95, s97, s95
	s_mul_i32 s98, s64, s63
	s_add_i32 s95, s95, s96
	s_mul_hi_u32 s97, s63, s98
	s_mul_hi_u32 s99, s8, s98
	s_mul_i32 s96, s8, s98
	s_mul_hi_u32 s98, s63, s95
	s_mul_i32 s63, s63, s95
	s_mul_hi_u32 s100, s8, s95
	s_add_u32 s63, s97, s63
	s_addc_u32 s97, 0, s98
	s_add_u32 s63, s63, s96
	s_mul_i32 s95, s8, s95
	s_addc_u32 s63, s97, s99
	s_addc_u32 s96, s100, 0
	s_add_u32 s63, s63, s95
	s_addc_u32 s95, 0, s96
	v_add_co_u32 v2, s63, v2, s63
	s_delay_alu instid0(VALU_DEP_1) | instskip(SKIP_1) | instid1(VALU_DEP_1)
	s_cmp_lg_u32 s63, 0
	s_addc_u32 s8, s8, s95
	v_readfirstlane_b32 s63, v2
	s_mul_i32 s95, s64, s8
	s_delay_alu instid0(VALU_DEP_1)
	s_mul_hi_u32 s96, s64, s63
	s_mul_i32 s65, s65, s63
	s_add_i32 s95, s96, s95
	s_mul_i32 s64, s64, s63
	s_add_i32 s95, s95, s65
	s_mul_hi_u32 s96, s8, s64
	s_mul_i32 s97, s8, s64
	s_mul_hi_u32 s64, s63, s64
	s_mul_hi_u32 s98, s63, s95
	s_mul_i32 s63, s63, s95
	s_mul_hi_u32 s65, s8, s95
	s_add_u32 s63, s64, s63
	s_addc_u32 s64, 0, s98
	s_add_u32 s63, s63, s97
	s_mul_i32 s95, s8, s95
	s_addc_u32 s63, s64, s96
	s_addc_u32 s64, s65, 0
	s_add_u32 s63, s63, s95
	s_addc_u32 s64, 0, s64
	v_add_co_u32 v2, s63, v2, s63
	s_delay_alu instid0(VALU_DEP_1) | instskip(SKIP_1) | instid1(VALU_DEP_1)
	s_cmp_lg_u32 s63, 0
	s_addc_u32 s8, s8, s64
	v_readfirstlane_b32 s63, v2
	s_mul_i32 s65, s26, s8
	s_mul_hi_u32 s64, s26, s8
	s_mul_hi_u32 s95, s9, s8
	s_mul_i32 s8, s9, s8
	s_mul_hi_u32 s96, s26, s63
	s_mul_hi_u32 s97, s9, s63
	s_mul_i32 s63, s9, s63
	s_add_u32 s65, s96, s65
	s_addc_u32 s64, 0, s64
	s_add_u32 s63, s65, s63
	s_addc_u32 s63, s64, s97
	s_addc_u32 s64, s95, 0
	s_add_u32 s8, s63, s8
	s_addc_u32 s63, 0, s64
	s_mul_hi_u32 s64, s33, s8
	s_mul_i32 s8, s33, s8
	s_mul_i32 s63, s33, s63
	v_sub_co_u32 v2, s8, s26, s8
	s_add_i32 s64, s64, s63
	s_cmp_lg_u32 s8, 0
	s_delay_alu instid0(VALU_DEP_1) | instskip(SKIP_2) | instid1(VALU_DEP_1)
	v_sub_co_u32 v3, s8, v2, s33
	s_subb_u32 s63, s9, s64
	s_cmp_lg_u32 s8, 0
	v_cmp_le_u32_e32 vcc_lo, s33, v3
	v_sub_co_u32 v6, s8, v3, s33
	s_subb_u32 s64, s63, 0
	s_cmp_lg_u32 s8, 0
	v_cndmask_b32_e64 v7, 0, -1, vcc_lo
	s_subb_u32 s8, s64, 0
	s_cmp_eq_u32 s64, 0
	v_mov_b32_e32 v9, s8
	s_cselect_b32 vcc_lo, -1, 0
	s_cmp_eq_u32 s63, 0
	v_cndmask_b32_e32 v7, -1, v7, vcc_lo
	v_cmp_le_u32_e32 vcc_lo, s33, v2
	s_cselect_b32 s8, -1, 0
	v_cndmask_b32_e64 v8, 0, -1, vcc_lo
	s_delay_alu instid0(VALU_DEP_3) | instskip(NEXT) | instid1(VALU_DEP_2)
	v_cmp_ne_u32_e32 vcc_lo, 0, v7
	v_cndmask_b32_e64 v7, -1, v8, s8
	v_cndmask_b32_e32 v8, s64, v9, vcc_lo
	v_cndmask_b32_e32 v6, v3, v6, vcc_lo
	s_delay_alu instid0(VALU_DEP_3) | instskip(NEXT) | instid1(VALU_DEP_3)
	v_cmp_ne_u32_e32 vcc_lo, 0, v7
	v_cndmask_b32_e32 v3, s63, v8, vcc_lo
	s_delay_alu instid0(VALU_DEP_3)
	v_cndmask_b32_e32 v2, v2, v6, vcc_lo
	s_cbranch_execnz .LBB120_172
.LBB120_171:                            ;   in Loop: Header=BB120_6 Depth=1
	v_cvt_f32_u32_e32 v2, s33
	s_sub_i32 s8, 0, s33
	s_delay_alu instid0(VALU_DEP_1) | instskip(SKIP_2) | instid1(VALU_DEP_1)
	v_rcp_iflag_f32_e32 v2, v2
	s_waitcnt_depctr 0xfff
	v_mul_f32_e32 v2, 0x4f7ffffe, v2
	v_cvt_u32_f32_e32 v2, v2
	s_delay_alu instid0(VALU_DEP_1) | instskip(NEXT) | instid1(VALU_DEP_1)
	v_mul_lo_u32 v3, s8, v2
	v_mul_hi_u32 v3, v2, v3
	s_delay_alu instid0(VALU_DEP_1) | instskip(NEXT) | instid1(VALU_DEP_1)
	v_add_nc_u32_e32 v2, v2, v3
	v_mul_hi_u32 v2, s26, v2
	s_delay_alu instid0(VALU_DEP_1) | instskip(NEXT) | instid1(VALU_DEP_1)
	v_mul_lo_u32 v2, v2, s33
	v_sub_nc_u32_e32 v2, s26, v2
	s_delay_alu instid0(VALU_DEP_1) | instskip(SKIP_1) | instid1(VALU_DEP_2)
	v_subrev_nc_u32_e32 v3, s33, v2
	v_cmp_le_u32_e32 vcc_lo, s33, v2
	v_cndmask_b32_e32 v2, v2, v3, vcc_lo
	s_delay_alu instid0(VALU_DEP_1) | instskip(SKIP_1) | instid1(VALU_DEP_2)
	v_subrev_nc_u32_e32 v3, s33, v2
	v_cmp_le_u32_e32 vcc_lo, s33, v2
	v_cndmask_b32_e32 v12, v2, v3, vcc_lo
	s_delay_alu instid0(VALU_DEP_1)
	v_dual_mov_b32 v2, v12 :: v_dual_mov_b32 v3, v13
.LBB120_172:                            ;   in Loop: Header=BB120_6 Depth=1
	s_delay_alu instid0(VALU_DEP_1) | instskip(NEXT) | instid1(VALU_DEP_2)
	v_sub_co_u32 v2, vcc_lo, s26, v2
	v_sub_co_ci_u32_e32 v3, vcc_lo, s9, v3, vcc_lo
	s_mov_b32 s8, 0
	s_mov_b32 s9, exec_lo
                                        ; implicit-def: $vgpr27
	s_delay_alu instid0(VALU_DEP_1)
	v_cmpx_gt_u64_e64 v[2:3], v[0:1]
	s_cbranch_execz .LBB120_183
; %bb.173:                              ;   in Loop: Header=BB120_6 Depth=1
	v_dual_mov_b32 v8, v0 :: v_dual_mov_b32 v7, v1
	v_mov_b32_e32 v6, v0
	s_mov_b32 s26, 0
                                        ; implicit-def: $sgpr63
	s_set_inst_prefetch_distance 0x1
	s_branch .LBB120_175
	.p2align	6
.LBB120_174:                            ;   in Loop: Header=BB120_175 Depth=2
	s_or_b32 exec_lo, exec_lo, s8
	s_waitcnt lgkmcnt(0)
	s_barrier
	buffer_gl0_inv
	ds_load_u16 v9, v13 offset:3072
	v_add_co_u32 v6, vcc_lo, v6, s33
	v_add_co_ci_u32_e32 v7, vcc_lo, 0, v7, vcc_lo
	v_add_nc_u32_e32 v8, s33, v8
	s_waitcnt lgkmcnt(0)
	s_barrier
	s_delay_alu instid0(VALU_DEP_2) | instskip(SKIP_2) | instid1(VALU_DEP_1)
	v_cmp_ge_u64_e32 vcc_lo, v[6:7], v[2:3]
	buffer_gl0_inv
	v_and_b32_e32 v12, 0xff, v9
	v_cmp_ne_u16_e64 s8, 0, v12
	s_delay_alu instid0(VALU_DEP_1) | instskip(NEXT) | instid1(SALU_CYCLE_1)
	s_or_b32 s64, vcc_lo, s8
	s_and_b32 s64, exec_lo, s64
	s_delay_alu instid0(SALU_CYCLE_1) | instskip(SKIP_2) | instid1(SALU_CYCLE_1)
	s_or_b32 s26, s64, s26
	s_and_not1_b32 s63, s63, exec_lo
	s_and_b32 s8, s8, exec_lo
	s_or_b32 s63, s63, s8
	s_and_not1_b32 exec_lo, exec_lo, s26
	s_cbranch_execz .LBB120_182
.LBB120_175:                            ;   Parent Loop BB120_6 Depth=1
                                        ; =>  This Inner Loop Header: Depth=2
	s_delay_alu instid0(VALU_DEP_1)
	v_cmp_gt_u64_e32 vcc_lo, s[18:19], v[6:7]
	v_mov_b32_e32 v9, 0
	s_and_saveexec_b32 s8, vcc_lo
	s_cbranch_execz .LBB120_177
; %bb.176:                              ;   in Loop: Header=BB120_175 Depth=2
	ds_load_u8 v9, v8
.LBB120_177:                            ;   in Loop: Header=BB120_175 Depth=2
	s_or_b32 exec_lo, exec_lo, s8
	s_waitcnt lgkmcnt(0)
	v_and_b32_e32 v12, v9, v26
	s_delay_alu instid0(VALU_DEP_1) | instskip(NEXT) | instid1(VALU_DEP_1)
	v_and_b32_e32 v12, 0xff, v12
	v_cmp_eq_u32_e64 s8, v12, v25
	s_delay_alu instid0(VALU_DEP_1) | instskip(NEXT) | instid1(SALU_CYCLE_1)
	s_and_b32 s64, vcc_lo, s8
	s_and_saveexec_b32 s8, s64
	s_cbranch_execz .LBB120_174
; %bb.178:                              ;   in Loop: Header=BB120_175 Depth=2
	v_lshlrev_b16 v9, 8, v9
	s_delay_alu instid0(VALU_DEP_1)
	v_or_b32_e32 v9, 1, v9
	ds_store_b16 v13, v9 offset:3072
	s_branch .LBB120_174
.LBB120_179:                            ;   in Loop: Header=BB120_6 Depth=1
                                        ; implicit-def: $vgpr4_vgpr5
	s_branch .LBB120_127
.LBB120_180:                            ;   in Loop: Header=BB120_6 Depth=1
                                        ; implicit-def: $vgpr4_vgpr5
	s_branch .LBB120_142
.LBB120_181:                            ;   in Loop: Header=BB120_6 Depth=1
	s_mov_b32 s63, -1
	s_mov_b32 s8, 0
                                        ; implicit-def: $sgpr64
                                        ; implicit-def: $vgpr27
	s_mov_b32 s65, s63
	s_cbranch_execnz .LBB120_184
	s_branch .LBB120_196
.LBB120_182:                            ;   in Loop: Header=BB120_6 Depth=1
	s_set_inst_prefetch_distance 0x2
	s_or_b32 exec_lo, exec_lo, s26
	v_lshrrev_b16 v27, 8, v9
	s_and_b32 s8, s63, exec_lo
.LBB120_183:                            ;   in Loop: Header=BB120_6 Depth=1
	s_or_b32 exec_lo, exec_lo, s9
	s_mov_b32 s64, -1
	s_mov_b32 s63, 0
	s_delay_alu instid0(SALU_CYCLE_1)
	s_mov_b32 s65, s63
	s_branch .LBB120_196
.LBB120_184:                            ;   in Loop: Header=BB120_6 Depth=1
	s_mov_b32 s26, s49
	s_delay_alu instid0(SALU_CYCLE_1)
	s_cmp_lg_u64 s[26:27], 0
	s_cbranch_scc0 .LBB120_216
; %bb.185:                              ;   in Loop: Header=BB120_6 Depth=1
	v_cvt_f32_u32_e32 v2, s33
	s_sub_u32 s18, 0, s33
	s_subb_u32 s19, 0, 0
	s_delay_alu instid0(VALU_DEP_1) | instskip(NEXT) | instid1(VALU_DEP_1)
	v_fmac_f32_e64 v2, 0, 0x4f800000
	v_rcp_f32_e32 v2, v2
	s_waitcnt_depctr 0xfff
	v_mul_f32_e32 v2, 0x5f7ffffc, v2
	s_delay_alu instid0(VALU_DEP_1) | instskip(NEXT) | instid1(VALU_DEP_1)
	v_mul_f32_e32 v3, 0x2f800000, v2
	v_trunc_f32_e32 v3, v3
	s_delay_alu instid0(VALU_DEP_1) | instskip(SKIP_1) | instid1(VALU_DEP_2)
	v_fmac_f32_e32 v2, 0xcf800000, v3
	v_cvt_u32_f32_e32 v3, v3
	v_cvt_u32_f32_e32 v2, v2
	s_delay_alu instid0(VALU_DEP_2) | instskip(NEXT) | instid1(VALU_DEP_2)
	v_readfirstlane_b32 s8, v3
	v_readfirstlane_b32 s9, v2
	s_delay_alu instid0(VALU_DEP_2) | instskip(NEXT) | instid1(VALU_DEP_1)
	s_mul_i32 s26, s18, s8
	s_mul_hi_u32 s64, s18, s9
	s_mul_i32 s63, s19, s9
	s_add_i32 s26, s64, s26
	s_mul_i32 s65, s18, s9
	s_add_i32 s26, s26, s63
	s_mul_hi_u32 s64, s9, s65
	s_mul_hi_u32 s95, s8, s65
	s_mul_i32 s63, s8, s65
	s_mul_hi_u32 s65, s9, s26
	s_mul_i32 s9, s9, s26
	s_mul_hi_u32 s96, s8, s26
	s_add_u32 s9, s64, s9
	s_addc_u32 s64, 0, s65
	s_add_u32 s9, s9, s63
	s_mul_i32 s26, s8, s26
	s_addc_u32 s9, s64, s95
	s_addc_u32 s63, s96, 0
	s_add_u32 s9, s9, s26
	s_addc_u32 s26, 0, s63
	v_add_co_u32 v2, s9, v2, s9
	s_delay_alu instid0(VALU_DEP_1) | instskip(SKIP_1) | instid1(VALU_DEP_1)
	s_cmp_lg_u32 s9, 0
	s_addc_u32 s8, s8, s26
	v_readfirstlane_b32 s9, v2
	s_mul_i32 s26, s18, s8
	s_delay_alu instid0(VALU_DEP_1)
	s_mul_hi_u32 s63, s18, s9
	s_mul_i32 s19, s19, s9
	s_add_i32 s26, s63, s26
	s_mul_i32 s18, s18, s9
	s_add_i32 s26, s26, s19
	s_mul_hi_u32 s63, s8, s18
	s_mul_i32 s64, s8, s18
	s_mul_hi_u32 s18, s9, s18
	s_mul_hi_u32 s65, s9, s26
	s_mul_i32 s9, s9, s26
	s_mul_hi_u32 s19, s8, s26
	s_add_u32 s9, s18, s9
	s_addc_u32 s18, 0, s65
	s_add_u32 s9, s9, s64
	s_mul_i32 s26, s8, s26
	s_addc_u32 s9, s18, s63
	s_addc_u32 s18, s19, 0
	s_add_u32 s9, s9, s26
	s_addc_u32 s18, 0, s18
	v_add_co_u32 v2, s9, v2, s9
	s_delay_alu instid0(VALU_DEP_1) | instskip(SKIP_1) | instid1(VALU_DEP_1)
	s_cmp_lg_u32 s9, 0
	s_addc_u32 s8, s8, s18
	v_readfirstlane_b32 s9, v2
	s_mul_i32 s19, s77, s8
	s_mul_hi_u32 s18, s77, s8
	s_mul_hi_u32 s26, s27, s8
	s_mul_i32 s8, s27, s8
	s_mul_hi_u32 s63, s77, s9
	s_mul_hi_u32 s64, s27, s9
	s_mul_i32 s9, s27, s9
	s_add_u32 s19, s63, s19
	s_addc_u32 s18, 0, s18
	s_add_u32 s9, s19, s9
	s_addc_u32 s9, s18, s64
	s_addc_u32 s18, s26, 0
	s_add_u32 s8, s9, s8
	s_addc_u32 s9, 0, s18
	s_mul_hi_u32 s18, s33, s8
	s_mul_i32 s8, s33, s8
	s_mul_i32 s9, s33, s9
	v_sub_co_u32 v2, s8, s77, s8
	s_add_i32 s18, s18, s9
	s_cmp_lg_u32 s8, 0
	s_delay_alu instid0(VALU_DEP_1) | instskip(SKIP_2) | instid1(VALU_DEP_1)
	v_sub_co_u32 v3, s8, v2, s33
	s_subb_u32 s9, s27, s18
	s_cmp_lg_u32 s8, 0
	v_cmp_le_u32_e32 vcc_lo, s33, v3
	v_sub_co_u32 v6, s8, v3, s33
	s_subb_u32 s18, s9, 0
	s_cmp_lg_u32 s8, 0
	v_cndmask_b32_e64 v7, 0, -1, vcc_lo
	s_subb_u32 s8, s18, 0
	s_cmp_eq_u32 s18, 0
	v_mov_b32_e32 v9, s8
	s_cselect_b32 vcc_lo, -1, 0
	s_cmp_eq_u32 s9, 0
	v_cndmask_b32_e32 v7, -1, v7, vcc_lo
	v_cmp_le_u32_e32 vcc_lo, s33, v2
	s_cselect_b32 s8, -1, 0
	v_cndmask_b32_e64 v8, 0, -1, vcc_lo
	s_delay_alu instid0(VALU_DEP_3) | instskip(NEXT) | instid1(VALU_DEP_2)
	v_cmp_ne_u32_e32 vcc_lo, 0, v7
	v_cndmask_b32_e64 v7, -1, v8, s8
	v_cndmask_b32_e32 v8, s18, v9, vcc_lo
	v_cndmask_b32_e32 v6, v3, v6, vcc_lo
	s_delay_alu instid0(VALU_DEP_3) | instskip(NEXT) | instid1(VALU_DEP_3)
	v_cmp_ne_u32_e32 vcc_lo, 0, v7
	v_cndmask_b32_e32 v3, s9, v8, vcc_lo
	s_delay_alu instid0(VALU_DEP_3)
	v_cndmask_b32_e32 v2, v2, v6, vcc_lo
	s_cbranch_execnz .LBB120_187
.LBB120_186:                            ;   in Loop: Header=BB120_6 Depth=1
	v_cvt_f32_u32_e32 v2, s33
	s_sub_i32 s8, 0, s33
	s_delay_alu instid0(VALU_DEP_1) | instskip(SKIP_2) | instid1(VALU_DEP_1)
	v_rcp_iflag_f32_e32 v2, v2
	s_waitcnt_depctr 0xfff
	v_mul_f32_e32 v2, 0x4f7ffffe, v2
	v_cvt_u32_f32_e32 v2, v2
	s_delay_alu instid0(VALU_DEP_1) | instskip(NEXT) | instid1(VALU_DEP_1)
	v_mul_lo_u32 v3, s8, v2
	v_mul_hi_u32 v3, v2, v3
	s_delay_alu instid0(VALU_DEP_1) | instskip(NEXT) | instid1(VALU_DEP_1)
	v_add_nc_u32_e32 v2, v2, v3
	v_mul_hi_u32 v2, s77, v2
	s_delay_alu instid0(VALU_DEP_1) | instskip(NEXT) | instid1(VALU_DEP_1)
	v_mul_lo_u32 v2, v2, s33
	v_sub_nc_u32_e32 v2, s77, v2
	s_delay_alu instid0(VALU_DEP_1) | instskip(SKIP_1) | instid1(VALU_DEP_2)
	v_subrev_nc_u32_e32 v3, s33, v2
	v_cmp_le_u32_e32 vcc_lo, s33, v2
	v_cndmask_b32_e32 v2, v2, v3, vcc_lo
	s_delay_alu instid0(VALU_DEP_1) | instskip(SKIP_1) | instid1(VALU_DEP_2)
	v_subrev_nc_u32_e32 v3, s33, v2
	v_cmp_le_u32_e32 vcc_lo, s33, v2
	v_cndmask_b32_e32 v12, v2, v3, vcc_lo
	s_delay_alu instid0(VALU_DEP_1)
	v_dual_mov_b32 v2, v12 :: v_dual_mov_b32 v3, v13
.LBB120_187:                            ;   in Loop: Header=BB120_6 Depth=1
	s_delay_alu instid0(VALU_DEP_1) | instskip(NEXT) | instid1(VALU_DEP_2)
	v_sub_co_u32 v2, vcc_lo, s77, v2
	v_sub_co_ci_u32_e32 v3, vcc_lo, s27, v3, vcc_lo
	s_mov_b32 s8, 0
	s_mov_b32 s9, exec_lo
                                        ; implicit-def: $vgpr27
	s_delay_alu instid0(VALU_DEP_1)
	v_cmpx_gt_u64_e64 v[2:3], v[0:1]
	s_cbranch_execz .LBB120_195
; %bb.188:                              ;   in Loop: Header=BB120_6 Depth=1
	v_dual_mov_b32 v6, v10 :: v_dual_mov_b32 v7, v11
	v_dual_mov_b32 v9, v1 :: v_dual_mov_b32 v8, v0
	s_mov_b32 s18, 0
                                        ; implicit-def: $sgpr19
	s_set_inst_prefetch_distance 0x1
	s_branch .LBB120_190
	.p2align	6
.LBB120_189:                            ;   in Loop: Header=BB120_190 Depth=2
	s_or_b32 exec_lo, exec_lo, s8
	s_waitcnt lgkmcnt(0)
	s_barrier
	buffer_gl0_inv
	ds_load_u16 v12, v13 offset:3072
	v_add_co_u32 v8, vcc_lo, v8, s33
	v_add_co_ci_u32_e32 v9, vcc_lo, 0, v9, vcc_lo
	s_waitcnt lgkmcnt(0)
	s_barrier
	buffer_gl0_inv
	v_cmp_ge_u64_e32 vcc_lo, v[8:9], v[2:3]
	v_and_b32_e32 v27, 0xff, v12
	s_delay_alu instid0(VALU_DEP_1) | instskip(NEXT) | instid1(VALU_DEP_1)
	v_cmp_ne_u16_e64 s8, 0, v27
	s_or_b32 s26, vcc_lo, s8
	v_add_co_u32 v6, vcc_lo, v6, s68
	s_and_b32 s26, exec_lo, s26
	v_add_co_ci_u32_e32 v7, vcc_lo, s41, v7, vcc_lo
	s_or_b32 s18, s26, s18
	s_and_not1_b32 s19, s19, exec_lo
	s_and_b32 s8, s8, exec_lo
	s_delay_alu instid0(SALU_CYCLE_1)
	s_or_b32 s19, s19, s8
	s_and_not1_b32 exec_lo, exec_lo, s18
	s_cbranch_execz .LBB120_194
.LBB120_190:                            ;   Parent Loop BB120_6 Depth=1
                                        ; =>  This Inner Loop Header: Depth=2
	s_delay_alu instid0(VALU_DEP_1)
	v_cmp_gt_u64_e32 vcc_lo, s[28:29], v[8:9]
	v_mov_b32_e32 v12, 0
	s_and_saveexec_b32 s8, vcc_lo
	s_cbranch_execz .LBB120_192
; %bb.191:                              ;   in Loop: Header=BB120_190 Depth=2
	global_load_u8 v12, v[6:7], off
.LBB120_192:                            ;   in Loop: Header=BB120_190 Depth=2
	s_or_b32 exec_lo, exec_lo, s8
	s_waitcnt vmcnt(0)
	v_and_b32_e32 v27, v12, v26
	s_delay_alu instid0(VALU_DEP_1) | instskip(NEXT) | instid1(VALU_DEP_1)
	v_and_b32_e32 v27, 0xff, v27
	v_cmp_eq_u32_e64 s8, v27, v25
	s_delay_alu instid0(VALU_DEP_1) | instskip(NEXT) | instid1(SALU_CYCLE_1)
	s_and_b32 s26, vcc_lo, s8
	s_and_saveexec_b32 s8, s26
	s_cbranch_execz .LBB120_189
; %bb.193:                              ;   in Loop: Header=BB120_190 Depth=2
	v_lshlrev_b16 v12, 8, v12
	s_delay_alu instid0(VALU_DEP_1)
	v_or_b32_e32 v12, 1, v12
	ds_store_b16 v13, v12 offset:3072
	s_branch .LBB120_189
.LBB120_194:                            ;   in Loop: Header=BB120_6 Depth=1
	s_set_inst_prefetch_distance 0x2
	s_or_b32 exec_lo, exec_lo, s18
	v_lshrrev_b16 v27, 8, v12
	s_and_b32 s8, s19, exec_lo
.LBB120_195:                            ;   in Loop: Header=BB120_6 Depth=1
	s_or_b32 exec_lo, exec_lo, s9
	s_mov_b32 s65, -1
	s_mov_b32 s63, 0
	s_mov_b32 s64, 0
.LBB120_196:                            ;   in Loop: Header=BB120_6 Depth=1
	s_or_not1_b32 s8, s8, exec_lo
.LBB120_197:                            ;   in Loop: Header=BB120_6 Depth=1
	s_or_b32 exec_lo, exec_lo, s66
	s_mov_b32 s26, 0
                                        ; implicit-def: $vgpr6
	s_and_saveexec_b32 s66, s8
	s_cbranch_execz .LBB120_260
; %bb.198:                              ;   in Loop: Header=BB120_6 Depth=1
	v_mov_b32_e32 v2, 1
	v_dual_mov_b32 v3, 0 :: v_dual_mov_b32 v6, 1
	s_xor_b32 s9, s67, -1
	s_delay_alu instid0(SALU_CYCLE_1)
	s_and_saveexec_b32 s8, s9
	s_cbranch_execz .LBB120_208
; %bb.199:                              ;   in Loop: Header=BB120_6 Depth=1
	s_mov_b32 s18, exec_lo
                                        ; implicit-def: $sgpr19
                                        ; implicit-def: $sgpr9
	v_cmpx_ge_u64_e64 s[14:15], v[4:5]
	s_xor_b32 s18, exec_lo, s18
	s_cbranch_execz .LBB120_205
; %bb.200:                              ;   in Loop: Header=BB120_6 Depth=1
	ds_load_b64 v[2:3], v13 offset:5120
	s_waitcnt lgkmcnt(0)
	v_cmp_ne_u64_e32 vcc_lo, 0, v[2:3]
	s_cbranch_vccnz .LBB120_204
; %bb.201:                              ;   in Loop: Header=BB120_6 Depth=1
	s_and_saveexec_b32 s9, s5
	s_cbranch_execz .LBB120_203
; %bb.202:                              ;   in Loop: Header=BB120_6 Depth=1
	v_dual_mov_b32 v2, s14 :: v_dual_mov_b32 v3, s15
	ds_store_b64 v13, v[2:3] offset:5128
.LBB120_203:                            ;   in Loop: Header=BB120_6 Depth=1
	s_or_b32 exec_lo, exec_lo, s9
	s_waitcnt lgkmcnt(0)
	s_barrier
	buffer_gl0_inv
.LBB120_204:                            ;   in Loop: Header=BB120_6 Depth=1
	s_lshl_b32 s9, 2, s22
	v_or_b32_e32 v26, s20, v26
	v_and_or_b32 v25, v25, s21, s9
	s_mov_b32 s9, 0
	s_mov_b32 s19, 8
.LBB120_205:                            ;   in Loop: Header=BB120_6 Depth=1
	s_or_saveexec_b32 s18, s18
	v_mov_b32_e32 v6, s19
	s_xor_b32 exec_lo, exec_lo, s18
; %bb.206:                              ;   in Loop: Header=BB120_6 Depth=1
	v_sub_co_u32 v4, vcc_lo, v4, s14
	v_subrev_co_ci_u32_e32 v5, vcc_lo, s15, v5, vcc_lo
	v_mov_b32_e32 v6, 0
	s_or_b32 s9, s9, exec_lo
; %bb.207:                              ;   in Loop: Header=BB120_6 Depth=1
	s_or_b32 exec_lo, exec_lo, s18
	s_delay_alu instid0(VALU_DEP_2)
	v_dual_mov_b32 v2, v4 :: v_dual_mov_b32 v3, v5
	s_and_b32 s26, s9, exec_lo
.LBB120_208:                            ;   in Loop: Header=BB120_6 Depth=1
	s_or_b32 exec_lo, exec_lo, s8
	s_mov_b32 s19, -1
                                        ; implicit-def: $sgpr8
                                        ; implicit-def: $sgpr18
                                        ; implicit-def: $sgpr9
	s_and_saveexec_b32 s67, s26
	s_cbranch_execz .LBB120_259
; %bb.209:                              ;   in Loop: Header=BB120_6 Depth=1
	v_cmp_eq_u64_e32 vcc_lo, 1, v[2:3]
	s_cmp_eq_u64 s[16:17], 1
	s_mov_b32 s26, -1
	s_cselect_b32 s8, -1, 0
                                        ; implicit-def: $sgpr18
                                        ; implicit-def: $sgpr9
	s_delay_alu instid0(SALU_CYCLE_1) | instskip(NEXT) | instid1(SALU_CYCLE_1)
	s_and_b32 s95, s8, vcc_lo
                                        ; implicit-def: $sgpr8
	s_and_saveexec_b32 s96, s95
	s_cbranch_execz .LBB120_246
; %bb.210:                              ;   in Loop: Header=BB120_6 Depth=1
	ds_load_b64 v[4:5], v13 offset:5120
	s_waitcnt lgkmcnt(0)
	s_barrier
	buffer_gl0_inv
	v_readfirstlane_b32 s18, v4
	v_readfirstlane_b32 s19, v5
	s_and_saveexec_b32 s8, s6
	s_cbranch_execz .LBB120_212
; %bb.211:                              ;   in Loop: Header=BB120_6 Depth=1
	ds_store_b8 v0, v13 offset:3072
.LBB120_212:                            ;   in Loop: Header=BB120_6 Depth=1
	s_or_b32 exec_lo, exec_lo, s8
	v_or_b32_e32 v25, s20, v25
	v_or_b32_e32 v26, s20, v26
	s_cmp_eq_u64 s[18:19], 0
	s_waitcnt lgkmcnt(0)
	s_barrier
	buffer_gl0_inv
	s_cbranch_scc1 .LBB120_217
; %bb.213:                              ;   in Loop: Header=BB120_6 Depth=1
	s_add_u32 s26, s75, s18
	s_addc_u32 s9, s76, s19
	s_mov_b32 s8, s49
	s_delay_alu instid0(SALU_CYCLE_1)
	s_cmp_lg_u64 s[8:9], 0
	s_cbranch_scc0 .LBB120_218
; %bb.214:                              ;   in Loop: Header=BB120_6 Depth=1
	v_cvt_f32_u32_e32 v4, s33
	s_sub_u32 s98, 0, s33
	s_subb_u32 s99, 0, 0
	s_delay_alu instid0(VALU_DEP_1) | instskip(NEXT) | instid1(VALU_DEP_1)
	v_fmac_f32_e64 v4, 0, 0x4f800000
	v_rcp_f32_e32 v4, v4
	s_waitcnt_depctr 0xfff
	v_mul_f32_e32 v4, 0x5f7ffffc, v4
	s_delay_alu instid0(VALU_DEP_1) | instskip(NEXT) | instid1(VALU_DEP_1)
	v_mul_f32_e32 v5, 0x2f800000, v4
	v_trunc_f32_e32 v5, v5
	s_delay_alu instid0(VALU_DEP_1) | instskip(SKIP_1) | instid1(VALU_DEP_2)
	v_fmac_f32_e32 v4, 0xcf800000, v5
	v_cvt_u32_f32_e32 v5, v5
	v_cvt_u32_f32_e32 v4, v4
	s_delay_alu instid0(VALU_DEP_2) | instskip(NEXT) | instid1(VALU_DEP_2)
	v_readfirstlane_b32 s8, v5
	v_readfirstlane_b32 s97, v4
	s_delay_alu instid0(VALU_DEP_2) | instskip(NEXT) | instid1(VALU_DEP_1)
	s_mul_i32 s100, s98, s8
	s_mul_hi_u32 s102, s98, s97
	s_mul_i32 s101, s99, s97
	s_add_i32 s100, s102, s100
	s_mul_i32 s103, s98, s97
	s_add_i32 s100, s100, s101
	s_mul_hi_u32 s102, s97, s103
	s_mul_hi_u32 s104, s8, s103
	s_mul_i32 s101, s8, s103
	s_mul_hi_u32 s103, s97, s100
	s_mul_i32 s97, s97, s100
	s_mul_hi_u32 vcc_lo, s8, s100
	s_add_u32 s97, s102, s97
	s_addc_u32 s102, 0, s103
	s_add_u32 s97, s97, s101
	s_mul_i32 s100, s8, s100
	s_addc_u32 s97, s102, s104
	s_addc_u32 s101, vcc_lo, 0
	s_add_u32 s97, s97, s100
	s_addc_u32 s100, 0, s101
	v_add_co_u32 v4, s97, v4, s97
	s_delay_alu instid0(VALU_DEP_1) | instskip(SKIP_1) | instid1(VALU_DEP_1)
	s_cmp_lg_u32 s97, 0
	s_addc_u32 s8, s8, s100
	v_readfirstlane_b32 s97, v4
	s_mul_i32 s100, s98, s8
	s_delay_alu instid0(VALU_DEP_1)
	s_mul_hi_u32 s101, s98, s97
	s_mul_i32 s99, s99, s97
	s_add_i32 s100, s101, s100
	s_mul_i32 s98, s98, s97
	s_add_i32 s100, s100, s99
	s_mul_hi_u32 s101, s8, s98
	s_mul_i32 s102, s8, s98
	s_mul_hi_u32 s98, s97, s98
	s_mul_hi_u32 s103, s97, s100
	s_mul_i32 s97, s97, s100
	s_mul_hi_u32 s99, s8, s100
	s_add_u32 s97, s98, s97
	s_addc_u32 s98, 0, s103
	s_add_u32 s97, s97, s102
	s_mul_i32 s100, s8, s100
	s_addc_u32 s97, s98, s101
	s_addc_u32 s98, s99, 0
	s_add_u32 s97, s97, s100
	s_addc_u32 s98, 0, s98
	v_add_co_u32 v4, s97, v4, s97
	s_delay_alu instid0(VALU_DEP_1) | instskip(SKIP_1) | instid1(VALU_DEP_1)
	s_cmp_lg_u32 s97, 0
	s_addc_u32 s8, s8, s98
	v_readfirstlane_b32 s97, v4
	s_mul_i32 s99, s26, s8
	s_mul_hi_u32 s98, s26, s8
	s_mul_hi_u32 s100, s9, s8
	s_mul_i32 s8, s9, s8
	s_mul_hi_u32 s101, s26, s97
	s_mul_hi_u32 s102, s9, s97
	s_mul_i32 s97, s9, s97
	s_add_u32 s99, s101, s99
	s_addc_u32 s98, 0, s98
	s_add_u32 s97, s99, s97
	s_addc_u32 s97, s98, s102
	s_addc_u32 s98, s100, 0
	s_add_u32 s8, s97, s8
	s_addc_u32 s97, 0, s98
	s_mul_hi_u32 s98, s33, s8
	s_mul_i32 s8, s33, s8
	s_mul_i32 s97, s33, s97
	v_sub_co_u32 v4, s8, s26, s8
	s_add_i32 s98, s98, s97
	s_cmp_lg_u32 s8, 0
	s_delay_alu instid0(VALU_DEP_1) | instskip(SKIP_2) | instid1(VALU_DEP_1)
	v_sub_co_u32 v5, s8, v4, s33
	s_subb_u32 s97, s9, s98
	s_cmp_lg_u32 s8, 0
	v_cmp_le_u32_e32 vcc_lo, s33, v5
	v_sub_co_u32 v6, s8, v5, s33
	s_subb_u32 s98, s97, 0
	s_cmp_lg_u32 s8, 0
	v_cndmask_b32_e64 v7, 0, -1, vcc_lo
	s_subb_u32 s8, s98, 0
	s_cmp_eq_u32 s98, 0
	v_mov_b32_e32 v9, s8
	s_cselect_b32 vcc_lo, -1, 0
	s_cmp_eq_u32 s97, 0
	v_cndmask_b32_e32 v7, -1, v7, vcc_lo
	v_cmp_le_u32_e32 vcc_lo, s33, v4
	s_cselect_b32 s8, -1, 0
	v_cndmask_b32_e64 v8, 0, -1, vcc_lo
	s_delay_alu instid0(VALU_DEP_3) | instskip(NEXT) | instid1(VALU_DEP_2)
	v_cmp_ne_u32_e32 vcc_lo, 0, v7
	v_cndmask_b32_e64 v7, -1, v8, s8
	v_cndmask_b32_e32 v8, s98, v9, vcc_lo
	v_cndmask_b32_e32 v6, v5, v6, vcc_lo
	s_mov_b32 s8, 0
	s_delay_alu instid0(VALU_DEP_3) | instskip(NEXT) | instid1(VALU_DEP_3)
	v_cmp_ne_u32_e32 vcc_lo, 0, v7
	v_cndmask_b32_e32 v5, s97, v8, vcc_lo
	s_delay_alu instid0(VALU_DEP_3)
	v_cndmask_b32_e32 v4, v4, v6, vcc_lo
	s_branch .LBB120_219
.LBB120_215:                            ;   in Loop: Header=BB120_6 Depth=1
                                        ; implicit-def: $vgpr2_vgpr3
	s_branch .LBB120_171
.LBB120_216:                            ;   in Loop: Header=BB120_6 Depth=1
                                        ; implicit-def: $vgpr2_vgpr3
	s_branch .LBB120_186
.LBB120_217:                            ;   in Loop: Header=BB120_6 Depth=1
	s_mov_b32 s8, -1
	s_mov_b32 s26, 0
                                        ; implicit-def: $sgpr9
                                        ; implicit-def: $vgpr27
	s_branch .LBB120_230
.LBB120_218:                            ;   in Loop: Header=BB120_6 Depth=1
	s_mov_b32 s8, -1
                                        ; implicit-def: $vgpr4_vgpr5
.LBB120_219:                            ;   in Loop: Header=BB120_6 Depth=1
	s_delay_alu instid0(SALU_CYCLE_1)
	s_and_not1_b32 vcc_lo, exec_lo, s8
	s_cbranch_vccnz .LBB120_221
; %bb.220:                              ;   in Loop: Header=BB120_6 Depth=1
	v_cvt_f32_u32_e32 v4, s33
	s_sub_i32 s8, 0, s33
	s_delay_alu instid0(VALU_DEP_1) | instskip(SKIP_2) | instid1(VALU_DEP_1)
	v_rcp_iflag_f32_e32 v4, v4
	s_waitcnt_depctr 0xfff
	v_mul_f32_e32 v4, 0x4f7ffffe, v4
	v_cvt_u32_f32_e32 v4, v4
	s_delay_alu instid0(VALU_DEP_1) | instskip(NEXT) | instid1(VALU_DEP_1)
	v_mul_lo_u32 v5, s8, v4
	v_mul_hi_u32 v5, v4, v5
	s_delay_alu instid0(VALU_DEP_1) | instskip(NEXT) | instid1(VALU_DEP_1)
	v_add_nc_u32_e32 v4, v4, v5
	v_mul_hi_u32 v4, s26, v4
	s_delay_alu instid0(VALU_DEP_1) | instskip(NEXT) | instid1(VALU_DEP_1)
	v_mul_lo_u32 v4, v4, s33
	v_sub_nc_u32_e32 v4, s26, v4
	s_delay_alu instid0(VALU_DEP_1) | instskip(SKIP_1) | instid1(VALU_DEP_2)
	v_subrev_nc_u32_e32 v5, s33, v4
	v_cmp_le_u32_e32 vcc_lo, s33, v4
	v_cndmask_b32_e32 v4, v4, v5, vcc_lo
	s_delay_alu instid0(VALU_DEP_1) | instskip(SKIP_1) | instid1(VALU_DEP_2)
	v_subrev_nc_u32_e32 v5, s33, v4
	v_cmp_le_u32_e32 vcc_lo, s33, v4
	v_cndmask_b32_e32 v12, v4, v5, vcc_lo
	s_delay_alu instid0(VALU_DEP_1)
	v_dual_mov_b32 v4, v12 :: v_dual_mov_b32 v5, v13
.LBB120_221:                            ;   in Loop: Header=BB120_6 Depth=1
	s_delay_alu instid0(VALU_DEP_1) | instskip(NEXT) | instid1(VALU_DEP_2)
	v_sub_co_u32 v4, vcc_lo, s26, v4
	v_sub_co_ci_u32_e32 v5, vcc_lo, s9, v5, vcc_lo
	s_mov_b32 s26, 0
	s_mov_b32 s9, exec_lo
                                        ; implicit-def: $vgpr27
	s_delay_alu instid0(VALU_DEP_1)
	v_cmpx_gt_u64_e64 v[4:5], v[0:1]
	s_cbranch_execz .LBB120_229
; %bb.222:                              ;   in Loop: Header=BB120_6 Depth=1
	v_dual_mov_b32 v8, v0 :: v_dual_mov_b32 v7, v1
	v_mov_b32_e32 v6, v0
                                        ; implicit-def: $sgpr97
	s_set_inst_prefetch_distance 0x1
	s_branch .LBB120_224
	.p2align	6
.LBB120_223:                            ;   in Loop: Header=BB120_224 Depth=2
	s_or_b32 exec_lo, exec_lo, s8
	s_waitcnt lgkmcnt(0)
	s_barrier
	buffer_gl0_inv
	ds_load_u16 v9, v13 offset:3072
	v_add_co_u32 v6, vcc_lo, v6, s33
	v_add_co_ci_u32_e32 v7, vcc_lo, 0, v7, vcc_lo
	v_add_nc_u32_e32 v8, s33, v8
	s_waitcnt lgkmcnt(0)
	s_barrier
	s_delay_alu instid0(VALU_DEP_2) | instskip(SKIP_2) | instid1(VALU_DEP_1)
	v_cmp_ge_u64_e32 vcc_lo, v[6:7], v[4:5]
	buffer_gl0_inv
	v_and_b32_e32 v12, 0xff, v9
	v_cmp_ne_u16_e64 s8, 0, v12
	s_delay_alu instid0(VALU_DEP_1) | instskip(NEXT) | instid1(SALU_CYCLE_1)
	s_or_b32 s98, vcc_lo, s8
	s_and_b32 s98, exec_lo, s98
	s_delay_alu instid0(SALU_CYCLE_1) | instskip(SKIP_2) | instid1(SALU_CYCLE_1)
	s_or_b32 s26, s98, s26
	s_and_not1_b32 s97, s97, exec_lo
	s_and_b32 s8, s8, exec_lo
	s_or_b32 s97, s97, s8
	s_and_not1_b32 exec_lo, exec_lo, s26
	s_cbranch_execz .LBB120_228
.LBB120_224:                            ;   Parent Loop BB120_6 Depth=1
                                        ; =>  This Inner Loop Header: Depth=2
	s_delay_alu instid0(VALU_DEP_1)
	v_cmp_gt_u64_e32 vcc_lo, s[18:19], v[6:7]
	v_mov_b32_e32 v9, 0
	s_and_saveexec_b32 s8, vcc_lo
	s_cbranch_execz .LBB120_226
; %bb.225:                              ;   in Loop: Header=BB120_224 Depth=2
	ds_load_u8 v9, v8
.LBB120_226:                            ;   in Loop: Header=BB120_224 Depth=2
	s_or_b32 exec_lo, exec_lo, s8
	s_waitcnt lgkmcnt(0)
	v_and_b32_e32 v12, v9, v26
	s_delay_alu instid0(VALU_DEP_1) | instskip(NEXT) | instid1(VALU_DEP_1)
	v_and_b32_e32 v12, 0xff, v12
	v_cmp_eq_u32_e64 s8, v12, v25
	s_delay_alu instid0(VALU_DEP_1) | instskip(NEXT) | instid1(SALU_CYCLE_1)
	s_and_b32 s98, vcc_lo, s8
	s_and_saveexec_b32 s8, s98
	s_cbranch_execz .LBB120_223
; %bb.227:                              ;   in Loop: Header=BB120_224 Depth=2
	v_lshlrev_b16 v9, 8, v9
	s_delay_alu instid0(VALU_DEP_1)
	v_or_b32_e32 v9, 1, v9
	ds_store_b16 v13, v9 offset:3072
	s_branch .LBB120_223
.LBB120_228:                            ;   in Loop: Header=BB120_6 Depth=1
	s_set_inst_prefetch_distance 0x2
	s_or_b32 exec_lo, exec_lo, s26
	v_lshrrev_b16 v27, 8, v9
	s_and_b32 s26, s97, exec_lo
.LBB120_229:                            ;   in Loop: Header=BB120_6 Depth=1
	s_or_b32 exec_lo, exec_lo, s9
	s_mov_b32 s9, -1
	s_mov_b32 s8, 0
.LBB120_230:                            ;   in Loop: Header=BB120_6 Depth=1
	s_delay_alu instid0(SALU_CYCLE_1)
	s_and_b32 vcc_lo, exec_lo, s8
	s_mov_b32 s18, s8
	s_cbranch_vccz .LBB120_245
; %bb.231:                              ;   in Loop: Header=BB120_6 Depth=1
	s_mov_b32 s26, s49
	s_delay_alu instid0(SALU_CYCLE_1)
	s_cmp_lg_u64 s[26:27], 0
	s_cbranch_scc0 .LBB120_233
; %bb.232:                              ;   in Loop: Header=BB120_6 Depth=1
	v_cvt_f32_u32_e32 v4, s33
	s_sub_u32 s18, 0, s33
	s_subb_u32 s19, 0, 0
	s_delay_alu instid0(VALU_DEP_1) | instskip(NEXT) | instid1(VALU_DEP_1)
	v_fmac_f32_e64 v4, 0, 0x4f800000
	v_rcp_f32_e32 v4, v4
	s_waitcnt_depctr 0xfff
	v_mul_f32_e32 v4, 0x5f7ffffc, v4
	s_delay_alu instid0(VALU_DEP_1) | instskip(NEXT) | instid1(VALU_DEP_1)
	v_mul_f32_e32 v5, 0x2f800000, v4
	v_trunc_f32_e32 v5, v5
	s_delay_alu instid0(VALU_DEP_1) | instskip(SKIP_1) | instid1(VALU_DEP_2)
	v_fmac_f32_e32 v4, 0xcf800000, v5
	v_cvt_u32_f32_e32 v5, v5
	v_cvt_u32_f32_e32 v4, v4
	s_delay_alu instid0(VALU_DEP_2) | instskip(NEXT) | instid1(VALU_DEP_2)
	v_readfirstlane_b32 s8, v5
	v_readfirstlane_b32 s9, v4
	s_delay_alu instid0(VALU_DEP_2) | instskip(NEXT) | instid1(VALU_DEP_1)
	s_mul_i32 s26, s18, s8
	s_mul_hi_u32 s98, s18, s9
	s_mul_i32 s97, s19, s9
	s_add_i32 s26, s98, s26
	s_mul_i32 s99, s18, s9
	s_add_i32 s26, s26, s97
	s_mul_hi_u32 s98, s9, s99
	s_mul_hi_u32 s100, s8, s99
	s_mul_i32 s97, s8, s99
	s_mul_hi_u32 s99, s9, s26
	s_mul_i32 s9, s9, s26
	s_mul_hi_u32 s101, s8, s26
	s_add_u32 s9, s98, s9
	s_addc_u32 s98, 0, s99
	s_add_u32 s9, s9, s97
	s_mul_i32 s26, s8, s26
	s_addc_u32 s9, s98, s100
	s_addc_u32 s97, s101, 0
	s_add_u32 s9, s9, s26
	s_addc_u32 s26, 0, s97
	v_add_co_u32 v4, s9, v4, s9
	s_delay_alu instid0(VALU_DEP_1) | instskip(SKIP_1) | instid1(VALU_DEP_1)
	s_cmp_lg_u32 s9, 0
	s_addc_u32 s8, s8, s26
	v_readfirstlane_b32 s9, v4
	s_mul_i32 s26, s18, s8
	s_delay_alu instid0(VALU_DEP_1)
	s_mul_hi_u32 s97, s18, s9
	s_mul_i32 s19, s19, s9
	s_add_i32 s26, s97, s26
	s_mul_i32 s18, s18, s9
	s_add_i32 s26, s26, s19
	s_mul_hi_u32 s97, s8, s18
	s_mul_i32 s98, s8, s18
	s_mul_hi_u32 s18, s9, s18
	s_mul_hi_u32 s99, s9, s26
	s_mul_i32 s9, s9, s26
	s_mul_hi_u32 s19, s8, s26
	s_add_u32 s9, s18, s9
	s_addc_u32 s18, 0, s99
	s_add_u32 s9, s9, s98
	s_mul_i32 s26, s8, s26
	s_addc_u32 s9, s18, s97
	s_addc_u32 s18, s19, 0
	s_add_u32 s9, s9, s26
	s_addc_u32 s18, 0, s18
	v_add_co_u32 v4, s9, v4, s9
	s_delay_alu instid0(VALU_DEP_1) | instskip(SKIP_1) | instid1(VALU_DEP_1)
	s_cmp_lg_u32 s9, 0
	s_addc_u32 s8, s8, s18
	v_readfirstlane_b32 s9, v4
	s_mul_i32 s19, s77, s8
	s_mul_hi_u32 s18, s77, s8
	s_mul_hi_u32 s26, s27, s8
	s_mul_i32 s8, s27, s8
	s_mul_hi_u32 s97, s77, s9
	s_mul_hi_u32 s98, s27, s9
	s_mul_i32 s9, s27, s9
	s_add_u32 s19, s97, s19
	s_addc_u32 s18, 0, s18
	s_add_u32 s9, s19, s9
	s_addc_u32 s9, s18, s98
	s_addc_u32 s18, s26, 0
	s_add_u32 s8, s9, s8
	s_addc_u32 s9, 0, s18
	s_mul_hi_u32 s18, s33, s8
	s_mul_i32 s8, s33, s8
	s_mul_i32 s9, s33, s9
	v_sub_co_u32 v4, s8, s77, s8
	s_add_i32 s18, s18, s9
	s_cmp_lg_u32 s8, 0
	s_delay_alu instid0(VALU_DEP_1) | instskip(SKIP_2) | instid1(VALU_DEP_1)
	v_sub_co_u32 v5, s8, v4, s33
	s_subb_u32 s9, s27, s18
	s_cmp_lg_u32 s8, 0
	v_cmp_le_u32_e32 vcc_lo, s33, v5
	v_sub_co_u32 v6, s8, v5, s33
	s_subb_u32 s18, s9, 0
	s_cmp_lg_u32 s8, 0
	v_cndmask_b32_e64 v7, 0, -1, vcc_lo
	s_subb_u32 s8, s18, 0
	s_cmp_eq_u32 s18, 0
	v_mov_b32_e32 v9, s8
	s_cselect_b32 vcc_lo, -1, 0
	s_cmp_eq_u32 s9, 0
	v_cndmask_b32_e32 v7, -1, v7, vcc_lo
	v_cmp_le_u32_e32 vcc_lo, s33, v4
	s_cselect_b32 s8, -1, 0
	v_cndmask_b32_e64 v8, 0, -1, vcc_lo
	s_delay_alu instid0(VALU_DEP_3) | instskip(NEXT) | instid1(VALU_DEP_2)
	v_cmp_ne_u32_e32 vcc_lo, 0, v7
	v_cndmask_b32_e64 v7, -1, v8, s8
	v_cndmask_b32_e32 v8, s18, v9, vcc_lo
	v_cndmask_b32_e32 v6, v5, v6, vcc_lo
	s_mov_b32 s8, 0
	s_delay_alu instid0(VALU_DEP_3) | instskip(NEXT) | instid1(VALU_DEP_3)
	v_cmp_ne_u32_e32 vcc_lo, 0, v7
	v_cndmask_b32_e32 v5, s9, v8, vcc_lo
	s_delay_alu instid0(VALU_DEP_3)
	v_cndmask_b32_e32 v4, v4, v6, vcc_lo
	s_branch .LBB120_234
.LBB120_233:                            ;   in Loop: Header=BB120_6 Depth=1
	s_mov_b32 s8, -1
                                        ; implicit-def: $vgpr4_vgpr5
.LBB120_234:                            ;   in Loop: Header=BB120_6 Depth=1
	s_delay_alu instid0(SALU_CYCLE_1)
	s_and_not1_b32 vcc_lo, exec_lo, s8
	s_cbranch_vccnz .LBB120_236
; %bb.235:                              ;   in Loop: Header=BB120_6 Depth=1
	v_cvt_f32_u32_e32 v4, s33
	s_sub_i32 s8, 0, s33
	s_delay_alu instid0(VALU_DEP_1) | instskip(SKIP_2) | instid1(VALU_DEP_1)
	v_rcp_iflag_f32_e32 v4, v4
	s_waitcnt_depctr 0xfff
	v_mul_f32_e32 v4, 0x4f7ffffe, v4
	v_cvt_u32_f32_e32 v4, v4
	s_delay_alu instid0(VALU_DEP_1) | instskip(NEXT) | instid1(VALU_DEP_1)
	v_mul_lo_u32 v5, s8, v4
	v_mul_hi_u32 v5, v4, v5
	s_delay_alu instid0(VALU_DEP_1) | instskip(NEXT) | instid1(VALU_DEP_1)
	v_add_nc_u32_e32 v4, v4, v5
	v_mul_hi_u32 v4, s77, v4
	s_delay_alu instid0(VALU_DEP_1) | instskip(NEXT) | instid1(VALU_DEP_1)
	v_mul_lo_u32 v4, v4, s33
	v_sub_nc_u32_e32 v4, s77, v4
	s_delay_alu instid0(VALU_DEP_1) | instskip(SKIP_1) | instid1(VALU_DEP_2)
	v_subrev_nc_u32_e32 v5, s33, v4
	v_cmp_le_u32_e32 vcc_lo, s33, v4
	v_cndmask_b32_e32 v4, v4, v5, vcc_lo
	s_delay_alu instid0(VALU_DEP_1) | instskip(SKIP_1) | instid1(VALU_DEP_2)
	v_subrev_nc_u32_e32 v5, s33, v4
	v_cmp_le_u32_e32 vcc_lo, s33, v4
	v_cndmask_b32_e32 v12, v4, v5, vcc_lo
	s_delay_alu instid0(VALU_DEP_1)
	v_dual_mov_b32 v4, v12 :: v_dual_mov_b32 v5, v13
.LBB120_236:                            ;   in Loop: Header=BB120_6 Depth=1
	s_delay_alu instid0(VALU_DEP_1) | instskip(NEXT) | instid1(VALU_DEP_2)
	v_sub_co_u32 v4, vcc_lo, s77, v4
	v_sub_co_ci_u32_e32 v5, vcc_lo, s27, v5, vcc_lo
	s_mov_b32 s26, 0
	s_mov_b32 s9, exec_lo
                                        ; implicit-def: $vgpr27
	s_delay_alu instid0(VALU_DEP_1)
	v_cmpx_gt_u64_e64 v[4:5], v[0:1]
	s_cbranch_execz .LBB120_244
; %bb.237:                              ;   in Loop: Header=BB120_6 Depth=1
	v_dual_mov_b32 v6, v10 :: v_dual_mov_b32 v7, v11
	v_dual_mov_b32 v9, v1 :: v_dual_mov_b32 v8, v0
	s_mov_b32 s18, 0
                                        ; implicit-def: $sgpr19
	s_set_inst_prefetch_distance 0x1
	s_branch .LBB120_239
	.p2align	6
.LBB120_238:                            ;   in Loop: Header=BB120_239 Depth=2
	s_or_b32 exec_lo, exec_lo, s8
	s_waitcnt lgkmcnt(0)
	s_barrier
	buffer_gl0_inv
	ds_load_u16 v12, v13 offset:3072
	v_add_co_u32 v8, vcc_lo, v8, s33
	v_add_co_ci_u32_e32 v9, vcc_lo, 0, v9, vcc_lo
	s_waitcnt lgkmcnt(0)
	s_barrier
	buffer_gl0_inv
	v_cmp_ge_u64_e32 vcc_lo, v[8:9], v[4:5]
	v_and_b32_e32 v27, 0xff, v12
	s_delay_alu instid0(VALU_DEP_1) | instskip(NEXT) | instid1(VALU_DEP_1)
	v_cmp_ne_u16_e64 s8, 0, v27
	s_or_b32 s26, vcc_lo, s8
	v_add_co_u32 v6, vcc_lo, v6, s68
	s_and_b32 s26, exec_lo, s26
	v_add_co_ci_u32_e32 v7, vcc_lo, s41, v7, vcc_lo
	s_or_b32 s18, s26, s18
	s_and_not1_b32 s19, s19, exec_lo
	s_and_b32 s8, s8, exec_lo
	s_delay_alu instid0(SALU_CYCLE_1)
	s_or_b32 s19, s19, s8
	s_and_not1_b32 exec_lo, exec_lo, s18
	s_cbranch_execz .LBB120_243
.LBB120_239:                            ;   Parent Loop BB120_6 Depth=1
                                        ; =>  This Inner Loop Header: Depth=2
	s_delay_alu instid0(VALU_DEP_1)
	v_cmp_gt_u64_e32 vcc_lo, s[28:29], v[8:9]
	v_mov_b32_e32 v12, 0
	s_and_saveexec_b32 s8, vcc_lo
	s_cbranch_execz .LBB120_241
; %bb.240:                              ;   in Loop: Header=BB120_239 Depth=2
	global_load_u8 v12, v[6:7], off
.LBB120_241:                            ;   in Loop: Header=BB120_239 Depth=2
	s_or_b32 exec_lo, exec_lo, s8
	s_waitcnt vmcnt(0)
	v_and_b32_e32 v27, v12, v26
	s_delay_alu instid0(VALU_DEP_1) | instskip(NEXT) | instid1(VALU_DEP_1)
	v_and_b32_e32 v27, 0xff, v27
	v_cmp_eq_u32_e64 s8, v27, v25
	s_delay_alu instid0(VALU_DEP_1) | instskip(NEXT) | instid1(SALU_CYCLE_1)
	s_and_b32 s26, vcc_lo, s8
	s_and_saveexec_b32 s8, s26
	s_cbranch_execz .LBB120_238
; %bb.242:                              ;   in Loop: Header=BB120_239 Depth=2
	v_lshlrev_b16 v12, 8, v12
	s_delay_alu instid0(VALU_DEP_1)
	v_or_b32_e32 v12, 1, v12
	ds_store_b16 v13, v12 offset:3072
	s_branch .LBB120_238
.LBB120_243:                            ;   in Loop: Header=BB120_6 Depth=1
	s_set_inst_prefetch_distance 0x2
	s_or_b32 exec_lo, exec_lo, s18
	v_lshrrev_b16 v27, 8, v12
	s_and_b32 s26, s19, exec_lo
.LBB120_244:                            ;   in Loop: Header=BB120_6 Depth=1
	s_or_b32 exec_lo, exec_lo, s9
	s_mov_b32 s18, -1
	s_mov_b32 s8, 0
	s_mov_b32 s9, 0
.LBB120_245:                            ;   in Loop: Header=BB120_6 Depth=1
	s_or_not1_b32 s26, s26, exec_lo
.LBB120_246:                            ;   in Loop: Header=BB120_6 Depth=1
	s_or_b32 exec_lo, exec_lo, s96
	s_mov_b32 s96, 0
                                        ; implicit-def: $vgpr6
                                        ; implicit-def: $vgpr4_vgpr5
	s_and_saveexec_b32 s19, s26
	s_cbranch_execz .LBB120_258
; %bb.247:                              ;   in Loop: Header=BB120_6 Depth=1
	v_mov_b32_e32 v4, 1
	v_dual_mov_b32 v5, 0 :: v_dual_mov_b32 v6, 1
	s_xor_b32 s95, s95, -1
	s_delay_alu instid0(SALU_CYCLE_1)
	s_and_saveexec_b32 s26, s95
	s_cbranch_execz .LBB120_257
; %bb.248:                              ;   in Loop: Header=BB120_6 Depth=1
	s_mov_b32 s95, exec_lo
                                        ; implicit-def: $sgpr96
	v_cmpx_ge_u64_e64 s[16:17], v[2:3]
	s_xor_b32 s95, exec_lo, s95
	s_cbranch_execz .LBB120_254
; %bb.249:                              ;   in Loop: Header=BB120_6 Depth=1
	ds_load_b64 v[4:5], v13 offset:5120
	s_waitcnt lgkmcnt(0)
	v_cmp_ne_u64_e32 vcc_lo, 0, v[4:5]
	s_cbranch_vccnz .LBB120_253
; %bb.250:                              ;   in Loop: Header=BB120_6 Depth=1
	s_and_saveexec_b32 s96, s5
	s_cbranch_execz .LBB120_252
; %bb.251:                              ;   in Loop: Header=BB120_6 Depth=1
	v_dual_mov_b32 v4, s16 :: v_dual_mov_b32 v5, s17
	ds_store_b64 v13, v[4:5] offset:5128
.LBB120_252:                            ;   in Loop: Header=BB120_6 Depth=1
	s_or_b32 exec_lo, exec_lo, s96
	s_waitcnt lgkmcnt(0)
	s_barrier
	buffer_gl0_inv
.LBB120_253:                            ;   in Loop: Header=BB120_6 Depth=1
	v_or_b32_e32 v25, s20, v25
	v_or_b32_e32 v26, s20, v26
	s_mov_b32 s96, 8
.LBB120_254:                            ;   in Loop: Header=BB120_6 Depth=1
	s_or_saveexec_b32 s95, s95
	v_mov_b32_e32 v6, s96
	s_xor_b32 exec_lo, exec_lo, s95
; %bb.255:                              ;   in Loop: Header=BB120_6 Depth=1
	v_sub_co_u32 v2, vcc_lo, v2, s16
	v_subrev_co_ci_u32_e32 v3, vcc_lo, s17, v3, vcc_lo
	v_mov_b32_e32 v6, 8
; %bb.256:                              ;   in Loop: Header=BB120_6 Depth=1
	s_or_b32 exec_lo, exec_lo, s95
	s_delay_alu instid0(VALU_DEP_2)
	v_dual_mov_b32 v5, v3 :: v_dual_mov_b32 v4, v2
.LBB120_257:                            ;   in Loop: Header=BB120_6 Depth=1
	s_or_b32 exec_lo, exec_lo, s26
	s_delay_alu instid0(SALU_CYCLE_1)
	s_mov_b32 s96, exec_lo
.LBB120_258:                            ;   in Loop: Header=BB120_6 Depth=1
	s_or_b32 exec_lo, exec_lo, s19
	s_delay_alu instid0(VALU_DEP_1)
	v_dual_mov_b32 v2, v4 :: v_dual_mov_b32 v3, v5
	s_or_not1_b32 s19, s96, exec_lo
.LBB120_259:                            ;   in Loop: Header=BB120_6 Depth=1
	s_or_b32 exec_lo, exec_lo, s67
	s_delay_alu instid0(SALU_CYCLE_1)
	s_and_not1_b32 s26, s63, exec_lo
	s_and_b32 s8, s8, exec_lo
	v_dual_mov_b32 v5, v3 :: v_dual_mov_b32 v4, v2
	s_or_b32 s63, s26, s8
	s_and_not1_b32 s8, s65, exec_lo
	s_and_b32 s18, s18, exec_lo
	s_and_not1_b32 s26, s64, exec_lo
	s_and_b32 s9, s9, exec_lo
	s_or_b32 s65, s8, s18
	s_or_b32 s64, s26, s9
	s_and_b32 s26, s19, exec_lo
.LBB120_260:                            ;   in Loop: Header=BB120_6 Depth=1
	s_or_b32 exec_lo, exec_lo, s66
	s_delay_alu instid0(SALU_CYCLE_1)
	s_and_b32 s19, s63, exec_lo
	s_and_b32 s18, s65, exec_lo
	;; [unrolled: 1-line block ×3, first 2 shown]
	s_or_not1_b32 s8, s26, exec_lo
.LBB120_261:                            ;   in Loop: Header=BB120_6 Depth=1
	s_or_b32 exec_lo, exec_lo, s62
	s_delay_alu instid0(SALU_CYCLE_1)
	s_and_not1_b32 s25, s25, exec_lo
	s_and_b32 s19, s19, exec_lo
	v_dual_mov_b32 v2, v4 :: v_dual_mov_b32 v3, v5
	s_or_b32 s25, s25, s19
	s_and_not1_b32 s19, s60, exec_lo
	s_and_b32 s18, s18, exec_lo
	s_and_not1_b32 s26, s59, exec_lo
	s_and_b32 s9, s9, exec_lo
	s_or_b32 s60, s19, s18
	s_or_b32 s59, s26, s9
	s_and_b32 s26, s8, exec_lo
.LBB120_262:                            ;   in Loop: Header=BB120_6 Depth=1
	s_or_b32 exec_lo, exec_lo, s61
	s_delay_alu instid0(SALU_CYCLE_1)
	s_and_b32 s19, s25, exec_lo
	s_and_b32 s18, s60, exec_lo
	;; [unrolled: 1-line block ×3, first 2 shown]
	s_or_not1_b32 s25, s26, exec_lo
.LBB120_263:                            ;   in Loop: Header=BB120_6 Depth=1
	s_or_b32 exec_lo, exec_lo, s24
	s_mov_b32 s8, 0
	s_mov_b32 s24, 0
	s_and_saveexec_b32 s26, s25
	s_delay_alu instid0(SALU_CYCLE_1)
	s_xor_b32 s25, exec_lo, s26
; %bb.264:                              ;   in Loop: Header=BB120_6 Depth=1
	v_cmp_ne_u32_e32 vcc_lo, 8, v6
	v_cmp_eq_u32_e64 s8, 8, v6
	s_and_not1_b32 s19, s19, exec_lo
	s_and_not1_b32 s18, s18, exec_lo
	;; [unrolled: 1-line block ×3, first 2 shown]
	s_and_b32 s24, vcc_lo, exec_lo
	s_and_b32 s8, s8, exec_lo
; %bb.265:                              ;   in Loop: Header=BB120_6 Depth=1
	s_or_b32 exec_lo, exec_lo, s25
	s_delay_alu instid0(SALU_CYCLE_1)
	s_and_not1_b32 s23, s23, exec_lo
	s_and_b32 s19, s19, exec_lo
	s_and_b32 s18, s18, exec_lo
	s_or_b32 s23, s23, s19
	s_and_not1_b32 s19, s56, exec_lo
	s_and_not1_b32 s25, s48, exec_lo
	s_and_b32 s9, s9, exec_lo
	s_or_b32 s56, s19, s18
	s_or_b32 s48, s25, s9
	s_and_b32 s24, s24, exec_lo
	s_and_b32 s25, s8, exec_lo
.LBB120_266:                            ;   in Loop: Header=BB120_6 Depth=1
	s_or_b32 exec_lo, exec_lo, s58
	s_delay_alu instid0(SALU_CYCLE_1)
	s_and_b32 vcc_lo, exec_lo, s57
	s_cbranch_vccz .LBB120_92
.LBB120_267:                            ;   in Loop: Header=BB120_6 Depth=1
	s_cmp_eq_u64 s[16:17], 1
                                        ; implicit-def: $sgpr18
                                        ; implicit-def: $sgpr19
                                        ; implicit-def: $sgpr23
	s_cselect_b32 s8, -1, 0
	s_delay_alu instid0(SALU_CYCLE_1)
	s_and_b32 s56, s8, s7
	s_mov_b32 s7, -1
	s_and_saveexec_b32 s48, s56
	s_cbranch_execz .LBB120_297
; %bb.268:                              ;   in Loop: Header=BB120_6 Depth=1
	ds_load_b64 v[2:3], v13 offset:5120
	s_waitcnt lgkmcnt(0)
	s_barrier
	buffer_gl0_inv
	v_readfirstlane_b32 s8, v2
	v_readfirstlane_b32 s9, v3
	s_and_saveexec_b32 s7, s6
	s_cbranch_execz .LBB120_270
; %bb.269:                              ;   in Loop: Header=BB120_6 Depth=1
	ds_store_b8 v0, v13 offset:3072
.LBB120_270:                            ;   in Loop: Header=BB120_6 Depth=1
	s_or_b32 exec_lo, exec_lo, s7
	v_or_b32_e32 v35, s20, v35
	v_or_b32_e32 v34, s20, v34
	s_cmp_eq_u64 s[8:9], 0
	s_waitcnt lgkmcnt(0)
	s_barrier
	buffer_gl0_inv
	s_cbranch_scc1 .LBB120_281
; %bb.271:                              ;   in Loop: Header=BB120_6 Depth=1
	s_add_u32 s23, s75, s8
	s_addc_u32 s19, s76, s9
	s_mov_b32 s18, s49
	s_delay_alu instid0(SALU_CYCLE_1)
	s_cmp_lg_u64 s[18:19], 0
	s_cbranch_scc0 .LBB120_323
; %bb.272:                              ;   in Loop: Header=BB120_6 Depth=1
	v_cvt_f32_u32_e32 v2, s33
	s_sub_u32 s26, 0, s33
	s_subb_u32 s57, 0, 0
	s_delay_alu instid0(VALU_DEP_1) | instskip(NEXT) | instid1(VALU_DEP_1)
	v_fmac_f32_e64 v2, 0, 0x4f800000
	v_rcp_f32_e32 v2, v2
	s_waitcnt_depctr 0xfff
	v_mul_f32_e32 v2, 0x5f7ffffc, v2
	s_delay_alu instid0(VALU_DEP_1) | instskip(NEXT) | instid1(VALU_DEP_1)
	v_mul_f32_e32 v3, 0x2f800000, v2
	v_trunc_f32_e32 v3, v3
	s_delay_alu instid0(VALU_DEP_1) | instskip(SKIP_1) | instid1(VALU_DEP_2)
	v_fmac_f32_e32 v2, 0xcf800000, v3
	v_cvt_u32_f32_e32 v3, v3
	v_cvt_u32_f32_e32 v2, v2
	s_delay_alu instid0(VALU_DEP_2) | instskip(NEXT) | instid1(VALU_DEP_2)
	v_readfirstlane_b32 s7, v3
	v_readfirstlane_b32 s18, v2
	s_delay_alu instid0(VALU_DEP_2) | instskip(NEXT) | instid1(VALU_DEP_1)
	s_mul_i32 s58, s26, s7
	s_mul_hi_u32 s60, s26, s18
	s_mul_i32 s59, s57, s18
	s_add_i32 s58, s60, s58
	s_mul_i32 s61, s26, s18
	s_add_i32 s58, s58, s59
	s_mul_hi_u32 s60, s18, s61
	s_mul_hi_u32 s62, s7, s61
	s_mul_i32 s59, s7, s61
	s_mul_hi_u32 s61, s18, s58
	s_mul_i32 s18, s18, s58
	s_mul_hi_u32 s63, s7, s58
	s_add_u32 s18, s60, s18
	s_addc_u32 s60, 0, s61
	s_add_u32 s18, s18, s59
	s_mul_i32 s58, s7, s58
	s_addc_u32 s18, s60, s62
	s_addc_u32 s59, s63, 0
	s_add_u32 s18, s18, s58
	s_addc_u32 s58, 0, s59
	v_add_co_u32 v2, s18, v2, s18
	s_delay_alu instid0(VALU_DEP_1) | instskip(SKIP_1) | instid1(VALU_DEP_1)
	s_cmp_lg_u32 s18, 0
	s_addc_u32 s7, s7, s58
	v_readfirstlane_b32 s18, v2
	s_mul_i32 s58, s26, s7
	s_delay_alu instid0(VALU_DEP_1)
	s_mul_hi_u32 s59, s26, s18
	s_mul_i32 s57, s57, s18
	s_add_i32 s58, s59, s58
	s_mul_i32 s26, s26, s18
	s_add_i32 s58, s58, s57
	s_mul_hi_u32 s59, s7, s26
	s_mul_i32 s60, s7, s26
	s_mul_hi_u32 s26, s18, s26
	s_mul_hi_u32 s61, s18, s58
	s_mul_i32 s18, s18, s58
	s_mul_hi_u32 s57, s7, s58
	s_add_u32 s18, s26, s18
	s_addc_u32 s26, 0, s61
	s_add_u32 s18, s18, s60
	s_mul_i32 s58, s7, s58
	s_addc_u32 s18, s26, s59
	s_addc_u32 s26, s57, 0
	s_add_u32 s18, s18, s58
	s_addc_u32 s26, 0, s26
	v_add_co_u32 v2, s18, v2, s18
	s_delay_alu instid0(VALU_DEP_1) | instskip(SKIP_1) | instid1(VALU_DEP_1)
	s_cmp_lg_u32 s18, 0
	s_addc_u32 s7, s7, s26
	v_readfirstlane_b32 s18, v2
	s_mul_i32 s57, s23, s7
	s_mul_hi_u32 s26, s23, s7
	s_mul_hi_u32 s58, s19, s7
	s_mul_i32 s7, s19, s7
	s_mul_hi_u32 s59, s23, s18
	s_mul_hi_u32 s60, s19, s18
	s_mul_i32 s18, s19, s18
	s_add_u32 s57, s59, s57
	s_addc_u32 s26, 0, s26
	s_add_u32 s18, s57, s18
	s_addc_u32 s18, s26, s60
	s_addc_u32 s26, s58, 0
	s_add_u32 s7, s18, s7
	s_addc_u32 s18, 0, s26
	s_mul_hi_u32 s26, s33, s7
	s_mul_i32 s7, s33, s7
	s_mul_i32 s18, s33, s18
	v_sub_co_u32 v2, s7, s23, s7
	s_add_i32 s26, s26, s18
	s_cmp_lg_u32 s7, 0
	s_delay_alu instid0(VALU_DEP_1) | instskip(SKIP_2) | instid1(VALU_DEP_1)
	v_sub_co_u32 v3, s7, v2, s33
	s_subb_u32 s18, s19, s26
	s_cmp_lg_u32 s7, 0
	v_cmp_le_u32_e32 vcc_lo, s33, v3
	v_sub_co_u32 v4, s7, v3, s33
	s_subb_u32 s26, s18, 0
	s_cmp_lg_u32 s7, 0
	v_cndmask_b32_e64 v5, 0, -1, vcc_lo
	s_subb_u32 s7, s26, 0
	s_cmp_eq_u32 s26, 0
	v_mov_b32_e32 v7, s7
	s_cselect_b32 vcc_lo, -1, 0
	s_cmp_eq_u32 s18, 0
	v_cndmask_b32_e32 v5, -1, v5, vcc_lo
	v_cmp_le_u32_e32 vcc_lo, s33, v2
	s_cselect_b32 s7, -1, 0
	v_cndmask_b32_e64 v6, 0, -1, vcc_lo
	s_delay_alu instid0(VALU_DEP_3) | instskip(NEXT) | instid1(VALU_DEP_2)
	v_cmp_ne_u32_e32 vcc_lo, 0, v5
	v_cndmask_b32_e64 v5, -1, v6, s7
	v_cndmask_b32_e32 v6, s26, v7, vcc_lo
	v_cndmask_b32_e32 v4, v3, v4, vcc_lo
	s_delay_alu instid0(VALU_DEP_3) | instskip(NEXT) | instid1(VALU_DEP_3)
	v_cmp_ne_u32_e32 vcc_lo, 0, v5
	v_cndmask_b32_e32 v3, s18, v6, vcc_lo
	s_delay_alu instid0(VALU_DEP_3)
	v_cndmask_b32_e32 v2, v2, v4, vcc_lo
	s_cbranch_execnz .LBB120_274
.LBB120_273:                            ;   in Loop: Header=BB120_6 Depth=1
	v_cvt_f32_u32_e32 v2, s33
	s_sub_i32 s7, 0, s33
	s_delay_alu instid0(VALU_DEP_1) | instskip(SKIP_2) | instid1(VALU_DEP_1)
	v_rcp_iflag_f32_e32 v2, v2
	s_waitcnt_depctr 0xfff
	v_mul_f32_e32 v2, 0x4f7ffffe, v2
	v_cvt_u32_f32_e32 v2, v2
	s_delay_alu instid0(VALU_DEP_1) | instskip(NEXT) | instid1(VALU_DEP_1)
	v_mul_lo_u32 v3, s7, v2
	v_mul_hi_u32 v3, v2, v3
	s_delay_alu instid0(VALU_DEP_1) | instskip(NEXT) | instid1(VALU_DEP_1)
	v_add_nc_u32_e32 v2, v2, v3
	v_mul_hi_u32 v2, s23, v2
	s_delay_alu instid0(VALU_DEP_1) | instskip(NEXT) | instid1(VALU_DEP_1)
	v_mul_lo_u32 v2, v2, s33
	v_sub_nc_u32_e32 v2, s23, v2
	s_delay_alu instid0(VALU_DEP_1) | instskip(SKIP_1) | instid1(VALU_DEP_2)
	v_subrev_nc_u32_e32 v3, s33, v2
	v_cmp_le_u32_e32 vcc_lo, s33, v2
	v_cndmask_b32_e32 v2, v2, v3, vcc_lo
	s_delay_alu instid0(VALU_DEP_1) | instskip(SKIP_1) | instid1(VALU_DEP_2)
	v_subrev_nc_u32_e32 v3, s33, v2
	v_cmp_le_u32_e32 vcc_lo, s33, v2
	v_cndmask_b32_e32 v12, v2, v3, vcc_lo
	s_delay_alu instid0(VALU_DEP_1)
	v_dual_mov_b32 v2, v12 :: v_dual_mov_b32 v3, v13
.LBB120_274:                            ;   in Loop: Header=BB120_6 Depth=1
	s_delay_alu instid0(VALU_DEP_1) | instskip(NEXT) | instid1(VALU_DEP_2)
	v_sub_co_u32 v2, vcc_lo, s23, v2
	v_sub_co_ci_u32_e32 v3, vcc_lo, s19, v3, vcc_lo
	s_mov_b32 s7, 0
	s_mov_b32 s18, exec_lo
                                        ; implicit-def: $vgpr36
	s_delay_alu instid0(VALU_DEP_1)
	v_cmpx_gt_u64_e64 v[2:3], v[0:1]
	s_cbranch_execz .LBB120_283
; %bb.275:                              ;   in Loop: Header=BB120_6 Depth=1
	v_dual_mov_b32 v6, v0 :: v_dual_mov_b32 v5, v1
	v_mov_b32_e32 v4, v0
	s_mov_b32 s19, 0
                                        ; implicit-def: $sgpr23
	s_set_inst_prefetch_distance 0x1
	s_branch .LBB120_277
	.p2align	6
.LBB120_276:                            ;   in Loop: Header=BB120_277 Depth=2
	s_or_b32 exec_lo, exec_lo, s7
	s_waitcnt lgkmcnt(0)
	s_barrier
	buffer_gl0_inv
	ds_load_u16 v7, v13 offset:3072
	v_add_co_u32 v4, vcc_lo, v4, s33
	v_add_co_ci_u32_e32 v5, vcc_lo, 0, v5, vcc_lo
	v_add_nc_u32_e32 v6, s33, v6
	s_waitcnt lgkmcnt(0)
	s_barrier
	s_delay_alu instid0(VALU_DEP_2) | instskip(SKIP_2) | instid1(VALU_DEP_1)
	v_cmp_ge_u64_e32 vcc_lo, v[4:5], v[2:3]
	buffer_gl0_inv
	v_and_b32_e32 v8, 0xff, v7
	v_cmp_ne_u16_e64 s7, 0, v8
	s_delay_alu instid0(VALU_DEP_1) | instskip(NEXT) | instid1(SALU_CYCLE_1)
	s_or_b32 s26, vcc_lo, s7
	s_and_b32 s26, exec_lo, s26
	s_delay_alu instid0(SALU_CYCLE_1) | instskip(SKIP_2) | instid1(SALU_CYCLE_1)
	s_or_b32 s19, s26, s19
	s_and_not1_b32 s23, s23, exec_lo
	s_and_b32 s7, s7, exec_lo
	s_or_b32 s23, s23, s7
	s_and_not1_b32 exec_lo, exec_lo, s19
	s_cbranch_execz .LBB120_282
.LBB120_277:                            ;   Parent Loop BB120_6 Depth=1
                                        ; =>  This Inner Loop Header: Depth=2
	s_delay_alu instid0(VALU_DEP_1)
	v_cmp_gt_u64_e32 vcc_lo, s[8:9], v[4:5]
	v_mov_b32_e32 v7, 0
	s_and_saveexec_b32 s7, vcc_lo
	s_cbranch_execz .LBB120_279
; %bb.278:                              ;   in Loop: Header=BB120_277 Depth=2
	ds_load_u8 v7, v6
.LBB120_279:                            ;   in Loop: Header=BB120_277 Depth=2
	s_or_b32 exec_lo, exec_lo, s7
	s_waitcnt lgkmcnt(0)
	v_and_b32_e32 v8, v7, v34
	s_delay_alu instid0(VALU_DEP_1) | instskip(NEXT) | instid1(VALU_DEP_1)
	v_and_b32_e32 v8, 0xff, v8
	v_cmp_eq_u32_e64 s7, v8, v35
	s_delay_alu instid0(VALU_DEP_1) | instskip(NEXT) | instid1(SALU_CYCLE_1)
	s_and_b32 s26, vcc_lo, s7
	s_and_saveexec_b32 s7, s26
	s_cbranch_execz .LBB120_276
; %bb.280:                              ;   in Loop: Header=BB120_277 Depth=2
	v_lshlrev_b16 v7, 8, v7
	s_delay_alu instid0(VALU_DEP_1)
	v_or_b32_e32 v7, 1, v7
	ds_store_b16 v13, v7 offset:3072
	s_branch .LBB120_276
.LBB120_281:                            ;   in Loop: Header=BB120_6 Depth=1
	s_mov_b32 s18, -1
	s_mov_b32 s7, 0
                                        ; implicit-def: $sgpr19
                                        ; implicit-def: $vgpr36
	s_mov_b32 s23, s18
	s_cbranch_execnz .LBB120_284
	s_branch .LBB120_296
.LBB120_282:                            ;   in Loop: Header=BB120_6 Depth=1
	s_set_inst_prefetch_distance 0x2
	s_or_b32 exec_lo, exec_lo, s19
	v_lshrrev_b16 v36, 8, v7
	s_and_b32 s7, s23, exec_lo
.LBB120_283:                            ;   in Loop: Header=BB120_6 Depth=1
	s_or_b32 exec_lo, exec_lo, s18
	s_mov_b32 s18, 0
	s_mov_b32 s19, -1
	s_mov_b32 s23, s18
	s_branch .LBB120_296
.LBB120_284:                            ;   in Loop: Header=BB120_6 Depth=1
	s_mov_b32 s26, s49
	s_delay_alu instid0(SALU_CYCLE_1)
	s_cmp_lg_u64 s[26:27], 0
	s_cbranch_scc0 .LBB120_324
; %bb.285:                              ;   in Loop: Header=BB120_6 Depth=1
	v_cvt_f32_u32_e32 v2, s33
	s_sub_u32 s9, 0, s33
	s_subb_u32 s18, 0, 0
	s_delay_alu instid0(VALU_DEP_1) | instskip(NEXT) | instid1(VALU_DEP_1)
	v_fmac_f32_e64 v2, 0, 0x4f800000
	v_rcp_f32_e32 v2, v2
	s_waitcnt_depctr 0xfff
	v_mul_f32_e32 v2, 0x5f7ffffc, v2
	s_delay_alu instid0(VALU_DEP_1) | instskip(NEXT) | instid1(VALU_DEP_1)
	v_mul_f32_e32 v3, 0x2f800000, v2
	v_trunc_f32_e32 v3, v3
	s_delay_alu instid0(VALU_DEP_1) | instskip(SKIP_1) | instid1(VALU_DEP_2)
	v_fmac_f32_e32 v2, 0xcf800000, v3
	v_cvt_u32_f32_e32 v3, v3
	v_cvt_u32_f32_e32 v2, v2
	s_delay_alu instid0(VALU_DEP_2) | instskip(NEXT) | instid1(VALU_DEP_2)
	v_readfirstlane_b32 s7, v3
	v_readfirstlane_b32 s8, v2
	s_delay_alu instid0(VALU_DEP_2) | instskip(NEXT) | instid1(VALU_DEP_1)
	s_mul_i32 s19, s9, s7
	s_mul_hi_u32 s26, s9, s8
	s_mul_i32 s23, s18, s8
	s_add_i32 s19, s26, s19
	s_mul_i32 s57, s9, s8
	s_add_i32 s19, s19, s23
	s_mul_hi_u32 s26, s8, s57
	s_mul_hi_u32 s58, s7, s57
	s_mul_i32 s23, s7, s57
	s_mul_hi_u32 s57, s8, s19
	s_mul_i32 s8, s8, s19
	s_mul_hi_u32 s59, s7, s19
	s_add_u32 s8, s26, s8
	s_addc_u32 s26, 0, s57
	s_add_u32 s8, s8, s23
	s_mul_i32 s19, s7, s19
	s_addc_u32 s8, s26, s58
	s_addc_u32 s23, s59, 0
	s_add_u32 s8, s8, s19
	s_addc_u32 s19, 0, s23
	v_add_co_u32 v2, s8, v2, s8
	s_delay_alu instid0(VALU_DEP_1) | instskip(SKIP_1) | instid1(VALU_DEP_1)
	s_cmp_lg_u32 s8, 0
	s_addc_u32 s7, s7, s19
	v_readfirstlane_b32 s8, v2
	s_mul_i32 s19, s9, s7
	s_delay_alu instid0(VALU_DEP_1)
	s_mul_hi_u32 s23, s9, s8
	s_mul_i32 s18, s18, s8
	s_add_i32 s19, s23, s19
	s_mul_i32 s9, s9, s8
	s_add_i32 s19, s19, s18
	s_mul_hi_u32 s23, s7, s9
	s_mul_i32 s26, s7, s9
	s_mul_hi_u32 s9, s8, s9
	s_mul_hi_u32 s57, s8, s19
	s_mul_i32 s8, s8, s19
	s_mul_hi_u32 s18, s7, s19
	s_add_u32 s8, s9, s8
	s_addc_u32 s9, 0, s57
	s_add_u32 s8, s8, s26
	s_mul_i32 s19, s7, s19
	s_addc_u32 s8, s9, s23
	s_addc_u32 s9, s18, 0
	s_add_u32 s8, s8, s19
	s_addc_u32 s9, 0, s9
	v_add_co_u32 v2, s8, v2, s8
	s_delay_alu instid0(VALU_DEP_1) | instskip(SKIP_1) | instid1(VALU_DEP_1)
	s_cmp_lg_u32 s8, 0
	s_addc_u32 s7, s7, s9
	v_readfirstlane_b32 s8, v2
	s_mul_i32 s18, s77, s7
	s_mul_hi_u32 s9, s77, s7
	s_mul_hi_u32 s19, s27, s7
	s_mul_i32 s7, s27, s7
	s_mul_hi_u32 s23, s77, s8
	s_mul_hi_u32 s26, s27, s8
	s_mul_i32 s8, s27, s8
	s_add_u32 s18, s23, s18
	s_addc_u32 s9, 0, s9
	s_add_u32 s8, s18, s8
	s_addc_u32 s8, s9, s26
	s_addc_u32 s9, s19, 0
	s_add_u32 s7, s8, s7
	s_addc_u32 s8, 0, s9
	s_mul_hi_u32 s9, s33, s7
	s_mul_i32 s7, s33, s7
	s_mul_i32 s8, s33, s8
	v_sub_co_u32 v2, s7, s77, s7
	s_add_i32 s9, s9, s8
	s_cmp_lg_u32 s7, 0
	s_delay_alu instid0(VALU_DEP_1) | instskip(SKIP_2) | instid1(VALU_DEP_1)
	v_sub_co_u32 v3, s7, v2, s33
	s_subb_u32 s8, s27, s9
	s_cmp_lg_u32 s7, 0
	v_cmp_le_u32_e32 vcc_lo, s33, v3
	v_sub_co_u32 v4, s7, v3, s33
	s_subb_u32 s9, s8, 0
	s_cmp_lg_u32 s7, 0
	v_cndmask_b32_e64 v5, 0, -1, vcc_lo
	s_subb_u32 s7, s9, 0
	s_cmp_eq_u32 s9, 0
	v_mov_b32_e32 v7, s7
	s_cselect_b32 vcc_lo, -1, 0
	s_cmp_eq_u32 s8, 0
	v_cndmask_b32_e32 v5, -1, v5, vcc_lo
	v_cmp_le_u32_e32 vcc_lo, s33, v2
	s_cselect_b32 s7, -1, 0
	v_cndmask_b32_e64 v6, 0, -1, vcc_lo
	s_delay_alu instid0(VALU_DEP_3) | instskip(NEXT) | instid1(VALU_DEP_2)
	v_cmp_ne_u32_e32 vcc_lo, 0, v5
	v_cndmask_b32_e64 v5, -1, v6, s7
	v_cndmask_b32_e32 v6, s9, v7, vcc_lo
	v_cndmask_b32_e32 v4, v3, v4, vcc_lo
	s_delay_alu instid0(VALU_DEP_3) | instskip(NEXT) | instid1(VALU_DEP_3)
	v_cmp_ne_u32_e32 vcc_lo, 0, v5
	v_cndmask_b32_e32 v3, s8, v6, vcc_lo
	s_delay_alu instid0(VALU_DEP_3)
	v_cndmask_b32_e32 v2, v2, v4, vcc_lo
	s_cbranch_execnz .LBB120_287
.LBB120_286:                            ;   in Loop: Header=BB120_6 Depth=1
	v_cvt_f32_u32_e32 v2, s33
	s_sub_i32 s7, 0, s33
	s_delay_alu instid0(VALU_DEP_1) | instskip(SKIP_2) | instid1(VALU_DEP_1)
	v_rcp_iflag_f32_e32 v2, v2
	s_waitcnt_depctr 0xfff
	v_mul_f32_e32 v2, 0x4f7ffffe, v2
	v_cvt_u32_f32_e32 v2, v2
	s_delay_alu instid0(VALU_DEP_1) | instskip(NEXT) | instid1(VALU_DEP_1)
	v_mul_lo_u32 v3, s7, v2
	v_mul_hi_u32 v3, v2, v3
	s_delay_alu instid0(VALU_DEP_1) | instskip(NEXT) | instid1(VALU_DEP_1)
	v_add_nc_u32_e32 v2, v2, v3
	v_mul_hi_u32 v2, s77, v2
	s_delay_alu instid0(VALU_DEP_1) | instskip(NEXT) | instid1(VALU_DEP_1)
	v_mul_lo_u32 v2, v2, s33
	v_sub_nc_u32_e32 v2, s77, v2
	s_delay_alu instid0(VALU_DEP_1) | instskip(SKIP_1) | instid1(VALU_DEP_2)
	v_subrev_nc_u32_e32 v3, s33, v2
	v_cmp_le_u32_e32 vcc_lo, s33, v2
	v_cndmask_b32_e32 v2, v2, v3, vcc_lo
	s_delay_alu instid0(VALU_DEP_1) | instskip(SKIP_1) | instid1(VALU_DEP_2)
	v_subrev_nc_u32_e32 v3, s33, v2
	v_cmp_le_u32_e32 vcc_lo, s33, v2
	v_cndmask_b32_e32 v12, v2, v3, vcc_lo
	s_delay_alu instid0(VALU_DEP_1)
	v_dual_mov_b32 v2, v12 :: v_dual_mov_b32 v3, v13
.LBB120_287:                            ;   in Loop: Header=BB120_6 Depth=1
	s_delay_alu instid0(VALU_DEP_1) | instskip(NEXT) | instid1(VALU_DEP_2)
	v_sub_co_u32 v2, vcc_lo, s77, v2
	v_sub_co_ci_u32_e32 v3, vcc_lo, s27, v3, vcc_lo
	s_mov_b32 s7, 0
	s_mov_b32 s8, exec_lo
                                        ; implicit-def: $vgpr36
	s_delay_alu instid0(VALU_DEP_1)
	v_cmpx_gt_u64_e64 v[2:3], v[0:1]
	s_cbranch_execz .LBB120_295
; %bb.288:                              ;   in Loop: Header=BB120_6 Depth=1
	v_dual_mov_b32 v4, v10 :: v_dual_mov_b32 v5, v11
	v_dual_mov_b32 v7, v1 :: v_dual_mov_b32 v6, v0
	s_mov_b32 s9, 0
                                        ; implicit-def: $sgpr18
	s_set_inst_prefetch_distance 0x1
	s_branch .LBB120_290
	.p2align	6
.LBB120_289:                            ;   in Loop: Header=BB120_290 Depth=2
	s_or_b32 exec_lo, exec_lo, s7
	s_waitcnt lgkmcnt(0)
	s_barrier
	buffer_gl0_inv
	ds_load_u16 v8, v13 offset:3072
	v_add_co_u32 v6, vcc_lo, v6, s33
	v_add_co_ci_u32_e32 v7, vcc_lo, 0, v7, vcc_lo
	s_waitcnt lgkmcnt(0)
	s_barrier
	buffer_gl0_inv
	v_cmp_ge_u64_e32 vcc_lo, v[6:7], v[2:3]
	v_and_b32_e32 v9, 0xff, v8
	s_delay_alu instid0(VALU_DEP_1) | instskip(NEXT) | instid1(VALU_DEP_1)
	v_cmp_ne_u16_e64 s7, 0, v9
	s_or_b32 s19, vcc_lo, s7
	v_add_co_u32 v4, vcc_lo, v4, s68
	s_and_b32 s19, exec_lo, s19
	v_add_co_ci_u32_e32 v5, vcc_lo, s41, v5, vcc_lo
	s_or_b32 s9, s19, s9
	s_and_not1_b32 s18, s18, exec_lo
	s_and_b32 s7, s7, exec_lo
	s_delay_alu instid0(SALU_CYCLE_1)
	s_or_b32 s18, s18, s7
	s_and_not1_b32 exec_lo, exec_lo, s9
	s_cbranch_execz .LBB120_294
.LBB120_290:                            ;   Parent Loop BB120_6 Depth=1
                                        ; =>  This Inner Loop Header: Depth=2
	s_delay_alu instid0(VALU_DEP_1)
	v_cmp_gt_u64_e32 vcc_lo, s[28:29], v[6:7]
	v_mov_b32_e32 v8, 0
	s_and_saveexec_b32 s7, vcc_lo
	s_cbranch_execz .LBB120_292
; %bb.291:                              ;   in Loop: Header=BB120_290 Depth=2
	global_load_u8 v8, v[4:5], off
.LBB120_292:                            ;   in Loop: Header=BB120_290 Depth=2
	s_or_b32 exec_lo, exec_lo, s7
	s_waitcnt vmcnt(0)
	v_and_b32_e32 v9, v8, v34
	s_delay_alu instid0(VALU_DEP_1) | instskip(NEXT) | instid1(VALU_DEP_1)
	v_and_b32_e32 v9, 0xff, v9
	v_cmp_eq_u32_e64 s7, v9, v35
	s_delay_alu instid0(VALU_DEP_1) | instskip(NEXT) | instid1(SALU_CYCLE_1)
	s_and_b32 s19, vcc_lo, s7
	s_and_saveexec_b32 s7, s19
	s_cbranch_execz .LBB120_289
; %bb.293:                              ;   in Loop: Header=BB120_290 Depth=2
	v_lshlrev_b16 v8, 8, v8
	s_delay_alu instid0(VALU_DEP_1)
	v_or_b32_e32 v8, 1, v8
	ds_store_b16 v13, v8 offset:3072
	s_branch .LBB120_289
.LBB120_294:                            ;   in Loop: Header=BB120_6 Depth=1
	s_set_inst_prefetch_distance 0x2
	s_or_b32 exec_lo, exec_lo, s9
	v_lshrrev_b16 v36, 8, v8
	s_and_b32 s7, s18, exec_lo
.LBB120_295:                            ;   in Loop: Header=BB120_6 Depth=1
	s_or_b32 exec_lo, exec_lo, s8
	s_mov_b32 s19, 0
	s_mov_b32 s18, -1
	s_mov_b32 s23, 0
.LBB120_296:                            ;   in Loop: Header=BB120_6 Depth=1
	s_or_not1_b32 s7, s7, exec_lo
.LBB120_297:                            ;   in Loop: Header=BB120_6 Depth=1
	s_or_b32 exec_lo, exec_lo, s48
                                        ; implicit-def: $vgpr6
                                        ; implicit-def: $vgpr2_vgpr3
                                        ; implicit-def: $vgpr25
                                        ; implicit-def: $vgpr26
                                        ; implicit-def: $vgpr27
	s_and_saveexec_b32 s48, s7
	s_cbranch_execz .LBB120_454
; %bb.298:                              ;   in Loop: Header=BB120_6 Depth=1
	v_mov_b32_e32 v2, 1
	v_dual_mov_b32 v3, 0 :: v_dual_mov_b32 v6, 1
	s_xor_b32 s8, s56, -1
	s_mov_b32 s26, 0
	s_and_saveexec_b32 s7, s8
	s_cbranch_execz .LBB120_308
; %bb.299:                              ;   in Loop: Header=BB120_6 Depth=1
	s_mov_b32 s9, exec_lo
                                        ; implicit-def: $sgpr26
                                        ; implicit-def: $sgpr8
	v_cmpx_ge_u64_e64 s[16:17], v[23:24]
	s_xor_b32 s9, exec_lo, s9
	s_cbranch_execz .LBB120_305
; %bb.300:                              ;   in Loop: Header=BB120_6 Depth=1
	ds_load_b64 v[2:3], v13 offset:5120
	s_waitcnt lgkmcnt(0)
	v_cmp_ne_u64_e32 vcc_lo, 0, v[2:3]
	s_cbranch_vccnz .LBB120_304
; %bb.301:                              ;   in Loop: Header=BB120_6 Depth=1
	s_and_saveexec_b32 s8, s5
	s_cbranch_execz .LBB120_303
; %bb.302:                              ;   in Loop: Header=BB120_6 Depth=1
	v_dual_mov_b32 v2, s16 :: v_dual_mov_b32 v3, s17
	ds_store_b64 v13, v[2:3] offset:5128
.LBB120_303:                            ;   in Loop: Header=BB120_6 Depth=1
	s_or_b32 exec_lo, exec_lo, s8
	s_waitcnt lgkmcnt(0)
	s_barrier
	buffer_gl0_inv
.LBB120_304:                            ;   in Loop: Header=BB120_6 Depth=1
	v_or_b32_e32 v35, s20, v35
	v_or_b32_e32 v34, s20, v34
	s_mov_b32 s8, 0
	s_mov_b32 s26, 5
.LBB120_305:                            ;   in Loop: Header=BB120_6 Depth=1
	s_or_saveexec_b32 s9, s9
	v_mov_b32_e32 v6, s26
	s_xor_b32 exec_lo, exec_lo, s9
; %bb.306:                              ;   in Loop: Header=BB120_6 Depth=1
	v_sub_co_u32 v23, vcc_lo, v23, s16
	v_subrev_co_ci_u32_e32 v24, vcc_lo, s17, v24, vcc_lo
	v_mov_b32_e32 v6, 0
	s_or_b32 s8, s8, exec_lo
; %bb.307:                              ;   in Loop: Header=BB120_6 Depth=1
	s_or_b32 exec_lo, exec_lo, s9
	s_delay_alu instid0(VALU_DEP_2)
	v_dual_mov_b32 v2, v23 :: v_dual_mov_b32 v3, v24
	s_and_b32 s26, s8, exec_lo
.LBB120_308:                            ;   in Loop: Header=BB120_6 Depth=1
	s_or_b32 exec_lo, exec_lo, s7
	s_mov_b32 s17, -1
                                        ; implicit-def: $sgpr8
                                        ; implicit-def: $sgpr9
                                        ; implicit-def: $sgpr16
	s_and_saveexec_b32 s7, s26
	s_delay_alu instid0(SALU_CYCLE_1)
	s_xor_b32 s56, exec_lo, s7
	s_cbranch_execz .LBB120_451
; %bb.309:                              ;   in Loop: Header=BB120_6 Depth=1
	v_cmp_eq_u64_e32 vcc_lo, 1, v[2:3]
	s_cmp_eq_u64 s[14:15], 1
                                        ; implicit-def: $sgpr16
                                        ; implicit-def: $sgpr17
                                        ; implicit-def: $sgpr57
	s_cselect_b32 s7, -1, 0
	s_delay_alu instid0(SALU_CYCLE_1)
	s_and_b32 s59, s7, vcc_lo
	s_mov_b32 s7, -1
	s_and_saveexec_b32 s58, s59
	s_cbranch_execz .LBB120_341
; %bb.310:                              ;   in Loop: Header=BB120_6 Depth=1
	ds_load_b64 v[4:5], v13 offset:5120
	s_waitcnt lgkmcnt(0)
	s_barrier
	buffer_gl0_inv
	v_readfirstlane_b32 s8, v4
	v_readfirstlane_b32 s9, v5
	s_and_saveexec_b32 s7, s6
	s_cbranch_execz .LBB120_312
; %bb.311:                              ;   in Loop: Header=BB120_6 Depth=1
	ds_store_b8 v0, v13 offset:3072
.LBB120_312:                            ;   in Loop: Header=BB120_6 Depth=1
	s_or_b32 exec_lo, exec_lo, s7
	s_lshl_b32 s7, 2, s22
	v_or_b32_e32 v34, s20, v34
	v_and_or_b32 v35, v35, s21, s7
	s_cmp_eq_u64 s[8:9], 0
	s_waitcnt lgkmcnt(0)
	s_barrier
	buffer_gl0_inv
	s_cbranch_scc1 .LBB120_325
; %bb.313:                              ;   in Loop: Header=BB120_6 Depth=1
	s_add_u32 s26, s75, s8
	s_addc_u32 s17, s76, s9
	s_mov_b32 s16, s49
	s_delay_alu instid0(SALU_CYCLE_1)
	s_cmp_lg_u64 s[16:17], 0
	s_cbranch_scc0 .LBB120_367
; %bb.314:                              ;   in Loop: Header=BB120_6 Depth=1
	v_cvt_f32_u32_e32 v4, s33
	s_sub_u32 s57, 0, s33
	s_subb_u32 s60, 0, 0
	s_delay_alu instid0(VALU_DEP_1) | instskip(NEXT) | instid1(VALU_DEP_1)
	v_fmac_f32_e64 v4, 0, 0x4f800000
	v_rcp_f32_e32 v4, v4
	s_waitcnt_depctr 0xfff
	v_mul_f32_e32 v4, 0x5f7ffffc, v4
	s_delay_alu instid0(VALU_DEP_1) | instskip(NEXT) | instid1(VALU_DEP_1)
	v_mul_f32_e32 v5, 0x2f800000, v4
	v_trunc_f32_e32 v5, v5
	s_delay_alu instid0(VALU_DEP_1) | instskip(SKIP_1) | instid1(VALU_DEP_2)
	v_fmac_f32_e32 v4, 0xcf800000, v5
	v_cvt_u32_f32_e32 v5, v5
	v_cvt_u32_f32_e32 v4, v4
	s_delay_alu instid0(VALU_DEP_2) | instskip(NEXT) | instid1(VALU_DEP_2)
	v_readfirstlane_b32 s7, v5
	v_readfirstlane_b32 s16, v4
	s_delay_alu instid0(VALU_DEP_2) | instskip(NEXT) | instid1(VALU_DEP_1)
	s_mul_i32 s61, s57, s7
	s_mul_hi_u32 s63, s57, s16
	s_mul_i32 s62, s60, s16
	s_add_i32 s61, s63, s61
	s_mul_i32 s64, s57, s16
	s_add_i32 s61, s61, s62
	s_mul_hi_u32 s63, s16, s64
	s_mul_hi_u32 s65, s7, s64
	s_mul_i32 s62, s7, s64
	s_mul_hi_u32 s64, s16, s61
	s_mul_i32 s16, s16, s61
	s_mul_hi_u32 s66, s7, s61
	s_add_u32 s16, s63, s16
	s_addc_u32 s63, 0, s64
	s_add_u32 s16, s16, s62
	s_mul_i32 s61, s7, s61
	s_addc_u32 s16, s63, s65
	s_addc_u32 s62, s66, 0
	s_add_u32 s16, s16, s61
	s_addc_u32 s61, 0, s62
	v_add_co_u32 v4, s16, v4, s16
	s_delay_alu instid0(VALU_DEP_1) | instskip(SKIP_1) | instid1(VALU_DEP_1)
	s_cmp_lg_u32 s16, 0
	s_addc_u32 s7, s7, s61
	v_readfirstlane_b32 s16, v4
	s_mul_i32 s61, s57, s7
	s_delay_alu instid0(VALU_DEP_1)
	s_mul_hi_u32 s62, s57, s16
	s_mul_i32 s60, s60, s16
	s_add_i32 s61, s62, s61
	s_mul_i32 s57, s57, s16
	s_add_i32 s61, s61, s60
	s_mul_hi_u32 s62, s7, s57
	s_mul_i32 s63, s7, s57
	s_mul_hi_u32 s57, s16, s57
	s_mul_hi_u32 s64, s16, s61
	s_mul_i32 s16, s16, s61
	s_mul_hi_u32 s60, s7, s61
	s_add_u32 s16, s57, s16
	s_addc_u32 s57, 0, s64
	s_add_u32 s16, s16, s63
	s_mul_i32 s61, s7, s61
	s_addc_u32 s16, s57, s62
	s_addc_u32 s57, s60, 0
	s_add_u32 s16, s16, s61
	s_addc_u32 s57, 0, s57
	v_add_co_u32 v4, s16, v4, s16
	s_delay_alu instid0(VALU_DEP_1) | instskip(SKIP_1) | instid1(VALU_DEP_1)
	s_cmp_lg_u32 s16, 0
	s_addc_u32 s7, s7, s57
	v_readfirstlane_b32 s16, v4
	s_mul_i32 s60, s26, s7
	s_mul_hi_u32 s57, s26, s7
	s_mul_hi_u32 s61, s17, s7
	s_mul_i32 s7, s17, s7
	s_mul_hi_u32 s62, s26, s16
	s_mul_hi_u32 s63, s17, s16
	s_mul_i32 s16, s17, s16
	s_add_u32 s60, s62, s60
	s_addc_u32 s57, 0, s57
	s_add_u32 s16, s60, s16
	s_addc_u32 s16, s57, s63
	s_addc_u32 s57, s61, 0
	s_add_u32 s7, s16, s7
	s_addc_u32 s16, 0, s57
	s_mul_hi_u32 s57, s33, s7
	s_mul_i32 s7, s33, s7
	s_mul_i32 s16, s33, s16
	v_sub_co_u32 v4, s7, s26, s7
	s_add_i32 s57, s57, s16
	s_cmp_lg_u32 s7, 0
	s_delay_alu instid0(VALU_DEP_1) | instskip(SKIP_2) | instid1(VALU_DEP_1)
	v_sub_co_u32 v5, s7, v4, s33
	s_subb_u32 s16, s17, s57
	s_cmp_lg_u32 s7, 0
	v_cmp_le_u32_e32 vcc_lo, s33, v5
	v_sub_co_u32 v6, s7, v5, s33
	s_subb_u32 s57, s16, 0
	s_cmp_lg_u32 s7, 0
	v_cndmask_b32_e64 v7, 0, -1, vcc_lo
	s_subb_u32 s7, s57, 0
	s_cmp_eq_u32 s57, 0
	v_mov_b32_e32 v9, s7
	s_cselect_b32 vcc_lo, -1, 0
	s_cmp_eq_u32 s16, 0
	v_cndmask_b32_e32 v7, -1, v7, vcc_lo
	v_cmp_le_u32_e32 vcc_lo, s33, v4
	s_cselect_b32 s7, -1, 0
	v_cndmask_b32_e64 v8, 0, -1, vcc_lo
	s_delay_alu instid0(VALU_DEP_3) | instskip(NEXT) | instid1(VALU_DEP_2)
	v_cmp_ne_u32_e32 vcc_lo, 0, v7
	v_cndmask_b32_e64 v7, -1, v8, s7
	v_cndmask_b32_e32 v8, s57, v9, vcc_lo
	v_cndmask_b32_e32 v6, v5, v6, vcc_lo
	s_delay_alu instid0(VALU_DEP_3) | instskip(NEXT) | instid1(VALU_DEP_3)
	v_cmp_ne_u32_e32 vcc_lo, 0, v7
	v_cndmask_b32_e32 v5, s16, v8, vcc_lo
	s_delay_alu instid0(VALU_DEP_3)
	v_cndmask_b32_e32 v4, v4, v6, vcc_lo
	s_cbranch_execnz .LBB120_316
.LBB120_315:                            ;   in Loop: Header=BB120_6 Depth=1
	v_cvt_f32_u32_e32 v4, s33
	s_sub_i32 s7, 0, s33
	s_delay_alu instid0(VALU_DEP_1) | instskip(SKIP_2) | instid1(VALU_DEP_1)
	v_rcp_iflag_f32_e32 v4, v4
	s_waitcnt_depctr 0xfff
	v_mul_f32_e32 v4, 0x4f7ffffe, v4
	v_cvt_u32_f32_e32 v4, v4
	s_delay_alu instid0(VALU_DEP_1) | instskip(NEXT) | instid1(VALU_DEP_1)
	v_mul_lo_u32 v5, s7, v4
	v_mul_hi_u32 v5, v4, v5
	s_delay_alu instid0(VALU_DEP_1) | instskip(NEXT) | instid1(VALU_DEP_1)
	v_add_nc_u32_e32 v4, v4, v5
	v_mul_hi_u32 v4, s26, v4
	s_delay_alu instid0(VALU_DEP_1) | instskip(NEXT) | instid1(VALU_DEP_1)
	v_mul_lo_u32 v4, v4, s33
	v_sub_nc_u32_e32 v4, s26, v4
	s_delay_alu instid0(VALU_DEP_1) | instskip(SKIP_1) | instid1(VALU_DEP_2)
	v_subrev_nc_u32_e32 v5, s33, v4
	v_cmp_le_u32_e32 vcc_lo, s33, v4
	v_cndmask_b32_e32 v4, v4, v5, vcc_lo
	s_delay_alu instid0(VALU_DEP_1) | instskip(SKIP_1) | instid1(VALU_DEP_2)
	v_subrev_nc_u32_e32 v5, s33, v4
	v_cmp_le_u32_e32 vcc_lo, s33, v4
	v_cndmask_b32_e32 v12, v4, v5, vcc_lo
	s_delay_alu instid0(VALU_DEP_1)
	v_dual_mov_b32 v4, v12 :: v_dual_mov_b32 v5, v13
.LBB120_316:                            ;   in Loop: Header=BB120_6 Depth=1
	s_delay_alu instid0(VALU_DEP_1) | instskip(NEXT) | instid1(VALU_DEP_2)
	v_sub_co_u32 v4, vcc_lo, s26, v4
	v_sub_co_ci_u32_e32 v5, vcc_lo, s17, v5, vcc_lo
	s_mov_b32 s7, 0
	s_mov_b32 s16, exec_lo
                                        ; implicit-def: $vgpr36
	s_delay_alu instid0(VALU_DEP_1)
	v_cmpx_gt_u64_e64 v[4:5], v[0:1]
	s_cbranch_execz .LBB120_327
; %bb.317:                              ;   in Loop: Header=BB120_6 Depth=1
	v_dual_mov_b32 v8, v0 :: v_dual_mov_b32 v7, v1
	v_mov_b32_e32 v6, v0
	s_mov_b32 s17, 0
                                        ; implicit-def: $sgpr26
	s_set_inst_prefetch_distance 0x1
	s_branch .LBB120_319
	.p2align	6
.LBB120_318:                            ;   in Loop: Header=BB120_319 Depth=2
	s_or_b32 exec_lo, exec_lo, s7
	s_waitcnt lgkmcnt(0)
	s_barrier
	buffer_gl0_inv
	ds_load_u16 v9, v13 offset:3072
	v_add_co_u32 v6, vcc_lo, v6, s33
	v_add_co_ci_u32_e32 v7, vcc_lo, 0, v7, vcc_lo
	v_add_nc_u32_e32 v8, s33, v8
	s_waitcnt lgkmcnt(0)
	s_barrier
	s_delay_alu instid0(VALU_DEP_2) | instskip(SKIP_2) | instid1(VALU_DEP_1)
	v_cmp_ge_u64_e32 vcc_lo, v[6:7], v[4:5]
	buffer_gl0_inv
	v_and_b32_e32 v12, 0xff, v9
	v_cmp_ne_u16_e64 s7, 0, v12
	s_delay_alu instid0(VALU_DEP_1) | instskip(NEXT) | instid1(SALU_CYCLE_1)
	s_or_b32 s57, vcc_lo, s7
	s_and_b32 s57, exec_lo, s57
	s_delay_alu instid0(SALU_CYCLE_1) | instskip(SKIP_2) | instid1(SALU_CYCLE_1)
	s_or_b32 s17, s57, s17
	s_and_not1_b32 s26, s26, exec_lo
	s_and_b32 s7, s7, exec_lo
	s_or_b32 s26, s26, s7
	s_and_not1_b32 exec_lo, exec_lo, s17
	s_cbranch_execz .LBB120_326
.LBB120_319:                            ;   Parent Loop BB120_6 Depth=1
                                        ; =>  This Inner Loop Header: Depth=2
	s_delay_alu instid0(VALU_DEP_1)
	v_cmp_gt_u64_e32 vcc_lo, s[8:9], v[6:7]
	v_mov_b32_e32 v9, 0
	s_and_saveexec_b32 s7, vcc_lo
	s_cbranch_execz .LBB120_321
; %bb.320:                              ;   in Loop: Header=BB120_319 Depth=2
	ds_load_u8 v9, v8
.LBB120_321:                            ;   in Loop: Header=BB120_319 Depth=2
	s_or_b32 exec_lo, exec_lo, s7
	s_waitcnt lgkmcnt(0)
	v_and_b32_e32 v12, v9, v34
	s_delay_alu instid0(VALU_DEP_1) | instskip(NEXT) | instid1(VALU_DEP_1)
	v_and_b32_e32 v12, 0xff, v12
	v_cmp_eq_u32_e64 s7, v12, v35
	s_delay_alu instid0(VALU_DEP_1) | instskip(NEXT) | instid1(SALU_CYCLE_1)
	s_and_b32 s57, vcc_lo, s7
	s_and_saveexec_b32 s7, s57
	s_cbranch_execz .LBB120_318
; %bb.322:                              ;   in Loop: Header=BB120_319 Depth=2
	v_lshlrev_b16 v9, 8, v9
	s_delay_alu instid0(VALU_DEP_1)
	v_or_b32_e32 v9, 1, v9
	ds_store_b16 v13, v9 offset:3072
	s_branch .LBB120_318
.LBB120_323:                            ;   in Loop: Header=BB120_6 Depth=1
                                        ; implicit-def: $vgpr2_vgpr3
	s_branch .LBB120_273
.LBB120_324:                            ;   in Loop: Header=BB120_6 Depth=1
                                        ; implicit-def: $vgpr2_vgpr3
	s_branch .LBB120_286
.LBB120_325:                            ;   in Loop: Header=BB120_6 Depth=1
	s_mov_b32 s16, -1
	s_mov_b32 s7, 0
                                        ; implicit-def: $sgpr17
                                        ; implicit-def: $vgpr36
	s_mov_b32 s57, s16
	s_cbranch_execnz .LBB120_328
	s_branch .LBB120_340
.LBB120_326:                            ;   in Loop: Header=BB120_6 Depth=1
	s_set_inst_prefetch_distance 0x2
	s_or_b32 exec_lo, exec_lo, s17
	v_lshrrev_b16 v36, 8, v9
	s_and_b32 s7, s26, exec_lo
.LBB120_327:                            ;   in Loop: Header=BB120_6 Depth=1
	s_or_b32 exec_lo, exec_lo, s16
	s_mov_b32 s16, 0
	s_mov_b32 s17, -1
	s_mov_b32 s57, s16
	s_branch .LBB120_340
.LBB120_328:                            ;   in Loop: Header=BB120_6 Depth=1
	s_mov_b32 s26, s49
	s_delay_alu instid0(SALU_CYCLE_1)
	s_cmp_lg_u64 s[26:27], 0
	s_cbranch_scc0 .LBB120_368
; %bb.329:                              ;   in Loop: Header=BB120_6 Depth=1
	v_cvt_f32_u32_e32 v4, s33
	s_sub_u32 s9, 0, s33
	s_subb_u32 s16, 0, 0
	s_delay_alu instid0(VALU_DEP_1) | instskip(NEXT) | instid1(VALU_DEP_1)
	v_fmac_f32_e64 v4, 0, 0x4f800000
	v_rcp_f32_e32 v4, v4
	s_waitcnt_depctr 0xfff
	v_mul_f32_e32 v4, 0x5f7ffffc, v4
	s_delay_alu instid0(VALU_DEP_1) | instskip(NEXT) | instid1(VALU_DEP_1)
	v_mul_f32_e32 v5, 0x2f800000, v4
	v_trunc_f32_e32 v5, v5
	s_delay_alu instid0(VALU_DEP_1) | instskip(SKIP_1) | instid1(VALU_DEP_2)
	v_fmac_f32_e32 v4, 0xcf800000, v5
	v_cvt_u32_f32_e32 v5, v5
	v_cvt_u32_f32_e32 v4, v4
	s_delay_alu instid0(VALU_DEP_2) | instskip(NEXT) | instid1(VALU_DEP_2)
	v_readfirstlane_b32 s7, v5
	v_readfirstlane_b32 s8, v4
	s_delay_alu instid0(VALU_DEP_2) | instskip(NEXT) | instid1(VALU_DEP_1)
	s_mul_i32 s17, s9, s7
	s_mul_hi_u32 s57, s9, s8
	s_mul_i32 s26, s16, s8
	s_add_i32 s17, s57, s17
	s_mul_i32 s60, s9, s8
	s_add_i32 s17, s17, s26
	s_mul_hi_u32 s57, s8, s60
	s_mul_hi_u32 s61, s7, s60
	s_mul_i32 s26, s7, s60
	s_mul_hi_u32 s60, s8, s17
	s_mul_i32 s8, s8, s17
	s_mul_hi_u32 s62, s7, s17
	s_add_u32 s8, s57, s8
	s_addc_u32 s57, 0, s60
	s_add_u32 s8, s8, s26
	s_mul_i32 s17, s7, s17
	s_addc_u32 s8, s57, s61
	s_addc_u32 s26, s62, 0
	s_add_u32 s8, s8, s17
	s_addc_u32 s17, 0, s26
	v_add_co_u32 v4, s8, v4, s8
	s_delay_alu instid0(VALU_DEP_1) | instskip(SKIP_1) | instid1(VALU_DEP_1)
	s_cmp_lg_u32 s8, 0
	s_addc_u32 s7, s7, s17
	v_readfirstlane_b32 s8, v4
	s_mul_i32 s17, s9, s7
	s_delay_alu instid0(VALU_DEP_1)
	s_mul_hi_u32 s26, s9, s8
	s_mul_i32 s16, s16, s8
	s_add_i32 s17, s26, s17
	s_mul_i32 s9, s9, s8
	s_add_i32 s17, s17, s16
	s_mul_hi_u32 s26, s7, s9
	s_mul_i32 s57, s7, s9
	s_mul_hi_u32 s9, s8, s9
	s_mul_hi_u32 s60, s8, s17
	s_mul_i32 s8, s8, s17
	s_mul_hi_u32 s16, s7, s17
	s_add_u32 s8, s9, s8
	s_addc_u32 s9, 0, s60
	s_add_u32 s8, s8, s57
	s_mul_i32 s17, s7, s17
	s_addc_u32 s8, s9, s26
	s_addc_u32 s9, s16, 0
	s_add_u32 s8, s8, s17
	s_addc_u32 s9, 0, s9
	v_add_co_u32 v4, s8, v4, s8
	s_delay_alu instid0(VALU_DEP_1) | instskip(SKIP_1) | instid1(VALU_DEP_1)
	s_cmp_lg_u32 s8, 0
	s_addc_u32 s7, s7, s9
	v_readfirstlane_b32 s8, v4
	s_mul_i32 s16, s77, s7
	s_mul_hi_u32 s9, s77, s7
	s_mul_hi_u32 s17, s27, s7
	s_mul_i32 s7, s27, s7
	s_mul_hi_u32 s26, s77, s8
	s_mul_hi_u32 s57, s27, s8
	s_mul_i32 s8, s27, s8
	s_add_u32 s16, s26, s16
	s_addc_u32 s9, 0, s9
	s_add_u32 s8, s16, s8
	s_addc_u32 s8, s9, s57
	s_addc_u32 s9, s17, 0
	s_add_u32 s7, s8, s7
	s_addc_u32 s8, 0, s9
	s_mul_hi_u32 s9, s33, s7
	s_mul_i32 s7, s33, s7
	s_mul_i32 s8, s33, s8
	v_sub_co_u32 v4, s7, s77, s7
	s_add_i32 s9, s9, s8
	s_cmp_lg_u32 s7, 0
	s_delay_alu instid0(VALU_DEP_1) | instskip(SKIP_2) | instid1(VALU_DEP_1)
	v_sub_co_u32 v5, s7, v4, s33
	s_subb_u32 s8, s27, s9
	s_cmp_lg_u32 s7, 0
	v_cmp_le_u32_e32 vcc_lo, s33, v5
	v_sub_co_u32 v6, s7, v5, s33
	s_subb_u32 s9, s8, 0
	s_cmp_lg_u32 s7, 0
	v_cndmask_b32_e64 v7, 0, -1, vcc_lo
	s_subb_u32 s7, s9, 0
	s_cmp_eq_u32 s9, 0
	v_mov_b32_e32 v9, s7
	s_cselect_b32 vcc_lo, -1, 0
	s_cmp_eq_u32 s8, 0
	v_cndmask_b32_e32 v7, -1, v7, vcc_lo
	v_cmp_le_u32_e32 vcc_lo, s33, v4
	s_cselect_b32 s7, -1, 0
	v_cndmask_b32_e64 v8, 0, -1, vcc_lo
	s_delay_alu instid0(VALU_DEP_3) | instskip(NEXT) | instid1(VALU_DEP_2)
	v_cmp_ne_u32_e32 vcc_lo, 0, v7
	v_cndmask_b32_e64 v7, -1, v8, s7
	v_cndmask_b32_e32 v8, s9, v9, vcc_lo
	v_cndmask_b32_e32 v6, v5, v6, vcc_lo
	s_delay_alu instid0(VALU_DEP_3) | instskip(NEXT) | instid1(VALU_DEP_3)
	v_cmp_ne_u32_e32 vcc_lo, 0, v7
	v_cndmask_b32_e32 v5, s8, v8, vcc_lo
	s_delay_alu instid0(VALU_DEP_3)
	v_cndmask_b32_e32 v4, v4, v6, vcc_lo
	s_cbranch_execnz .LBB120_331
.LBB120_330:                            ;   in Loop: Header=BB120_6 Depth=1
	v_cvt_f32_u32_e32 v4, s33
	s_sub_i32 s7, 0, s33
	s_delay_alu instid0(VALU_DEP_1) | instskip(SKIP_2) | instid1(VALU_DEP_1)
	v_rcp_iflag_f32_e32 v4, v4
	s_waitcnt_depctr 0xfff
	v_mul_f32_e32 v4, 0x4f7ffffe, v4
	v_cvt_u32_f32_e32 v4, v4
	s_delay_alu instid0(VALU_DEP_1) | instskip(NEXT) | instid1(VALU_DEP_1)
	v_mul_lo_u32 v5, s7, v4
	v_mul_hi_u32 v5, v4, v5
	s_delay_alu instid0(VALU_DEP_1) | instskip(NEXT) | instid1(VALU_DEP_1)
	v_add_nc_u32_e32 v4, v4, v5
	v_mul_hi_u32 v4, s77, v4
	s_delay_alu instid0(VALU_DEP_1) | instskip(NEXT) | instid1(VALU_DEP_1)
	v_mul_lo_u32 v4, v4, s33
	v_sub_nc_u32_e32 v4, s77, v4
	s_delay_alu instid0(VALU_DEP_1) | instskip(SKIP_1) | instid1(VALU_DEP_2)
	v_subrev_nc_u32_e32 v5, s33, v4
	v_cmp_le_u32_e32 vcc_lo, s33, v4
	v_cndmask_b32_e32 v4, v4, v5, vcc_lo
	s_delay_alu instid0(VALU_DEP_1) | instskip(SKIP_1) | instid1(VALU_DEP_2)
	v_subrev_nc_u32_e32 v5, s33, v4
	v_cmp_le_u32_e32 vcc_lo, s33, v4
	v_cndmask_b32_e32 v12, v4, v5, vcc_lo
	s_delay_alu instid0(VALU_DEP_1)
	v_dual_mov_b32 v4, v12 :: v_dual_mov_b32 v5, v13
.LBB120_331:                            ;   in Loop: Header=BB120_6 Depth=1
	s_delay_alu instid0(VALU_DEP_1) | instskip(NEXT) | instid1(VALU_DEP_2)
	v_sub_co_u32 v4, vcc_lo, s77, v4
	v_sub_co_ci_u32_e32 v5, vcc_lo, s27, v5, vcc_lo
	s_mov_b32 s7, 0
	s_mov_b32 s8, exec_lo
                                        ; implicit-def: $vgpr36
	s_delay_alu instid0(VALU_DEP_1)
	v_cmpx_gt_u64_e64 v[4:5], v[0:1]
	s_cbranch_execz .LBB120_339
; %bb.332:                              ;   in Loop: Header=BB120_6 Depth=1
	v_dual_mov_b32 v6, v10 :: v_dual_mov_b32 v7, v11
	v_dual_mov_b32 v9, v1 :: v_dual_mov_b32 v8, v0
	s_mov_b32 s9, 0
                                        ; implicit-def: $sgpr16
	s_set_inst_prefetch_distance 0x1
	s_branch .LBB120_334
	.p2align	6
.LBB120_333:                            ;   in Loop: Header=BB120_334 Depth=2
	s_or_b32 exec_lo, exec_lo, s7
	s_waitcnt lgkmcnt(0)
	s_barrier
	buffer_gl0_inv
	ds_load_u16 v12, v13 offset:3072
	v_add_co_u32 v8, vcc_lo, v8, s33
	v_add_co_ci_u32_e32 v9, vcc_lo, 0, v9, vcc_lo
	s_waitcnt lgkmcnt(0)
	s_barrier
	buffer_gl0_inv
	v_cmp_ge_u64_e32 vcc_lo, v[8:9], v[4:5]
	v_and_b32_e32 v23, 0xff, v12
	s_delay_alu instid0(VALU_DEP_1) | instskip(NEXT) | instid1(VALU_DEP_1)
	v_cmp_ne_u16_e64 s7, 0, v23
	s_or_b32 s17, vcc_lo, s7
	v_add_co_u32 v6, vcc_lo, v6, s68
	s_and_b32 s17, exec_lo, s17
	v_add_co_ci_u32_e32 v7, vcc_lo, s41, v7, vcc_lo
	s_or_b32 s9, s17, s9
	s_and_not1_b32 s16, s16, exec_lo
	s_and_b32 s7, s7, exec_lo
	s_delay_alu instid0(SALU_CYCLE_1)
	s_or_b32 s16, s16, s7
	s_and_not1_b32 exec_lo, exec_lo, s9
	s_cbranch_execz .LBB120_338
.LBB120_334:                            ;   Parent Loop BB120_6 Depth=1
                                        ; =>  This Inner Loop Header: Depth=2
	s_delay_alu instid0(VALU_DEP_1)
	v_cmp_gt_u64_e32 vcc_lo, s[28:29], v[8:9]
	v_mov_b32_e32 v12, 0
	s_and_saveexec_b32 s7, vcc_lo
	s_cbranch_execz .LBB120_336
; %bb.335:                              ;   in Loop: Header=BB120_334 Depth=2
	global_load_u8 v12, v[6:7], off
.LBB120_336:                            ;   in Loop: Header=BB120_334 Depth=2
	s_or_b32 exec_lo, exec_lo, s7
	s_waitcnt vmcnt(0)
	v_and_b32_e32 v23, v12, v34
	s_delay_alu instid0(VALU_DEP_1) | instskip(NEXT) | instid1(VALU_DEP_1)
	v_and_b32_e32 v23, 0xff, v23
	v_cmp_eq_u32_e64 s7, v23, v35
	s_delay_alu instid0(VALU_DEP_1) | instskip(NEXT) | instid1(SALU_CYCLE_1)
	s_and_b32 s17, vcc_lo, s7
	s_and_saveexec_b32 s7, s17
	s_cbranch_execz .LBB120_333
; %bb.337:                              ;   in Loop: Header=BB120_334 Depth=2
	v_lshlrev_b16 v12, 8, v12
	s_delay_alu instid0(VALU_DEP_1)
	v_or_b32_e32 v12, 1, v12
	ds_store_b16 v13, v12 offset:3072
	s_branch .LBB120_333
.LBB120_338:                            ;   in Loop: Header=BB120_6 Depth=1
	s_set_inst_prefetch_distance 0x2
	s_or_b32 exec_lo, exec_lo, s9
	v_lshrrev_b16 v36, 8, v12
	s_and_b32 s7, s16, exec_lo
.LBB120_339:                            ;   in Loop: Header=BB120_6 Depth=1
	s_or_b32 exec_lo, exec_lo, s8
	s_mov_b32 s17, 0
	s_mov_b32 s16, -1
	s_mov_b32 s57, 0
.LBB120_340:                            ;   in Loop: Header=BB120_6 Depth=1
	s_or_not1_b32 s7, s7, exec_lo
.LBB120_341:                            ;   in Loop: Header=BB120_6 Depth=1
	s_or_b32 exec_lo, exec_lo, s58
	s_mov_b32 s26, 0
                                        ; implicit-def: $vgpr6
	s_and_saveexec_b32 s58, s7
	s_cbranch_execz .LBB120_450
; %bb.342:                              ;   in Loop: Header=BB120_6 Depth=1
	v_mov_b32_e32 v4, 1
	v_dual_mov_b32 v5, 0 :: v_dual_mov_b32 v6, 1
	s_xor_b32 s8, s59, -1
	s_delay_alu instid0(SALU_CYCLE_1)
	s_and_saveexec_b32 s7, s8
	s_cbranch_execz .LBB120_352
; %bb.343:                              ;   in Loop: Header=BB120_6 Depth=1
	s_mov_b32 s9, exec_lo
                                        ; implicit-def: $sgpr26
                                        ; implicit-def: $sgpr8
	v_cmpx_ge_u64_e64 s[14:15], v[2:3]
	s_xor_b32 s9, exec_lo, s9
	s_cbranch_execz .LBB120_349
; %bb.344:                              ;   in Loop: Header=BB120_6 Depth=1
	ds_load_b64 v[4:5], v13 offset:5120
	s_waitcnt lgkmcnt(0)
	v_cmp_ne_u64_e32 vcc_lo, 0, v[4:5]
	s_cbranch_vccnz .LBB120_348
; %bb.345:                              ;   in Loop: Header=BB120_6 Depth=1
	s_and_saveexec_b32 s8, s5
	s_cbranch_execz .LBB120_347
; %bb.346:                              ;   in Loop: Header=BB120_6 Depth=1
	v_dual_mov_b32 v4, s14 :: v_dual_mov_b32 v5, s15
	ds_store_b64 v13, v[4:5] offset:5128
.LBB120_347:                            ;   in Loop: Header=BB120_6 Depth=1
	s_or_b32 exec_lo, exec_lo, s8
	s_waitcnt lgkmcnt(0)
	s_barrier
	buffer_gl0_inv
.LBB120_348:                            ;   in Loop: Header=BB120_6 Depth=1
	s_lshl_b32 s8, 2, s22
	v_or_b32_e32 v34, s20, v34
	v_and_or_b32 v35, v35, s21, s8
	s_mov_b32 s8, 0
	s_mov_b32 s26, 5
.LBB120_349:                            ;   in Loop: Header=BB120_6 Depth=1
	s_or_saveexec_b32 s9, s9
	v_mov_b32_e32 v6, s26
	s_xor_b32 exec_lo, exec_lo, s9
; %bb.350:                              ;   in Loop: Header=BB120_6 Depth=1
	v_sub_co_u32 v2, vcc_lo, v2, s14
	v_subrev_co_ci_u32_e32 v3, vcc_lo, s15, v3, vcc_lo
	v_mov_b32_e32 v6, 0
	s_or_b32 s8, s8, exec_lo
; %bb.351:                              ;   in Loop: Header=BB120_6 Depth=1
	s_or_b32 exec_lo, exec_lo, s9
	s_delay_alu instid0(VALU_DEP_2)
	v_dual_mov_b32 v5, v3 :: v_dual_mov_b32 v4, v2
	s_and_b32 s26, s8, exec_lo
.LBB120_352:                            ;   in Loop: Header=BB120_6 Depth=1
	s_or_b32 exec_lo, exec_lo, s7
	s_mov_b32 s7, -1
                                        ; implicit-def: $sgpr8
                                        ; implicit-def: $sgpr9
                                        ; implicit-def: $sgpr14
	s_and_saveexec_b32 s59, s26
	s_cbranch_execz .LBB120_449
; %bb.353:                              ;   in Loop: Header=BB120_6 Depth=1
	v_cmp_eq_u64_e32 vcc_lo, 1, v[4:5]
	s_cmp_eq_u64 s[12:13], 1
                                        ; implicit-def: $sgpr14
                                        ; implicit-def: $sgpr15
                                        ; implicit-def: $sgpr60
	s_cselect_b32 s7, -1, 0
	s_delay_alu instid0(SALU_CYCLE_1)
	s_and_b32 s62, s7, vcc_lo
	s_mov_b32 s7, -1
	s_and_saveexec_b32 s61, s62
	s_cbranch_execz .LBB120_385
; %bb.354:                              ;   in Loop: Header=BB120_6 Depth=1
	ds_load_b64 v[2:3], v13 offset:5120
	s_waitcnt lgkmcnt(0)
	s_barrier
	buffer_gl0_inv
	v_readfirstlane_b32 s8, v2
	v_readfirstlane_b32 s9, v3
	s_and_saveexec_b32 s7, s6
	s_cbranch_execz .LBB120_356
; %bb.355:                              ;   in Loop: Header=BB120_6 Depth=1
	ds_store_b8 v0, v13 offset:3072
.LBB120_356:                            ;   in Loop: Header=BB120_6 Depth=1
	s_or_b32 exec_lo, exec_lo, s7
	s_lshl_b32 s7, 1, s22
	v_or_b32_e32 v34, s20, v34
	v_and_or_b32 v35, v35, s21, s7
	s_cmp_eq_u64 s[8:9], 0
	s_waitcnt lgkmcnt(0)
	s_barrier
	buffer_gl0_inv
	s_cbranch_scc1 .LBB120_369
; %bb.357:                              ;   in Loop: Header=BB120_6 Depth=1
	s_add_u32 s26, s75, s8
	s_addc_u32 s15, s76, s9
	s_mov_b32 s14, s49
	s_delay_alu instid0(SALU_CYCLE_1)
	s_cmp_lg_u64 s[14:15], 0
	s_cbranch_scc0 .LBB120_403
; %bb.358:                              ;   in Loop: Header=BB120_6 Depth=1
	v_cvt_f32_u32_e32 v2, s33
	s_sub_u32 s60, 0, s33
	s_subb_u32 s63, 0, 0
	s_delay_alu instid0(VALU_DEP_1) | instskip(NEXT) | instid1(VALU_DEP_1)
	v_fmac_f32_e64 v2, 0, 0x4f800000
	v_rcp_f32_e32 v2, v2
	s_waitcnt_depctr 0xfff
	v_mul_f32_e32 v2, 0x5f7ffffc, v2
	s_delay_alu instid0(VALU_DEP_1) | instskip(NEXT) | instid1(VALU_DEP_1)
	v_mul_f32_e32 v3, 0x2f800000, v2
	v_trunc_f32_e32 v3, v3
	s_delay_alu instid0(VALU_DEP_1) | instskip(SKIP_1) | instid1(VALU_DEP_2)
	v_fmac_f32_e32 v2, 0xcf800000, v3
	v_cvt_u32_f32_e32 v3, v3
	v_cvt_u32_f32_e32 v2, v2
	s_delay_alu instid0(VALU_DEP_2) | instskip(NEXT) | instid1(VALU_DEP_2)
	v_readfirstlane_b32 s7, v3
	v_readfirstlane_b32 s14, v2
	s_delay_alu instid0(VALU_DEP_2) | instskip(NEXT) | instid1(VALU_DEP_1)
	s_mul_i32 s64, s60, s7
	s_mul_hi_u32 s66, s60, s14
	s_mul_i32 s65, s63, s14
	s_add_i32 s64, s66, s64
	s_mul_i32 s67, s60, s14
	s_add_i32 s64, s64, s65
	s_mul_hi_u32 s66, s14, s67
	s_mul_hi_u32 s95, s7, s67
	s_mul_i32 s65, s7, s67
	s_mul_hi_u32 s67, s14, s64
	s_mul_i32 s14, s14, s64
	s_mul_hi_u32 s96, s7, s64
	s_add_u32 s14, s66, s14
	s_addc_u32 s66, 0, s67
	s_add_u32 s14, s14, s65
	s_mul_i32 s64, s7, s64
	s_addc_u32 s14, s66, s95
	s_addc_u32 s65, s96, 0
	s_add_u32 s14, s14, s64
	s_addc_u32 s64, 0, s65
	v_add_co_u32 v2, s14, v2, s14
	s_delay_alu instid0(VALU_DEP_1) | instskip(SKIP_1) | instid1(VALU_DEP_1)
	s_cmp_lg_u32 s14, 0
	s_addc_u32 s7, s7, s64
	v_readfirstlane_b32 s14, v2
	s_mul_i32 s64, s60, s7
	s_delay_alu instid0(VALU_DEP_1)
	s_mul_hi_u32 s65, s60, s14
	s_mul_i32 s63, s63, s14
	s_add_i32 s64, s65, s64
	s_mul_i32 s60, s60, s14
	s_add_i32 s64, s64, s63
	s_mul_hi_u32 s65, s7, s60
	s_mul_i32 s66, s7, s60
	s_mul_hi_u32 s60, s14, s60
	s_mul_hi_u32 s67, s14, s64
	s_mul_i32 s14, s14, s64
	s_mul_hi_u32 s63, s7, s64
	s_add_u32 s14, s60, s14
	s_addc_u32 s60, 0, s67
	s_add_u32 s14, s14, s66
	s_mul_i32 s64, s7, s64
	s_addc_u32 s14, s60, s65
	s_addc_u32 s60, s63, 0
	s_add_u32 s14, s14, s64
	s_addc_u32 s60, 0, s60
	v_add_co_u32 v2, s14, v2, s14
	s_delay_alu instid0(VALU_DEP_1) | instskip(SKIP_1) | instid1(VALU_DEP_1)
	s_cmp_lg_u32 s14, 0
	s_addc_u32 s7, s7, s60
	v_readfirstlane_b32 s14, v2
	s_mul_i32 s63, s26, s7
	s_mul_hi_u32 s60, s26, s7
	s_mul_hi_u32 s64, s15, s7
	s_mul_i32 s7, s15, s7
	s_mul_hi_u32 s65, s26, s14
	s_mul_hi_u32 s66, s15, s14
	s_mul_i32 s14, s15, s14
	s_add_u32 s63, s65, s63
	s_addc_u32 s60, 0, s60
	s_add_u32 s14, s63, s14
	s_addc_u32 s14, s60, s66
	s_addc_u32 s60, s64, 0
	s_add_u32 s7, s14, s7
	s_addc_u32 s14, 0, s60
	s_mul_hi_u32 s60, s33, s7
	s_mul_i32 s7, s33, s7
	s_mul_i32 s14, s33, s14
	v_sub_co_u32 v2, s7, s26, s7
	s_add_i32 s60, s60, s14
	s_cmp_lg_u32 s7, 0
	s_delay_alu instid0(VALU_DEP_1) | instskip(SKIP_2) | instid1(VALU_DEP_1)
	v_sub_co_u32 v3, s7, v2, s33
	s_subb_u32 s14, s15, s60
	s_cmp_lg_u32 s7, 0
	v_cmp_le_u32_e32 vcc_lo, s33, v3
	v_sub_co_u32 v6, s7, v3, s33
	s_subb_u32 s60, s14, 0
	s_cmp_lg_u32 s7, 0
	v_cndmask_b32_e64 v7, 0, -1, vcc_lo
	s_subb_u32 s7, s60, 0
	s_cmp_eq_u32 s60, 0
	v_mov_b32_e32 v9, s7
	s_cselect_b32 vcc_lo, -1, 0
	s_cmp_eq_u32 s14, 0
	v_cndmask_b32_e32 v7, -1, v7, vcc_lo
	v_cmp_le_u32_e32 vcc_lo, s33, v2
	s_cselect_b32 s7, -1, 0
	v_cndmask_b32_e64 v8, 0, -1, vcc_lo
	s_delay_alu instid0(VALU_DEP_3) | instskip(NEXT) | instid1(VALU_DEP_2)
	v_cmp_ne_u32_e32 vcc_lo, 0, v7
	v_cndmask_b32_e64 v7, -1, v8, s7
	v_cndmask_b32_e32 v8, s60, v9, vcc_lo
	v_cndmask_b32_e32 v6, v3, v6, vcc_lo
	s_delay_alu instid0(VALU_DEP_3) | instskip(NEXT) | instid1(VALU_DEP_3)
	v_cmp_ne_u32_e32 vcc_lo, 0, v7
	v_cndmask_b32_e32 v3, s14, v8, vcc_lo
	s_delay_alu instid0(VALU_DEP_3)
	v_cndmask_b32_e32 v2, v2, v6, vcc_lo
	s_cbranch_execnz .LBB120_360
.LBB120_359:                            ;   in Loop: Header=BB120_6 Depth=1
	v_cvt_f32_u32_e32 v2, s33
	s_sub_i32 s7, 0, s33
	s_delay_alu instid0(VALU_DEP_1) | instskip(SKIP_2) | instid1(VALU_DEP_1)
	v_rcp_iflag_f32_e32 v2, v2
	s_waitcnt_depctr 0xfff
	v_mul_f32_e32 v2, 0x4f7ffffe, v2
	v_cvt_u32_f32_e32 v2, v2
	s_delay_alu instid0(VALU_DEP_1) | instskip(NEXT) | instid1(VALU_DEP_1)
	v_mul_lo_u32 v3, s7, v2
	v_mul_hi_u32 v3, v2, v3
	s_delay_alu instid0(VALU_DEP_1) | instskip(NEXT) | instid1(VALU_DEP_1)
	v_add_nc_u32_e32 v2, v2, v3
	v_mul_hi_u32 v2, s26, v2
	s_delay_alu instid0(VALU_DEP_1) | instskip(NEXT) | instid1(VALU_DEP_1)
	v_mul_lo_u32 v2, v2, s33
	v_sub_nc_u32_e32 v2, s26, v2
	s_delay_alu instid0(VALU_DEP_1) | instskip(SKIP_1) | instid1(VALU_DEP_2)
	v_subrev_nc_u32_e32 v3, s33, v2
	v_cmp_le_u32_e32 vcc_lo, s33, v2
	v_cndmask_b32_e32 v2, v2, v3, vcc_lo
	s_delay_alu instid0(VALU_DEP_1) | instskip(SKIP_1) | instid1(VALU_DEP_2)
	v_subrev_nc_u32_e32 v3, s33, v2
	v_cmp_le_u32_e32 vcc_lo, s33, v2
	v_cndmask_b32_e32 v12, v2, v3, vcc_lo
	s_delay_alu instid0(VALU_DEP_1)
	v_dual_mov_b32 v2, v12 :: v_dual_mov_b32 v3, v13
.LBB120_360:                            ;   in Loop: Header=BB120_6 Depth=1
	s_delay_alu instid0(VALU_DEP_1) | instskip(NEXT) | instid1(VALU_DEP_2)
	v_sub_co_u32 v2, vcc_lo, s26, v2
	v_sub_co_ci_u32_e32 v3, vcc_lo, s15, v3, vcc_lo
	s_mov_b32 s7, 0
	s_mov_b32 s14, exec_lo
                                        ; implicit-def: $vgpr36
	s_delay_alu instid0(VALU_DEP_1)
	v_cmpx_gt_u64_e64 v[2:3], v[0:1]
	s_cbranch_execz .LBB120_371
; %bb.361:                              ;   in Loop: Header=BB120_6 Depth=1
	v_dual_mov_b32 v8, v0 :: v_dual_mov_b32 v7, v1
	v_mov_b32_e32 v6, v0
	s_mov_b32 s15, 0
                                        ; implicit-def: $sgpr26
	s_set_inst_prefetch_distance 0x1
	s_branch .LBB120_363
	.p2align	6
.LBB120_362:                            ;   in Loop: Header=BB120_363 Depth=2
	s_or_b32 exec_lo, exec_lo, s7
	s_waitcnt lgkmcnt(0)
	s_barrier
	buffer_gl0_inv
	ds_load_u16 v9, v13 offset:3072
	v_add_co_u32 v6, vcc_lo, v6, s33
	v_add_co_ci_u32_e32 v7, vcc_lo, 0, v7, vcc_lo
	v_add_nc_u32_e32 v8, s33, v8
	s_waitcnt lgkmcnt(0)
	s_barrier
	s_delay_alu instid0(VALU_DEP_2) | instskip(SKIP_2) | instid1(VALU_DEP_1)
	v_cmp_ge_u64_e32 vcc_lo, v[6:7], v[2:3]
	buffer_gl0_inv
	v_and_b32_e32 v12, 0xff, v9
	v_cmp_ne_u16_e64 s7, 0, v12
	s_delay_alu instid0(VALU_DEP_1) | instskip(NEXT) | instid1(SALU_CYCLE_1)
	s_or_b32 s60, vcc_lo, s7
	s_and_b32 s60, exec_lo, s60
	s_delay_alu instid0(SALU_CYCLE_1) | instskip(SKIP_2) | instid1(SALU_CYCLE_1)
	s_or_b32 s15, s60, s15
	s_and_not1_b32 s26, s26, exec_lo
	s_and_b32 s7, s7, exec_lo
	s_or_b32 s26, s26, s7
	s_and_not1_b32 exec_lo, exec_lo, s15
	s_cbranch_execz .LBB120_370
.LBB120_363:                            ;   Parent Loop BB120_6 Depth=1
                                        ; =>  This Inner Loop Header: Depth=2
	s_delay_alu instid0(VALU_DEP_1)
	v_cmp_gt_u64_e32 vcc_lo, s[8:9], v[6:7]
	v_mov_b32_e32 v9, 0
	s_and_saveexec_b32 s7, vcc_lo
	s_cbranch_execz .LBB120_365
; %bb.364:                              ;   in Loop: Header=BB120_363 Depth=2
	ds_load_u8 v9, v8
.LBB120_365:                            ;   in Loop: Header=BB120_363 Depth=2
	s_or_b32 exec_lo, exec_lo, s7
	s_waitcnt lgkmcnt(0)
	v_and_b32_e32 v12, v9, v34
	s_delay_alu instid0(VALU_DEP_1) | instskip(NEXT) | instid1(VALU_DEP_1)
	v_and_b32_e32 v12, 0xff, v12
	v_cmp_eq_u32_e64 s7, v12, v35
	s_delay_alu instid0(VALU_DEP_1) | instskip(NEXT) | instid1(SALU_CYCLE_1)
	s_and_b32 s60, vcc_lo, s7
	s_and_saveexec_b32 s7, s60
	s_cbranch_execz .LBB120_362
; %bb.366:                              ;   in Loop: Header=BB120_363 Depth=2
	v_lshlrev_b16 v9, 8, v9
	s_delay_alu instid0(VALU_DEP_1)
	v_or_b32_e32 v9, 1, v9
	ds_store_b16 v13, v9 offset:3072
	s_branch .LBB120_362
.LBB120_367:                            ;   in Loop: Header=BB120_6 Depth=1
                                        ; implicit-def: $vgpr4_vgpr5
	s_branch .LBB120_315
.LBB120_368:                            ;   in Loop: Header=BB120_6 Depth=1
                                        ; implicit-def: $vgpr4_vgpr5
	s_branch .LBB120_330
.LBB120_369:                            ;   in Loop: Header=BB120_6 Depth=1
	s_mov_b32 s14, -1
	s_mov_b32 s7, 0
                                        ; implicit-def: $sgpr15
                                        ; implicit-def: $vgpr36
	s_mov_b32 s60, s14
	s_cbranch_execnz .LBB120_372
	s_branch .LBB120_384
.LBB120_370:                            ;   in Loop: Header=BB120_6 Depth=1
	s_set_inst_prefetch_distance 0x2
	s_or_b32 exec_lo, exec_lo, s15
	v_lshrrev_b16 v36, 8, v9
	s_and_b32 s7, s26, exec_lo
.LBB120_371:                            ;   in Loop: Header=BB120_6 Depth=1
	s_or_b32 exec_lo, exec_lo, s14
	s_mov_b32 s14, 0
	s_mov_b32 s15, -1
	s_mov_b32 s60, s14
	s_branch .LBB120_384
.LBB120_372:                            ;   in Loop: Header=BB120_6 Depth=1
	s_mov_b32 s26, s49
	s_delay_alu instid0(SALU_CYCLE_1)
	s_cmp_lg_u64 s[26:27], 0
	s_cbranch_scc0 .LBB120_404
; %bb.373:                              ;   in Loop: Header=BB120_6 Depth=1
	v_cvt_f32_u32_e32 v2, s33
	s_sub_u32 s9, 0, s33
	s_subb_u32 s14, 0, 0
	s_delay_alu instid0(VALU_DEP_1) | instskip(NEXT) | instid1(VALU_DEP_1)
	v_fmac_f32_e64 v2, 0, 0x4f800000
	v_rcp_f32_e32 v2, v2
	s_waitcnt_depctr 0xfff
	v_mul_f32_e32 v2, 0x5f7ffffc, v2
	s_delay_alu instid0(VALU_DEP_1) | instskip(NEXT) | instid1(VALU_DEP_1)
	v_mul_f32_e32 v3, 0x2f800000, v2
	v_trunc_f32_e32 v3, v3
	s_delay_alu instid0(VALU_DEP_1) | instskip(SKIP_1) | instid1(VALU_DEP_2)
	v_fmac_f32_e32 v2, 0xcf800000, v3
	v_cvt_u32_f32_e32 v3, v3
	v_cvt_u32_f32_e32 v2, v2
	s_delay_alu instid0(VALU_DEP_2) | instskip(NEXT) | instid1(VALU_DEP_2)
	v_readfirstlane_b32 s7, v3
	v_readfirstlane_b32 s8, v2
	s_delay_alu instid0(VALU_DEP_2) | instskip(NEXT) | instid1(VALU_DEP_1)
	s_mul_i32 s15, s9, s7
	s_mul_hi_u32 s60, s9, s8
	s_mul_i32 s26, s14, s8
	s_add_i32 s15, s60, s15
	s_mul_i32 s63, s9, s8
	s_add_i32 s15, s15, s26
	s_mul_hi_u32 s60, s8, s63
	s_mul_hi_u32 s64, s7, s63
	s_mul_i32 s26, s7, s63
	s_mul_hi_u32 s63, s8, s15
	s_mul_i32 s8, s8, s15
	s_mul_hi_u32 s65, s7, s15
	s_add_u32 s8, s60, s8
	s_addc_u32 s60, 0, s63
	s_add_u32 s8, s8, s26
	s_mul_i32 s15, s7, s15
	s_addc_u32 s8, s60, s64
	s_addc_u32 s26, s65, 0
	s_add_u32 s8, s8, s15
	s_addc_u32 s15, 0, s26
	v_add_co_u32 v2, s8, v2, s8
	s_delay_alu instid0(VALU_DEP_1) | instskip(SKIP_1) | instid1(VALU_DEP_1)
	s_cmp_lg_u32 s8, 0
	s_addc_u32 s7, s7, s15
	v_readfirstlane_b32 s8, v2
	s_mul_i32 s15, s9, s7
	s_delay_alu instid0(VALU_DEP_1)
	s_mul_hi_u32 s26, s9, s8
	s_mul_i32 s14, s14, s8
	s_add_i32 s15, s26, s15
	s_mul_i32 s9, s9, s8
	s_add_i32 s15, s15, s14
	s_mul_hi_u32 s26, s7, s9
	s_mul_i32 s60, s7, s9
	s_mul_hi_u32 s9, s8, s9
	s_mul_hi_u32 s63, s8, s15
	s_mul_i32 s8, s8, s15
	s_mul_hi_u32 s14, s7, s15
	s_add_u32 s8, s9, s8
	s_addc_u32 s9, 0, s63
	s_add_u32 s8, s8, s60
	s_mul_i32 s15, s7, s15
	s_addc_u32 s8, s9, s26
	s_addc_u32 s9, s14, 0
	s_add_u32 s8, s8, s15
	s_addc_u32 s9, 0, s9
	v_add_co_u32 v2, s8, v2, s8
	s_delay_alu instid0(VALU_DEP_1) | instskip(SKIP_1) | instid1(VALU_DEP_1)
	s_cmp_lg_u32 s8, 0
	s_addc_u32 s7, s7, s9
	v_readfirstlane_b32 s8, v2
	s_mul_i32 s14, s77, s7
	s_mul_hi_u32 s9, s77, s7
	s_mul_hi_u32 s15, s27, s7
	s_mul_i32 s7, s27, s7
	s_mul_hi_u32 s26, s77, s8
	s_mul_hi_u32 s60, s27, s8
	s_mul_i32 s8, s27, s8
	s_add_u32 s14, s26, s14
	s_addc_u32 s9, 0, s9
	s_add_u32 s8, s14, s8
	s_addc_u32 s8, s9, s60
	s_addc_u32 s9, s15, 0
	s_add_u32 s7, s8, s7
	s_addc_u32 s8, 0, s9
	s_mul_hi_u32 s9, s33, s7
	s_mul_i32 s7, s33, s7
	s_mul_i32 s8, s33, s8
	v_sub_co_u32 v2, s7, s77, s7
	s_add_i32 s9, s9, s8
	s_cmp_lg_u32 s7, 0
	s_delay_alu instid0(VALU_DEP_1) | instskip(SKIP_2) | instid1(VALU_DEP_1)
	v_sub_co_u32 v3, s7, v2, s33
	s_subb_u32 s8, s27, s9
	s_cmp_lg_u32 s7, 0
	v_cmp_le_u32_e32 vcc_lo, s33, v3
	v_sub_co_u32 v6, s7, v3, s33
	s_subb_u32 s9, s8, 0
	s_cmp_lg_u32 s7, 0
	v_cndmask_b32_e64 v7, 0, -1, vcc_lo
	s_subb_u32 s7, s9, 0
	s_cmp_eq_u32 s9, 0
	v_mov_b32_e32 v9, s7
	s_cselect_b32 vcc_lo, -1, 0
	s_cmp_eq_u32 s8, 0
	v_cndmask_b32_e32 v7, -1, v7, vcc_lo
	v_cmp_le_u32_e32 vcc_lo, s33, v2
	s_cselect_b32 s7, -1, 0
	v_cndmask_b32_e64 v8, 0, -1, vcc_lo
	s_delay_alu instid0(VALU_DEP_3) | instskip(NEXT) | instid1(VALU_DEP_2)
	v_cmp_ne_u32_e32 vcc_lo, 0, v7
	v_cndmask_b32_e64 v7, -1, v8, s7
	v_cndmask_b32_e32 v8, s9, v9, vcc_lo
	v_cndmask_b32_e32 v6, v3, v6, vcc_lo
	s_delay_alu instid0(VALU_DEP_3) | instskip(NEXT) | instid1(VALU_DEP_3)
	v_cmp_ne_u32_e32 vcc_lo, 0, v7
	v_cndmask_b32_e32 v3, s8, v8, vcc_lo
	s_delay_alu instid0(VALU_DEP_3)
	v_cndmask_b32_e32 v2, v2, v6, vcc_lo
	s_cbranch_execnz .LBB120_375
.LBB120_374:                            ;   in Loop: Header=BB120_6 Depth=1
	v_cvt_f32_u32_e32 v2, s33
	s_sub_i32 s7, 0, s33
	s_delay_alu instid0(VALU_DEP_1) | instskip(SKIP_2) | instid1(VALU_DEP_1)
	v_rcp_iflag_f32_e32 v2, v2
	s_waitcnt_depctr 0xfff
	v_mul_f32_e32 v2, 0x4f7ffffe, v2
	v_cvt_u32_f32_e32 v2, v2
	s_delay_alu instid0(VALU_DEP_1) | instskip(NEXT) | instid1(VALU_DEP_1)
	v_mul_lo_u32 v3, s7, v2
	v_mul_hi_u32 v3, v2, v3
	s_delay_alu instid0(VALU_DEP_1) | instskip(NEXT) | instid1(VALU_DEP_1)
	v_add_nc_u32_e32 v2, v2, v3
	v_mul_hi_u32 v2, s77, v2
	s_delay_alu instid0(VALU_DEP_1) | instskip(NEXT) | instid1(VALU_DEP_1)
	v_mul_lo_u32 v2, v2, s33
	v_sub_nc_u32_e32 v2, s77, v2
	s_delay_alu instid0(VALU_DEP_1) | instskip(SKIP_1) | instid1(VALU_DEP_2)
	v_subrev_nc_u32_e32 v3, s33, v2
	v_cmp_le_u32_e32 vcc_lo, s33, v2
	v_cndmask_b32_e32 v2, v2, v3, vcc_lo
	s_delay_alu instid0(VALU_DEP_1) | instskip(SKIP_1) | instid1(VALU_DEP_2)
	v_subrev_nc_u32_e32 v3, s33, v2
	v_cmp_le_u32_e32 vcc_lo, s33, v2
	v_cndmask_b32_e32 v12, v2, v3, vcc_lo
	s_delay_alu instid0(VALU_DEP_1)
	v_dual_mov_b32 v2, v12 :: v_dual_mov_b32 v3, v13
.LBB120_375:                            ;   in Loop: Header=BB120_6 Depth=1
	s_delay_alu instid0(VALU_DEP_1) | instskip(NEXT) | instid1(VALU_DEP_2)
	v_sub_co_u32 v2, vcc_lo, s77, v2
	v_sub_co_ci_u32_e32 v3, vcc_lo, s27, v3, vcc_lo
	s_mov_b32 s7, 0
	s_mov_b32 s8, exec_lo
                                        ; implicit-def: $vgpr36
	s_delay_alu instid0(VALU_DEP_1)
	v_cmpx_gt_u64_e64 v[2:3], v[0:1]
	s_cbranch_execz .LBB120_383
; %bb.376:                              ;   in Loop: Header=BB120_6 Depth=1
	v_dual_mov_b32 v6, v10 :: v_dual_mov_b32 v7, v11
	v_dual_mov_b32 v9, v1 :: v_dual_mov_b32 v8, v0
	s_mov_b32 s9, 0
                                        ; implicit-def: $sgpr14
	s_set_inst_prefetch_distance 0x1
	s_branch .LBB120_378
	.p2align	6
.LBB120_377:                            ;   in Loop: Header=BB120_378 Depth=2
	s_or_b32 exec_lo, exec_lo, s7
	s_waitcnt lgkmcnt(0)
	s_barrier
	buffer_gl0_inv
	ds_load_u16 v12, v13 offset:3072
	v_add_co_u32 v8, vcc_lo, v8, s33
	v_add_co_ci_u32_e32 v9, vcc_lo, 0, v9, vcc_lo
	s_waitcnt lgkmcnt(0)
	s_barrier
	buffer_gl0_inv
	v_cmp_ge_u64_e32 vcc_lo, v[8:9], v[2:3]
	v_and_b32_e32 v23, 0xff, v12
	s_delay_alu instid0(VALU_DEP_1) | instskip(NEXT) | instid1(VALU_DEP_1)
	v_cmp_ne_u16_e64 s7, 0, v23
	s_or_b32 s15, vcc_lo, s7
	v_add_co_u32 v6, vcc_lo, v6, s68
	s_and_b32 s15, exec_lo, s15
	v_add_co_ci_u32_e32 v7, vcc_lo, s41, v7, vcc_lo
	s_or_b32 s9, s15, s9
	s_and_not1_b32 s14, s14, exec_lo
	s_and_b32 s7, s7, exec_lo
	s_delay_alu instid0(SALU_CYCLE_1)
	s_or_b32 s14, s14, s7
	s_and_not1_b32 exec_lo, exec_lo, s9
	s_cbranch_execz .LBB120_382
.LBB120_378:                            ;   Parent Loop BB120_6 Depth=1
                                        ; =>  This Inner Loop Header: Depth=2
	s_delay_alu instid0(VALU_DEP_1)
	v_cmp_gt_u64_e32 vcc_lo, s[28:29], v[8:9]
	v_mov_b32_e32 v12, 0
	s_and_saveexec_b32 s7, vcc_lo
	s_cbranch_execz .LBB120_380
; %bb.379:                              ;   in Loop: Header=BB120_378 Depth=2
	global_load_u8 v12, v[6:7], off
.LBB120_380:                            ;   in Loop: Header=BB120_378 Depth=2
	s_or_b32 exec_lo, exec_lo, s7
	s_waitcnt vmcnt(0)
	v_and_b32_e32 v23, v12, v34
	s_delay_alu instid0(VALU_DEP_1) | instskip(NEXT) | instid1(VALU_DEP_1)
	v_and_b32_e32 v23, 0xff, v23
	v_cmp_eq_u32_e64 s7, v23, v35
	s_delay_alu instid0(VALU_DEP_1) | instskip(NEXT) | instid1(SALU_CYCLE_1)
	s_and_b32 s15, vcc_lo, s7
	s_and_saveexec_b32 s7, s15
	s_cbranch_execz .LBB120_377
; %bb.381:                              ;   in Loop: Header=BB120_378 Depth=2
	v_lshlrev_b16 v12, 8, v12
	s_delay_alu instid0(VALU_DEP_1)
	v_or_b32_e32 v12, 1, v12
	ds_store_b16 v13, v12 offset:3072
	s_branch .LBB120_377
.LBB120_382:                            ;   in Loop: Header=BB120_6 Depth=1
	s_set_inst_prefetch_distance 0x2
	s_or_b32 exec_lo, exec_lo, s9
	v_lshrrev_b16 v36, 8, v12
	s_and_b32 s7, s14, exec_lo
.LBB120_383:                            ;   in Loop: Header=BB120_6 Depth=1
	s_or_b32 exec_lo, exec_lo, s8
	s_mov_b32 s15, 0
	s_mov_b32 s14, -1
	s_mov_b32 s60, 0
.LBB120_384:                            ;   in Loop: Header=BB120_6 Depth=1
	s_or_not1_b32 s7, s7, exec_lo
.LBB120_385:                            ;   in Loop: Header=BB120_6 Depth=1
	s_or_b32 exec_lo, exec_lo, s61
	s_mov_b32 s26, 0
                                        ; implicit-def: $vgpr6
	s_and_saveexec_b32 s61, s7
	s_cbranch_execz .LBB120_448
; %bb.386:                              ;   in Loop: Header=BB120_6 Depth=1
	v_mov_b32_e32 v2, 1
	v_dual_mov_b32 v3, 0 :: v_dual_mov_b32 v6, 1
	s_xor_b32 s8, s62, -1
	s_delay_alu instid0(SALU_CYCLE_1)
	s_and_saveexec_b32 s7, s8
	s_cbranch_execz .LBB120_396
; %bb.387:                              ;   in Loop: Header=BB120_6 Depth=1
	s_mov_b32 s9, exec_lo
                                        ; implicit-def: $sgpr26
                                        ; implicit-def: $sgpr8
	v_cmpx_ge_u64_e64 s[12:13], v[4:5]
	s_xor_b32 s9, exec_lo, s9
	s_cbranch_execz .LBB120_393
; %bb.388:                              ;   in Loop: Header=BB120_6 Depth=1
	ds_load_b64 v[2:3], v13 offset:5120
	s_waitcnt lgkmcnt(0)
	v_cmp_ne_u64_e32 vcc_lo, 0, v[2:3]
	s_cbranch_vccnz .LBB120_392
; %bb.389:                              ;   in Loop: Header=BB120_6 Depth=1
	s_and_saveexec_b32 s8, s5
	s_cbranch_execz .LBB120_391
; %bb.390:                              ;   in Loop: Header=BB120_6 Depth=1
	v_dual_mov_b32 v2, s12 :: v_dual_mov_b32 v3, s13
	ds_store_b64 v13, v[2:3] offset:5128
.LBB120_391:                            ;   in Loop: Header=BB120_6 Depth=1
	s_or_b32 exec_lo, exec_lo, s8
	s_waitcnt lgkmcnt(0)
	s_barrier
	buffer_gl0_inv
.LBB120_392:                            ;   in Loop: Header=BB120_6 Depth=1
	s_lshl_b32 s8, 1, s22
	v_or_b32_e32 v34, s20, v34
	v_and_or_b32 v35, v35, s21, s8
	s_mov_b32 s8, 0
	s_mov_b32 s26, 5
.LBB120_393:                            ;   in Loop: Header=BB120_6 Depth=1
	s_or_saveexec_b32 s9, s9
	v_mov_b32_e32 v6, s26
	s_xor_b32 exec_lo, exec_lo, s9
; %bb.394:                              ;   in Loop: Header=BB120_6 Depth=1
	v_sub_co_u32 v4, vcc_lo, v4, s12
	v_subrev_co_ci_u32_e32 v5, vcc_lo, s13, v5, vcc_lo
	v_mov_b32_e32 v6, 0
	s_or_b32 s8, s8, exec_lo
; %bb.395:                              ;   in Loop: Header=BB120_6 Depth=1
	s_or_b32 exec_lo, exec_lo, s9
	s_delay_alu instid0(VALU_DEP_2)
	v_dual_mov_b32 v2, v4 :: v_dual_mov_b32 v3, v5
	s_and_b32 s26, s8, exec_lo
.LBB120_396:                            ;   in Loop: Header=BB120_6 Depth=1
	s_or_b32 exec_lo, exec_lo, s7
	s_mov_b32 s12, -1
                                        ; implicit-def: $sgpr7
                                        ; implicit-def: $sgpr8
                                        ; implicit-def: $sgpr9
	s_and_saveexec_b32 s22, s26
	s_cbranch_execz .LBB120_447
; %bb.397:                              ;   in Loop: Header=BB120_6 Depth=1
	v_cmp_eq_u64_e32 vcc_lo, 1, v[2:3]
	s_cmp_eq_u64 s[10:11], 1
	s_mov_b32 s13, -1
	s_cselect_b32 s7, -1, 0
                                        ; implicit-def: $sgpr8
                                        ; implicit-def: $sgpr9
	s_delay_alu instid0(SALU_CYCLE_1) | instskip(NEXT) | instid1(SALU_CYCLE_1)
	s_and_b32 s62, s7, vcc_lo
                                        ; implicit-def: $sgpr7
	s_and_saveexec_b32 s63, s62
	s_cbranch_execz .LBB120_434
; %bb.398:                              ;   in Loop: Header=BB120_6 Depth=1
	ds_load_b64 v[4:5], v13 offset:5120
	s_waitcnt lgkmcnt(0)
	s_barrier
	buffer_gl0_inv
	v_readfirstlane_b32 s8, v4
	v_readfirstlane_b32 s9, v5
	s_and_saveexec_b32 s7, s6
	s_cbranch_execz .LBB120_400
; %bb.399:                              ;   in Loop: Header=BB120_6 Depth=1
	ds_store_b8 v0, v13 offset:3072
.LBB120_400:                            ;   in Loop: Header=BB120_6 Depth=1
	s_or_b32 exec_lo, exec_lo, s7
	v_and_b32_e32 v35, s21, v35
	v_or_b32_e32 v34, s20, v34
	s_cmp_eq_u64 s[8:9], 0
	s_waitcnt lgkmcnt(0)
	s_barrier
	buffer_gl0_inv
	s_cbranch_scc1 .LBB120_405
; %bb.401:                              ;   in Loop: Header=BB120_6 Depth=1
	s_add_u32 s26, s75, s8
	s_addc_u32 s13, s76, s9
	s_mov_b32 s12, s49
	s_delay_alu instid0(SALU_CYCLE_1)
	s_cmp_lg_u64 s[12:13], 0
	s_cbranch_scc0 .LBB120_406
; %bb.402:                              ;   in Loop: Header=BB120_6 Depth=1
	v_cvt_f32_u32_e32 v4, s33
	s_sub_u32 s64, 0, s33
	s_subb_u32 s65, 0, 0
	s_delay_alu instid0(VALU_DEP_1) | instskip(NEXT) | instid1(VALU_DEP_1)
	v_fmac_f32_e64 v4, 0, 0x4f800000
	v_rcp_f32_e32 v4, v4
	s_waitcnt_depctr 0xfff
	v_mul_f32_e32 v4, 0x5f7ffffc, v4
	s_delay_alu instid0(VALU_DEP_1) | instskip(NEXT) | instid1(VALU_DEP_1)
	v_mul_f32_e32 v5, 0x2f800000, v4
	v_trunc_f32_e32 v5, v5
	s_delay_alu instid0(VALU_DEP_1) | instskip(SKIP_1) | instid1(VALU_DEP_2)
	v_fmac_f32_e32 v4, 0xcf800000, v5
	v_cvt_u32_f32_e32 v5, v5
	v_cvt_u32_f32_e32 v4, v4
	s_delay_alu instid0(VALU_DEP_2) | instskip(NEXT) | instid1(VALU_DEP_2)
	v_readfirstlane_b32 s7, v5
	v_readfirstlane_b32 s12, v4
	s_delay_alu instid0(VALU_DEP_2) | instskip(NEXT) | instid1(VALU_DEP_1)
	s_mul_i32 s66, s64, s7
	s_mul_hi_u32 s95, s64, s12
	s_mul_i32 s67, s65, s12
	s_add_i32 s66, s95, s66
	s_mul_i32 s96, s64, s12
	s_add_i32 s66, s66, s67
	s_mul_hi_u32 s95, s12, s96
	s_mul_hi_u32 s97, s7, s96
	s_mul_i32 s67, s7, s96
	s_mul_hi_u32 s96, s12, s66
	s_mul_i32 s12, s12, s66
	s_mul_hi_u32 s98, s7, s66
	s_add_u32 s12, s95, s12
	s_addc_u32 s95, 0, s96
	s_add_u32 s12, s12, s67
	s_mul_i32 s66, s7, s66
	s_addc_u32 s12, s95, s97
	s_addc_u32 s67, s98, 0
	s_add_u32 s12, s12, s66
	s_addc_u32 s66, 0, s67
	v_add_co_u32 v4, s12, v4, s12
	s_delay_alu instid0(VALU_DEP_1) | instskip(SKIP_1) | instid1(VALU_DEP_1)
	s_cmp_lg_u32 s12, 0
	s_addc_u32 s7, s7, s66
	v_readfirstlane_b32 s12, v4
	s_mul_i32 s66, s64, s7
	s_delay_alu instid0(VALU_DEP_1)
	s_mul_hi_u32 s67, s64, s12
	s_mul_i32 s65, s65, s12
	s_add_i32 s66, s67, s66
	s_mul_i32 s64, s64, s12
	s_add_i32 s66, s66, s65
	s_mul_hi_u32 s67, s7, s64
	s_mul_i32 s95, s7, s64
	s_mul_hi_u32 s64, s12, s64
	s_mul_hi_u32 s96, s12, s66
	s_mul_i32 s12, s12, s66
	s_mul_hi_u32 s65, s7, s66
	s_add_u32 s12, s64, s12
	s_addc_u32 s64, 0, s96
	s_add_u32 s12, s12, s95
	s_mul_i32 s66, s7, s66
	s_addc_u32 s12, s64, s67
	s_addc_u32 s64, s65, 0
	s_add_u32 s12, s12, s66
	s_addc_u32 s64, 0, s64
	v_add_co_u32 v4, s12, v4, s12
	s_delay_alu instid0(VALU_DEP_1) | instskip(SKIP_1) | instid1(VALU_DEP_1)
	s_cmp_lg_u32 s12, 0
	s_addc_u32 s7, s7, s64
	v_readfirstlane_b32 s12, v4
	s_mul_i32 s65, s26, s7
	s_mul_hi_u32 s64, s26, s7
	s_mul_hi_u32 s66, s13, s7
	s_mul_i32 s7, s13, s7
	s_mul_hi_u32 s67, s26, s12
	s_mul_hi_u32 s95, s13, s12
	s_mul_i32 s12, s13, s12
	s_add_u32 s65, s67, s65
	s_addc_u32 s64, 0, s64
	s_add_u32 s12, s65, s12
	s_addc_u32 s12, s64, s95
	s_addc_u32 s64, s66, 0
	s_add_u32 s7, s12, s7
	s_addc_u32 s12, 0, s64
	s_mul_hi_u32 s64, s33, s7
	s_mul_i32 s7, s33, s7
	s_mul_i32 s12, s33, s12
	v_sub_co_u32 v4, s7, s26, s7
	s_add_i32 s64, s64, s12
	s_cmp_lg_u32 s7, 0
	s_delay_alu instid0(VALU_DEP_1) | instskip(SKIP_2) | instid1(VALU_DEP_1)
	v_sub_co_u32 v5, s7, v4, s33
	s_subb_u32 s12, s13, s64
	s_cmp_lg_u32 s7, 0
	v_cmp_le_u32_e32 vcc_lo, s33, v5
	v_sub_co_u32 v6, s7, v5, s33
	s_subb_u32 s64, s12, 0
	s_cmp_lg_u32 s7, 0
	v_cndmask_b32_e64 v7, 0, -1, vcc_lo
	s_subb_u32 s7, s64, 0
	s_cmp_eq_u32 s64, 0
	v_mov_b32_e32 v9, s7
	s_cselect_b32 vcc_lo, -1, 0
	s_cmp_eq_u32 s12, 0
	v_cndmask_b32_e32 v7, -1, v7, vcc_lo
	v_cmp_le_u32_e32 vcc_lo, s33, v4
	s_cselect_b32 s7, -1, 0
	v_cndmask_b32_e64 v8, 0, -1, vcc_lo
	s_delay_alu instid0(VALU_DEP_3) | instskip(NEXT) | instid1(VALU_DEP_2)
	v_cmp_ne_u32_e32 vcc_lo, 0, v7
	v_cndmask_b32_e64 v7, -1, v8, s7
	v_cndmask_b32_e32 v8, s64, v9, vcc_lo
	v_cndmask_b32_e32 v6, v5, v6, vcc_lo
	s_mov_b32 s7, 0
	s_delay_alu instid0(VALU_DEP_3) | instskip(NEXT) | instid1(VALU_DEP_3)
	v_cmp_ne_u32_e32 vcc_lo, 0, v7
	v_cndmask_b32_e32 v5, s12, v8, vcc_lo
	s_delay_alu instid0(VALU_DEP_3)
	v_cndmask_b32_e32 v4, v4, v6, vcc_lo
	s_branch .LBB120_407
.LBB120_403:                            ;   in Loop: Header=BB120_6 Depth=1
                                        ; implicit-def: $vgpr2_vgpr3
	s_branch .LBB120_359
.LBB120_404:                            ;   in Loop: Header=BB120_6 Depth=1
                                        ; implicit-def: $vgpr2_vgpr3
	s_branch .LBB120_374
.LBB120_405:                            ;   in Loop: Header=BB120_6 Depth=1
	s_mov_b32 s7, -1
	s_mov_b32 s12, 0
                                        ; implicit-def: $sgpr8
                                        ; implicit-def: $vgpr36
	s_branch .LBB120_418
.LBB120_406:                            ;   in Loop: Header=BB120_6 Depth=1
	s_mov_b32 s7, -1
                                        ; implicit-def: $vgpr4_vgpr5
.LBB120_407:                            ;   in Loop: Header=BB120_6 Depth=1
	s_delay_alu instid0(SALU_CYCLE_1)
	s_and_not1_b32 vcc_lo, exec_lo, s7
	s_cbranch_vccnz .LBB120_409
; %bb.408:                              ;   in Loop: Header=BB120_6 Depth=1
	v_cvt_f32_u32_e32 v4, s33
	s_sub_i32 s7, 0, s33
	s_delay_alu instid0(VALU_DEP_1) | instskip(SKIP_2) | instid1(VALU_DEP_1)
	v_rcp_iflag_f32_e32 v4, v4
	s_waitcnt_depctr 0xfff
	v_mul_f32_e32 v4, 0x4f7ffffe, v4
	v_cvt_u32_f32_e32 v4, v4
	s_delay_alu instid0(VALU_DEP_1) | instskip(NEXT) | instid1(VALU_DEP_1)
	v_mul_lo_u32 v5, s7, v4
	v_mul_hi_u32 v5, v4, v5
	s_delay_alu instid0(VALU_DEP_1) | instskip(NEXT) | instid1(VALU_DEP_1)
	v_add_nc_u32_e32 v4, v4, v5
	v_mul_hi_u32 v4, s26, v4
	s_delay_alu instid0(VALU_DEP_1) | instskip(NEXT) | instid1(VALU_DEP_1)
	v_mul_lo_u32 v4, v4, s33
	v_sub_nc_u32_e32 v4, s26, v4
	s_delay_alu instid0(VALU_DEP_1) | instskip(SKIP_1) | instid1(VALU_DEP_2)
	v_subrev_nc_u32_e32 v5, s33, v4
	v_cmp_le_u32_e32 vcc_lo, s33, v4
	v_cndmask_b32_e32 v4, v4, v5, vcc_lo
	s_delay_alu instid0(VALU_DEP_1) | instskip(SKIP_1) | instid1(VALU_DEP_2)
	v_subrev_nc_u32_e32 v5, s33, v4
	v_cmp_le_u32_e32 vcc_lo, s33, v4
	v_cndmask_b32_e32 v12, v4, v5, vcc_lo
	s_delay_alu instid0(VALU_DEP_1)
	v_dual_mov_b32 v4, v12 :: v_dual_mov_b32 v5, v13
.LBB120_409:                            ;   in Loop: Header=BB120_6 Depth=1
	s_delay_alu instid0(VALU_DEP_1) | instskip(NEXT) | instid1(VALU_DEP_2)
	v_sub_co_u32 v4, vcc_lo, s26, v4
	v_sub_co_ci_u32_e32 v5, vcc_lo, s13, v5, vcc_lo
	s_mov_b32 s12, 0
	s_mov_b32 s13, exec_lo
                                        ; implicit-def: $vgpr36
	s_delay_alu instid0(VALU_DEP_1)
	v_cmpx_gt_u64_e64 v[4:5], v[0:1]
	s_cbranch_execz .LBB120_417
; %bb.410:                              ;   in Loop: Header=BB120_6 Depth=1
	v_dual_mov_b32 v8, v0 :: v_dual_mov_b32 v7, v1
	v_mov_b32_e32 v6, v0
                                        ; implicit-def: $sgpr26
	s_set_inst_prefetch_distance 0x1
	s_branch .LBB120_412
	.p2align	6
.LBB120_411:                            ;   in Loop: Header=BB120_412 Depth=2
	s_or_b32 exec_lo, exec_lo, s7
	s_waitcnt lgkmcnt(0)
	s_barrier
	buffer_gl0_inv
	ds_load_u16 v9, v13 offset:3072
	v_add_co_u32 v6, vcc_lo, v6, s33
	v_add_co_ci_u32_e32 v7, vcc_lo, 0, v7, vcc_lo
	v_add_nc_u32_e32 v8, s33, v8
	s_waitcnt lgkmcnt(0)
	s_barrier
	s_delay_alu instid0(VALU_DEP_2) | instskip(SKIP_2) | instid1(VALU_DEP_1)
	v_cmp_ge_u64_e32 vcc_lo, v[6:7], v[4:5]
	buffer_gl0_inv
	v_and_b32_e32 v12, 0xff, v9
	v_cmp_ne_u16_e64 s7, 0, v12
	s_delay_alu instid0(VALU_DEP_1) | instskip(NEXT) | instid1(SALU_CYCLE_1)
	s_or_b32 s64, vcc_lo, s7
	s_and_b32 s64, exec_lo, s64
	s_delay_alu instid0(SALU_CYCLE_1) | instskip(SKIP_2) | instid1(SALU_CYCLE_1)
	s_or_b32 s12, s64, s12
	s_and_not1_b32 s26, s26, exec_lo
	s_and_b32 s7, s7, exec_lo
	s_or_b32 s26, s26, s7
	s_and_not1_b32 exec_lo, exec_lo, s12
	s_cbranch_execz .LBB120_416
.LBB120_412:                            ;   Parent Loop BB120_6 Depth=1
                                        ; =>  This Inner Loop Header: Depth=2
	s_delay_alu instid0(VALU_DEP_1)
	v_cmp_gt_u64_e32 vcc_lo, s[8:9], v[6:7]
	v_mov_b32_e32 v9, 0
	s_and_saveexec_b32 s7, vcc_lo
	s_cbranch_execz .LBB120_414
; %bb.413:                              ;   in Loop: Header=BB120_412 Depth=2
	ds_load_u8 v9, v8
.LBB120_414:                            ;   in Loop: Header=BB120_412 Depth=2
	s_or_b32 exec_lo, exec_lo, s7
	s_waitcnt lgkmcnt(0)
	v_and_b32_e32 v12, v9, v34
	s_delay_alu instid0(VALU_DEP_1) | instskip(NEXT) | instid1(VALU_DEP_1)
	v_and_b32_e32 v12, 0xff, v12
	v_cmp_eq_u32_e64 s7, v12, v35
	s_delay_alu instid0(VALU_DEP_1) | instskip(NEXT) | instid1(SALU_CYCLE_1)
	s_and_b32 s64, vcc_lo, s7
	s_and_saveexec_b32 s7, s64
	s_cbranch_execz .LBB120_411
; %bb.415:                              ;   in Loop: Header=BB120_412 Depth=2
	v_lshlrev_b16 v9, 8, v9
	s_delay_alu instid0(VALU_DEP_1)
	v_or_b32_e32 v9, 1, v9
	ds_store_b16 v13, v9 offset:3072
	s_branch .LBB120_411
.LBB120_416:                            ;   in Loop: Header=BB120_6 Depth=1
	s_set_inst_prefetch_distance 0x2
	s_or_b32 exec_lo, exec_lo, s12
	v_lshrrev_b16 v36, 8, v9
	s_and_b32 s12, s26, exec_lo
.LBB120_417:                            ;   in Loop: Header=BB120_6 Depth=1
	s_or_b32 exec_lo, exec_lo, s13
	s_mov_b32 s7, 0
	s_mov_b32 s8, -1
.LBB120_418:                            ;   in Loop: Header=BB120_6 Depth=1
	s_and_b32 vcc_lo, exec_lo, s7
	s_mov_b32 s9, s7
	s_cbranch_vccz .LBB120_433
; %bb.419:                              ;   in Loop: Header=BB120_6 Depth=1
	s_mov_b32 s26, s49
	s_delay_alu instid0(SALU_CYCLE_1)
	s_cmp_lg_u64 s[26:27], 0
	s_cbranch_scc0 .LBB120_421
; %bb.420:                              ;   in Loop: Header=BB120_6 Depth=1
	v_cvt_f32_u32_e32 v4, s33
	s_sub_u32 s9, 0, s33
	s_subb_u32 s12, 0, 0
	s_delay_alu instid0(VALU_DEP_1) | instskip(NEXT) | instid1(VALU_DEP_1)
	v_fmac_f32_e64 v4, 0, 0x4f800000
	v_rcp_f32_e32 v4, v4
	s_waitcnt_depctr 0xfff
	v_mul_f32_e32 v4, 0x5f7ffffc, v4
	s_delay_alu instid0(VALU_DEP_1) | instskip(NEXT) | instid1(VALU_DEP_1)
	v_mul_f32_e32 v5, 0x2f800000, v4
	v_trunc_f32_e32 v5, v5
	s_delay_alu instid0(VALU_DEP_1) | instskip(SKIP_1) | instid1(VALU_DEP_2)
	v_fmac_f32_e32 v4, 0xcf800000, v5
	v_cvt_u32_f32_e32 v5, v5
	v_cvt_u32_f32_e32 v4, v4
	s_delay_alu instid0(VALU_DEP_2) | instskip(NEXT) | instid1(VALU_DEP_2)
	v_readfirstlane_b32 s7, v5
	v_readfirstlane_b32 s8, v4
	s_delay_alu instid0(VALU_DEP_2) | instskip(NEXT) | instid1(VALU_DEP_1)
	s_mul_i32 s13, s9, s7
	s_mul_hi_u32 s64, s9, s8
	s_mul_i32 s26, s12, s8
	s_add_i32 s13, s64, s13
	s_mul_i32 s65, s9, s8
	s_add_i32 s13, s13, s26
	s_mul_hi_u32 s64, s8, s65
	s_mul_hi_u32 s66, s7, s65
	s_mul_i32 s26, s7, s65
	s_mul_hi_u32 s65, s8, s13
	s_mul_i32 s8, s8, s13
	s_mul_hi_u32 s67, s7, s13
	s_add_u32 s8, s64, s8
	s_addc_u32 s64, 0, s65
	s_add_u32 s8, s8, s26
	s_mul_i32 s13, s7, s13
	s_addc_u32 s8, s64, s66
	s_addc_u32 s26, s67, 0
	s_add_u32 s8, s8, s13
	s_addc_u32 s13, 0, s26
	v_add_co_u32 v4, s8, v4, s8
	s_delay_alu instid0(VALU_DEP_1) | instskip(SKIP_1) | instid1(VALU_DEP_1)
	s_cmp_lg_u32 s8, 0
	s_addc_u32 s7, s7, s13
	v_readfirstlane_b32 s8, v4
	s_mul_i32 s13, s9, s7
	s_delay_alu instid0(VALU_DEP_1)
	s_mul_hi_u32 s26, s9, s8
	s_mul_i32 s12, s12, s8
	s_add_i32 s13, s26, s13
	s_mul_i32 s9, s9, s8
	s_add_i32 s13, s13, s12
	s_mul_hi_u32 s26, s7, s9
	s_mul_i32 s64, s7, s9
	s_mul_hi_u32 s9, s8, s9
	s_mul_hi_u32 s65, s8, s13
	s_mul_i32 s8, s8, s13
	s_mul_hi_u32 s12, s7, s13
	s_add_u32 s8, s9, s8
	s_addc_u32 s9, 0, s65
	s_add_u32 s8, s8, s64
	s_mul_i32 s13, s7, s13
	s_addc_u32 s8, s9, s26
	s_addc_u32 s9, s12, 0
	s_add_u32 s8, s8, s13
	s_addc_u32 s9, 0, s9
	v_add_co_u32 v4, s8, v4, s8
	s_delay_alu instid0(VALU_DEP_1) | instskip(SKIP_1) | instid1(VALU_DEP_1)
	s_cmp_lg_u32 s8, 0
	s_addc_u32 s7, s7, s9
	v_readfirstlane_b32 s8, v4
	s_mul_i32 s12, s77, s7
	s_mul_hi_u32 s9, s77, s7
	s_mul_hi_u32 s13, s27, s7
	s_mul_i32 s7, s27, s7
	s_mul_hi_u32 s26, s77, s8
	s_mul_hi_u32 s64, s27, s8
	s_mul_i32 s8, s27, s8
	s_add_u32 s12, s26, s12
	s_addc_u32 s9, 0, s9
	s_add_u32 s8, s12, s8
	s_addc_u32 s8, s9, s64
	s_addc_u32 s9, s13, 0
	s_add_u32 s7, s8, s7
	s_addc_u32 s8, 0, s9
	s_mul_hi_u32 s9, s33, s7
	s_mul_i32 s7, s33, s7
	s_mul_i32 s8, s33, s8
	v_sub_co_u32 v4, s7, s77, s7
	s_add_i32 s9, s9, s8
	s_cmp_lg_u32 s7, 0
	s_delay_alu instid0(VALU_DEP_1) | instskip(SKIP_2) | instid1(VALU_DEP_1)
	v_sub_co_u32 v5, s7, v4, s33
	s_subb_u32 s8, s27, s9
	s_cmp_lg_u32 s7, 0
	v_cmp_le_u32_e32 vcc_lo, s33, v5
	v_sub_co_u32 v6, s7, v5, s33
	s_subb_u32 s9, s8, 0
	s_cmp_lg_u32 s7, 0
	v_cndmask_b32_e64 v7, 0, -1, vcc_lo
	s_subb_u32 s7, s9, 0
	s_cmp_eq_u32 s9, 0
	v_mov_b32_e32 v9, s7
	s_cselect_b32 vcc_lo, -1, 0
	s_cmp_eq_u32 s8, 0
	v_cndmask_b32_e32 v7, -1, v7, vcc_lo
	v_cmp_le_u32_e32 vcc_lo, s33, v4
	s_cselect_b32 s7, -1, 0
	v_cndmask_b32_e64 v8, 0, -1, vcc_lo
	s_delay_alu instid0(VALU_DEP_3) | instskip(NEXT) | instid1(VALU_DEP_2)
	v_cmp_ne_u32_e32 vcc_lo, 0, v7
	v_cndmask_b32_e64 v7, -1, v8, s7
	v_cndmask_b32_e32 v8, s9, v9, vcc_lo
	v_cndmask_b32_e32 v6, v5, v6, vcc_lo
	s_mov_b32 s7, 0
	s_delay_alu instid0(VALU_DEP_3) | instskip(NEXT) | instid1(VALU_DEP_3)
	v_cmp_ne_u32_e32 vcc_lo, 0, v7
	v_cndmask_b32_e32 v5, s8, v8, vcc_lo
	s_delay_alu instid0(VALU_DEP_3)
	v_cndmask_b32_e32 v4, v4, v6, vcc_lo
	s_branch .LBB120_422
.LBB120_421:                            ;   in Loop: Header=BB120_6 Depth=1
	s_mov_b32 s7, -1
                                        ; implicit-def: $vgpr4_vgpr5
.LBB120_422:                            ;   in Loop: Header=BB120_6 Depth=1
	s_delay_alu instid0(SALU_CYCLE_1)
	s_and_not1_b32 vcc_lo, exec_lo, s7
	s_cbranch_vccnz .LBB120_424
; %bb.423:                              ;   in Loop: Header=BB120_6 Depth=1
	v_cvt_f32_u32_e32 v4, s33
	s_sub_i32 s7, 0, s33
	s_delay_alu instid0(VALU_DEP_1) | instskip(SKIP_2) | instid1(VALU_DEP_1)
	v_rcp_iflag_f32_e32 v4, v4
	s_waitcnt_depctr 0xfff
	v_mul_f32_e32 v4, 0x4f7ffffe, v4
	v_cvt_u32_f32_e32 v4, v4
	s_delay_alu instid0(VALU_DEP_1) | instskip(NEXT) | instid1(VALU_DEP_1)
	v_mul_lo_u32 v5, s7, v4
	v_mul_hi_u32 v5, v4, v5
	s_delay_alu instid0(VALU_DEP_1) | instskip(NEXT) | instid1(VALU_DEP_1)
	v_add_nc_u32_e32 v4, v4, v5
	v_mul_hi_u32 v4, s77, v4
	s_delay_alu instid0(VALU_DEP_1) | instskip(NEXT) | instid1(VALU_DEP_1)
	v_mul_lo_u32 v4, v4, s33
	v_sub_nc_u32_e32 v4, s77, v4
	s_delay_alu instid0(VALU_DEP_1) | instskip(SKIP_1) | instid1(VALU_DEP_2)
	v_subrev_nc_u32_e32 v5, s33, v4
	v_cmp_le_u32_e32 vcc_lo, s33, v4
	v_cndmask_b32_e32 v4, v4, v5, vcc_lo
	s_delay_alu instid0(VALU_DEP_1) | instskip(SKIP_1) | instid1(VALU_DEP_2)
	v_subrev_nc_u32_e32 v5, s33, v4
	v_cmp_le_u32_e32 vcc_lo, s33, v4
	v_cndmask_b32_e32 v12, v4, v5, vcc_lo
	s_delay_alu instid0(VALU_DEP_1)
	v_dual_mov_b32 v4, v12 :: v_dual_mov_b32 v5, v13
.LBB120_424:                            ;   in Loop: Header=BB120_6 Depth=1
	s_delay_alu instid0(VALU_DEP_1) | instskip(NEXT) | instid1(VALU_DEP_2)
	v_sub_co_u32 v4, vcc_lo, s77, v4
	v_sub_co_ci_u32_e32 v5, vcc_lo, s27, v5, vcc_lo
	s_mov_b32 s12, 0
	s_mov_b32 s8, exec_lo
                                        ; implicit-def: $vgpr36
	s_delay_alu instid0(VALU_DEP_1)
	v_cmpx_gt_u64_e64 v[4:5], v[0:1]
	s_cbranch_execz .LBB120_432
; %bb.425:                              ;   in Loop: Header=BB120_6 Depth=1
	v_dual_mov_b32 v6, v10 :: v_dual_mov_b32 v7, v11
	v_dual_mov_b32 v9, v1 :: v_dual_mov_b32 v8, v0
	s_mov_b32 s9, 0
                                        ; implicit-def: $sgpr12
	s_set_inst_prefetch_distance 0x1
	s_branch .LBB120_427
	.p2align	6
.LBB120_426:                            ;   in Loop: Header=BB120_427 Depth=2
	s_or_b32 exec_lo, exec_lo, s7
	s_waitcnt lgkmcnt(0)
	s_barrier
	buffer_gl0_inv
	ds_load_u16 v12, v13 offset:3072
	v_add_co_u32 v8, vcc_lo, v8, s33
	v_add_co_ci_u32_e32 v9, vcc_lo, 0, v9, vcc_lo
	s_waitcnt lgkmcnt(0)
	s_barrier
	buffer_gl0_inv
	v_cmp_ge_u64_e32 vcc_lo, v[8:9], v[4:5]
	v_and_b32_e32 v23, 0xff, v12
	s_delay_alu instid0(VALU_DEP_1) | instskip(NEXT) | instid1(VALU_DEP_1)
	v_cmp_ne_u16_e64 s7, 0, v23
	s_or_b32 s13, vcc_lo, s7
	v_add_co_u32 v6, vcc_lo, v6, s68
	s_and_b32 s13, exec_lo, s13
	v_add_co_ci_u32_e32 v7, vcc_lo, s41, v7, vcc_lo
	s_or_b32 s9, s13, s9
	s_and_not1_b32 s12, s12, exec_lo
	s_and_b32 s7, s7, exec_lo
	s_delay_alu instid0(SALU_CYCLE_1)
	s_or_b32 s12, s12, s7
	s_and_not1_b32 exec_lo, exec_lo, s9
	s_cbranch_execz .LBB120_431
.LBB120_427:                            ;   Parent Loop BB120_6 Depth=1
                                        ; =>  This Inner Loop Header: Depth=2
	s_delay_alu instid0(VALU_DEP_1)
	v_cmp_gt_u64_e32 vcc_lo, s[28:29], v[8:9]
	v_mov_b32_e32 v12, 0
	s_and_saveexec_b32 s7, vcc_lo
	s_cbranch_execz .LBB120_429
; %bb.428:                              ;   in Loop: Header=BB120_427 Depth=2
	global_load_u8 v12, v[6:7], off
.LBB120_429:                            ;   in Loop: Header=BB120_427 Depth=2
	s_or_b32 exec_lo, exec_lo, s7
	s_waitcnt vmcnt(0)
	v_and_b32_e32 v23, v12, v34
	s_delay_alu instid0(VALU_DEP_1) | instskip(NEXT) | instid1(VALU_DEP_1)
	v_and_b32_e32 v23, 0xff, v23
	v_cmp_eq_u32_e64 s7, v23, v35
	s_delay_alu instid0(VALU_DEP_1) | instskip(NEXT) | instid1(SALU_CYCLE_1)
	s_and_b32 s13, vcc_lo, s7
	s_and_saveexec_b32 s7, s13
	s_cbranch_execz .LBB120_426
; %bb.430:                              ;   in Loop: Header=BB120_427 Depth=2
	v_lshlrev_b16 v12, 8, v12
	s_delay_alu instid0(VALU_DEP_1)
	v_or_b32_e32 v12, 1, v12
	ds_store_b16 v13, v12 offset:3072
	s_branch .LBB120_426
.LBB120_431:                            ;   in Loop: Header=BB120_6 Depth=1
	s_set_inst_prefetch_distance 0x2
	s_or_b32 exec_lo, exec_lo, s9
	v_lshrrev_b16 v36, 8, v12
	s_and_b32 s12, s12, exec_lo
.LBB120_432:                            ;   in Loop: Header=BB120_6 Depth=1
	s_or_b32 exec_lo, exec_lo, s8
	s_mov_b32 s8, 0
	s_mov_b32 s7, -1
	s_mov_b32 s9, 0
.LBB120_433:                            ;   in Loop: Header=BB120_6 Depth=1
	s_or_not1_b32 s13, s12, exec_lo
.LBB120_434:                            ;   in Loop: Header=BB120_6 Depth=1
	s_or_b32 exec_lo, exec_lo, s63
	s_mov_b32 s26, 0
                                        ; implicit-def: $vgpr6
                                        ; implicit-def: $vgpr4_vgpr5
	s_and_saveexec_b32 s12, s13
	s_cbranch_execz .LBB120_446
; %bb.435:                              ;   in Loop: Header=BB120_6 Depth=1
	v_mov_b32_e32 v4, 1
	v_dual_mov_b32 v5, 0 :: v_dual_mov_b32 v6, 1
	s_xor_b32 s26, s62, -1
	s_delay_alu instid0(SALU_CYCLE_1)
	s_and_saveexec_b32 s13, s26
	s_cbranch_execz .LBB120_445
; %bb.436:                              ;   in Loop: Header=BB120_6 Depth=1
	s_mov_b32 s26, exec_lo
                                        ; implicit-def: $sgpr62
	v_cmpx_ge_u64_e64 s[10:11], v[2:3]
	s_xor_b32 s26, exec_lo, s26
	s_cbranch_execz .LBB120_442
; %bb.437:                              ;   in Loop: Header=BB120_6 Depth=1
	ds_load_b64 v[4:5], v13 offset:5120
	s_waitcnt lgkmcnt(0)
	v_cmp_ne_u64_e32 vcc_lo, 0, v[4:5]
	s_cbranch_vccnz .LBB120_441
; %bb.438:                              ;   in Loop: Header=BB120_6 Depth=1
	s_and_saveexec_b32 s62, s5
	s_cbranch_execz .LBB120_440
; %bb.439:                              ;   in Loop: Header=BB120_6 Depth=1
	v_dual_mov_b32 v4, s10 :: v_dual_mov_b32 v5, s11
	ds_store_b64 v13, v[4:5] offset:5128
.LBB120_440:                            ;   in Loop: Header=BB120_6 Depth=1
	s_or_b32 exec_lo, exec_lo, s62
	s_waitcnt lgkmcnt(0)
	s_barrier
	buffer_gl0_inv
.LBB120_441:                            ;   in Loop: Header=BB120_6 Depth=1
	v_and_b32_e32 v35, s21, v35
	v_or_b32_e32 v34, s20, v34
	s_mov_b32 s62, 5
.LBB120_442:                            ;   in Loop: Header=BB120_6 Depth=1
	s_or_saveexec_b32 s20, s26
	v_mov_b32_e32 v6, s62
	s_xor_b32 exec_lo, exec_lo, s20
; %bb.443:                              ;   in Loop: Header=BB120_6 Depth=1
	v_sub_co_u32 v2, vcc_lo, v2, s10
	v_subrev_co_ci_u32_e32 v3, vcc_lo, s11, v3, vcc_lo
	v_mov_b32_e32 v6, 5
; %bb.444:                              ;   in Loop: Header=BB120_6 Depth=1
	s_or_b32 exec_lo, exec_lo, s20
	s_delay_alu instid0(VALU_DEP_2)
	v_dual_mov_b32 v5, v3 :: v_dual_mov_b32 v4, v2
.LBB120_445:                            ;   in Loop: Header=BB120_6 Depth=1
	s_or_b32 exec_lo, exec_lo, s13
	s_delay_alu instid0(SALU_CYCLE_1)
	s_mov_b32 s26, exec_lo
.LBB120_446:                            ;   in Loop: Header=BB120_6 Depth=1
	s_or_b32 exec_lo, exec_lo, s12
	s_delay_alu instid0(VALU_DEP_1)
	v_dual_mov_b32 v2, v4 :: v_dual_mov_b32 v3, v5
	s_or_not1_b32 s12, s26, exec_lo
.LBB120_447:                            ;   in Loop: Header=BB120_6 Depth=1
	s_or_b32 exec_lo, exec_lo, s22
	s_delay_alu instid0(SALU_CYCLE_1)
	s_and_not1_b32 s10, s14, exec_lo
	s_and_b32 s7, s7, exec_lo
	s_and_b32 s8, s8, exec_lo
	s_or_b32 s14, s10, s7
	s_and_not1_b32 s7, s15, exec_lo
	s_and_not1_b32 s10, s60, exec_lo
	s_and_b32 s9, s9, exec_lo
	v_dual_mov_b32 v5, v3 :: v_dual_mov_b32 v4, v2
	s_or_b32 s15, s7, s8
	s_or_b32 s60, s10, s9
	s_and_b32 s26, s12, exec_lo
.LBB120_448:                            ;   in Loop: Header=BB120_6 Depth=1
	s_or_b32 exec_lo, exec_lo, s61
	s_delay_alu instid0(SALU_CYCLE_1)
	s_and_b32 s14, s14, exec_lo
	s_and_b32 s9, s15, exec_lo
	;; [unrolled: 1-line block ×3, first 2 shown]
	s_or_not1_b32 s7, s26, exec_lo
.LBB120_449:                            ;   in Loop: Header=BB120_6 Depth=1
	s_or_b32 exec_lo, exec_lo, s59
	s_delay_alu instid0(SALU_CYCLE_1)
	s_and_not1_b32 s10, s16, exec_lo
	s_and_b32 s11, s14, exec_lo
	s_and_b32 s9, s9, exec_lo
	s_or_b32 s16, s10, s11
	s_and_not1_b32 s10, s17, exec_lo
	s_and_not1_b32 s11, s57, exec_lo
	s_and_b32 s8, s8, exec_lo
	v_dual_mov_b32 v2, v4 :: v_dual_mov_b32 v3, v5
	s_or_b32 s17, s10, s9
	s_or_b32 s57, s11, s8
	s_and_b32 s26, s7, exec_lo
.LBB120_450:                            ;   in Loop: Header=BB120_6 Depth=1
	s_or_b32 exec_lo, exec_lo, s58
	s_delay_alu instid0(SALU_CYCLE_1)
	s_and_b32 s16, s16, exec_lo
	s_and_b32 s9, s17, exec_lo
	;; [unrolled: 1-line block ×3, first 2 shown]
	s_or_not1_b32 s17, s26, exec_lo
.LBB120_451:                            ;   in Loop: Header=BB120_6 Depth=1
	s_or_b32 exec_lo, exec_lo, s56
	s_mov_b32 s7, s25
	s_mov_b32 s10, s24
	s_and_saveexec_b32 s11, s17
; %bb.452:                              ;   in Loop: Header=BB120_6 Depth=1
	v_cmp_eq_u32_e32 vcc_lo, 5, v6
	v_cmp_ne_u32_e64 s7, 5, v6
	s_and_not1_b32 s10, s24, exec_lo
	s_and_not1_b32 s12, s25, exec_lo
	;; [unrolled: 1-line block ×3, first 2 shown]
	s_and_b32 s13, vcc_lo, exec_lo
	s_and_b32 s7, s7, exec_lo
	s_and_not1_b32 s9, s9, exec_lo
	s_and_not1_b32 s8, s8, exec_lo
	s_or_b32 s10, s10, s7
	s_or_b32 s7, s12, s13
; %bb.453:                              ;   in Loop: Header=BB120_6 Depth=1
	s_or_b32 exec_lo, exec_lo, s11
	s_delay_alu instid0(SALU_CYCLE_1)
	s_and_not1_b32 s11, s18, exec_lo
	s_and_b32 s12, s16, exec_lo
	s_and_b32 s9, s9, exec_lo
	s_or_b32 s18, s11, s12
	s_and_not1_b32 s11, s19, exec_lo
	s_and_not1_b32 s12, s23, exec_lo
	s_and_b32 s8, s8, exec_lo
	v_dual_mov_b32 v25, v35 :: v_dual_mov_b32 v26, v34
	v_mov_b32_e32 v27, v36
	s_or_b32 s19, s11, s9
	s_or_b32 s23, s12, s8
	s_and_not1_b32 s8, s24, exec_lo
	s_and_b32 s9, s10, exec_lo
	s_and_not1_b32 s10, s25, exec_lo
	s_and_b32 s7, s7, exec_lo
	s_or_b32 s24, s8, s9
	s_or_b32 s25, s10, s7
.LBB120_454:                            ;   in Loop: Header=BB120_6 Depth=1
	s_or_b32 exec_lo, exec_lo, s48
	s_mov_b32 s56, s23
	s_mov_b32 s48, s23
	s_and_saveexec_b32 s7, s25
.LBB120_455:                            ;   in Loop: Header=BB120_6 Depth=1
	v_mov_b32_e32 v6, 0
	s_and_not1_b32 s23, s23, exec_lo
	s_and_not1_b32 s18, s18, exec_lo
	;; [unrolled: 1-line block ×5, first 2 shown]
	s_or_b32 s24, s24, exec_lo
.LBB120_456:                            ;   in Loop: Header=BB120_6 Depth=1
	s_or_b32 exec_lo, exec_lo, s7
	s_delay_alu instid0(SALU_CYCLE_1)
	s_and_not1_b32 s7, s94, exec_lo
	s_and_b32 s9, s23, exec_lo
	s_and_not1_b32 s10, s91, exec_lo
	s_or_b32 s94, s7, s9
	s_and_not1_b32 s7, s93, exec_lo
	s_and_b32 s9, s18, exec_lo
	s_and_b32 s11, s19, exec_lo
	s_or_b32 s93, s7, s9
	s_or_b32 s91, s10, s11
	s_and_not1_b32 s7, s92, exec_lo
	s_and_b32 s9, s56, exec_lo
	s_and_not1_b32 s10, s90, exec_lo
	s_and_b32 s11, s48, exec_lo
	s_mov_b32 s8, -1
	s_or_b32 s92, s7, s9
	s_or_b32 s90, s10, s11
                                        ; implicit-def: $vgpr34
                                        ; implicit-def: $vgpr35
                                        ; implicit-def: $vgpr23_vgpr24
                                        ; implicit-def: $vgpr36
	s_and_saveexec_b32 s7, s24
	s_delay_alu instid0(SALU_CYCLE_1)
	s_xor_b32 s7, exec_lo, s7
	s_cbranch_execz .LBB120_5
; %bb.457:                              ;   in Loop: Header=BB120_6 Depth=1
	s_mov_b32 s9, -1
	s_mov_b32 s10, exec_lo
	v_cmpx_eq_u32_e32 0, v6
	s_cbranch_execz .LBB120_4
; %bb.458:                              ;   in Loop: Header=BB120_6 Depth=1
	s_xor_b32 s85, s85, 1
	s_add_i32 s11, s82, -2
	s_cmp_eq_u32 s82, 0
	s_mov_b32 s82, s11
	s_cselect_b32 s8, -1, 0
	s_xor_b32 s9, exec_lo, -1
	s_or_not1_b32 s8, s8, exec_lo
	s_branch .LBB120_4
.LBB120_459:
	s_or_b32 exec_lo, exec_lo, s83
	s_xor_b32 s7, s89, -1
	s_xor_b32 s9, s87, -1
	;; [unrolled: 1-line block ×5, first 2 shown]
	s_mov_b32 s8, 0
	s_and_saveexec_b32 s12, s11
	s_delay_alu instid0(SALU_CYCLE_1)
	s_xor_b32 s14, exec_lo, s12
	s_cbranch_execz .LBB120_516
; %bb.460:
	s_and_saveexec_b32 s11, s10
	s_delay_alu instid0(SALU_CYCLE_1)
	s_xor_b32 s15, exec_lo, s11
	s_cbranch_execz .LBB120_514
; %bb.461:
	;; [unrolled: 5-line block ×4, first 2 shown]
	s_and_saveexec_b32 s7, s6
	s_delay_alu instid0(SALU_CYCLE_1)
	s_xor_b32 s6, exec_lo, s7
; %bb.464:
	v_mov_b32_e32 v27, v25
; %bb.465:
	s_or_b32 exec_lo, exec_lo, s6
	s_and_saveexec_b32 s6, s5
	s_cbranch_execz .LBB120_467
; %bb.466:
	v_mov_b32_e32 v2, 0
	s_delay_alu instid0(VALU_DEP_1)
	v_mov_b32_e32 v3, v2
	ds_store_b64 v2, v[2:3] offset:5136
.LBB120_467:
	s_or_b32 exec_lo, exec_lo, s6
	v_mov_b32_e32 v18, 0
	s_waitcnt lgkmcnt(0)
	s_barrier
	buffer_gl0_inv
	s_and_saveexec_b32 s5, s3
	s_cbranch_execz .LBB120_469
; %bb.468:
	global_load_u8 v18, v[10:11], off
.LBB120_469:
	s_or_b32 exec_lo, exec_lo, s5
	s_clause 0x1
	s_load_b64 s[8:9], s[0:1], 0x368
	s_load_b64 s[10:11], s[0:1], 0x510
	s_add_u32 s5, s28, 31
	s_addc_u32 s7, s29, 0
	s_and_b32 s6, s5, 0xffffffe0
	s_mul_i32 s5, s47, s40
	s_mul_hi_u32 s12, s46, s40
	s_mul_i32 s0, s43, s40
	s_mul_hi_u32 s1, s42, s40
	s_add_i32 s5, s12, s5
	s_mul_i32 s12, s46, s40
	s_add_i32 s1, s1, s0
	s_mul_i32 s0, s42, s40
	s_add_u32 s12, s44, s12
	s_addc_u32 s13, s45, s5
	s_lshl_b64 s[18:19], s[0:1], 3
	v_add_nc_u32_e32 v17, s33, v0
	v_and_b32_e32 v16, 0xff, v27
	s_add_u32 s1, s36, s18
	s_addc_u32 s5, s37, s19
	s_mov_b32 s0, -1
	s_mov_b32 s19, 0
	s_mov_b32 s18, 0
	s_mov_b32 s20, exec_lo
	v_cmpx_gt_u64_e64 s[6:7], v[0:1]
	s_cbranch_execz .LBB120_485
; %bb.470:
	s_add_u32 s22, s34, s69
	s_addc_u32 s23, s35, s70
	v_mov_b32_e32 v13, v1
	v_mad_u64_u32 v[2:3], null, s38, v17, s[22:23]
                                        ; implicit-def: $sgpr21
                                        ; implicit-def: $vgpr8_vgpr9
	v_mov_b32_e32 v12, v0
	s_delay_alu instid0(VALU_DEP_2) | instskip(SKIP_1) | instid1(VALU_DEP_2)
	v_mad_u64_u32 v[4:5], null, s39, v17, v[3:4]
	v_mov_b32_e32 v5, 0
	v_mov_b32_e32 v3, v4
	s_branch .LBB120_472
.LBB120_471:                            ;   in Loop: Header=BB120_472 Depth=1
	s_or_b32 exec_lo, exec_lo, s22
	s_xor_b32 s22, s24, -1
	s_and_b32 s0, exec_lo, s0
	v_mov_b32_e32 v18, v19
	s_or_b32 s18, s0, s18
	v_dual_mov_b32 v13, v7 :: v_dual_mov_b32 v12, v6
	s_and_not1_b32 s0, s21, exec_lo
	s_and_b32 s21, s22, exec_lo
	s_delay_alu instid0(SALU_CYCLE_1)
	s_or_b32 s21, s0, s21
	s_and_not1_b32 exec_lo, exec_lo, s18
	s_cbranch_execz .LBB120_484
.LBB120_472:                            ; =>This Inner Loop Header: Depth=1
	v_add_co_u32 v6, vcc_lo, v12, s33
	v_add_co_ci_u32_e32 v7, vcc_lo, 0, v13, vcc_lo
	v_mov_b32_e32 v19, 0
	s_mov_b32 s0, exec_lo
	s_delay_alu instid0(VALU_DEP_2)
	v_cmpx_gt_u64_e64 s[28:29], v[6:7]
	s_cbranch_execz .LBB120_474
; %bb.473:                              ;   in Loop: Header=BB120_472 Depth=1
	global_load_u8 v19, v[2:3], off
.LBB120_474:                            ;   in Loop: Header=BB120_472 Depth=1
	s_or_b32 exec_lo, exec_lo, s0
	s_waitcnt vmcnt(0)
	v_and_b32_e32 v4, 0xff, v18
	s_delay_alu instid0(VALU_DEP_1) | instskip(SKIP_4) | instid1(VALU_DEP_2)
	v_cmp_gt_u16_e32 vcc_lo, v4, v16
	v_cndmask_b32_e64 v14, 0, 1, vcc_lo
	v_cmp_lt_u16_e32 vcc_lo, v4, v16
	v_cndmask_b32_e64 v4, 0, 1, vcc_lo
	v_cmp_gt_u64_e32 vcc_lo, s[28:29], v[12:13]
	v_cndmask_b32_e64 v4, v4, v14, s4
	s_delay_alu instid0(VALU_DEP_1) | instskip(NEXT) | instid1(VALU_DEP_1)
	v_and_b32_e32 v4, 1, v4
	v_cmp_eq_u32_e64 s0, 1, v4
	s_delay_alu instid0(VALU_DEP_1) | instskip(NEXT) | instid1(SALU_CYCLE_1)
	s_and_b32 s22, vcc_lo, s0
	v_cndmask_b32_e64 v4, 0, 1, s22
	s_delay_alu instid0(VALU_DEP_1) | instskip(SKIP_2) | instid1(SALU_CYCLE_1)
	v_cmp_ne_u32_e32 vcc_lo, 0, v4
	s_cmp_lg_u32 vcc_lo, 0
	s_cselect_b32 s0, -1, 0
	s_and_b32 s0, s2, s0
	s_delay_alu instid0(SALU_CYCLE_1)
	s_and_saveexec_b32 s23, s0
	s_cbranch_execz .LBB120_478
; %bb.475:                              ;   in Loop: Header=BB120_472 Depth=1
	s_mov_b32 s26, exec_lo
	s_bcnt1_i32_b32 s24, vcc_lo
	v_mbcnt_lo_u32_b32 v14, s26, 0
	s_mov_b32 s25, exec_lo
                                        ; implicit-def: $vgpr8_vgpr9
	s_delay_alu instid0(VALU_DEP_1)
	v_cmpx_eq_u32_e32 0, v14
	s_cbranch_execz .LBB120_477
; %bb.476:                              ;   in Loop: Header=BB120_472 Depth=1
	s_bcnt1_i32_b32 s0, s26
	s_delay_alu instid0(SALU_CYCLE_1) | instskip(NEXT) | instid1(SALU_CYCLE_1)
	s_mul_i32 s0, s24, s0
	v_mov_b32_e32 v4, s0
	s_waitcnt lgkmcnt(0)
	ds_add_rtn_u64 v[8:9], v5, v[4:5] offset:5136
.LBB120_477:                            ;   in Loop: Header=BB120_472 Depth=1
	s_or_b32 exec_lo, exec_lo, s25
	s_waitcnt lgkmcnt(0)
	v_readfirstlane_b32 s27, v9
	v_readfirstlane_b32 s26, v8
	s_delay_alu instid0(VALU_DEP_1)
	v_mad_u64_u32 v[8:9], null, s24, v14, s[26:27]
.LBB120_478:                            ;   in Loop: Header=BB120_472 Depth=1
	s_or_b32 exec_lo, exec_lo, s23
	s_waitcnt lgkmcnt(0)
	ds_bpermute_b32 v8, v5, v8
	ds_bpermute_b32 v9, v5, v9
	s_mov_b32 s0, -1
	s_mov_b32 s25, -1
                                        ; implicit-def: $sgpr24
	s_and_saveexec_b32 s23, s22
	s_cbranch_execz .LBB120_482
; %bb.479:                              ;   in Loop: Header=BB120_472 Depth=1
	v_and_b32_e32 v4, vcc_lo, v29
	s_mov_b32 s22, 0
	s_mov_b32 s24, exec_lo
	s_delay_alu instid0(VALU_DEP_1) | instskip(SKIP_1) | instid1(VALU_DEP_1)
	v_bcnt_u32_b32 v4, v4, 0
	s_waitcnt lgkmcnt(0)
	v_add_co_u32 v14, vcc_lo, v8, v4
	v_add_co_ci_u32_e32 v15, vcc_lo, 0, v9, vcc_lo
	s_delay_alu instid0(VALU_DEP_1)
	v_cmpx_gt_u64_e64 s[30:31], v[14:15]
	s_cbranch_execz .LBB120_481
; %bb.480:                              ;   in Loop: Header=BB120_472 Depth=1
	v_mul_lo_u32 v4, v15, s10
	v_mul_lo_u32 v24, v14, s11
	v_mad_u64_u32 v[20:21], null, v14, s10, 0
	v_mad_u64_u32 v[22:23], null, v14, s8, s[12:13]
	v_mul_lo_u32 v25, v14, s9
	s_mov_b32 s22, exec_lo
	s_delay_alu instid0(VALU_DEP_3) | instskip(SKIP_1) | instid1(VALU_DEP_2)
	v_add3_u32 v21, v21, v24, v4
	v_mul_lo_u32 v4, v15, s8
	v_lshlrev_b64 v[14:15], 3, v[20:21]
	s_delay_alu instid0(VALU_DEP_2) | instskip(NEXT) | instid1(VALU_DEP_2)
	v_add3_u32 v23, v4, v23, v25
	v_add_co_u32 v14, vcc_lo, s1, v14
	s_delay_alu instid0(VALU_DEP_3)
	v_add_co_ci_u32_e32 v15, vcc_lo, s5, v15, vcc_lo
	global_store_b8 v[22:23], v18, off
	global_store_b64 v[14:15], v[12:13], off
.LBB120_481:                            ;   in Loop: Header=BB120_472 Depth=1
	s_or_b32 exec_lo, exec_lo, s24
	s_mov_b32 s24, -1
	s_or_not1_b32 s25, s22, exec_lo
.LBB120_482:                            ;   in Loop: Header=BB120_472 Depth=1
	s_or_b32 exec_lo, exec_lo, s23
	s_and_saveexec_b32 s22, s25
	s_cbranch_execz .LBB120_471
; %bb.483:                              ;   in Loop: Header=BB120_472 Depth=1
	v_cmp_le_u64_e32 vcc_lo, s[6:7], v[6:7]
	v_add_co_u32 v2, s0, v2, s68
	s_delay_alu instid0(VALU_DEP_1)
	v_add_co_ci_u32_e64 v3, s0, s41, v3, s0
	s_and_not1_b32 s24, s24, exec_lo
	s_or_not1_b32 s0, vcc_lo, exec_lo
	s_branch .LBB120_471
.LBB120_484:
	s_or_b32 exec_lo, exec_lo, s18
	s_delay_alu instid0(SALU_CYCLE_1)
	s_mov_b32 s18, exec_lo
	s_or_not1_b32 s0, s21, exec_lo
.LBB120_485:
	s_or_b32 exec_lo, exec_lo, s20
	s_and_saveexec_b32 s4, s0
	s_cbranch_execz .LBB120_508
; %bb.486:
	v_dual_mov_b32 v3, 0 :: v_dual_mov_b32 v12, 0
	s_waitcnt vmcnt(0) lgkmcnt(0)
	s_waitcnt_vscnt null, 0x0
	s_barrier
	buffer_gl0_inv
	s_and_saveexec_b32 s0, s3
	s_cbranch_execz .LBB120_488
; %bb.487:
	global_load_u8 v12, v[10:11], off
.LBB120_488:
	s_or_b32 exec_lo, exec_lo, s0
	s_add_u32 s20, s34, s69
	s_addc_u32 s21, s35, s70
	s_mov_b32 s3, 0
	v_mad_u64_u32 v[4:5], null, s38, v17, s[20:21]
                                        ; implicit-def: $sgpr19
                                        ; implicit-def: $sgpr20
                                        ; implicit-def: $sgpr21
	s_delay_alu instid0(VALU_DEP_1) | instskip(NEXT) | instid1(VALU_DEP_1)
	v_mov_b32_e32 v2, v5
	v_mad_u64_u32 v[5:6], null, s39, v17, v[2:3]
                                        ; implicit-def: $vgpr6_vgpr7
	s_branch .LBB120_491
.LBB120_489:                            ;   in Loop: Header=BB120_491 Depth=1
	s_or_b32 exec_lo, exec_lo, s24
	v_dual_mov_b32 v0, v8 :: v_dual_mov_b32 v1, v9
	s_and_not1_b32 s0, s21, exec_lo
	s_and_b32 s21, s26, exec_lo
	s_and_not1_b32 s20, s20, exec_lo
	s_and_b32 s23, s23, exec_lo
	s_or_b32 s21, s0, s21
	s_or_b32 s20, s20, s23
.LBB120_490:                            ;   in Loop: Header=BB120_491 Depth=1
	s_or_b32 exec_lo, exec_lo, s22
	s_xor_b32 s0, s21, -1
	s_and_b32 s22, exec_lo, s20
	s_delay_alu instid0(SALU_CYCLE_1) | instskip(SKIP_2) | instid1(SALU_CYCLE_1)
	s_or_b32 s3, s22, s3
	s_and_not1_b32 s19, s19, exec_lo
	s_and_b32 s0, s0, exec_lo
	s_or_b32 s19, s19, s0
	s_and_not1_b32 exec_lo, exec_lo, s3
	s_cbranch_execz .LBB120_506
.LBB120_491:                            ; =>This Inner Loop Header: Depth=1
	s_or_b32 s21, s21, exec_lo
	s_or_b32 s20, s20, exec_lo
	s_mov_b32 s22, exec_lo
	v_cmpx_gt_u64_e64 s[6:7], v[0:1]
	s_cbranch_execz .LBB120_490
; %bb.492:                              ;   in Loop: Header=BB120_491 Depth=1
	v_add_co_u32 v8, vcc_lo, v0, s33
	v_add_co_ci_u32_e32 v9, vcc_lo, 0, v1, vcc_lo
	v_mov_b32_e32 v13, 0
	s_mov_b32 s0, exec_lo
	s_delay_alu instid0(VALU_DEP_2)
	v_cmpx_gt_u64_e64 s[28:29], v[8:9]
	s_cbranch_execz .LBB120_494
; %bb.493:                              ;   in Loop: Header=BB120_491 Depth=1
	global_load_u8 v13, v[4:5], off
.LBB120_494:                            ;   in Loop: Header=BB120_491 Depth=1
	s_or_b32 exec_lo, exec_lo, s0
	s_waitcnt vmcnt(0)
	v_and_b32_e32 v2, 0xff, v12
	v_cmp_gt_u64_e32 vcc_lo, s[28:29], v[0:1]
	s_delay_alu instid0(VALU_DEP_2) | instskip(NEXT) | instid1(VALU_DEP_1)
	v_cmp_eq_u16_e64 s0, v2, v16
	s_and_b32 s24, vcc_lo, s0
	s_delay_alu instid0(SALU_CYCLE_1) | instskip(NEXT) | instid1(VALU_DEP_1)
	v_cndmask_b32_e64 v2, 0, 1, s24
	v_cmp_ne_u32_e32 vcc_lo, 0, v2
	s_cmp_lg_u32 vcc_lo, 0
	s_cselect_b32 s0, -1, 0
	s_delay_alu instid0(SALU_CYCLE_1) | instskip(NEXT) | instid1(SALU_CYCLE_1)
	s_and_b32 s0, s2, s0
	s_and_saveexec_b32 s23, s0
	s_cbranch_execz .LBB120_498
; %bb.495:                              ;   in Loop: Header=BB120_491 Depth=1
	s_mov_b32 s27, exec_lo
	s_bcnt1_i32_b32 s25, vcc_lo
	v_mbcnt_lo_u32_b32 v10, s27, 0
	s_mov_b32 s26, exec_lo
                                        ; implicit-def: $vgpr6_vgpr7
	s_delay_alu instid0(VALU_DEP_1)
	v_cmpx_eq_u32_e32 0, v10
	s_cbranch_execz .LBB120_497
; %bb.496:                              ;   in Loop: Header=BB120_491 Depth=1
	s_bcnt1_i32_b32 s0, s27
	s_delay_alu instid0(SALU_CYCLE_1) | instskip(NEXT) | instid1(SALU_CYCLE_1)
	s_mul_i32 s0, s25, s0
	v_mov_b32_e32 v2, s0
	ds_add_rtn_u64 v[6:7], v3, v[2:3] offset:5136
.LBB120_497:                            ;   in Loop: Header=BB120_491 Depth=1
	s_or_b32 exec_lo, exec_lo, s26
	s_waitcnt lgkmcnt(0)
	v_readfirstlane_b32 s27, v7
	v_readfirstlane_b32 s26, v6
	s_delay_alu instid0(VALU_DEP_1)
	v_mad_u64_u32 v[6:7], null, s25, v10, s[26:27]
.LBB120_498:                            ;   in Loop: Header=BB120_491 Depth=1
	s_or_b32 exec_lo, exec_lo, s23
	ds_bpermute_b32 v6, v3, v6
	ds_bpermute_b32 v7, v3, v7
	s_cmp_eq_u32 vcc_lo, 0
	s_mov_b32 s23, -1
	s_cselect_b32 s25, -1, 0
	s_mov_b32 s26, -1
	s_waitcnt lgkmcnt(0)
	v_cmp_gt_u64_e64 s0, s[30:31], v[6:7]
	s_delay_alu instid0(VALU_DEP_1) | instskip(SKIP_3) | instid1(SALU_CYCLE_1)
	s_or_b32 s0, s25, s0
	s_mov_b32 s25, -1
	v_cndmask_b32_e64 v12, v12, v13, s0
	s_and_b32 s27, s24, s0
	s_and_saveexec_b32 s24, s27
	s_cbranch_execz .LBB120_504
; %bb.499:                              ;   in Loop: Header=BB120_491 Depth=1
	v_and_b32_e32 v2, vcc_lo, v29
	v_sub_co_u32 v10, vcc_lo, s30, v6
	v_sub_co_ci_u32_e32 v11, vcc_lo, s31, v7, vcc_lo
	s_delay_alu instid0(VALU_DEP_3) | instskip(SKIP_2) | instid1(VALU_DEP_1)
	v_bcnt_u32_b32 v2, v2, 0
	s_mov_b32 s27, -1
	s_mov_b32 s26, exec_lo
	v_cmp_le_u64_e64 s25, v[10:11], v[2:3]
	v_cmpx_gt_u64_e64 v[10:11], v[2:3]
	s_cbranch_execz .LBB120_503
; %bb.500:                              ;   in Loop: Header=BB120_491 Depth=1
	v_add_co_u32 v10, vcc_lo, v6, v2
	v_add_co_ci_u32_e32 v11, vcc_lo, 0, v7, vcc_lo
	s_delay_alu instid0(VALU_DEP_4) | instskip(SKIP_1) | instid1(VALU_DEP_1)
	s_mov_b32 s34, s25
	s_mov_b32 s27, exec_lo
	v_cmpx_gt_u64_e64 s[30:31], v[10:11]
	s_cbranch_execz .LBB120_502
; %bb.501:                              ;   in Loop: Header=BB120_491 Depth=1
	v_mul_lo_u32 v2, v11, s10
	v_mul_lo_u32 v12, v10, s11
	v_mad_u64_u32 v[14:15], null, v10, s10, 0
	v_mad_u64_u32 v[17:18], null, v10, s8, s[12:13]
	v_mul_lo_u32 v19, v10, s9
	s_or_b32 s34, s25, exec_lo
	s_delay_alu instid0(VALU_DEP_3) | instskip(SKIP_1) | instid1(VALU_DEP_2)
	v_add3_u32 v15, v15, v12, v2
	v_mul_lo_u32 v2, v11, s8
	v_lshlrev_b64 v[10:11], 3, v[14:15]
	s_delay_alu instid0(VALU_DEP_2) | instskip(NEXT) | instid1(VALU_DEP_2)
	v_add3_u32 v18, v2, v18, v19
	v_add_co_u32 v10, vcc_lo, s1, v10
	s_delay_alu instid0(VALU_DEP_3)
	v_add_co_ci_u32_e32 v11, vcc_lo, s5, v11, vcc_lo
	global_store_b8 v[17:18], v27, off
	global_store_b64 v[10:11], v[0:1], off
.LBB120_502:                            ;   in Loop: Header=BB120_491 Depth=1
	s_or_b32 exec_lo, exec_lo, s27
	s_delay_alu instid0(SALU_CYCLE_1)
	s_and_not1_b32 s25, s25, exec_lo
	s_and_b32 s34, s34, exec_lo
	s_xor_b32 s27, exec_lo, -1
	s_or_b32 s25, s25, s34
.LBB120_503:                            ;   in Loop: Header=BB120_491 Depth=1
	s_or_b32 exec_lo, exec_lo, s26
	v_mov_b32_e32 v12, v13
	s_or_not1_b32 s26, s27, exec_lo
	s_or_b32 s0, s0, exec_lo
	s_or_not1_b32 s25, s25, exec_lo
.LBB120_504:                            ;   in Loop: Header=BB120_491 Depth=1
	s_or_b32 exec_lo, exec_lo, s24
	s_and_saveexec_b32 s24, s25
	s_cbranch_execz .LBB120_489
; %bb.505:                              ;   in Loop: Header=BB120_491 Depth=1
	v_add_co_u32 v4, vcc_lo, v4, s68
	v_add_co_ci_u32_e32 v5, vcc_lo, s41, v5, vcc_lo
	s_xor_b32 s0, s0, -1
	s_or_b32 s26, s26, exec_lo
	s_or_not1_b32 s23, s0, exec_lo
	s_branch .LBB120_489
.LBB120_506:
	s_or_b32 exec_lo, exec_lo, s3
	s_mov_b32 s0, 0
	s_and_saveexec_b32 s1, s19
	s_delay_alu instid0(SALU_CYCLE_1)
	s_xor_b32 s1, exec_lo, s1
	s_cbranch_execnz .LBB120_538
.LBB120_507:
	s_or_b32 exec_lo, exec_lo, s1
	s_delay_alu instid0(SALU_CYCLE_1)
	s_and_b32 s19, s0, exec_lo
	s_and_not1_b32 s18, s18, exec_lo
.LBB120_508:
	s_or_b32 exec_lo, exec_lo, s4
	s_and_saveexec_b32 s0, s18
	s_delay_alu instid0(SALU_CYCLE_1)
	s_xor_b32 s0, exec_lo, s0
	s_cbranch_execnz .LBB120_534
.LBB120_509:
	s_or_b32 exec_lo, exec_lo, s0
	s_waitcnt lgkmcnt(0)
	s_and_b32 s8, s19, exec_lo
.LBB120_510:
	s_and_not1_saveexec_b32 s0, s17
	s_cbranch_execnz .LBB120_530
.LBB120_511:
	s_or_b32 exec_lo, exec_lo, s0
	s_delay_alu instid0(SALU_CYCLE_1)
	s_and_b32 s8, s8, exec_lo
.LBB120_512:
	s_and_not1_saveexec_b32 s0, s16
	s_cbranch_execnz .LBB120_526
.LBB120_513:
	s_or_b32 exec_lo, exec_lo, s0
	s_delay_alu instid0(SALU_CYCLE_1)
	s_and_b32 s8, s8, exec_lo
.LBB120_514:
	s_and_not1_saveexec_b32 s0, s15
	s_cbranch_execnz .LBB120_522
.LBB120_515:
	s_or_b32 exec_lo, exec_lo, s0
	s_delay_alu instid0(SALU_CYCLE_1)
	s_and_b32 s8, s8, exec_lo
.LBB120_516:
	s_and_not1_saveexec_b32 s0, s14
	s_cbranch_execnz .LBB120_520
; %bb.517:
	s_or_b32 exec_lo, exec_lo, s0
	s_and_saveexec_b32 s0, s8
.LBB120_518:
	; divergent unreachable
.LBB120_519:
	s_nop 0
	s_sendmsg sendmsg(MSG_DEALLOC_VGPRS)
	s_endpgm
.LBB120_520:
	s_cbranch_execnz .LBB120_524
; %bb.521:
	s_or_b32 s8, s8, exec_lo
	s_or_b32 exec_lo, exec_lo, s0
	s_and_saveexec_b32 s0, s8
	s_cbranch_execnz .LBB120_518
	s_branch .LBB120_519
.LBB120_522:
	s_cbranch_execnz .LBB120_528
; %bb.523:
	s_or_b32 s8, s8, exec_lo
	s_branch .LBB120_515
.LBB120_524:
	s_trap 2
	s_sendmsg_rtn_b32 s0, sendmsg(MSG_RTN_GET_DOORBELL)
	s_mov_b32 ttmp2, m0
	s_waitcnt lgkmcnt(0)
	s_and_b32 s0, s0, 0x3ff
	s_delay_alu instid0(SALU_CYCLE_1) | instskip(NEXT) | instid1(SALU_CYCLE_1)
	s_bitset1_b32 s0, 10
	s_mov_b32 m0, s0
	s_sendmsg sendmsg(MSG_INTERRUPT)
	s_mov_b32 m0, ttmp2
.LBB120_525:                            ; =>This Inner Loop Header: Depth=1
	s_sethalt 5
	s_branch .LBB120_525
.LBB120_526:
	s_cbranch_execnz .LBB120_532
; %bb.527:
	s_or_b32 s8, s8, exec_lo
	s_branch .LBB120_513
.LBB120_528:
	s_trap 2
	s_sendmsg_rtn_b32 s0, sendmsg(MSG_RTN_GET_DOORBELL)
	s_mov_b32 ttmp2, m0
	s_waitcnt lgkmcnt(0)
	s_and_b32 s0, s0, 0x3ff
	s_delay_alu instid0(SALU_CYCLE_1) | instskip(NEXT) | instid1(SALU_CYCLE_1)
	s_bitset1_b32 s0, 10
	s_mov_b32 m0, s0
	s_sendmsg sendmsg(MSG_INTERRUPT)
	s_mov_b32 m0, ttmp2
.LBB120_529:                            ; =>This Inner Loop Header: Depth=1
	s_sethalt 5
	s_branch .LBB120_529
.LBB120_530:
	s_cbranch_execnz .LBB120_536
; %bb.531:
	s_or_b32 s8, s8, exec_lo
	s_branch .LBB120_511
.LBB120_532:
	s_trap 2
	s_sendmsg_rtn_b32 s0, sendmsg(MSG_RTN_GET_DOORBELL)
	s_mov_b32 ttmp2, m0
	s_waitcnt lgkmcnt(0)
	s_and_b32 s0, s0, 0x3ff
	s_delay_alu instid0(SALU_CYCLE_1) | instskip(NEXT) | instid1(SALU_CYCLE_1)
	s_bitset1_b32 s0, 10
	s_mov_b32 m0, s0
	s_sendmsg sendmsg(MSG_INTERRUPT)
	s_mov_b32 m0, ttmp2
.LBB120_533:                            ; =>This Inner Loop Header: Depth=1
	s_sethalt 5
	s_branch .LBB120_533
.LBB120_534:
	s_cbranch_execnz .LBB120_540
; %bb.535:
	s_or_b32 s19, s19, exec_lo
	s_branch .LBB120_509
.LBB120_536:
	s_trap 2
	s_sendmsg_rtn_b32 s0, sendmsg(MSG_RTN_GET_DOORBELL)
	s_mov_b32 ttmp2, m0
	s_waitcnt lgkmcnt(0)
	s_and_b32 s0, s0, 0x3ff
	s_delay_alu instid0(SALU_CYCLE_1) | instskip(NEXT) | instid1(SALU_CYCLE_1)
	s_bitset1_b32 s0, 10
	s_mov_b32 m0, s0
	s_sendmsg sendmsg(MSG_INTERRUPT)
	s_mov_b32 m0, ttmp2
.LBB120_537:                            ; =>This Inner Loop Header: Depth=1
	s_sethalt 5
	s_branch .LBB120_537
.LBB120_538:
	s_cbranch_execnz .LBB120_542
; %bb.539:
	s_mov_b32 s0, exec_lo
	s_branch .LBB120_507
.LBB120_540:
	s_trap 2
	s_sendmsg_rtn_b32 s0, sendmsg(MSG_RTN_GET_DOORBELL)
	s_mov_b32 ttmp2, m0
	s_waitcnt lgkmcnt(0)
	s_and_b32 s0, s0, 0x3ff
	s_delay_alu instid0(SALU_CYCLE_1) | instskip(NEXT) | instid1(SALU_CYCLE_1)
	s_bitset1_b32 s0, 10
	s_mov_b32 m0, s0
	s_sendmsg sendmsg(MSG_INTERRUPT)
	s_mov_b32 m0, ttmp2
.LBB120_541:                            ; =>This Inner Loop Header: Depth=1
	s_sethalt 5
	s_branch .LBB120_541
.LBB120_542:
	s_trap 2
	s_sendmsg_rtn_b32 s0, sendmsg(MSG_RTN_GET_DOORBELL)
	s_mov_b32 ttmp2, m0
	s_waitcnt lgkmcnt(0)
	s_and_b32 s0, s0, 0x3ff
	s_delay_alu instid0(SALU_CYCLE_1) | instskip(NEXT) | instid1(SALU_CYCLE_1)
	s_bitset1_b32 s0, 10
	s_mov_b32 m0, s0
	s_sendmsg sendmsg(MSG_INTERRUPT)
	s_mov_b32 m0, ttmp2
.LBB120_543:                            ; =>This Inner Loop Header: Depth=1
	s_sethalt 5
	s_branch .LBB120_543
	.section	.rodata,"a",@progbits
	.p2align	6, 0x0
	.amdhsa_kernel _ZN2at6native6sbtopk10gatherTopKIhmLi1ELb0EEEvNS_4cuda6detail10TensorInfoIKT_T0_EES8_S8_bS8_S8_NS5_IS6_S8_EES8_NS5_IlS8_EES8_PS6_
		.amdhsa_group_segment_fixed_size 5152
		.amdhsa_private_segment_fixed_size 0
		.amdhsa_kernarg_size 1568
		.amdhsa_user_sgpr_count 13
		.amdhsa_user_sgpr_dispatch_ptr 0
		.amdhsa_user_sgpr_queue_ptr 0
		.amdhsa_user_sgpr_kernarg_segment_ptr 1
		.amdhsa_user_sgpr_dispatch_id 0
		.amdhsa_user_sgpr_private_segment_size 0
		.amdhsa_wavefront_size32 1
		.amdhsa_uses_dynamic_stack 0
		.amdhsa_enable_private_segment 0
		.amdhsa_system_sgpr_workgroup_id_x 1
		.amdhsa_system_sgpr_workgroup_id_y 1
		.amdhsa_system_sgpr_workgroup_id_z 1
		.amdhsa_system_sgpr_workgroup_info 0
		.amdhsa_system_vgpr_workitem_id 0
		.amdhsa_next_free_vgpr 41
		.amdhsa_next_free_sgpr 105
		.amdhsa_reserve_vcc 1
		.amdhsa_float_round_mode_32 0
		.amdhsa_float_round_mode_16_64 0
		.amdhsa_float_denorm_mode_32 3
		.amdhsa_float_denorm_mode_16_64 3
		.amdhsa_dx10_clamp 1
		.amdhsa_ieee_mode 1
		.amdhsa_fp16_overflow 0
		.amdhsa_workgroup_processor_mode 1
		.amdhsa_memory_ordered 1
		.amdhsa_forward_progress 0
		.amdhsa_shared_vgpr_count 0
		.amdhsa_exception_fp_ieee_invalid_op 0
		.amdhsa_exception_fp_denorm_src 0
		.amdhsa_exception_fp_ieee_div_zero 0
		.amdhsa_exception_fp_ieee_overflow 0
		.amdhsa_exception_fp_ieee_underflow 0
		.amdhsa_exception_fp_ieee_inexact 0
		.amdhsa_exception_int_div_zero 0
	.end_amdhsa_kernel
	.section	.text._ZN2at6native6sbtopk10gatherTopKIhmLi1ELb0EEEvNS_4cuda6detail10TensorInfoIKT_T0_EES8_S8_bS8_S8_NS5_IS6_S8_EES8_NS5_IlS8_EES8_PS6_,"axG",@progbits,_ZN2at6native6sbtopk10gatherTopKIhmLi1ELb0EEEvNS_4cuda6detail10TensorInfoIKT_T0_EES8_S8_bS8_S8_NS5_IS6_S8_EES8_NS5_IlS8_EES8_PS6_,comdat
.Lfunc_end120:
	.size	_ZN2at6native6sbtopk10gatherTopKIhmLi1ELb0EEEvNS_4cuda6detail10TensorInfoIKT_T0_EES8_S8_bS8_S8_NS5_IS6_S8_EES8_NS5_IlS8_EES8_PS6_, .Lfunc_end120-_ZN2at6native6sbtopk10gatherTopKIhmLi1ELb0EEEvNS_4cuda6detail10TensorInfoIKT_T0_EES8_S8_bS8_S8_NS5_IS6_S8_EES8_NS5_IlS8_EES8_PS6_
                                        ; -- End function
	.section	.AMDGPU.csdata,"",@progbits
; Kernel info:
; codeLenInByte = 28232
; NumSgprs: 107
; NumVgprs: 41
; ScratchSize: 0
; MemoryBound: 0
; FloatMode: 240
; IeeeMode: 1
; LDSByteSize: 5152 bytes/workgroup (compile time only)
; SGPRBlocks: 13
; VGPRBlocks: 5
; NumSGPRsForWavesPerEU: 107
; NumVGPRsForWavesPerEU: 41
; Occupancy: 16
; WaveLimiterHint : 1
; COMPUTE_PGM_RSRC2:SCRATCH_EN: 0
; COMPUTE_PGM_RSRC2:USER_SGPR: 13
; COMPUTE_PGM_RSRC2:TRAP_HANDLER: 0
; COMPUTE_PGM_RSRC2:TGID_X_EN: 1
; COMPUTE_PGM_RSRC2:TGID_Y_EN: 1
; COMPUTE_PGM_RSRC2:TGID_Z_EN: 1
; COMPUTE_PGM_RSRC2:TIDIG_COMP_CNT: 0
	.section	.text._ZN2at6native6mbtopk23computeBlockDigitCountsIhmjLi2EEEvNS_4cuda6detail10TensorInfoIKT_T0_EEjPjjS8_iijT1_PSB_Ps,"axG",@progbits,_ZN2at6native6mbtopk23computeBlockDigitCountsIhmjLi2EEEvNS_4cuda6detail10TensorInfoIKT_T0_EEjPjjS8_iijT1_PSB_Ps,comdat
	.protected	_ZN2at6native6mbtopk23computeBlockDigitCountsIhmjLi2EEEvNS_4cuda6detail10TensorInfoIKT_T0_EEjPjjS8_iijT1_PSB_Ps ; -- Begin function _ZN2at6native6mbtopk23computeBlockDigitCountsIhmjLi2EEEvNS_4cuda6detail10TensorInfoIKT_T0_EEjPjjS8_iijT1_PSB_Ps
	.globl	_ZN2at6native6mbtopk23computeBlockDigitCountsIhmjLi2EEEvNS_4cuda6detail10TensorInfoIKT_T0_EEjPjjS8_iijT1_PSB_Ps
	.p2align	8
	.type	_ZN2at6native6mbtopk23computeBlockDigitCountsIhmjLi2EEEvNS_4cuda6detail10TensorInfoIKT_T0_EEjPjjS8_iijT1_PSB_Ps,@function
_ZN2at6native6mbtopk23computeBlockDigitCountsIhmjLi2EEEvNS_4cuda6detail10TensorInfoIKT_T0_EEjPjjS8_iijT1_PSB_Ps: ; @_ZN2at6native6mbtopk23computeBlockDigitCountsIhmjLi2EEEvNS_4cuda6detail10TensorInfoIKT_T0_EEjPjjS8_iijT1_PSB_Ps
; %bb.0:
	s_clause 0x2
	s_load_b128 s[4:7], s[0:1], 0x1c0
	s_load_b32 s9, s[0:1], 0x1b0
	s_load_b64 s[2:3], s[0:1], 0x1e0
	s_waitcnt lgkmcnt(0)
	v_cvt_f32_u32_e32 v1, s6
	s_sub_i32 s10, 0, s6
	s_mul_i32 s3, s3, s15
	s_delay_alu instid0(SALU_CYCLE_1) | instskip(NEXT) | instid1(VALU_DEP_1)
	s_add_i32 s3, s3, s14
	v_rcp_iflag_f32_e32 v1, v1
	s_mul_i32 s16, s3, s2
	s_delay_alu instid0(SALU_CYCLE_1) | instskip(SKIP_3) | instid1(VALU_DEP_1)
	s_add_i32 s16, s16, s13
	s_mov_b32 s13, 0
	s_waitcnt_depctr 0xfff
	v_mul_f32_e32 v1, 0x4f7ffffe, v1
	v_cvt_u32_f32_e32 v1, v1
	s_delay_alu instid0(VALU_DEP_1) | instskip(NEXT) | instid1(VALU_DEP_1)
	v_readfirstlane_b32 s8, v1
	s_mul_i32 s10, s10, s8
	s_delay_alu instid0(SALU_CYCLE_1) | instskip(NEXT) | instid1(SALU_CYCLE_1)
	s_mul_hi_u32 s2, s8, s10
	s_add_i32 s8, s8, s2
	s_delay_alu instid0(SALU_CYCLE_1) | instskip(NEXT) | instid1(SALU_CYCLE_1)
	s_mul_hi_u32 s2, s16, s8
	s_mul_i32 s3, s2, s6
	s_add_i32 s8, s2, 1
	s_sub_i32 s3, s16, s3
	s_delay_alu instid0(SALU_CYCLE_1)
	s_sub_i32 s10, s3, s6
	s_cmp_ge_u32 s3, s6
	s_cselect_b32 s2, s8, s2
	s_cselect_b32 s3, s10, s3
	s_add_i32 s8, s2, 1
	s_cmp_ge_u32 s3, s6
	s_cselect_b32 s12, s8, s2
	s_delay_alu instid0(SALU_CYCLE_1)
	s_cmp_ge_u32 s12, s9
	s_cbranch_scc1 .LBB121_31
; %bb.1:
	s_clause 0x1
	s_load_b64 s[2:3], s[0:1], 0x10
	s_load_b128 s[8:11], s[0:1], 0x1d0
	s_lshl_b64 s[14:15], s[12:13], 2
	s_waitcnt lgkmcnt(0)
	v_cmp_lt_u64_e64 s17, s[12:13], s[2:3]
	s_add_u32 s14, s8, s14
	s_addc_u32 s15, s9, s15
	s_mov_b64 s[8:9], 0
	s_delay_alu instid0(VALU_DEP_1)
	s_and_b32 vcc_lo, exec_lo, s17
	s_cbranch_vccnz .LBB121_3
; %bb.2:
	v_cvt_f32_u32_e32 v1, s2
	s_sub_i32 s9, 0, s2
	s_delay_alu instid0(VALU_DEP_1) | instskip(SKIP_2) | instid1(VALU_DEP_1)
	v_rcp_iflag_f32_e32 v1, v1
	s_waitcnt_depctr 0xfff
	v_mul_f32_e32 v1, 0x4f7ffffe, v1
	v_cvt_u32_f32_e32 v1, v1
	s_delay_alu instid0(VALU_DEP_1) | instskip(NEXT) | instid1(VALU_DEP_1)
	v_readfirstlane_b32 s8, v1
	s_mul_i32 s9, s9, s8
	s_delay_alu instid0(SALU_CYCLE_1) | instskip(NEXT) | instid1(SALU_CYCLE_1)
	s_mul_hi_u32 s9, s8, s9
	s_add_i32 s8, s8, s9
	s_delay_alu instid0(SALU_CYCLE_1) | instskip(NEXT) | instid1(SALU_CYCLE_1)
	s_mul_hi_u32 s8, s12, s8
	s_mul_i32 s9, s8, s2
	s_add_i32 s13, s8, 1
	s_sub_i32 s9, s12, s9
	s_delay_alu instid0(SALU_CYCLE_1)
	s_sub_i32 s17, s9, s2
	s_cmp_ge_u32 s9, s2
	s_cselect_b32 s8, s13, s8
	s_cselect_b32 s9, s17, s9
	s_add_i32 s13, s8, 1
	s_cmp_ge_u32 s9, s2
	s_cselect_b32 s8, s13, s8
.LBB121_3:
	v_cmp_gt_u32_e32 vcc_lo, 0x100, v0
	v_lshlrev_b32_e32 v1, 2, v0
	s_and_saveexec_b32 s9, vcc_lo
	s_cbranch_execz .LBB121_5
; %bb.4:
	v_mov_b32_e32 v2, 0
	ds_store_b32 v1, v2
.LBB121_5:
	s_or_b32 exec_lo, exec_lo, s9
	s_load_b32 s13, s[0:1], 0x1a0
	s_mul_i32 s9, s12, s6
	s_waitcnt lgkmcnt(0)
	s_sub_i32 s9, s16, s9
	s_barrier
	s_mul_i32 s17, s5, s9
	s_add_i32 s9, s9, 1
	s_lshl_b32 s17, s17, 8
	buffer_gl0_inv
	s_sub_i32 s18, s13, s17
	s_delay_alu instid0(SALU_CYCLE_1) | instskip(SKIP_3) | instid1(VALU_DEP_1)
	s_add_u32 s18, s18, 0xff
	s_addc_u32 s19, 0, 0
	s_cmp_lt_u32 s9, s6
	v_alignbit_b32 v2, s19, s18, 8
	v_readfirstlane_b32 s18, v2
	s_delay_alu instid0(VALU_DEP_1)
	s_cselect_b32 s6, s5, s18
	s_mov_b32 s18, 0
	s_cmp_lt_i32 s6, 1
	s_cbranch_scc1 .LBB121_27
; %bb.6:
	s_clause 0x1
	s_load_b128 s[20:23], s[0:1], 0xd0
	s_load_b64 s[24:25], s[0:1], 0x0
	s_load_b32 s5, s[14:15], 0x0
	s_mul_i32 s9, s8, s3
	s_mul_hi_u32 s14, s8, s2
	s_mul_i32 s15, s8, s2
	s_load_b64 s[2:3], s[0:1], 0x1b8
	s_add_i32 s14, s14, s9
	s_sub_u32 s0, s12, s15
	s_subb_u32 s1, 0, s14
	s_waitcnt lgkmcnt(0)
	s_mul_i32 s9, s0, s23
	s_mul_hi_u32 s12, s0, s22
	s_mul_i32 s1, s1, s22
	s_mul_i32 s14, s8, s21
	s_mul_hi_u32 s15, s8, s20
	s_add_i32 s9, s12, s9
	s_mul_i32 s8, s8, s20
	s_add_i32 s15, s15, s14
	s_add_i32 s9, s9, s1
	s_mul_i32 s0, s0, s22
	s_add_u32 s1, s24, s8
	s_addc_u32 s12, s25, s15
	s_add_u32 s8, s1, s0
	s_addc_u32 s9, s12, s9
	s_and_b32 s1, s4, 0xff
	s_cmp_lt_u32 s6, 4
	s_cbranch_scc1 .LBB121_21
; %bb.7:
	v_dual_mov_b32 v3, 1 :: v_dual_add_nc_u32 v2, s17, v0
	s_and_b32 s18, s6, 0x7ffffffc
	s_mov_b32 s4, 0
	s_branch .LBB121_9
.LBB121_8:                              ;   in Loop: Header=BB121_9 Depth=1
	s_or_b32 exec_lo, exec_lo, s12
	v_add_nc_u32_e32 v2, 0x400, v2
	s_add_i32 s4, s4, 4
	s_delay_alu instid0(SALU_CYCLE_1)
	s_cmp_eq_u32 s18, s4
	s_cbranch_scc1 .LBB121_21
.LBB121_9:                              ; =>This Inner Loop Header: Depth=1
	s_mov_b32 s12, exec_lo
	v_cmpx_gt_u32_e64 s13, v2
	s_cbranch_execz .LBB121_12
; %bb.10:                               ;   in Loop: Header=BB121_9 Depth=1
	v_mad_u64_u32 v[4:5], null, v2, s2, s[8:9]
	s_delay_alu instid0(VALU_DEP_1) | instskip(NEXT) | instid1(VALU_DEP_1)
	v_mad_u64_u32 v[6:7], null, v2, s3, v[5:6]
	v_mov_b32_e32 v5, v6
	global_load_u8 v4, v[4:5], off
	s_waitcnt vmcnt(0)
	v_xor_b32_e32 v5, s5, v4
	s_delay_alu instid0(VALU_DEP_1) | instskip(NEXT) | instid1(VALU_DEP_1)
	v_and_b32_e32 v5, s7, v5
	v_cmp_eq_u32_e64 s0, 0, v5
	s_delay_alu instid0(VALU_DEP_1)
	s_and_b32 exec_lo, exec_lo, s0
	s_cbranch_execz .LBB121_12
; %bb.11:                               ;   in Loop: Header=BB121_9 Depth=1
	v_lshrrev_b32_e32 v4, s1, v4
	s_delay_alu instid0(VALU_DEP_1)
	v_lshlrev_b32_e32 v4, 2, v4
	ds_add_u32 v4, v3
.LBB121_12:                             ;   in Loop: Header=BB121_9 Depth=1
	s_or_b32 exec_lo, exec_lo, s12
	v_add_nc_u32_e32 v4, 0x100, v2
	s_mov_b32 s12, exec_lo
	s_delay_alu instid0(VALU_DEP_1)
	v_cmpx_gt_u32_e64 s13, v4
	s_cbranch_execz .LBB121_15
; %bb.13:                               ;   in Loop: Header=BB121_9 Depth=1
	v_mad_u64_u32 v[5:6], null, v4, s2, s[8:9]
	s_delay_alu instid0(VALU_DEP_1) | instskip(NEXT) | instid1(VALU_DEP_1)
	v_mad_u64_u32 v[7:8], null, v4, s3, v[6:7]
	v_mov_b32_e32 v6, v7
	global_load_u8 v4, v[5:6], off
	s_waitcnt vmcnt(0)
	v_xor_b32_e32 v5, s5, v4
	s_delay_alu instid0(VALU_DEP_1) | instskip(NEXT) | instid1(VALU_DEP_1)
	v_and_b32_e32 v5, s7, v5
	v_cmp_eq_u32_e64 s0, 0, v5
	s_delay_alu instid0(VALU_DEP_1)
	s_and_b32 exec_lo, exec_lo, s0
	s_cbranch_execz .LBB121_15
; %bb.14:                               ;   in Loop: Header=BB121_9 Depth=1
	v_lshrrev_b32_e32 v4, s1, v4
	s_delay_alu instid0(VALU_DEP_1)
	v_lshlrev_b32_e32 v4, 2, v4
	ds_add_u32 v4, v3
.LBB121_15:                             ;   in Loop: Header=BB121_9 Depth=1
	s_or_b32 exec_lo, exec_lo, s12
	v_add_nc_u32_e32 v4, 0x200, v2
	s_mov_b32 s12, exec_lo
	s_delay_alu instid0(VALU_DEP_1)
	;; [unrolled: 26-line block ×3, first 2 shown]
	v_cmpx_gt_u32_e64 s13, v4
	s_cbranch_execz .LBB121_8
; %bb.19:                               ;   in Loop: Header=BB121_9 Depth=1
	v_mad_u64_u32 v[5:6], null, v4, s2, s[8:9]
	s_delay_alu instid0(VALU_DEP_1) | instskip(NEXT) | instid1(VALU_DEP_1)
	v_mad_u64_u32 v[7:8], null, v4, s3, v[6:7]
	v_mov_b32_e32 v6, v7
	global_load_u8 v4, v[5:6], off
	s_waitcnt vmcnt(0)
	v_xor_b32_e32 v5, s5, v4
	s_delay_alu instid0(VALU_DEP_1) | instskip(NEXT) | instid1(VALU_DEP_1)
	v_and_b32_e32 v5, s7, v5
	v_cmp_eq_u32_e64 s0, 0, v5
	s_delay_alu instid0(VALU_DEP_1)
	s_and_b32 exec_lo, exec_lo, s0
	s_cbranch_execz .LBB121_8
; %bb.20:                               ;   in Loop: Header=BB121_9 Depth=1
	v_lshrrev_b32_e32 v4, s1, v4
	s_delay_alu instid0(VALU_DEP_1)
	v_lshlrev_b32_e32 v4, 2, v4
	ds_add_u32 v4, v3
	s_branch .LBB121_8
.LBB121_21:
	s_and_b32 s4, s6, 3
	s_delay_alu instid0(SALU_CYCLE_1)
	s_cmp_eq_u32 s4, 0
	s_cbranch_scc1 .LBB121_27
; %bb.22:
	s_lshl_b32 s0, s18, 8
	v_mov_b32_e32 v3, 1
	v_add3_u32 v2, s0, s17, v0
	s_set_inst_prefetch_distance 0x1
	s_branch .LBB121_24
	.p2align	6
.LBB121_23:                             ;   in Loop: Header=BB121_24 Depth=1
	s_or_b32 exec_lo, exec_lo, s6
	v_add_nc_u32_e32 v2, 0x100, v2
	s_add_i32 s4, s4, -1
	s_delay_alu instid0(SALU_CYCLE_1)
	s_cmp_lg_u32 s4, 0
	s_cbranch_scc0 .LBB121_27
.LBB121_24:                             ; =>This Inner Loop Header: Depth=1
	s_mov_b32 s6, exec_lo
	s_delay_alu instid0(VALU_DEP_1)
	v_cmpx_gt_u32_e64 s13, v2
	s_cbranch_execz .LBB121_23
; %bb.25:                               ;   in Loop: Header=BB121_24 Depth=1
	v_mad_u64_u32 v[4:5], null, v2, s2, s[8:9]
	s_delay_alu instid0(VALU_DEP_1) | instskip(NEXT) | instid1(VALU_DEP_1)
	v_mad_u64_u32 v[6:7], null, v2, s3, v[5:6]
	v_mov_b32_e32 v5, v6
	global_load_u8 v4, v[4:5], off
	s_waitcnt vmcnt(0)
	v_xor_b32_e32 v5, s5, v4
	s_delay_alu instid0(VALU_DEP_1) | instskip(NEXT) | instid1(VALU_DEP_1)
	v_and_b32_e32 v5, s7, v5
	v_cmp_eq_u32_e64 s0, 0, v5
	s_delay_alu instid0(VALU_DEP_1)
	s_and_b32 exec_lo, exec_lo, s0
	s_cbranch_execz .LBB121_23
; %bb.26:                               ;   in Loop: Header=BB121_24 Depth=1
	v_lshrrev_b32_e32 v4, s1, v4
	s_delay_alu instid0(VALU_DEP_1)
	v_lshlrev_b32_e32 v4, 2, v4
	ds_add_u32 v4, v3
	s_branch .LBB121_23
.LBB121_27:
	s_set_inst_prefetch_distance 0x2
	v_mov_b32_e32 v2, 0
	s_waitcnt lgkmcnt(0)
	s_barrier
	buffer_gl0_inv
	s_and_saveexec_b32 s0, vcc_lo
	s_cbranch_execz .LBB121_29
; %bb.28:
	ds_load_b32 v2, v1
.LBB121_29:
	s_or_b32 exec_lo, exec_lo, s0
	s_and_saveexec_b32 s0, vcc_lo
	s_cbranch_execz .LBB121_31
; %bb.30:
	v_lshl_or_b32 v0, s16, 8, v0
	v_mov_b32_e32 v1, 0
	s_delay_alu instid0(VALU_DEP_1) | instskip(NEXT) | instid1(VALU_DEP_1)
	v_lshlrev_b64 v[0:1], 1, v[0:1]
	v_add_co_u32 v0, vcc_lo, s10, v0
	s_delay_alu instid0(VALU_DEP_2)
	v_add_co_ci_u32_e32 v1, vcc_lo, s11, v1, vcc_lo
	s_waitcnt lgkmcnt(0)
	global_store_b16 v[0:1], v2, off
.LBB121_31:
	s_nop 0
	s_sendmsg sendmsg(MSG_DEALLOC_VGPRS)
	s_endpgm
	.section	.rodata,"a",@progbits
	.p2align	6, 0x0
	.amdhsa_kernel _ZN2at6native6mbtopk23computeBlockDigitCountsIhmjLi2EEEvNS_4cuda6detail10TensorInfoIKT_T0_EEjPjjS8_iijT1_PSB_Ps
		.amdhsa_group_segment_fixed_size 1024
		.amdhsa_private_segment_fixed_size 0
		.amdhsa_kernarg_size 736
		.amdhsa_user_sgpr_count 13
		.amdhsa_user_sgpr_dispatch_ptr 0
		.amdhsa_user_sgpr_queue_ptr 0
		.amdhsa_user_sgpr_kernarg_segment_ptr 1
		.amdhsa_user_sgpr_dispatch_id 0
		.amdhsa_user_sgpr_private_segment_size 0
		.amdhsa_wavefront_size32 1
		.amdhsa_uses_dynamic_stack 0
		.amdhsa_enable_private_segment 0
		.amdhsa_system_sgpr_workgroup_id_x 1
		.amdhsa_system_sgpr_workgroup_id_y 1
		.amdhsa_system_sgpr_workgroup_id_z 1
		.amdhsa_system_sgpr_workgroup_info 0
		.amdhsa_system_vgpr_workitem_id 0
		.amdhsa_next_free_vgpr 9
		.amdhsa_next_free_sgpr 26
		.amdhsa_reserve_vcc 1
		.amdhsa_float_round_mode_32 0
		.amdhsa_float_round_mode_16_64 0
		.amdhsa_float_denorm_mode_32 3
		.amdhsa_float_denorm_mode_16_64 3
		.amdhsa_dx10_clamp 1
		.amdhsa_ieee_mode 1
		.amdhsa_fp16_overflow 0
		.amdhsa_workgroup_processor_mode 1
		.amdhsa_memory_ordered 1
		.amdhsa_forward_progress 0
		.amdhsa_shared_vgpr_count 0
		.amdhsa_exception_fp_ieee_invalid_op 0
		.amdhsa_exception_fp_denorm_src 0
		.amdhsa_exception_fp_ieee_div_zero 0
		.amdhsa_exception_fp_ieee_overflow 0
		.amdhsa_exception_fp_ieee_underflow 0
		.amdhsa_exception_fp_ieee_inexact 0
		.amdhsa_exception_int_div_zero 0
	.end_amdhsa_kernel
	.section	.text._ZN2at6native6mbtopk23computeBlockDigitCountsIhmjLi2EEEvNS_4cuda6detail10TensorInfoIKT_T0_EEjPjjS8_iijT1_PSB_Ps,"axG",@progbits,_ZN2at6native6mbtopk23computeBlockDigitCountsIhmjLi2EEEvNS_4cuda6detail10TensorInfoIKT_T0_EEjPjjS8_iijT1_PSB_Ps,comdat
.Lfunc_end121:
	.size	_ZN2at6native6mbtopk23computeBlockDigitCountsIhmjLi2EEEvNS_4cuda6detail10TensorInfoIKT_T0_EEjPjjS8_iijT1_PSB_Ps, .Lfunc_end121-_ZN2at6native6mbtopk23computeBlockDigitCountsIhmjLi2EEEvNS_4cuda6detail10TensorInfoIKT_T0_EEjPjjS8_iijT1_PSB_Ps
                                        ; -- End function
	.section	.AMDGPU.csdata,"",@progbits
; Kernel info:
; codeLenInByte = 1432
; NumSgprs: 28
; NumVgprs: 9
; ScratchSize: 0
; MemoryBound: 0
; FloatMode: 240
; IeeeMode: 1
; LDSByteSize: 1024 bytes/workgroup (compile time only)
; SGPRBlocks: 3
; VGPRBlocks: 1
; NumSGPRsForWavesPerEU: 28
; NumVGPRsForWavesPerEU: 9
; Occupancy: 16
; WaveLimiterHint : 1
; COMPUTE_PGM_RSRC2:SCRATCH_EN: 0
; COMPUTE_PGM_RSRC2:USER_SGPR: 13
; COMPUTE_PGM_RSRC2:TRAP_HANDLER: 0
; COMPUTE_PGM_RSRC2:TGID_X_EN: 1
; COMPUTE_PGM_RSRC2:TGID_Y_EN: 1
; COMPUTE_PGM_RSRC2:TGID_Z_EN: 1
; COMPUTE_PGM_RSRC2:TIDIG_COMP_CNT: 0
	.section	.text._ZN2at6native6mbtopk10gatherTopKIhmLi2EEEvNS_4cuda6detail10TensorInfoIKT_T0_EES8_S8_bjS8_NS5_IS6_S8_EES8_NS5_IlS8_EES8_jjPS6_PjSD_j,"axG",@progbits,_ZN2at6native6mbtopk10gatherTopKIhmLi2EEEvNS_4cuda6detail10TensorInfoIKT_T0_EES8_S8_bjS8_NS5_IS6_S8_EES8_NS5_IlS8_EES8_jjPS6_PjSD_j,comdat
	.protected	_ZN2at6native6mbtopk10gatherTopKIhmLi2EEEvNS_4cuda6detail10TensorInfoIKT_T0_EES8_S8_bjS8_NS5_IS6_S8_EES8_NS5_IlS8_EES8_jjPS6_PjSD_j ; -- Begin function _ZN2at6native6mbtopk10gatherTopKIhmLi2EEEvNS_4cuda6detail10TensorInfoIKT_T0_EES8_S8_bjS8_NS5_IS6_S8_EES8_NS5_IlS8_EES8_jjPS6_PjSD_j
	.globl	_ZN2at6native6mbtopk10gatherTopKIhmLi2EEEvNS_4cuda6detail10TensorInfoIKT_T0_EES8_S8_bjS8_NS5_IS6_S8_EES8_NS5_IlS8_EES8_jjPS6_PjSD_j
	.p2align	8
	.type	_ZN2at6native6mbtopk10gatherTopKIhmLi2EEEvNS_4cuda6detail10TensorInfoIKT_T0_EES8_S8_bjS8_NS5_IS6_S8_EES8_NS5_IlS8_EES8_jjPS6_PjSD_j,@function
_ZN2at6native6mbtopk10gatherTopKIhmLi2EEEvNS_4cuda6detail10TensorInfoIKT_T0_EES8_S8_bjS8_NS5_IS6_S8_EES8_NS5_IlS8_EES8_jjPS6_PjSD_j: ; @_ZN2at6native6mbtopk10gatherTopKIhmLi2EEEvNS_4cuda6detail10TensorInfoIKT_T0_EES8_S8_bjS8_NS5_IS6_S8_EES8_NS5_IlS8_EES8_jjPS6_PjSD_j
; %bb.0:
	s_clause 0x1
	s_load_b64 s[2:3], s[0:1], 0x538
	s_load_b32 s4, s[0:1], 0x530
	s_waitcnt lgkmcnt(0)
	s_mul_i32 s3, s3, s15
	s_delay_alu instid0(SALU_CYCLE_1) | instskip(NEXT) | instid1(SALU_CYCLE_1)
	s_add_i32 s3, s3, s14
	s_mul_i32 s2, s3, s2
	s_delay_alu instid0(SALU_CYCLE_1) | instskip(NEXT) | instid1(SALU_CYCLE_1)
	s_add_i32 s2, s2, s13
	s_cmp_ge_u32 s2, s4
	s_cbranch_scc1 .LBB122_48
; %bb.1:
	s_clause 0x1
	s_load_b64 s[28:29], s[0:1], 0x510
	s_load_b64 s[36:37], s[0:1], 0x1d0
	s_mov_b32 s31, 0
	s_waitcnt lgkmcnt(0)
	v_cvt_f32_u32_e32 v1, s29
	s_sub_i32 s4, 0, s29
	s_lshl_b32 s33, s28, 8
	s_delay_alu instid0(VALU_DEP_1) | instskip(SKIP_2) | instid1(VALU_DEP_1)
	v_rcp_iflag_f32_e32 v1, v1
	s_waitcnt_depctr 0xfff
	v_mul_f32_e32 v1, 0x4f7ffffe, v1
	v_cvt_u32_f32_e32 v1, v1
	s_delay_alu instid0(VALU_DEP_1) | instskip(NEXT) | instid1(VALU_DEP_1)
	v_readfirstlane_b32 s3, v1
	s_mul_i32 s4, s4, s3
	s_delay_alu instid0(SALU_CYCLE_1) | instskip(NEXT) | instid1(SALU_CYCLE_1)
	s_mul_hi_u32 s4, s3, s4
	s_add_i32 s3, s3, s4
	s_clause 0x1
	s_load_b128 s[4:7], s[0:1], 0x1a0
	s_load_b64 s[34:35], s[0:1], 0x10
	s_mul_hi_u32 s3, s2, s3
	s_delay_alu instid0(SALU_CYCLE_1) | instskip(SKIP_2) | instid1(SALU_CYCLE_1)
	s_mul_i32 s8, s3, s29
	s_add_i32 s9, s3, 1
	s_sub_i32 s8, s2, s8
	s_sub_i32 s10, s8, s29
	s_cmp_ge_u32 s8, s29
	s_cselect_b32 s3, s9, s3
	s_cselect_b32 s8, s10, s8
	s_add_i32 s9, s3, 1
	s_cmp_ge_u32 s8, s29
	s_cselect_b32 s30, s9, s3
	s_delay_alu instid0(SALU_CYCLE_1) | instskip(NEXT) | instid1(SALU_CYCLE_1)
	s_mul_i32 s16, s30, s29
	s_sub_i32 s48, s2, s16
	s_delay_alu instid0(SALU_CYCLE_1) | instskip(NEXT) | instid1(SALU_CYCLE_1)
	s_add_i32 s2, s48, 1
	s_cmp_lt_u32 s2, s29
	s_cbranch_scc1 .LBB122_3
; %bb.2:
	s_mul_i32 s2, s48, s33
	s_waitcnt lgkmcnt(0)
	s_sub_u32 s2, s4, s2
	s_subb_u32 s3, s5, 0
	s_add_u32 s2, s2, 0xff
	s_addc_u32 s3, s3, 0
	s_delay_alu instid0(SALU_CYCLE_1) | instskip(NEXT) | instid1(SALU_CYCLE_1)
	s_ashr_i32 s8, s3, 31
	s_lshr_b32 s8, s8, 24
	s_delay_alu instid0(SALU_CYCLE_1) | instskip(SKIP_1) | instid1(SALU_CYCLE_1)
	s_add_u32 s2, s2, s8
	s_addc_u32 s3, s3, 0
	v_alignbit_b32 v1, s3, s2, 8
	s_delay_alu instid0(VALU_DEP_1)
	v_readfirstlane_b32 s28, v1
.LBB122_3:
	s_load_b64 s[38:39], s[0:1], 0x378
	s_waitcnt lgkmcnt(0)
	v_cmp_lt_u64_e64 s2, s[30:31], s[34:35]
	s_mov_b64 s[42:43], 0
	s_mov_b64 s[40:41], 0
	s_delay_alu instid0(VALU_DEP_1)
	s_and_b32 vcc_lo, exec_lo, s2
	s_cbranch_vccz .LBB122_20
; %bb.4:
	v_cmp_lt_u64_e64 s2, s[30:31], s[36:37]
	s_delay_alu instid0(VALU_DEP_1)
	s_and_b32 vcc_lo, exec_lo, s2
	s_cbranch_vccz .LBB122_21
.LBB122_5:
	v_cmp_lt_u64_e64 s2, s[30:31], s[38:39]
	s_mov_b64 s[44:45], 0
	s_delay_alu instid0(VALU_DEP_1)
	s_and_b32 vcc_lo, exec_lo, s2
	s_cbranch_vccnz .LBB122_7
.LBB122_6:
	v_cvt_f32_u32_e32 v1, s38
	s_sub_i32 s3, 0, s38
	s_waitcnt_depctr 0xfff
	v_rcp_iflag_f32_e32 v1, v1
	s_waitcnt_depctr 0xfff
	v_mul_f32_e32 v1, 0x4f7ffffe, v1
	s_delay_alu instid0(VALU_DEP_1) | instskip(NEXT) | instid1(VALU_DEP_1)
	v_cvt_u32_f32_e32 v1, v1
	v_readfirstlane_b32 s2, v1
	s_delay_alu instid0(VALU_DEP_1) | instskip(NEXT) | instid1(SALU_CYCLE_1)
	s_mul_i32 s3, s3, s2
	s_mul_hi_u32 s3, s2, s3
	s_delay_alu instid0(SALU_CYCLE_1) | instskip(NEXT) | instid1(SALU_CYCLE_1)
	s_add_i32 s2, s2, s3
	s_mul_hi_u32 s2, s30, s2
	s_delay_alu instid0(SALU_CYCLE_1) | instskip(SKIP_2) | instid1(SALU_CYCLE_1)
	s_mul_i32 s3, s2, s38
	s_add_i32 s8, s2, 1
	s_sub_i32 s3, s30, s3
	s_sub_i32 s9, s3, s38
	s_cmp_ge_u32 s3, s38
	s_cselect_b32 s2, s8, s2
	s_cselect_b32 s3, s9, s3
	s_add_i32 s8, s2, 1
	s_cmp_ge_u32 s3, s38
	s_cselect_b32 s44, s8, s2
.LBB122_7:
	s_clause 0x1
	s_load_b128 s[8:11], s[0:1], 0x518
	s_load_b64 s[46:47], s[0:1], 0x0
	v_mov_b32_e32 v1, 0
	s_mov_b32 s17, 0
	s_waitcnt lgkmcnt(0)
	s_add_u32 s2, s8, s30
	s_addc_u32 s3, s9, 0
	global_load_u8 v4, v1, s[2:3]
	v_cmp_ne_u32_e64 s2, 0, v0
	v_cmp_eq_u32_e64 s3, 0, v0
	s_delay_alu instid0(VALU_DEP_1)
	s_and_saveexec_b32 s22, s3
	s_cbranch_execz .LBB122_25
; %bb.8:
	s_load_b64 s[8:9], s[0:1], 0x528
	s_lshl_b64 s[18:19], s[16:17], 2
	s_mov_b32 s16, 0
	s_add_u32 s12, s10, s18
	s_addc_u32 s13, s11, s19
	s_mov_b32 s23, 0
	s_waitcnt lgkmcnt(0)
	s_add_u32 s14, s8, s18
	s_addc_u32 s15, s9, s19
	s_cmp_lt_u32 s29, 4
	s_cbranch_scc1 .LBB122_22
; %bb.9:
	s_mov_b32 s24, 0
.LBB122_10:                             ; =>This Inner Loop Header: Depth=1
	s_add_u32 s12, s10, s18
	s_addc_u32 s13, s11, s19
	s_add_u32 s20, s8, s18
	s_load_b128 s[12:15], s[12:13], 0x0
	s_addc_u32 s21, s9, s19
	s_cmp_ge_u32 s24, s48
	s_cbranch_scc0 .LBB122_17
; %bb.11:                               ;   in Loop: Header=BB122_10 Depth=1
	s_add_i32 s25, s24, 1
	s_delay_alu instid0(SALU_CYCLE_1)
	s_cmp_ge_u32 s25, s48
	s_cbranch_scc0 .LBB122_18
.LBB122_12:                             ;   in Loop: Header=BB122_10 Depth=1
	s_add_i32 s25, s25, 1
	s_delay_alu instid0(SALU_CYCLE_1)
	s_cmp_ge_u32 s25, s48
	s_cbranch_scc0 .LBB122_19
.LBB122_13:                             ;   in Loop: Header=BB122_10 Depth=1
	s_add_i32 s25, s25, 1
	s_delay_alu instid0(SALU_CYCLE_1)
	s_cmp_ge_u32 s25, s48
	s_cbranch_scc1 .LBB122_15
.LBB122_14:                             ;   in Loop: Header=BB122_10 Depth=1
	s_load_b32 s20, s[20:21], 0xc
	s_waitcnt lgkmcnt(0)
	s_add_i32 s17, s17, s15
	s_add_i32 s16, s20, s16
.LBB122_15:                             ;   in Loop: Header=BB122_10 Depth=1
	s_waitcnt lgkmcnt(0)
	s_add_i32 s12, s12, s23
	s_delay_alu instid0(SALU_CYCLE_1) | instskip(NEXT) | instid1(SALU_CYCLE_1)
	s_add_i32 s12, s12, s13
	s_add_i32 s12, s12, s14
	s_delay_alu instid0(SALU_CYCLE_1)
	s_add_i32 s23, s12, s15
	s_add_u32 s10, s10, 16
	s_addc_u32 s11, s11, 0
	s_add_u32 s8, s8, 16
	s_addc_u32 s9, s9, 0
	s_add_i32 s21, s25, 4
	s_add_u32 s14, s8, s18
	s_addc_u32 s15, s9, s19
	s_add_u32 s12, s10, s18
	s_addc_u32 s13, s11, s19
	s_add_i32 s20, s25, 1
	s_cmp_ge_u32 s21, s29
	s_cbranch_scc1 .LBB122_23
; %bb.16:                               ;   in Loop: Header=BB122_10 Depth=1
	s_mov_b32 s24, s20
	s_branch .LBB122_10
.LBB122_17:                             ;   in Loop: Header=BB122_10 Depth=1
	s_load_b32 s25, s[20:21], 0x0
	s_waitcnt lgkmcnt(0)
	s_add_i32 s17, s12, s17
	s_add_i32 s16, s25, s16
	;; [unrolled: 1-line block ×3, first 2 shown]
	s_delay_alu instid0(SALU_CYCLE_1)
	s_cmp_ge_u32 s25, s48
	s_cbranch_scc1 .LBB122_12
.LBB122_18:                             ;   in Loop: Header=BB122_10 Depth=1
	s_load_b32 s26, s[20:21], 0x4
	s_waitcnt lgkmcnt(0)
	s_add_i32 s17, s17, s13
	s_add_i32 s16, s26, s16
	;; [unrolled: 1-line block ×3, first 2 shown]
	s_delay_alu instid0(SALU_CYCLE_1)
	s_cmp_ge_u32 s25, s48
	s_cbranch_scc1 .LBB122_13
.LBB122_19:                             ;   in Loop: Header=BB122_10 Depth=1
	s_load_b32 s26, s[20:21], 0x8
	s_waitcnt lgkmcnt(0)
	s_add_i32 s17, s17, s14
	s_add_i32 s16, s26, s16
	;; [unrolled: 1-line block ×3, first 2 shown]
	s_delay_alu instid0(SALU_CYCLE_1)
	s_cmp_ge_u32 s25, s48
	s_cbranch_scc0 .LBB122_14
	s_branch .LBB122_15
.LBB122_20:
	v_cvt_f32_u32_e32 v1, s34
	s_sub_i32 s3, 0, s34
	s_delay_alu instid0(VALU_DEP_1) | instskip(SKIP_2) | instid1(VALU_DEP_1)
	v_rcp_iflag_f32_e32 v1, v1
	s_waitcnt_depctr 0xfff
	v_mul_f32_e32 v1, 0x4f7ffffe, v1
	v_cvt_u32_f32_e32 v1, v1
	s_delay_alu instid0(VALU_DEP_1) | instskip(NEXT) | instid1(VALU_DEP_1)
	v_readfirstlane_b32 s2, v1
	s_mul_i32 s3, s3, s2
	s_delay_alu instid0(SALU_CYCLE_1) | instskip(NEXT) | instid1(SALU_CYCLE_1)
	s_mul_hi_u32 s3, s2, s3
	s_add_i32 s2, s2, s3
	s_delay_alu instid0(SALU_CYCLE_1) | instskip(NEXT) | instid1(SALU_CYCLE_1)
	s_mul_hi_u32 s2, s30, s2
	s_mul_i32 s3, s2, s34
	s_add_i32 s8, s2, 1
	s_sub_i32 s3, s30, s3
	s_delay_alu instid0(SALU_CYCLE_1)
	s_sub_i32 s9, s3, s34
	s_cmp_ge_u32 s3, s34
	s_cselect_b32 s2, s8, s2
	s_cselect_b32 s3, s9, s3
	s_add_i32 s8, s2, 1
	s_cmp_ge_u32 s3, s34
	s_cselect_b32 s40, s8, s2
	v_cmp_lt_u64_e64 s2, s[30:31], s[36:37]
	s_delay_alu instid0(VALU_DEP_1)
	s_and_b32 vcc_lo, exec_lo, s2
	s_cbranch_vccnz .LBB122_5
.LBB122_21:
	v_cvt_f32_u32_e32 v1, s36
	s_sub_i32 s3, 0, s36
	s_delay_alu instid0(VALU_DEP_1) | instskip(SKIP_2) | instid1(VALU_DEP_1)
	v_rcp_iflag_f32_e32 v1, v1
	s_waitcnt_depctr 0xfff
	v_mul_f32_e32 v1, 0x4f7ffffe, v1
	v_cvt_u32_f32_e32 v1, v1
	s_delay_alu instid0(VALU_DEP_1) | instskip(NEXT) | instid1(VALU_DEP_1)
	v_readfirstlane_b32 s2, v1
	s_mul_i32 s3, s3, s2
	s_delay_alu instid0(SALU_CYCLE_1) | instskip(NEXT) | instid1(SALU_CYCLE_1)
	s_mul_hi_u32 s3, s2, s3
	s_add_i32 s2, s2, s3
	s_delay_alu instid0(SALU_CYCLE_1) | instskip(NEXT) | instid1(SALU_CYCLE_1)
	s_mul_hi_u32 s2, s30, s2
	s_mul_i32 s3, s2, s36
	s_add_i32 s8, s2, 1
	s_sub_i32 s3, s30, s3
	s_delay_alu instid0(SALU_CYCLE_1)
	s_sub_i32 s9, s3, s36
	s_cmp_ge_u32 s3, s36
	s_cselect_b32 s2, s8, s2
	s_cselect_b32 s3, s9, s3
	s_add_i32 s8, s2, 1
	s_cmp_ge_u32 s3, s36
	s_cselect_b32 s42, s8, s2
	v_cmp_lt_u64_e64 s2, s[30:31], s[38:39]
	s_mov_b64 s[44:45], 0
	s_delay_alu instid0(VALU_DEP_1)
	s_and_b32 vcc_lo, exec_lo, s2
	s_cbranch_vccz .LBB122_6
	s_branch .LBB122_7
.LBB122_22:
	s_mov_b32 s8, 0
	s_delay_alu instid0(SALU_CYCLE_1)
	s_cmp_ge_u32 s8, s29
	s_cbranch_scc0 .LBB122_46
	s_branch .LBB122_24
.LBB122_23:
	s_add_i32 s8, s24, 4
	s_delay_alu instid0(SALU_CYCLE_1)
	s_cmp_ge_u32 s8, s29
	s_cbranch_scc0 .LBB122_46
.LBB122_24:
	v_dual_mov_b32 v1, s16 :: v_dual_mov_b32 v2, s23
	v_mov_b32_e32 v3, s17
	v_mov_b32_e32 v5, 0
	ds_store_b96 v5, v[1:3] offset:1056
.LBB122_25:
	s_or_b32 exec_lo, exec_lo, s22
	s_clause 0x4
	s_load_b128 s[8:11], s[0:1], 0x1b8
	s_load_b128 s[20:23], s[0:1], 0xd0
	;; [unrolled: 1-line block ×5, first 2 shown]
	s_cmp_eq_u32 s28, 0
	s_waitcnt vmcnt(0) lgkmcnt(0)
	s_barrier
	buffer_gl0_inv
	s_cbranch_scc1 .LBB122_48
; %bb.26:
	s_mul_i32 s29, s42, s37
	s_mul_hi_u32 s31, s42, s36
	s_mul_i32 s36, s42, s36
	s_add_i32 s31, s31, s29
	s_sub_u32 s29, s30, s36
	s_subb_u32 s31, 0, s31
	s_mul_i32 s27, s29, s27
	s_mul_hi_u32 s36, s29, s26
	s_mul_i32 s31, s31, s26
	s_add_i32 s27, s36, s27
	s_mul_i32 s25, s42, s25
	s_mul_hi_u32 s36, s42, s24
	s_add_i32 s27, s27, s31
	s_add_i32 s36, s36, s25
	s_mul_i32 s25, s40, s35
	s_mul_hi_u32 s31, s40, s34
	s_mul_i32 s34, s40, s34
	s_add_i32 s31, s31, s25
	s_sub_u32 s25, s30, s34
	s_mul_i32 s29, s29, s26
	s_mul_i32 s23, s25, s23
	s_mul_hi_u32 s26, s25, s22
	s_subb_u32 s31, 0, s31
	s_add_i32 s23, s26, s23
	s_mul_i32 s21, s40, s21
	s_mul_hi_u32 s26, s40, s20
	s_mul_i32 s31, s31, s22
	s_mul_i32 s25, s25, s22
	s_add_i32 s26, s26, s21
	s_mul_i32 s21, s44, s39
	s_mul_hi_u32 s22, s44, s38
	s_add_i32 s23, s23, s31
	s_mul_i32 s31, s44, s38
	s_add_i32 s22, s22, s21
	s_sub_u32 s30, s30, s31
	v_dual_mov_b32 v5, 0 :: v_dual_add_nc_u32 v10, -1, v0
	s_mul_i32 s31, s40, s20
	s_mul_i32 s19, s30, s19
	s_mul_hi_u32 s20, s30, s18
	s_subb_u32 s21, 0, s22
	s_add_i32 s19, s20, s19
	s_mul_i32 s21, s21, s18
	s_mul_i32 s17, s44, s17
	s_mul_hi_u32 s20, s44, s16
	ds_load_b96 v[1:3], v5 offset:1056
	s_add_i32 s19, s19, s21
	s_add_i32 s21, s20, s17
	s_mul_i32 s20, s44, s16
	s_add_u32 s16, s46, s31
	s_addc_u32 s17, s47, s26
	s_mul_i32 s24, s42, s24
	s_add_u32 s16, s16, s25
	s_addc_u32 s17, s17, s23
	s_add_u32 s10, s10, s24
	s_addc_u32 s11, s11, s36
	s_add_u32 s10, s10, s29
	s_addc_u32 s11, s11, s27
	s_lshl_b64 s[20:21], s[20:21], 3
	s_mul_i32 s18, s30, s18
	s_add_u32 s20, s14, s20
	s_addc_u32 s21, s15, s21
	s_lshl_b64 s[14:15], s[18:19], 3
	v_lshrrev_b32_e32 v6, 5, v0
	s_add_u32 s18, s20, s14
	s_load_b32 s20, s[0:1], 0x1b0
	s_addc_u32 s19, s21, s15
	s_load_b64 s[14:15], s[0:1], 0x508
	s_waitcnt lgkmcnt(0)
	v_add_nc_u32_e32 v1, v1, v2
	v_add_lshl_u32 v8, v6, v0, 2
	v_lshlrev_b32_e32 v2, 3, v0
	v_lshrrev_b32_e32 v11, 2, v0
	v_lshrrev_b32_e32 v12, 5, v10
	v_mad_u64_u32 v[6:7], null, s48, s33, v[0:1]
	v_mbcnt_lo_u32_b32 v9, -1, 0
	v_cmp_gt_u32_e64 s0, 32, v0
	v_add_lshl_u32 v0, v11, v2, 2
	v_add_lshl_u32 v10, v12, v10, 2
	v_and_b32_e32 v11, 0xff, v4
	v_and_b32_e32 v12, 15, v9
	v_mov_b32_e32 v4, v6
	v_bfe_i32 v13, v9, 4, 1
	v_add_nc_u32_e32 v14, -1, v9
                                        ; implicit-def: $vgpr15
	s_bitcmp1_b32 s20, 0
	s_cselect_b32 s1, -1, 0
	s_branch .LBB122_29
.LBB122_27:                             ;   in Loop: Header=BB122_29 Depth=1
	s_or_b32 exec_lo, exec_lo, s20
	v_add_nc_u32_e32 v1, v2, v1
.LBB122_28:                             ;   in Loop: Header=BB122_29 Depth=1
	v_add_nc_u32_e32 v3, v16, v3
	v_add_nc_u32_e32 v4, 0x100, v4
	s_add_i32 s28, s28, -1
	s_delay_alu instid0(SALU_CYCLE_1)
	s_cmp_lg_u32 s28, 0
	s_cbranch_scc0 .LBB122_48
.LBB122_29:                             ; =>This Inner Loop Header: Depth=1
	v_mov_b32_e32 v2, v5
	v_mov_b32_e32 v6, v5
	s_mov_b32 s20, exec_lo
	v_cmpx_gt_u64_e64 s[4:5], v[4:5]
	s_cbranch_execz .LBB122_31
; %bb.30:                               ;   in Loop: Header=BB122_29 Depth=1
	v_mad_u64_u32 v[6:7], null, v4, s8, s[16:17]
	s_delay_alu instid0(VALU_DEP_1) | instskip(NEXT) | instid1(VALU_DEP_1)
	v_mov_b32_e32 v2, v7
	v_mad_u64_u32 v[15:16], null, v4, s9, v[2:3]
	s_delay_alu instid0(VALU_DEP_1)
	v_mov_b32_e32 v7, v15
	global_load_u8 v15, v[6:7], off
	s_waitcnt vmcnt(0)
	v_cmp_gt_u16_e32 vcc_lo, v15, v11
	v_cndmask_b32_e64 v2, 0, 1, vcc_lo
	v_cmp_lt_u16_e32 vcc_lo, v15, v11
	v_cndmask_b32_e64 v6, 0, 1, vcc_lo
	v_cmp_eq_u16_e32 vcc_lo, v15, v11
	s_delay_alu instid0(VALU_DEP_2) | instskip(SKIP_1) | instid1(VALU_DEP_2)
	v_cndmask_b32_e64 v2, v6, v2, s1
	v_cndmask_b32_e64 v6, 0, 1, vcc_lo
	v_and_b32_e32 v2, 1, v2
.LBB122_31:                             ;   in Loop: Header=BB122_29 Depth=1
	s_or_b32 exec_lo, exec_lo, s20
	ds_store_b32 v8, v2
	s_waitcnt lgkmcnt(0)
	s_waitcnt_vscnt null, 0x0
	s_barrier
	buffer_gl0_inv
	s_and_saveexec_b32 s20, s0
	s_cbranch_execz .LBB122_33
; %bb.32:                               ;   in Loop: Header=BB122_29 Depth=1
	ds_load_2addr_b32 v[16:17], v0 offset1:1
	ds_load_2addr_b32 v[18:19], v0 offset0:2 offset1:3
	ds_load_2addr_b32 v[20:21], v0 offset0:4 offset1:5
	;; [unrolled: 1-line block ×3, first 2 shown]
	v_cmp_ne_u32_e32 vcc_lo, 0, v12
	; wave barrier
	s_waitcnt lgkmcnt(3)
	v_add_nc_u32_e32 v7, v17, v16
	s_waitcnt lgkmcnt(2)
	s_delay_alu instid0(VALU_DEP_1) | instskip(SKIP_1) | instid1(VALU_DEP_1)
	v_add3_u32 v7, v7, v18, v19
	s_waitcnt lgkmcnt(1)
	v_add3_u32 v7, v7, v20, v21
	s_waitcnt lgkmcnt(0)
	s_delay_alu instid0(VALU_DEP_1) | instskip(NEXT) | instid1(VALU_DEP_1)
	v_add3_u32 v7, v7, v22, v23
	v_mov_b32_dpp v17, v7 row_shr:1 row_mask:0xf bank_mask:0xf
	s_delay_alu instid0(VALU_DEP_1) | instskip(SKIP_1) | instid1(VALU_DEP_2)
	v_cndmask_b32_e32 v17, 0, v17, vcc_lo
	v_cmp_lt_u32_e32 vcc_lo, 1, v12
	v_add_nc_u32_e32 v7, v17, v7
	s_delay_alu instid0(VALU_DEP_1) | instskip(NEXT) | instid1(VALU_DEP_1)
	v_mov_b32_dpp v17, v7 row_shr:2 row_mask:0xf bank_mask:0xf
	v_cndmask_b32_e32 v17, 0, v17, vcc_lo
	v_cmp_lt_u32_e32 vcc_lo, 3, v12
	s_delay_alu instid0(VALU_DEP_2) | instskip(NEXT) | instid1(VALU_DEP_1)
	v_add_nc_u32_e32 v7, v7, v17
	v_mov_b32_dpp v17, v7 row_shr:4 row_mask:0xf bank_mask:0xf
	s_delay_alu instid0(VALU_DEP_1) | instskip(SKIP_1) | instid1(VALU_DEP_2)
	v_cndmask_b32_e32 v17, 0, v17, vcc_lo
	v_cmp_lt_u32_e32 vcc_lo, 7, v12
	v_add_nc_u32_e32 v7, v7, v17
	s_delay_alu instid0(VALU_DEP_1) | instskip(NEXT) | instid1(VALU_DEP_1)
	v_mov_b32_dpp v17, v7 row_shr:8 row_mask:0xf bank_mask:0xf
	v_cndmask_b32_e32 v17, 0, v17, vcc_lo
	v_cmp_gt_i32_e32 vcc_lo, 0, v14
	s_delay_alu instid0(VALU_DEP_2)
	v_add_nc_u32_e32 v7, v7, v17
	v_cndmask_b32_e32 v18, v14, v9, vcc_lo
	ds_swizzle_b32 v17, v7 offset:swizzle(BROADCAST,32,15)
	v_lshlrev_b32_e32 v18, 2, v18
	s_waitcnt lgkmcnt(0)
	v_and_b32_e32 v17, v13, v17
	s_delay_alu instid0(VALU_DEP_1) | instskip(SKIP_3) | instid1(VALU_DEP_1)
	v_add_nc_u32_e32 v7, v7, v17
	ds_bpermute_b32 v7, v18, v7
	s_waitcnt lgkmcnt(0)
	v_add_nc_u32_e32 v7, v7, v16
	v_cndmask_b32_e64 v7, v7, v2, s3
	ds_store_b32 v0, v7
	; wave barrier
	ds_load_2addr_b32 v[16:17], v0 offset0:1 offset1:2
	ds_load_2addr_b32 v[18:19], v0 offset0:3 offset1:4
	ds_load_2addr_b32 v[20:21], v0 offset0:5 offset1:6
	ds_load_b32 v22, v0 offset:28
	s_waitcnt lgkmcnt(3)
	v_add_nc_u32_e32 v7, v16, v7
	s_delay_alu instid0(VALU_DEP_1) | instskip(SKIP_1) | instid1(VALU_DEP_1)
	v_add_nc_u32_e32 v16, v17, v7
	s_waitcnt lgkmcnt(2)
	v_add_nc_u32_e32 v17, v18, v16
	s_delay_alu instid0(VALU_DEP_1) | instskip(SKIP_1) | instid1(VALU_DEP_1)
	v_add_nc_u32_e32 v18, v19, v17
	;; [unrolled: 4-line block ×3, first 2 shown]
	s_waitcnt lgkmcnt(0)
	v_add_nc_u32_e32 v21, v22, v20
	ds_store_2addr_b32 v0, v7, v16 offset0:1 offset1:2
	ds_store_2addr_b32 v0, v17, v18 offset0:3 offset1:4
	;; [unrolled: 1-line block ×3, first 2 shown]
	ds_store_b32 v0, v21 offset:28
.LBB122_33:                             ;   in Loop: Header=BB122_29 Depth=1
	s_or_b32 exec_lo, exec_lo, s20
	v_mov_b32_e32 v7, 0
	s_waitcnt lgkmcnt(0)
	s_barrier
	buffer_gl0_inv
	s_and_saveexec_b32 s20, s2
	s_cbranch_execz .LBB122_35
; %bb.34:                               ;   in Loop: Header=BB122_29 Depth=1
	ds_load_b32 v7, v10
.LBB122_35:                             ;   in Loop: Header=BB122_29 Depth=1
	s_or_b32 exec_lo, exec_lo, s20
	ds_load_b32 v16, v5 offset:1048
	s_mov_b32 s20, exec_lo
	s_waitcnt lgkmcnt(0)
	s_barrier
	buffer_gl0_inv
	v_cmpx_ne_u32_e32 0, v2
	s_cbranch_execz .LBB122_37
; %bb.36:                               ;   in Loop: Header=BB122_29 Depth=1
	v_add_nc_u32_e32 v7, v7, v3
	s_delay_alu instid0(VALU_DEP_1) | instskip(NEXT) | instid1(VALU_DEP_1)
	v_mad_u64_u32 v[17:18], null, v7, s14, 0
	v_mov_b32_e32 v2, v18
	v_mad_u64_u32 v[19:20], null, v7, s12, s[10:11]
	s_delay_alu instid0(VALU_DEP_2) | instskip(NEXT) | instid1(VALU_DEP_2)
	v_mad_u64_u32 v[21:22], null, v7, s15, v[2:3]
	v_mov_b32_e32 v2, v20
	s_delay_alu instid0(VALU_DEP_2) | instskip(NEXT) | instid1(VALU_DEP_2)
	v_mov_b32_e32 v18, v21
	v_mad_u64_u32 v[20:21], null, v7, s13, v[2:3]
	s_delay_alu instid0(VALU_DEP_2) | instskip(NEXT) | instid1(VALU_DEP_1)
	v_lshlrev_b64 v[17:18], 3, v[17:18]
	v_add_co_u32 v17, vcc_lo, s18, v17
	s_delay_alu instid0(VALU_DEP_2)
	v_add_co_ci_u32_e32 v18, vcc_lo, s19, v18, vcc_lo
	global_store_b8 v[19:20], v15, off
	global_store_b64 v[17:18], v[4:5], off
.LBB122_37:                             ;   in Loop: Header=BB122_29 Depth=1
	s_or_b32 exec_lo, exec_lo, s20
	v_mov_b32_e32 v2, v5
	s_delay_alu instid0(VALU_DEP_1)
	v_cmp_le_u64_e32 vcc_lo, s[6:7], v[1:2]
	s_cbranch_vccnz .LBB122_28
; %bb.38:                               ;   in Loop: Header=BB122_29 Depth=1
	ds_store_b32 v8, v6
	s_waitcnt lgkmcnt(0)
	s_waitcnt_vscnt null, 0x0
	s_barrier
	buffer_gl0_inv
	s_and_saveexec_b32 s20, s0
	s_cbranch_execz .LBB122_40
; %bb.39:                               ;   in Loop: Header=BB122_29 Depth=1
	ds_load_2addr_b32 v[17:18], v0 offset1:1
	ds_load_2addr_b32 v[19:20], v0 offset0:2 offset1:3
	ds_load_2addr_b32 v[21:22], v0 offset0:4 offset1:5
	;; [unrolled: 1-line block ×3, first 2 shown]
	v_cmp_ne_u32_e32 vcc_lo, 0, v12
	; wave barrier
	s_waitcnt lgkmcnt(3)
	v_add_nc_u32_e32 v2, v18, v17
	s_waitcnt lgkmcnt(2)
	s_delay_alu instid0(VALU_DEP_1) | instskip(SKIP_1) | instid1(VALU_DEP_1)
	v_add3_u32 v2, v2, v19, v20
	s_waitcnt lgkmcnt(1)
	v_add3_u32 v2, v2, v21, v22
	s_waitcnt lgkmcnt(0)
	s_delay_alu instid0(VALU_DEP_1) | instskip(NEXT) | instid1(VALU_DEP_1)
	v_add3_u32 v2, v2, v23, v24
	v_mov_b32_dpp v7, v2 row_shr:1 row_mask:0xf bank_mask:0xf
	s_delay_alu instid0(VALU_DEP_1) | instskip(SKIP_1) | instid1(VALU_DEP_2)
	v_cndmask_b32_e32 v7, 0, v7, vcc_lo
	v_cmp_lt_u32_e32 vcc_lo, 1, v12
	v_add_nc_u32_e32 v2, v7, v2
	s_delay_alu instid0(VALU_DEP_1) | instskip(NEXT) | instid1(VALU_DEP_1)
	v_mov_b32_dpp v7, v2 row_shr:2 row_mask:0xf bank_mask:0xf
	v_cndmask_b32_e32 v7, 0, v7, vcc_lo
	v_cmp_lt_u32_e32 vcc_lo, 3, v12
	s_delay_alu instid0(VALU_DEP_2) | instskip(NEXT) | instid1(VALU_DEP_1)
	v_add_nc_u32_e32 v2, v2, v7
	v_mov_b32_dpp v7, v2 row_shr:4 row_mask:0xf bank_mask:0xf
	s_delay_alu instid0(VALU_DEP_1) | instskip(SKIP_1) | instid1(VALU_DEP_2)
	v_cndmask_b32_e32 v7, 0, v7, vcc_lo
	v_cmp_lt_u32_e32 vcc_lo, 7, v12
	v_add_nc_u32_e32 v2, v2, v7
	s_delay_alu instid0(VALU_DEP_1) | instskip(NEXT) | instid1(VALU_DEP_1)
	v_mov_b32_dpp v7, v2 row_shr:8 row_mask:0xf bank_mask:0xf
	v_cndmask_b32_e32 v7, 0, v7, vcc_lo
	v_cmp_gt_i32_e32 vcc_lo, 0, v14
	v_cndmask_b32_e32 v18, v14, v9, vcc_lo
	s_delay_alu instid0(VALU_DEP_1) | instskip(NEXT) | instid1(VALU_DEP_4)
	v_lshlrev_b32_e32 v18, 2, v18
	v_add_nc_u32_e32 v2, v2, v7
	ds_swizzle_b32 v7, v2 offset:swizzle(BROADCAST,32,15)
	s_waitcnt lgkmcnt(0)
	v_and_b32_e32 v7, v13, v7
	s_delay_alu instid0(VALU_DEP_1) | instskip(SKIP_3) | instid1(VALU_DEP_1)
	v_add_nc_u32_e32 v2, v2, v7
	ds_bpermute_b32 v2, v18, v2
	s_waitcnt lgkmcnt(0)
	v_add_nc_u32_e32 v2, v2, v17
	v_cndmask_b32_e64 v2, v2, v6, s3
	ds_store_b32 v0, v2
	; wave barrier
	ds_load_2addr_b32 v[17:18], v0 offset0:1 offset1:2
	ds_load_2addr_b32 v[19:20], v0 offset0:3 offset1:4
	;; [unrolled: 1-line block ×3, first 2 shown]
	ds_load_b32 v7, v0 offset:28
	s_waitcnt lgkmcnt(3)
	v_add_nc_u32_e32 v2, v17, v2
	s_delay_alu instid0(VALU_DEP_1) | instskip(SKIP_1) | instid1(VALU_DEP_1)
	v_add_nc_u32_e32 v17, v18, v2
	s_waitcnt lgkmcnt(2)
	v_add_nc_u32_e32 v18, v19, v17
	s_delay_alu instid0(VALU_DEP_1) | instskip(SKIP_1) | instid1(VALU_DEP_1)
	v_add_nc_u32_e32 v19, v20, v18
	;; [unrolled: 4-line block ×3, first 2 shown]
	s_waitcnt lgkmcnt(0)
	v_add_nc_u32_e32 v7, v7, v21
	ds_store_2addr_b32 v0, v2, v17 offset0:1 offset1:2
	ds_store_2addr_b32 v0, v18, v19 offset0:3 offset1:4
	;; [unrolled: 1-line block ×3, first 2 shown]
	ds_store_b32 v0, v7 offset:28
.LBB122_40:                             ;   in Loop: Header=BB122_29 Depth=1
	s_or_b32 exec_lo, exec_lo, s20
	v_mov_b32_e32 v7, 0
	s_waitcnt lgkmcnt(0)
	s_barrier
	buffer_gl0_inv
	s_and_saveexec_b32 s20, s2
	s_cbranch_execz .LBB122_42
; %bb.41:                               ;   in Loop: Header=BB122_29 Depth=1
	ds_load_b32 v7, v10
.LBB122_42:                             ;   in Loop: Header=BB122_29 Depth=1
	s_or_b32 exec_lo, exec_lo, s20
	ds_load_b32 v2, v5 offset:1048
	s_mov_b32 s20, exec_lo
	s_waitcnt lgkmcnt(0)
	s_barrier
	buffer_gl0_inv
	v_cmpx_ne_u32_e32 0, v6
	s_cbranch_execz .LBB122_27
; %bb.43:                               ;   in Loop: Header=BB122_29 Depth=1
	v_dual_mov_b32 v7, v5 :: v_dual_add_nc_u32 v6, v7, v1
	s_delay_alu instid0(VALU_DEP_1)
	v_cmp_gt_u64_e32 vcc_lo, s[6:7], v[6:7]
	s_and_b32 exec_lo, exec_lo, vcc_lo
	s_cbranch_execz .LBB122_27
; %bb.44:                               ;   in Loop: Header=BB122_29 Depth=1
	v_mad_u64_u32 v[17:18], null, v6, s14, 0
	v_mad_u64_u32 v[19:20], null, v6, s12, s[10:11]
	s_delay_alu instid0(VALU_DEP_2) | instskip(NEXT) | instid1(VALU_DEP_1)
	v_mov_b32_e32 v7, v18
	v_mad_u64_u32 v[21:22], null, v6, s15, v[7:8]
	s_delay_alu instid0(VALU_DEP_1) | instskip(NEXT) | instid1(VALU_DEP_1)
	v_dual_mov_b32 v7, v20 :: v_dual_mov_b32 v18, v21
	v_mad_u64_u32 v[20:21], null, v6, s13, v[7:8]
	s_delay_alu instid0(VALU_DEP_2) | instskip(NEXT) | instid1(VALU_DEP_1)
	v_lshlrev_b64 v[6:7], 3, v[17:18]
	v_add_co_u32 v6, vcc_lo, s18, v6
	s_delay_alu instid0(VALU_DEP_2)
	v_add_co_ci_u32_e32 v7, vcc_lo, s19, v7, vcc_lo
	global_store_b8 v[19:20], v15, off
	global_store_b64 v[6:7], v[4:5], off
	s_branch .LBB122_27
	.p2align	6
.LBB122_45:                             ;   in Loop: Header=BB122_46 Depth=1
	s_add_u32 s12, s12, 4
	s_addc_u32 s13, s13, 0
	s_waitcnt lgkmcnt(0)
	s_add_i32 s23, s9, s23
	s_add_u32 s14, s14, 4
	s_addc_u32 s15, s15, 0
	s_add_i32 s8, s8, 1
	s_delay_alu instid0(SALU_CYCLE_1)
	s_cmp_lt_u32 s8, s29
	s_cbranch_scc0 .LBB122_24
.LBB122_46:                             ; =>This Inner Loop Header: Depth=1
	s_load_b32 s9, s[12:13], 0x0
	s_cmp_ge_u32 s8, s48
	s_cbranch_scc1 .LBB122_45
; %bb.47:                               ;   in Loop: Header=BB122_46 Depth=1
	s_load_b32 s10, s[14:15], 0x0
	s_waitcnt lgkmcnt(0)
	s_add_i32 s17, s9, s17
	s_add_i32 s16, s10, s16
	s_branch .LBB122_45
.LBB122_48:
	s_nop 0
	s_sendmsg sendmsg(MSG_DEALLOC_VGPRS)
	s_endpgm
	.section	.rodata,"a",@progbits
	.p2align	6, 0x0
	.amdhsa_kernel _ZN2at6native6mbtopk10gatherTopKIhmLi2EEEvNS_4cuda6detail10TensorInfoIKT_T0_EES8_S8_bjS8_NS5_IS6_S8_EES8_NS5_IlS8_EES8_jjPS6_PjSD_j
		.amdhsa_group_segment_fixed_size 1068
		.amdhsa_private_segment_fixed_size 0
		.amdhsa_kernarg_size 1592
		.amdhsa_user_sgpr_count 13
		.amdhsa_user_sgpr_dispatch_ptr 0
		.amdhsa_user_sgpr_queue_ptr 0
		.amdhsa_user_sgpr_kernarg_segment_ptr 1
		.amdhsa_user_sgpr_dispatch_id 0
		.amdhsa_user_sgpr_private_segment_size 0
		.amdhsa_wavefront_size32 1
		.amdhsa_uses_dynamic_stack 0
		.amdhsa_enable_private_segment 0
		.amdhsa_system_sgpr_workgroup_id_x 1
		.amdhsa_system_sgpr_workgroup_id_y 1
		.amdhsa_system_sgpr_workgroup_id_z 1
		.amdhsa_system_sgpr_workgroup_info 0
		.amdhsa_system_vgpr_workitem_id 0
		.amdhsa_next_free_vgpr 25
		.amdhsa_next_free_sgpr 49
		.amdhsa_reserve_vcc 1
		.amdhsa_float_round_mode_32 0
		.amdhsa_float_round_mode_16_64 0
		.amdhsa_float_denorm_mode_32 3
		.amdhsa_float_denorm_mode_16_64 3
		.amdhsa_dx10_clamp 1
		.amdhsa_ieee_mode 1
		.amdhsa_fp16_overflow 0
		.amdhsa_workgroup_processor_mode 1
		.amdhsa_memory_ordered 1
		.amdhsa_forward_progress 0
		.amdhsa_shared_vgpr_count 0
		.amdhsa_exception_fp_ieee_invalid_op 0
		.amdhsa_exception_fp_denorm_src 0
		.amdhsa_exception_fp_ieee_div_zero 0
		.amdhsa_exception_fp_ieee_overflow 0
		.amdhsa_exception_fp_ieee_underflow 0
		.amdhsa_exception_fp_ieee_inexact 0
		.amdhsa_exception_int_div_zero 0
	.end_amdhsa_kernel
	.section	.text._ZN2at6native6mbtopk10gatherTopKIhmLi2EEEvNS_4cuda6detail10TensorInfoIKT_T0_EES8_S8_bjS8_NS5_IS6_S8_EES8_NS5_IlS8_EES8_jjPS6_PjSD_j,"axG",@progbits,_ZN2at6native6mbtopk10gatherTopKIhmLi2EEEvNS_4cuda6detail10TensorInfoIKT_T0_EES8_S8_bjS8_NS5_IS6_S8_EES8_NS5_IlS8_EES8_jjPS6_PjSD_j,comdat
.Lfunc_end122:
	.size	_ZN2at6native6mbtopk10gatherTopKIhmLi2EEEvNS_4cuda6detail10TensorInfoIKT_T0_EES8_S8_bjS8_NS5_IS6_S8_EES8_NS5_IlS8_EES8_jjPS6_PjSD_j, .Lfunc_end122-_ZN2at6native6mbtopk10gatherTopKIhmLi2EEEvNS_4cuda6detail10TensorInfoIKT_T0_EES8_S8_bjS8_NS5_IS6_S8_EES8_NS5_IlS8_EES8_jjPS6_PjSD_j
                                        ; -- End function
	.section	.AMDGPU.csdata,"",@progbits
; Kernel info:
; codeLenInByte = 3196
; NumSgprs: 51
; NumVgprs: 25
; ScratchSize: 0
; MemoryBound: 0
; FloatMode: 240
; IeeeMode: 1
; LDSByteSize: 1068 bytes/workgroup (compile time only)
; SGPRBlocks: 6
; VGPRBlocks: 3
; NumSGPRsForWavesPerEU: 51
; NumVGPRsForWavesPerEU: 25
; Occupancy: 16
; WaveLimiterHint : 1
; COMPUTE_PGM_RSRC2:SCRATCH_EN: 0
; COMPUTE_PGM_RSRC2:USER_SGPR: 13
; COMPUTE_PGM_RSRC2:TRAP_HANDLER: 0
; COMPUTE_PGM_RSRC2:TGID_X_EN: 1
; COMPUTE_PGM_RSRC2:TGID_Y_EN: 1
; COMPUTE_PGM_RSRC2:TGID_Z_EN: 1
; COMPUTE_PGM_RSRC2:TIDIG_COMP_CNT: 0
	.section	.text._ZN2at6native6sbtopk10gatherTopKIhmLi2ELb0EEEvNS_4cuda6detail10TensorInfoIKT_T0_EES8_S8_bS8_S8_NS5_IS6_S8_EES8_NS5_IlS8_EES8_PS6_,"axG",@progbits,_ZN2at6native6sbtopk10gatherTopKIhmLi2ELb0EEEvNS_4cuda6detail10TensorInfoIKT_T0_EES8_S8_bS8_S8_NS5_IS6_S8_EES8_NS5_IlS8_EES8_PS6_,comdat
	.protected	_ZN2at6native6sbtopk10gatherTopKIhmLi2ELb0EEEvNS_4cuda6detail10TensorInfoIKT_T0_EES8_S8_bS8_S8_NS5_IS6_S8_EES8_NS5_IlS8_EES8_PS6_ ; -- Begin function _ZN2at6native6sbtopk10gatherTopKIhmLi2ELb0EEEvNS_4cuda6detail10TensorInfoIKT_T0_EES8_S8_bS8_S8_NS5_IS6_S8_EES8_NS5_IlS8_EES8_PS6_
	.globl	_ZN2at6native6sbtopk10gatherTopKIhmLi2ELb0EEEvNS_4cuda6detail10TensorInfoIKT_T0_EES8_S8_bS8_S8_NS5_IS6_S8_EES8_NS5_IlS8_EES8_PS6_
	.p2align	8
	.type	_ZN2at6native6sbtopk10gatherTopKIhmLi2ELb0EEEvNS_4cuda6detail10TensorInfoIKT_T0_EES8_S8_bS8_S8_NS5_IS6_S8_EES8_NS5_IlS8_EES8_PS6_,@function
_ZN2at6native6sbtopk10gatherTopKIhmLi2ELb0EEEvNS_4cuda6detail10TensorInfoIKT_T0_EES8_S8_bS8_S8_NS5_IS6_S8_EES8_NS5_IlS8_EES8_PS6_: ; @_ZN2at6native6sbtopk10gatherTopKIhmLi2ELb0EEEvNS_4cuda6detail10TensorInfoIKT_T0_EES8_S8_bS8_S8_NS5_IS6_S8_EES8_NS5_IlS8_EES8_PS6_
; %bb.0:
	s_clause 0x1
	s_load_b64 s[18:19], s[0:1], 0x520
	s_load_b128 s[28:31], s[0:1], 0x1b8
	s_add_u32 s16, s0, 0x520
	s_addc_u32 s17, s1, 0
	s_mov_b32 s35, 0
	s_waitcnt lgkmcnt(0)
	s_mul_i32 s2, s19, s15
	s_delay_alu instid0(SALU_CYCLE_1) | instskip(NEXT) | instid1(SALU_CYCLE_1)
	s_add_i32 s2, s2, s14
	s_mul_i32 s2, s2, s18
	s_delay_alu instid0(SALU_CYCLE_1) | instskip(NEXT) | instid1(SALU_CYCLE_1)
	s_add_i32 s34, s2, s13
	v_cmp_ge_u64_e64 s2, s[34:35], s[28:29]
	s_delay_alu instid0(VALU_DEP_1)
	s_and_b32 vcc_lo, exec_lo, s2
	s_cbranch_vccnz .LBB123_525
; %bb.1:
	s_clause 0x2
	s_load_b64 s[6:7], s[0:1], 0x10
	s_load_b64 s[42:43], s[0:1], 0x380
	;; [unrolled: 1-line block ×3, first 2 shown]
	s_mov_b64 s[52:53], 0
	s_waitcnt lgkmcnt(0)
	v_cmp_lt_u64_e64 s2, s[34:35], s[6:7]
	s_delay_alu instid0(VALU_DEP_1)
	s_and_b32 vcc_lo, exec_lo, s2
	s_mov_b64 s[2:3], 0
	s_cbranch_vccnz .LBB123_3
; %bb.2:
	v_cvt_f32_u32_e32 v1, s6
	s_sub_i32 s3, 0, s6
	s_delay_alu instid0(VALU_DEP_1) | instskip(SKIP_2) | instid1(VALU_DEP_1)
	v_rcp_iflag_f32_e32 v1, v1
	s_waitcnt_depctr 0xfff
	v_mul_f32_e32 v1, 0x4f7ffffe, v1
	v_cvt_u32_f32_e32 v1, v1
	s_delay_alu instid0(VALU_DEP_1) | instskip(NEXT) | instid1(VALU_DEP_1)
	v_readfirstlane_b32 s2, v1
	s_mul_i32 s3, s3, s2
	s_delay_alu instid0(SALU_CYCLE_1) | instskip(NEXT) | instid1(SALU_CYCLE_1)
	s_mul_hi_u32 s3, s2, s3
	s_add_i32 s2, s2, s3
	s_delay_alu instid0(SALU_CYCLE_1) | instskip(NEXT) | instid1(SALU_CYCLE_1)
	s_mul_hi_u32 s2, s34, s2
	s_mul_i32 s3, s2, s6
	s_add_i32 s4, s2, 1
	s_sub_i32 s3, s34, s3
	s_delay_alu instid0(SALU_CYCLE_1)
	s_sub_i32 s5, s3, s6
	s_cmp_ge_u32 s3, s6
	s_cselect_b32 s2, s4, s2
	s_cselect_b32 s3, s5, s3
	s_add_i32 s4, s2, 1
	s_cmp_ge_u32 s3, s6
	s_cselect_b32 s2, s4, s2
.LBB123_3:
	v_cmp_lt_u64_e64 s3, s[34:35], s[40:41]
	s_delay_alu instid0(VALU_DEP_1)
	s_and_b32 vcc_lo, exec_lo, s3
	s_cbranch_vccnz .LBB123_5
; %bb.4:
	v_cvt_f32_u32_e32 v1, s40
	s_sub_i32 s4, 0, s40
	s_delay_alu instid0(VALU_DEP_1) | instskip(SKIP_2) | instid1(VALU_DEP_1)
	v_rcp_iflag_f32_e32 v1, v1
	s_waitcnt_depctr 0xfff
	v_mul_f32_e32 v1, 0x4f7ffffe, v1
	v_cvt_u32_f32_e32 v1, v1
	s_delay_alu instid0(VALU_DEP_1) | instskip(NEXT) | instid1(VALU_DEP_1)
	v_readfirstlane_b32 s3, v1
	s_mul_i32 s4, s4, s3
	s_delay_alu instid0(SALU_CYCLE_1) | instskip(NEXT) | instid1(SALU_CYCLE_1)
	s_mul_hi_u32 s4, s3, s4
	s_add_i32 s3, s3, s4
	s_delay_alu instid0(SALU_CYCLE_1) | instskip(NEXT) | instid1(SALU_CYCLE_1)
	s_mul_hi_u32 s3, s34, s3
	s_mul_i32 s4, s3, s40
	s_add_i32 s5, s3, 1
	s_sub_i32 s4, s34, s4
	s_delay_alu instid0(SALU_CYCLE_1)
	s_sub_i32 s8, s4, s40
	s_cmp_ge_u32 s4, s40
	s_cselect_b32 s3, s5, s3
	s_cselect_b32 s4, s8, s4
	s_add_i32 s5, s3, 1
	s_cmp_ge_u32 s4, s40
	s_cselect_b32 s52, s5, s3
.LBB123_5:
	s_load_b64 s[14:15], s[0:1], 0x0
	v_cmp_lt_u64_e64 s3, s[34:35], s[42:43]
	s_mov_b64 s[54:55], 0
	s_delay_alu instid0(VALU_DEP_1)
	s_and_b32 vcc_lo, exec_lo, s3
	s_cbranch_vccnz .LBB123_7
; %bb.6:
	v_cvt_f32_u32_e32 v1, s42
	s_sub_i32 s4, 0, s42
	s_delay_alu instid0(VALU_DEP_1) | instskip(SKIP_2) | instid1(VALU_DEP_1)
	v_rcp_iflag_f32_e32 v1, v1
	s_waitcnt_depctr 0xfff
	v_mul_f32_e32 v1, 0x4f7ffffe, v1
	v_cvt_u32_f32_e32 v1, v1
	s_delay_alu instid0(VALU_DEP_1) | instskip(NEXT) | instid1(VALU_DEP_1)
	v_readfirstlane_b32 s3, v1
	s_mul_i32 s4, s4, s3
	s_delay_alu instid0(SALU_CYCLE_1) | instskip(NEXT) | instid1(SALU_CYCLE_1)
	s_mul_hi_u32 s4, s3, s4
	s_add_i32 s3, s3, s4
	s_delay_alu instid0(SALU_CYCLE_1) | instskip(NEXT) | instid1(SALU_CYCLE_1)
	s_mul_hi_u32 s3, s34, s3
	s_mul_i32 s4, s3, s42
	s_add_i32 s5, s3, 1
	s_sub_i32 s4, s34, s4
	s_delay_alu instid0(SALU_CYCLE_1)
	s_sub_i32 s8, s4, s42
	s_cmp_ge_u32 s4, s42
	s_cselect_b32 s3, s5, s3
	s_cselect_b32 s4, s8, s4
	s_add_i32 s5, s3, 1
	s_cmp_ge_u32 s4, s42
	s_cselect_b32 s54, s5, s3
.LBB123_7:
	s_clause 0x3
	s_load_b64 s[102:103], s[0:1], 0x370
	s_load_b64 s[58:59], s[0:1], 0x1c8
	s_load_b128 s[8:11], s[0:1], 0xd0
	s_load_b128 s[36:39], s[0:1], 0x1a0
	v_cmp_eq_u32_e64 s5, 0, v0
	s_mov_b32 s61, 0
	s_delay_alu instid0(VALU_DEP_1)
	s_and_saveexec_b32 s3, s5
	s_cbranch_execz .LBB123_9
; %bb.8:
	s_waitcnt lgkmcnt(0)
	v_dual_mov_b32 v1, 0 :: v_dual_mov_b32 v4, s37
	s_delay_alu instid0(VALU_DEP_1)
	v_dual_mov_b32 v3, s36 :: v_dual_mov_b32 v2, v1
	ds_store_b32 v1, v1 offset:5144
	ds_store_b128 v1, v[1:4] offset:5120
.LBB123_9:
	s_or_b32 exec_lo, exec_lo, s3
	s_mul_i32 s3, s2, s7
	s_mul_hi_u32 s4, s2, s6
	s_mul_i32 s6, s2, s6
	s_add_i32 s4, s4, s3
	s_sub_u32 s3, s34, s6
	s_subb_u32 s4, 0, s4
	s_waitcnt lgkmcnt(0)
	s_mul_i32 s7, s3, s11
	s_mul_hi_u32 s11, s3, s10
	s_mul_i32 s4, s4, s10
	s_add_i32 s7, s11, s7
	s_clause 0x1
	s_load_b32 s6, s[0:1], 0x1b0
	s_load_b128 s[48:51], s[0:1], 0x298
	s_add_i32 s7, s7, s4
	s_mul_i32 s4, s2, s9
	s_mul_hi_u32 s9, s2, s8
	s_mul_i32 s2, s2, s8
	s_add_i32 s9, s9, s4
	s_mul_i32 s3, s3, s10
	s_add_u32 s2, s14, s2
	s_addc_u32 s4, s15, s9
	s_add_u32 s28, s2, s3
	s_addc_u32 s29, s4, s7
	s_waitcnt lgkmcnt(0)
	s_barrier
	buffer_gl0_inv
	s_load_b32 s7, s[16:17], 0xc
	v_mad_u64_u32 v[10:11], null, v0, s30, s[28:29]
	v_mbcnt_lo_u32_b32 v23, -1, 0
	v_cmp_gt_u32_e32 vcc_lo, 32, v0
	s_bitcmp1_b32 s6, 0
	s_load_b128 s[44:47], s[0:1], 0x440
	s_cselect_b32 s3, -1, 0
	v_cmp_gt_i32_e64 s4, 4, v23
	s_delay_alu instid0(VALU_DEP_4) | instskip(SKIP_2) | instid1(VALU_DEP_3)
	v_dual_mov_b32 v1, v11 :: v_dual_lshlrev_b32 v14, 2, v0
	s_xor_b32 s35, s3, -1
	v_cmp_lt_u64_e64 s55, 0xc00, s[36:37]
	s_and_b32 s53, vcc_lo, s4
	s_delay_alu instid0(VALU_DEP_2)
	v_mad_u64_u32 v[2:3], null, v0, s31, v[1:2]
	v_lshrrev_b32_e32 v3, 3, v0
	v_dual_mov_b32 v13, 0 :: v_dual_mov_b32 v16, s38
	v_cmp_eq_u32_e64 s2, 0, v23
	s_waitcnt lgkmcnt(0)
	s_and_b32 s33, s7, 0xffff
	v_and_b32_e32 v24, 0x7c, v3
	s_bfe_u32 s8, s7, 0xb0005
	s_add_u32 s74, s33, -1
	s_addc_u32 s75, 0, -1
	s_add_u32 s76, s74, s36
	s_addc_u32 s27, s75, s37
	s_cmp_lt_u32 s13, s18
	v_mov_b32_e32 v1, v13
	s_cselect_b32 s9, 12, 18
	v_dual_mov_b32 v11, v2 :: v_dual_mov_b32 v28, 0
	v_lshlrev_b64 v[2:3], v23, -1
	s_add_u32 s62, s16, s9
	v_cmp_gt_u16_e64 s77, s7, 31
	s_addc_u32 s63, s17, 0
	s_add_i32 s7, s8, -1
	s_bfe_u32 s78, s33, 0x30005
	s_cmp_gt_u32 s7, 6
	v_cmp_gt_u64_e64 s4, s[36:37], v[0:1]
	v_dual_mov_b32 v15, v13 :: v_dual_mov_b32 v26, 0
	v_cmp_gt_u32_e64 s6, 2, v0
	v_not_b32_e32 v22, v2
	s_cselect_b32 s79, -1, 0
	s_and_b32 s80, s8, 0x7f8
	v_lshl_or_b32 v25, v23, 3, 0xc00
	v_mov_b32_e32 v17, s39
	v_mov_b32_e32 v27, 0
	s_cmp_lg_u32 s78, 0
	s_mov_b32 s81, 6
	s_cselect_b32 s83, -1, 0
	s_mov_b32 s82, 0
	s_mov_b32 s85, 0
                                        ; implicit-def: $sgpr84
                                        ; implicit-def: $sgpr88
                                        ; implicit-def: $sgpr87
                                        ; implicit-def: $sgpr89
                                        ; implicit-def: $sgpr86
                                        ; implicit-def: $sgpr90
                                        ; implicit-def: $sgpr92
                                        ; implicit-def: $sgpr91
                                        ; implicit-def: $sgpr93
                                        ; implicit-def: $sgpr94
	s_branch .LBB123_12
.LBB123_10:                             ;   in Loop: Header=BB123_12 Depth=1
	s_or_b32 exec_lo, exec_lo, s10
	v_dual_mov_b32 v26, v9 :: v_dual_mov_b32 v27, v8
	v_dual_mov_b32 v17, v3 :: v_dual_mov_b32 v16, v2
	v_mov_b32_e32 v28, v18
	s_and_not1_b32 s10, s94, exec_lo
	s_and_b32 s9, s9, exec_lo
	s_and_not1_b32 s93, s93, exec_lo
	s_or_b32 s94, s10, s9
	s_and_not1_b32 s91, s91, exec_lo
	s_and_not1_b32 s92, s92, exec_lo
	s_and_not1_b32 s90, s90, exec_lo
	s_or_not1_b32 s8, s8, exec_lo
.LBB123_11:                             ;   in Loop: Header=BB123_12 Depth=1
	s_or_b32 exec_lo, exec_lo, s7
	s_delay_alu instid0(SALU_CYCLE_1) | instskip(NEXT) | instid1(SALU_CYCLE_1)
	s_and_b32 s7, exec_lo, s8
	s_or_b32 s82, s7, s82
	s_and_not1_b32 s7, s86, exec_lo
	s_and_b32 s8, s94, exec_lo
	s_and_not1_b32 s9, s89, exec_lo
	s_or_b32 s86, s7, s8
	s_and_b32 s7, s93, exec_lo
	s_and_not1_b32 s8, s87, exec_lo
	s_and_b32 s10, s91, exec_lo
	s_or_b32 s89, s9, s7
	s_or_b32 s87, s8, s10
	s_and_not1_b32 s7, s88, exec_lo
	s_and_b32 s8, s92, exec_lo
	s_and_not1_b32 s9, s84, exec_lo
	s_and_b32 s10, s90, exec_lo
	s_or_b32 s88, s7, s8
	s_or_b32 s84, s9, s10
	s_and_not1_b32 exec_lo, exec_lo, s82
	s_cbranch_execz .LBB123_465
.LBB123_12:                             ; =>This Loop Header: Depth=1
                                        ;     Child Loop BB123_17 Depth 2
                                        ;     Child Loop BB123_35 Depth 2
	;; [unrolled: 1-line block ×24, first 2 shown]
	ds_load_b128 v[2:5], v13 offset:5120
	s_waitcnt lgkmcnt(0)
	v_readfirstlane_b32 s65, v3
	v_readfirstlane_b32 s64, v2
	s_delay_alu instid0(VALU_DEP_1)
	s_cmp_lg_u64 s[64:65], 0
	s_cbranch_scc1 .LBB123_42
; %bb.13:                               ;   in Loop: Header=BB123_12 Depth=1
	s_and_b32 vcc_lo, exec_lo, s55
	s_cbranch_vccz .LBB123_25
; %bb.14:                               ;   in Loop: Header=BB123_12 Depth=1
	v_cmp_gt_u64_e32 vcc_lo, 0xc01, v[4:5]
	s_mov_b32 s9, 0
	s_mov_b32 s7, 0
	s_cbranch_vccz .LBB123_26
; %bb.15:                               ;   in Loop: Header=BB123_12 Depth=1
	global_load_u16 v2, v13, s[62:63]
	global_load_u8 v5, v[10:11], off
	s_mov_b32 s10, 0
	s_waitcnt vmcnt(1)
	v_dual_mov_b32 v3, v1 :: v_dual_and_b32 v4, 0xffff, v2
	v_mov_b32_e32 v2, v0
	s_branch .LBB123_17
.LBB123_16:                             ;   in Loop: Header=BB123_17 Depth=2
	s_or_b32 exec_lo, exec_lo, s8
	v_mov_b32_e32 v5, v6
	s_and_not1_b32 exec_lo, exec_lo, s10
	s_cbranch_execz .LBB123_27
.LBB123_17:                             ;   Parent Loop BB123_12 Depth=1
                                        ; =>  This Inner Loop Header: Depth=2
	s_delay_alu instid0(VALU_DEP_1) | instskip(NEXT) | instid1(VALU_DEP_3)
	v_add_co_u32 v2, vcc_lo, v2, v4
	v_add_co_ci_u32_e32 v3, vcc_lo, 0, v3, vcc_lo
	s_waitcnt lgkmcnt(0)
	v_dual_mov_b32 v7, 0 :: v_dual_mov_b32 v6, 0
	s_mov_b32 s8, exec_lo
	s_delay_alu instid0(VALU_DEP_2)
	v_cmp_le_u64_e32 vcc_lo, s[36:37], v[2:3]
	v_cmpx_gt_u64_e64 s[36:37], v[2:3]
	s_cbranch_execz .LBB123_19
; %bb.18:                               ;   in Loop: Header=BB123_17 Depth=2
	v_mad_u64_u32 v[8:9], null, v2, s30, s[28:29]
	v_mul_lo_u32 v6, v2, s31
	v_mul_lo_u32 v12, v3, s30
	s_delay_alu instid0(VALU_DEP_1)
	v_add3_u32 v9, v12, v9, v6
	global_load_u8 v6, v[8:9], off
.LBB123_19:                             ;   in Loop: Header=BB123_17 Depth=2
	s_or_b32 exec_lo, exec_lo, s8
	s_waitcnt vmcnt(0)
	v_and_b32_e32 v8, v5, v26
	s_delay_alu instid0(VALU_DEP_1) | instskip(NEXT) | instid1(VALU_DEP_1)
	v_and_b32_e32 v8, 0xff, v8
	v_cmp_eq_u32_e64 s7, v8, v27
	s_delay_alu instid0(VALU_DEP_1) | instskip(SKIP_1) | instid1(SALU_CYCLE_1)
	s_cmp_lg_u32 s7, 0
	s_cselect_b32 s8, -1, 0
	s_and_b32 s8, s2, s8
	s_delay_alu instid0(SALU_CYCLE_1)
	s_and_saveexec_b32 s11, s8
	s_cbranch_execz .LBB123_23
; %bb.20:                               ;   in Loop: Header=BB123_17 Depth=2
	s_mov_b32 s14, exec_lo
	s_bcnt1_i32_b32 s12, s7
	v_mbcnt_lo_u32_b32 v7, s14, 0
	s_mov_b32 s13, exec_lo
                                        ; implicit-def: $vgpr8
	s_delay_alu instid0(VALU_DEP_1)
	v_cmpx_eq_u32_e32 0, v7
	s_cbranch_execz .LBB123_22
; %bb.21:                               ;   in Loop: Header=BB123_17 Depth=2
	s_bcnt1_i32_b32 s8, s14
	s_delay_alu instid0(SALU_CYCLE_1) | instskip(NEXT) | instid1(SALU_CYCLE_1)
	s_mul_i32 s8, s12, s8
	v_mov_b32_e32 v8, s8
	ds_add_rtn_u32 v8, v13, v8 offset:5144
.LBB123_22:                             ;   in Loop: Header=BB123_17 Depth=2
	s_or_b32 exec_lo, exec_lo, s13
	s_waitcnt lgkmcnt(0)
	v_readfirstlane_b32 s8, v8
	s_delay_alu instid0(VALU_DEP_1)
	v_mad_u32_u24 v7, s12, v7, s8
.LBB123_23:                             ;   in Loop: Header=BB123_17 Depth=2
	s_or_b32 exec_lo, exec_lo, s11
	ds_bpermute_b32 v7, v13, v7
	s_and_b32 s8, exec_lo, vcc_lo
	s_delay_alu instid0(SALU_CYCLE_1)
	s_or_b32 s10, s8, s10
	s_and_saveexec_b32 s8, s7
	s_cbranch_execz .LBB123_16
; %bb.24:                               ;   in Loop: Header=BB123_17 Depth=2
	v_and_b32_e32 v8, s7, v22
	s_waitcnt lgkmcnt(0)
	s_delay_alu instid0(VALU_DEP_1)
	v_bcnt_u32_b32 v7, v8, v7
	ds_store_b8 v7, v5
	s_branch .LBB123_16
.LBB123_25:                             ;   in Loop: Header=BB123_12 Depth=1
	s_mov_b32 s7, 0
                                        ; implicit-def: $sgpr64_sgpr65
	s_cbranch_execnz .LBB123_30
	s_branch .LBB123_40
.LBB123_26:                             ;   in Loop: Header=BB123_12 Depth=1
	s_mov_b64 s[64:65], 0
	s_and_b32 vcc_lo, exec_lo, s9
	s_cbranch_vccnz .LBB123_30
	s_branch .LBB123_40
.LBB123_27:                             ;   in Loop: Header=BB123_12 Depth=1
	s_or_b32 exec_lo, exec_lo, s10
	s_waitcnt lgkmcnt(0)
	s_barrier
	buffer_gl0_inv
	s_and_saveexec_b32 s7, s5
	s_cbranch_execz .LBB123_29
; %bb.28:                               ;   in Loop: Header=BB123_12 Depth=1
	ds_load_b32 v2, v13 offset:5144
	s_waitcnt lgkmcnt(0)
	v_ashrrev_i32_e32 v3, 31, v2
	ds_store_b64 v13, v[2:3] offset:5120
.LBB123_29:                             ;   in Loop: Header=BB123_12 Depth=1
	s_or_b32 exec_lo, exec_lo, s7
	s_waitcnt lgkmcnt(0)
	s_mov_b32 s7, -1
	s_barrier
	s_mov_b64 s[64:65], 0
	s_and_b32 vcc_lo, exec_lo, s9
	s_cbranch_vccz .LBB123_40
.LBB123_30:                             ;   in Loop: Header=BB123_12 Depth=1
	v_mov_b32_e32 v4, 0
	s_and_saveexec_b32 s7, s4
	s_cbranch_execz .LBB123_32
; %bb.31:                               ;   in Loop: Header=BB123_12 Depth=1
	global_load_u8 v4, v[10:11], off
.LBB123_32:                             ;   in Loop: Header=BB123_12 Depth=1
	s_or_b32 exec_lo, exec_lo, s7
	s_and_saveexec_b32 s8, s4
	s_cbranch_execz .LBB123_37
; %bb.33:                               ;   in Loop: Header=BB123_12 Depth=1
	global_load_u16 v2, v13, s[62:63]
	v_mov_b32_e32 v5, v0
	s_mov_b32 s9, 0
	s_waitcnt vmcnt(0)
	v_dual_mov_b32 v3, v1 :: v_dual_and_b32 v6, 0xffff, v2
	v_mov_b32_e32 v2, v0
	s_set_inst_prefetch_distance 0x1
	s_branch .LBB123_35
	.p2align	6
.LBB123_34:                             ;   in Loop: Header=BB123_35 Depth=2
	s_or_b32 exec_lo, exec_lo, s10
	ds_store_b8 v5, v4
	s_waitcnt vmcnt(0)
	v_dual_mov_b32 v4, v7 :: v_dual_add_nc_u32 v5, v5, v6
	s_and_b32 s7, exec_lo, vcc_lo
	s_delay_alu instid0(SALU_CYCLE_1) | instskip(NEXT) | instid1(SALU_CYCLE_1)
	s_or_b32 s9, s7, s9
	s_and_not1_b32 exec_lo, exec_lo, s9
	s_cbranch_execz .LBB123_37
.LBB123_35:                             ;   Parent Loop BB123_12 Depth=1
                                        ; =>  This Inner Loop Header: Depth=2
	s_delay_alu instid0(VALU_DEP_1) | instskip(SKIP_3) | instid1(VALU_DEP_2)
	v_add_co_u32 v2, vcc_lo, v2, v6
	v_add_co_ci_u32_e32 v3, vcc_lo, 0, v3, vcc_lo
	v_mov_b32_e32 v7, 0
	s_mov_b32 s10, exec_lo
	v_cmp_le_u64_e32 vcc_lo, s[36:37], v[2:3]
	v_cmpx_gt_u64_e64 s[36:37], v[2:3]
	s_cbranch_execz .LBB123_34
; %bb.36:                               ;   in Loop: Header=BB123_35 Depth=2
	v_mad_u64_u32 v[7:8], null, v2, s30, s[28:29]
	v_mul_lo_u32 v9, v2, s31
	v_mul_lo_u32 v12, v3, s30
	s_delay_alu instid0(VALU_DEP_1)
	v_add3_u32 v8, v12, v8, v9
	global_load_u8 v7, v[7:8], off
	s_branch .LBB123_34
.LBB123_37:                             ;   in Loop: Header=BB123_12 Depth=1
	s_set_inst_prefetch_distance 0x2
	s_or_b32 exec_lo, exec_lo, s8
	s_waitcnt vmcnt(0) lgkmcnt(0)
	s_barrier
	buffer_gl0_inv
	s_and_saveexec_b32 s7, s5
	s_cbranch_execz .LBB123_39
; %bb.38:                               ;   in Loop: Header=BB123_12 Depth=1
	v_dual_mov_b32 v2, s36 :: v_dual_mov_b32 v3, s37
	ds_store_b64 v13, v[2:3] offset:5120
.LBB123_39:                             ;   in Loop: Header=BB123_12 Depth=1
	s_or_b32 exec_lo, exec_lo, s7
	s_mov_b32 s7, -1
	s_waitcnt lgkmcnt(0)
	s_barrier
                                        ; implicit-def: $sgpr64_sgpr65
.LBB123_40:                             ;   in Loop: Header=BB123_12 Depth=1
	s_and_b32 vcc_lo, exec_lo, s7
	s_cbranch_vccz .LBB123_42
; %bb.41:                               ;   in Loop: Header=BB123_12 Depth=1
	buffer_gl0_inv
	ds_load_b64 v[2:3], v13 offset:5120
	s_waitcnt lgkmcnt(0)
	v_readfirstlane_b32 s64, v2
.LBB123_42:                             ;   in Loop: Header=BB123_12 Depth=1
	s_delay_alu instid0(VALU_DEP_1)
	s_cmp_lt_i32 s64, 1
	s_cbranch_scc0 .LBB123_57
; %bb.43:                               ;   in Loop: Header=BB123_12 Depth=1
	global_load_u16 v29, v13, s[62:63]
	s_mov_b32 s8, s61
	s_mov_b32 s9, s37
	s_waitcnt vmcnt(0)
	v_readfirstlane_b32 s7, v29
	s_delay_alu instid0(VALU_DEP_1) | instskip(NEXT) | instid1(SALU_CYCLE_1)
	s_and_b32 s7, 0xffff, s7
	s_lshl_b32 s25, s7, 2
	s_cmp_lg_u64 s[8:9], 0
	s_cbranch_scc0 .LBB123_77
; %bb.44:                               ;   in Loop: Header=BB123_12 Depth=1
	v_cvt_f32_u32_e32 v2, s25
	s_sub_u32 s9, 0, s25
	s_subb_u32 s10, 0, 0
	s_delay_alu instid0(VALU_DEP_1) | instskip(NEXT) | instid1(VALU_DEP_1)
	v_fmac_f32_e64 v2, 0, 0x4f800000
	v_rcp_f32_e32 v2, v2
	s_waitcnt_depctr 0xfff
	v_mul_f32_e32 v2, 0x5f7ffffc, v2
	s_delay_alu instid0(VALU_DEP_1) | instskip(NEXT) | instid1(VALU_DEP_1)
	v_mul_f32_e32 v3, 0x2f800000, v2
	v_trunc_f32_e32 v3, v3
	s_delay_alu instid0(VALU_DEP_1) | instskip(SKIP_1) | instid1(VALU_DEP_2)
	v_fmac_f32_e32 v2, 0xcf800000, v3
	v_cvt_u32_f32_e32 v3, v3
	v_cvt_u32_f32_e32 v2, v2
	s_delay_alu instid0(VALU_DEP_2) | instskip(NEXT) | instid1(VALU_DEP_2)
	v_readfirstlane_b32 s7, v3
	v_readfirstlane_b32 s8, v2
	s_delay_alu instid0(VALU_DEP_2) | instskip(NEXT) | instid1(VALU_DEP_1)
	s_mul_i32 s11, s9, s7
	s_mul_hi_u32 s13, s9, s8
	s_mul_i32 s12, s10, s8
	s_add_i32 s11, s13, s11
	s_mul_i32 s14, s9, s8
	s_add_i32 s11, s11, s12
	s_mul_hi_u32 s13, s8, s14
	s_mul_hi_u32 s15, s7, s14
	s_mul_i32 s12, s7, s14
	s_mul_hi_u32 s14, s8, s11
	s_mul_i32 s8, s8, s11
	s_mul_hi_u32 s16, s7, s11
	s_add_u32 s8, s13, s8
	s_addc_u32 s13, 0, s14
	s_add_u32 s8, s8, s12
	s_mul_i32 s11, s7, s11
	s_addc_u32 s8, s13, s15
	s_addc_u32 s12, s16, 0
	s_add_u32 s8, s8, s11
	s_addc_u32 s11, 0, s12
	v_add_co_u32 v2, s8, v2, s8
	s_delay_alu instid0(VALU_DEP_1) | instskip(SKIP_1) | instid1(VALU_DEP_1)
	s_cmp_lg_u32 s8, 0
	s_addc_u32 s7, s7, s11
	v_readfirstlane_b32 s8, v2
	s_mul_i32 s11, s9, s7
	s_delay_alu instid0(VALU_DEP_1)
	s_mul_hi_u32 s12, s9, s8
	s_mul_i32 s10, s10, s8
	s_add_i32 s11, s12, s11
	s_mul_i32 s9, s9, s8
	s_add_i32 s11, s11, s10
	s_mul_hi_u32 s12, s7, s9
	s_mul_i32 s13, s7, s9
	s_mul_hi_u32 s9, s8, s9
	s_mul_hi_u32 s14, s8, s11
	s_mul_i32 s8, s8, s11
	s_mul_hi_u32 s10, s7, s11
	s_add_u32 s8, s9, s8
	s_addc_u32 s9, 0, s14
	s_add_u32 s8, s8, s13
	s_mul_i32 s11, s7, s11
	s_addc_u32 s8, s9, s12
	s_addc_u32 s9, s10, 0
	s_add_u32 s8, s8, s11
	s_addc_u32 s9, 0, s9
	v_add_co_u32 v2, s8, v2, s8
	s_delay_alu instid0(VALU_DEP_1) | instskip(SKIP_1) | instid1(VALU_DEP_1)
	s_cmp_lg_u32 s8, 0
	s_addc_u32 s7, s7, s9
	v_readfirstlane_b32 s8, v2
	s_mul_i32 s10, s36, s7
	s_mul_hi_u32 s9, s36, s7
	s_mul_hi_u32 s11, s37, s7
	s_mul_i32 s7, s37, s7
	s_mul_hi_u32 s12, s36, s8
	s_mul_hi_u32 s13, s37, s8
	s_mul_i32 s8, s37, s8
	s_add_u32 s10, s12, s10
	s_addc_u32 s9, 0, s9
	s_add_u32 s8, s10, s8
	s_addc_u32 s8, s9, s13
	s_addc_u32 s9, s11, 0
	s_add_u32 s7, s8, s7
	s_addc_u32 s8, 0, s9
	s_mul_hi_u32 s9, s25, s7
	s_mul_i32 s7, s25, s7
	s_mul_i32 s8, s25, s8
	v_sub_co_u32 v2, s7, s36, s7
	s_add_i32 s9, s9, s8
	s_cmp_lg_u32 s7, 0
	s_delay_alu instid0(VALU_DEP_1) | instskip(SKIP_2) | instid1(VALU_DEP_1)
	v_sub_co_u32 v3, s7, v2, s25
	s_subb_u32 s8, s37, s9
	s_cmp_lg_u32 s7, 0
	v_cmp_le_u32_e32 vcc_lo, s25, v3
	v_sub_co_u32 v4, s7, v3, s25
	s_subb_u32 s9, s8, 0
	s_cmp_lg_u32 s7, 0
	v_cndmask_b32_e64 v5, 0, -1, vcc_lo
	s_subb_u32 s7, s9, 0
	s_cmp_eq_u32 s9, 0
	v_mov_b32_e32 v7, s7
	s_cselect_b32 vcc_lo, -1, 0
	s_cmp_eq_u32 s8, 0
	v_cndmask_b32_e32 v5, -1, v5, vcc_lo
	v_cmp_le_u32_e32 vcc_lo, s25, v2
	s_cselect_b32 s7, -1, 0
	v_cndmask_b32_e64 v6, 0, -1, vcc_lo
	s_delay_alu instid0(VALU_DEP_3) | instskip(NEXT) | instid1(VALU_DEP_2)
	v_cmp_ne_u32_e32 vcc_lo, 0, v5
	v_cndmask_b32_e64 v5, -1, v6, s7
	v_cndmask_b32_e32 v6, s9, v7, vcc_lo
	v_cndmask_b32_e32 v4, v3, v4, vcc_lo
	s_delay_alu instid0(VALU_DEP_3) | instskip(NEXT) | instid1(VALU_DEP_3)
	v_cmp_ne_u32_e32 vcc_lo, 0, v5
	v_cndmask_b32_e32 v3, s8, v6, vcc_lo
	s_delay_alu instid0(VALU_DEP_3)
	v_cndmask_b32_e32 v2, v2, v4, vcc_lo
	s_cbranch_execnz .LBB123_46
.LBB123_45:                             ;   in Loop: Header=BB123_12 Depth=1
	v_cvt_f32_u32_e32 v2, s25
	s_sub_i32 s7, 0, s25
	s_delay_alu instid0(VALU_DEP_1) | instskip(SKIP_2) | instid1(VALU_DEP_1)
	v_rcp_iflag_f32_e32 v2, v2
	s_waitcnt_depctr 0xfff
	v_mul_f32_e32 v2, 0x4f7ffffe, v2
	v_cvt_u32_f32_e32 v2, v2
	s_delay_alu instid0(VALU_DEP_1) | instskip(NEXT) | instid1(VALU_DEP_1)
	v_mul_lo_u32 v3, s7, v2
	v_mul_hi_u32 v3, v2, v3
	s_delay_alu instid0(VALU_DEP_1) | instskip(NEXT) | instid1(VALU_DEP_1)
	v_add_nc_u32_e32 v2, v2, v3
	v_mul_hi_u32 v2, s36, v2
	s_delay_alu instid0(VALU_DEP_1) | instskip(NEXT) | instid1(VALU_DEP_1)
	v_mul_lo_u32 v2, v2, s25
	v_sub_nc_u32_e32 v2, s36, v2
	s_delay_alu instid0(VALU_DEP_1) | instskip(SKIP_1) | instid1(VALU_DEP_2)
	v_subrev_nc_u32_e32 v3, s25, v2
	v_cmp_le_u32_e32 vcc_lo, s25, v2
	v_cndmask_b32_e32 v2, v2, v3, vcc_lo
	s_delay_alu instid0(VALU_DEP_1) | instskip(SKIP_1) | instid1(VALU_DEP_2)
	v_subrev_nc_u32_e32 v3, s25, v2
	v_cmp_le_u32_e32 vcc_lo, s25, v2
	v_cndmask_b32_e32 v12, v2, v3, vcc_lo
	s_delay_alu instid0(VALU_DEP_1)
	v_dual_mov_b32 v2, v12 :: v_dual_mov_b32 v3, v13
.LBB123_46:                             ;   in Loop: Header=BB123_12 Depth=1
	s_delay_alu instid0(VALU_DEP_1) | instskip(NEXT) | instid1(VALU_DEP_2)
	v_sub_co_u32 v18, vcc_lo, s36, v2
	v_sub_co_ci_u32_e32 v19, vcc_lo, s37, v3, vcc_lo
	v_mov_b32_e32 v2, 0
	v_mov_b32_e32 v3, 0
	s_mov_b64 s[66:67], 0
	s_mov_b32 s26, exec_lo
	s_delay_alu instid0(VALU_DEP_1)
	v_dual_mov_b32 v5, v3 :: v_dual_mov_b32 v4, v2
	v_dual_mov_b32 v7, v3 :: v_dual_mov_b32 v6, v2
	;; [unrolled: 1-line block ×3, first 2 shown]
	v_cmpx_gt_u64_e64 v[18:19], v[14:15]
	s_cbranch_execz .LBB123_50
; %bb.47:                               ;   in Loop: Header=BB123_12 Depth=1
	v_dual_mov_b32 v21, v15 :: v_dual_mov_b32 v20, v14
	s_and_b32 s65, s81, 0xfe
	s_mov_b32 s60, 0
	s_mov_b64 s[68:69], 0
	s_mov_b64 s[70:71], 0
	;; [unrolled: 1-line block ×3, first 2 shown]
.LBB123_48:                             ;   Parent Loop BB123_12 Depth=1
                                        ; =>  This Inner Loop Header: Depth=2
	v_mad_u64_u32 v[2:3], null, v20, s30, s[28:29]
	v_mul_lo_u32 v4, v20, s31
	v_mul_lo_u32 v5, v21, s30
	s_delay_alu instid0(VALU_DEP_1) | instskip(NEXT) | instid1(VALU_DEP_4)
	v_add3_u32 v3, v5, v3, v4
	v_add_co_u32 v4, vcc_lo, v2, s30
	s_delay_alu instid0(VALU_DEP_2)
	v_add_co_ci_u32_e32 v5, vcc_lo, s31, v3, vcc_lo
	s_clause 0x1
	global_load_u8 v6, v[2:3], off
	global_load_u8 v7, v[4:5], off
	v_add_co_u32 v2, vcc_lo, v4, s30
	v_add_co_ci_u32_e32 v3, vcc_lo, s31, v5, vcc_lo
	s_delay_alu instid0(VALU_DEP_2)
	v_add_co_u32 v4, vcc_lo, v2, s30
	global_load_u8 v2, v[2:3], off
	v_add_co_ci_u32_e32 v5, vcc_lo, s31, v3, vcc_lo
	v_add_co_u32 v20, vcc_lo, v20, s25
	v_add_co_ci_u32_e32 v21, vcc_lo, 0, v21, vcc_lo
	global_load_u8 v3, v[4:5], off
	v_cmp_ge_u64_e32 vcc_lo, v[20:21], v[18:19]
	s_waitcnt vmcnt(3)
	v_and_b32_e32 v4, v26, v6
	v_bfe_u32 v5, v6, s65, 2
	s_waitcnt vmcnt(2)
	v_bfe_u32 v6, v7, s65, 2
	s_delay_alu instid0(VALU_DEP_3) | instskip(SKIP_2) | instid1(VALU_DEP_4)
	v_cmp_eq_u32_e64 s7, v4, v27
	v_and_b32_e32 v4, v26, v7
	v_cmp_eq_u32_e64 s8, 0, v5
	v_cmp_eq_u32_e64 s13, 0, v6
	;; [unrolled: 1-line block ×5, first 2 shown]
	s_waitcnt vmcnt(1)
	v_and_b32_e32 v4, v26, v2
	v_bfe_u32 v2, v2, s65, 2
	s_and_b32 s8, s7, s8
	v_cmp_eq_u32_e64 s11, 3, v5
	v_cndmask_b32_e64 v5, 0, 1, s8
	v_cmp_eq_u32_e64 s16, v4, v27
	s_waitcnt vmcnt(0)
	v_and_b32_e32 v4, v26, v3
	v_bfe_u32 v3, v3, s65, 2
	v_cmp_eq_u32_e64 s17, 0, v2
	s_and_b32 s13, s12, s13
	v_cmp_ne_u32_e64 s18, 0, v5
	v_cndmask_b32_e64 v5, 0, 1, s13
	v_cmp_eq_u32_e64 s21, v4, v27
	v_cmp_eq_u32_e64 s22, 0, v3
	s_and_b32 s17, s16, s17
	v_cmp_eq_u32_e64 s13, 1, v2
	v_cmp_eq_u32_e64 s19, 2, v2
	;; [unrolled: 1-line block ×3, first 2 shown]
	s_bcnt1_i32_b32 s95, s18
	v_cmp_ne_u32_e64 s18, 0, v5
	v_cndmask_b32_e64 v2, 0, 1, s17
	s_and_b32 s22, s21, s22
	v_cmp_eq_u32_e64 s17, 1, v3
	v_cmp_eq_u32_e64 s23, 2, v3
	;; [unrolled: 1-line block ×3, first 2 shown]
	v_cndmask_b32_e64 v3, 0, 1, s22
	s_bcnt1_i32_b32 s22, s18
	v_cmp_ne_u32_e64 s18, 0, v2
	s_add_i32 s95, s22, s95
	v_cmp_eq_u32_e64 s8, 1, v6
	v_cmp_ne_u32_e64 s22, 0, v3
	v_cmp_eq_u32_e64 s14, 2, v6
	s_bcnt1_i32_b32 s18, s18
	v_cmp_eq_u32_e64 s15, 3, v6
	s_add_i32 s18, s95, s18
	s_bcnt1_i32_b32 s22, s22
	s_delay_alu instid0(SALU_CYCLE_1) | instskip(NEXT) | instid1(SALU_CYCLE_1)
	s_add_i32 s18, s18, s22
	s_add_u32 s72, s72, s18
	s_addc_u32 s73, s73, 0
	s_and_b32 s9, s7, s9
	s_and_b32 s8, s12, s8
	v_cndmask_b32_e64 v2, 0, 1, s9
	v_cndmask_b32_e64 v3, 0, 1, s8
	s_and_b32 s8, s16, s13
	s_delay_alu instid0(SALU_CYCLE_1) | instskip(SKIP_1) | instid1(VALU_DEP_2)
	v_cndmask_b32_e64 v4, 0, 1, s8
	s_and_b32 s8, s21, s17
	v_cmp_ne_u32_e64 s9, 0, v3
	v_cndmask_b32_e64 v5, 0, 1, s8
	v_cmp_ne_u32_e64 s8, 0, v2
	v_cmp_ne_u32_e64 s13, 0, v4
	s_delay_alu instid0(VALU_DEP_4) | instskip(NEXT) | instid1(VALU_DEP_3)
	s_bcnt1_i32_b32 s9, s9
	v_cmp_ne_u32_e64 s17, 0, v5
	s_delay_alu instid0(VALU_DEP_3) | instskip(NEXT) | instid1(VALU_DEP_2)
	s_bcnt1_i32_b32 s8, s8
	s_bcnt1_i32_b32 s13, s13
	s_add_i32 s8, s9, s8
	s_delay_alu instid0(VALU_DEP_1) | instskip(SKIP_1) | instid1(SALU_CYCLE_1)
	s_bcnt1_i32_b32 s17, s17
	s_add_i32 s8, s8, s13
	s_add_i32 s8, s8, s17
	s_delay_alu instid0(SALU_CYCLE_1) | instskip(SKIP_2) | instid1(SALU_CYCLE_1)
	s_add_u32 s70, s70, s8
	s_addc_u32 s71, s71, 0
	s_and_b32 s8, s7, s10
	v_cndmask_b32_e64 v2, 0, 1, s8
	s_and_b32 s8, s12, s14
	s_delay_alu instid0(SALU_CYCLE_1) | instskip(SKIP_1) | instid1(SALU_CYCLE_1)
	v_cndmask_b32_e64 v3, 0, 1, s8
	s_and_b32 s8, s16, s19
	v_cndmask_b32_e64 v4, 0, 1, s8
	s_and_b32 s8, s21, s23
	s_delay_alu instid0(VALU_DEP_2) | instskip(SKIP_3) | instid1(VALU_DEP_4)
	v_cmp_ne_u32_e64 s9, 0, v3
	v_cndmask_b32_e64 v5, 0, 1, s8
	v_cmp_ne_u32_e64 s8, 0, v2
	v_cmp_ne_u32_e64 s10, 0, v4
	s_bcnt1_i32_b32 s9, s9
	s_delay_alu instid0(VALU_DEP_3) | instskip(NEXT) | instid1(VALU_DEP_3)
	v_cmp_ne_u32_e64 s13, 0, v5
	s_bcnt1_i32_b32 s8, s8
	s_delay_alu instid0(VALU_DEP_2) | instskip(SKIP_1) | instid1(VALU_DEP_1)
	s_bcnt1_i32_b32 s10, s10
	s_add_i32 s8, s9, s8
	s_bcnt1_i32_b32 s13, s13
	s_add_i32 s8, s8, s10
	s_delay_alu instid0(SALU_CYCLE_1) | instskip(NEXT) | instid1(SALU_CYCLE_1)
	s_add_i32 s8, s8, s13
	s_add_u32 s68, s68, s8
	s_addc_u32 s69, s69, 0
	s_and_b32 s7, s7, s11
	v_mov_b32_e32 v6, s68
	v_cndmask_b32_e64 v2, 0, 1, s7
	s_and_b32 s7, s12, s15
	v_mov_b32_e32 v7, s69
	v_cndmask_b32_e64 v3, 0, 1, s7
	s_and_b32 s7, s16, s20
	s_delay_alu instid0(SALU_CYCLE_1) | instskip(SKIP_1) | instid1(VALU_DEP_2)
	v_cndmask_b32_e64 v4, 0, 1, s7
	s_and_b32 s7, s21, s24
	v_cmp_ne_u32_e64 s8, 0, v3
	v_cndmask_b32_e64 v5, 0, 1, s7
	v_cmp_ne_u32_e64 s7, 0, v2
	v_cmp_ne_u32_e64 s9, 0, v4
	v_mov_b32_e32 v2, s72
	s_bcnt1_i32_b32 s8, s8
	v_cmp_ne_u32_e64 s10, 0, v5
	s_bcnt1_i32_b32 s7, s7
	s_bcnt1_i32_b32 s9, s9
	s_add_i32 s7, s8, s7
	v_mov_b32_e32 v4, s70
	s_bcnt1_i32_b32 s8, s10
	s_add_i32 s7, s7, s9
	v_mov_b32_e32 v3, s73
	s_add_i32 s7, s7, s8
	v_mov_b32_e32 v5, s71
	s_add_u32 s66, s66, s7
	s_addc_u32 s67, s67, 0
	s_delay_alu instid0(SALU_CYCLE_1) | instskip(SKIP_1) | instid1(SALU_CYCLE_1)
	v_dual_mov_b32 v8, s66 :: v_dual_mov_b32 v9, s67
	s_or_b32 s60, vcc_lo, s60
	s_and_not1_b32 exec_lo, exec_lo, s60
	s_cbranch_execnz .LBB123_48
; %bb.49:                               ;   in Loop: Header=BB123_12 Depth=1
	s_or_b32 exec_lo, exec_lo, s60
.LBB123_50:                             ;   in Loop: Header=BB123_12 Depth=1
	s_delay_alu instid0(SALU_CYCLE_1) | instskip(SKIP_3) | instid1(VALU_DEP_2)
	s_or_b32 exec_lo, exec_lo, s26
	v_add_co_u32 v18, vcc_lo, v18, v0
	v_add_co_ci_u32_e32 v19, vcc_lo, 0, v19, vcc_lo
	v_dual_mov_b32 v21, 0 :: v_dual_and_b32 v12, 0xffff, v29
	v_cmp_gt_u64_e32 vcc_lo, s[36:37], v[18:19]
	s_and_saveexec_b32 s7, vcc_lo
	s_cbranch_execz .LBB123_52
; %bb.51:                               ;   in Loop: Header=BB123_12 Depth=1
	v_mad_u64_u32 v[20:21], null, v18, s30, s[28:29]
	v_mul_lo_u32 v29, v18, s31
	v_mul_lo_u32 v30, v19, s30
	s_delay_alu instid0(VALU_DEP_1)
	v_add3_u32 v21, v30, v21, v29
	global_load_u8 v21, v[20:21], off
.LBB123_52:                             ;   in Loop: Header=BB123_12 Depth=1
	s_or_b32 exec_lo, exec_lo, s7
	s_and_saveexec_b32 s10, vcc_lo
	s_cbranch_execz .LBB123_59
; %bb.53:                               ;   in Loop: Header=BB123_12 Depth=1
	s_and_b32 s12, s81, 0xfe
	s_mov_b32 s11, 0
	s_branch .LBB123_55
.LBB123_54:                             ;   in Loop: Header=BB123_55 Depth=2
	s_or_b32 exec_lo, exec_lo, s8
	s_waitcnt vmcnt(0)
	v_and_b32_e32 v21, 0xff, v21
	s_and_b32 s9, exec_lo, vcc_lo
	s_delay_alu instid0(SALU_CYCLE_1) | instskip(NEXT) | instid1(VALU_DEP_1)
	s_or_b32 s11, s9, s11
	v_and_b32_e32 v29, v26, v21
	v_bfe_u32 v21, v21, s12, 2
	s_delay_alu instid0(VALU_DEP_2) | instskip(NEXT) | instid1(VALU_DEP_2)
	v_cmp_eq_u32_e64 s7, v29, v27
	v_cmp_eq_u32_e64 s8, 0, v21
	v_cmp_eq_u32_e32 vcc_lo, 1, v21
	v_cmp_eq_u32_e64 s9, 2, v21
	s_delay_alu instid0(VALU_DEP_3) | instskip(NEXT) | instid1(SALU_CYCLE_1)
	s_and_b32 s8, s7, s8
	v_cndmask_b32_e64 v29, 0, 1, s8
	s_and_b32 s8, s7, vcc_lo
	v_cmp_eq_u32_e32 vcc_lo, 3, v21
	v_cndmask_b32_e64 v30, 0, 1, s8
	s_and_b32 s8, s7, s9
	s_delay_alu instid0(SALU_CYCLE_1) | instskip(SKIP_1) | instid1(VALU_DEP_3)
	v_cndmask_b32_e64 v21, 0, 1, s8
	v_cmp_ne_u32_e64 s8, 0, v29
	v_cmp_ne_u32_e64 s9, 0, v30
	s_and_b32 s7, s7, vcc_lo
	s_delay_alu instid0(SALU_CYCLE_1) | instskip(NEXT) | instid1(VALU_DEP_3)
	v_cndmask_b32_e64 v29, 0, 1, s7
	s_bcnt1_i32_b32 s7, s8
	v_cmp_ne_u32_e32 vcc_lo, 0, v21
	v_add_co_u32 v2, s7, v2, s7
	s_bcnt1_i32_b32 s8, s9
	v_add_co_ci_u32_e64 v3, s7, 0, v3, s7
	v_add_co_u32 v4, s7, v4, s8
	s_delay_alu instid0(VALU_DEP_1) | instskip(SKIP_3) | instid1(VALU_DEP_1)
	v_add_co_ci_u32_e64 v5, s7, 0, v5, s7
	s_bcnt1_i32_b32 s7, vcc_lo
	v_cmp_ne_u32_e32 vcc_lo, 0, v29
	v_add_co_u32 v6, s7, v6, s7
	v_add_co_ci_u32_e64 v7, s7, 0, v7, s7
	s_bcnt1_i32_b32 s7, vcc_lo
	v_mov_b32_e32 v21, v20
	v_add_co_u32 v8, vcc_lo, v8, s7
	v_add_co_ci_u32_e32 v9, vcc_lo, 0, v9, vcc_lo
	s_and_not1_b32 exec_lo, exec_lo, s11
	s_cbranch_execz .LBB123_58
.LBB123_55:                             ;   Parent Loop BB123_12 Depth=1
                                        ; =>  This Inner Loop Header: Depth=2
	v_add_co_u32 v18, vcc_lo, v18, v12
	v_add_co_ci_u32_e32 v19, vcc_lo, 0, v19, vcc_lo
	v_mov_b32_e32 v20, 0
	s_mov_b32 s8, exec_lo
	s_delay_alu instid0(VALU_DEP_2)
	v_cmp_le_u64_e32 vcc_lo, s[36:37], v[18:19]
	v_cmpx_gt_u64_e64 s[36:37], v[18:19]
	s_cbranch_execz .LBB123_54
; %bb.56:                               ;   in Loop: Header=BB123_55 Depth=2
	v_mad_u64_u32 v[29:30], null, v18, s30, s[28:29]
	v_mul_lo_u32 v20, v18, s31
	v_mul_lo_u32 v31, v19, s30
	s_delay_alu instid0(VALU_DEP_1)
	v_add3_u32 v30, v31, v30, v20
	global_load_u8 v20, v[29:30], off
	s_branch .LBB123_54
.LBB123_57:                             ;   in Loop: Header=BB123_12 Depth=1
                                        ; implicit-def: $vgpr8_vgpr9
                                        ; implicit-def: $vgpr4_vgpr5
	s_cbranch_execnz .LBB123_60
	s_branch .LBB123_69
.LBB123_58:                             ;   in Loop: Header=BB123_12 Depth=1
	s_or_b32 exec_lo, exec_lo, s11
.LBB123_59:                             ;   in Loop: Header=BB123_12 Depth=1
	s_delay_alu instid0(SALU_CYCLE_1)
	s_or_b32 exec_lo, exec_lo, s10
	s_branch .LBB123_69
.LBB123_60:                             ;   in Loop: Header=BB123_12 Depth=1
	global_load_u16 v12, v13, s[62:63]
	s_mov_b64 s[66:67], 0
	s_mov_b32 s95, exec_lo
	s_waitcnt vmcnt(0)
	v_readfirstlane_b32 s7, v12
	s_delay_alu instid0(VALU_DEP_1) | instskip(NEXT) | instid1(SALU_CYCLE_1)
	s_and_b32 s7, 0xffff, s7
	s_lshl_b32 s65, s7, 2
	s_delay_alu instid0(SALU_CYCLE_1) | instskip(SKIP_1) | instid1(VALU_DEP_1)
	v_cvt_f32_u32_e32 v2, s65
	s_sub_i32 s8, 0, s65
	v_rcp_iflag_f32_e32 v2, v2
	s_waitcnt_depctr 0xfff
	v_mul_f32_e32 v2, 0x4f7ffffe, v2
	s_delay_alu instid0(VALU_DEP_1) | instskip(NEXT) | instid1(VALU_DEP_1)
	v_cvt_u32_f32_e32 v2, v2
	v_readfirstlane_b32 s7, v2
	v_mov_b32_e32 v2, 0
	v_mov_b32_e32 v3, 0
	s_delay_alu instid0(VALU_DEP_3) | instskip(NEXT) | instid1(VALU_DEP_1)
	s_mul_i32 s8, s8, s7
	v_dual_mov_b32 v5, v3 :: v_dual_mov_b32 v4, v2
	s_mul_hi_u32 s8, s7, s8
	v_dual_mov_b32 v7, v3 :: v_dual_mov_b32 v6, v2
	s_add_i32 s7, s7, s8
	v_dual_mov_b32 v9, v3 :: v_dual_mov_b32 v8, v2
	s_mul_hi_u32 s7, s64, s7
	s_delay_alu instid0(SALU_CYCLE_1) | instskip(NEXT) | instid1(SALU_CYCLE_1)
	s_mul_i32 s7, s7, s65
	s_sub_i32 s7, s64, s7
	s_delay_alu instid0(SALU_CYCLE_1) | instskip(SKIP_2) | instid1(SALU_CYCLE_1)
	s_sub_i32 s8, s7, s65
	s_cmp_ge_u32 s7, s65
	s_cselect_b32 s7, s8, s7
	s_sub_i32 s8, s7, s65
	s_cmp_ge_u32 s7, s65
	s_cselect_b32 s7, s8, s7
	s_delay_alu instid0(SALU_CYCLE_1) | instskip(NEXT) | instid1(SALU_CYCLE_1)
	s_sub_i32 s60, s64, s7
	v_cmpx_gt_u32_e64 s60, v14
	s_cbranch_execz .LBB123_64
; %bb.61:                               ;   in Loop: Header=BB123_12 Depth=1
	v_dual_mov_b32 v20, v14 :: v_dual_mov_b32 v19, v15
	v_mov_b32_e32 v18, v14
	s_and_b32 s97, s81, 0xfe
	s_mov_b32 s96, 0
	s_mov_b64 s[68:69], 0
	s_mov_b64 s[70:71], 0
	;; [unrolled: 1-line block ×3, first 2 shown]
.LBB123_62:                             ;   Parent Loop BB123_12 Depth=1
                                        ; =>  This Inner Loop Header: Depth=2
	ds_load_b32 v2, v20
	v_add_co_u32 v18, vcc_lo, v18, s65
	v_add_co_ci_u32_e32 v19, vcc_lo, 0, v19, vcc_lo
	s_delay_alu instid0(VALU_DEP_1)
	v_cmp_le_u64_e32 vcc_lo, s[60:61], v[18:19]
	s_waitcnt lgkmcnt(0)
	v_and_b32_e32 v3, 0xff, v2
	v_bfe_u32 v4, v2, 8, 8
	v_bfe_u32 v5, v2, 16, 8
	v_lshrrev_b32_e32 v2, 24, v2
	s_delay_alu instid0(VALU_DEP_4)
	v_and_b32_e32 v6, v26, v3
	v_bfe_u32 v3, v3, s97, 2
	v_and_b32_e32 v7, v26, v4
	v_bfe_u32 v4, v4, s97, 2
	;; [unrolled: 2-line block ×3, first 2 shown]
	v_cmp_eq_u32_e64 s7, v6, v27
	v_cmp_eq_u32_e64 s11, 0, v3
	v_and_b32_e32 v9, v26, v2
	v_bfe_u32 v2, v2, s97, 2
	v_cmp_eq_u32_e64 s8, v7, v27
	v_cmp_eq_u32_e64 s12, 0, v4
	;; [unrolled: 1-line block ×4, first 2 shown]
	s_and_b32 s11, s7, s11
	v_cmp_eq_u32_e64 s10, v9, v27
	v_cmp_eq_u32_e64 s14, 0, v2
	;; [unrolled: 1-line block ×5, first 2 shown]
	v_cndmask_b32_e64 v2, 0, 1, s11
	s_and_b32 s11, s8, s12
	v_cmp_eq_u32_e64 s15, 1, v3
	v_cmp_eq_u32_e64 s19, 2, v3
	v_cmp_eq_u32_e64 s23, 3, v3
	v_cndmask_b32_e64 v3, 0, 1, s11
	s_and_b32 s11, s9, s13
	v_cmp_eq_u32_e64 s16, 1, v4
	v_cmp_eq_u32_e64 s20, 2, v4
	v_cmp_eq_u32_e64 s24, 3, v4
	;; [unrolled: 5-line block ×3, first 2 shown]
	v_cndmask_b32_e64 v5, 0, 1, s11
	v_cmp_ne_u32_e64 s11, 0, v2
	v_cmp_ne_u32_e64 s12, 0, v3
	;; [unrolled: 1-line block ×3, first 2 shown]
	s_delay_alu instid0(VALU_DEP_4) | instskip(NEXT) | instid1(VALU_DEP_4)
	v_cmp_ne_u32_e64 s14, 0, v5
	s_bcnt1_i32_b32 s11, s11
	s_delay_alu instid0(VALU_DEP_3) | instskip(NEXT) | instid1(VALU_DEP_2)
	s_bcnt1_i32_b32 s12, s12
	s_bcnt1_i32_b32 s13, s13
	s_add_i32 s11, s12, s11
	s_bcnt1_i32_b32 s14, s14
	s_add_i32 s11, s11, s13
	s_delay_alu instid0(SALU_CYCLE_1) | instskip(NEXT) | instid1(SALU_CYCLE_1)
	s_add_i32 s11, s11, s14
	s_add_u32 s72, s72, s11
	s_addc_u32 s73, s73, 0
	s_and_b32 s11, s7, s15
	v_add_nc_u32_e32 v20, s65, v20
	v_cndmask_b32_e64 v2, 0, 1, s11
	s_and_b32 s11, s8, s16
	s_delay_alu instid0(SALU_CYCLE_1) | instskip(SKIP_1) | instid1(SALU_CYCLE_1)
	v_cndmask_b32_e64 v3, 0, 1, s11
	s_and_b32 s11, s9, s17
	v_cndmask_b32_e64 v4, 0, 1, s11
	s_and_b32 s11, s10, s18
	s_delay_alu instid0(VALU_DEP_2) | instskip(SKIP_3) | instid1(VALU_DEP_4)
	v_cmp_ne_u32_e64 s12, 0, v3
	v_cndmask_b32_e64 v5, 0, 1, s11
	v_cmp_ne_u32_e64 s11, 0, v2
	v_cmp_ne_u32_e64 s13, 0, v4
	s_bcnt1_i32_b32 s12, s12
	s_delay_alu instid0(VALU_DEP_3) | instskip(NEXT) | instid1(VALU_DEP_3)
	v_cmp_ne_u32_e64 s14, 0, v5
	s_bcnt1_i32_b32 s11, s11
	s_delay_alu instid0(VALU_DEP_2) | instskip(SKIP_1) | instid1(VALU_DEP_1)
	s_bcnt1_i32_b32 s13, s13
	s_add_i32 s11, s12, s11
	s_bcnt1_i32_b32 s14, s14
	s_add_i32 s11, s11, s13
	s_delay_alu instid0(SALU_CYCLE_1) | instskip(NEXT) | instid1(SALU_CYCLE_1)
	s_add_i32 s11, s11, s14
	s_add_u32 s70, s70, s11
	s_addc_u32 s71, s71, 0
	s_and_b32 s11, s7, s19
	s_delay_alu instid0(SALU_CYCLE_1) | instskip(SKIP_1) | instid1(SALU_CYCLE_1)
	v_cndmask_b32_e64 v2, 0, 1, s11
	s_and_b32 s11, s8, s20
	v_cndmask_b32_e64 v3, 0, 1, s11
	s_and_b32 s11, s9, s21
	s_delay_alu instid0(SALU_CYCLE_1) | instskip(SKIP_1) | instid1(VALU_DEP_2)
	v_cndmask_b32_e64 v4, 0, 1, s11
	s_and_b32 s11, s10, s22
	v_cmp_ne_u32_e64 s12, 0, v3
	v_cndmask_b32_e64 v5, 0, 1, s11
	v_cmp_ne_u32_e64 s11, 0, v2
	v_cmp_ne_u32_e64 s13, 0, v4
	s_delay_alu instid0(VALU_DEP_4) | instskip(NEXT) | instid1(VALU_DEP_3)
	s_bcnt1_i32_b32 s12, s12
	v_cmp_ne_u32_e64 s14, 0, v5
	s_delay_alu instid0(VALU_DEP_3) | instskip(NEXT) | instid1(VALU_DEP_2)
	s_bcnt1_i32_b32 s11, s11
	s_bcnt1_i32_b32 s13, s13
	s_add_i32 s11, s12, s11
	s_delay_alu instid0(VALU_DEP_1) | instskip(SKIP_1) | instid1(SALU_CYCLE_1)
	s_bcnt1_i32_b32 s14, s14
	s_add_i32 s11, s11, s13
	s_add_i32 s11, s11, s14
	s_delay_alu instid0(SALU_CYCLE_1)
	s_add_u32 s68, s68, s11
	s_addc_u32 s69, s69, 0
	s_and_b32 s7, s7, s23
	v_mov_b32_e32 v6, s68
	v_cndmask_b32_e64 v2, 0, 1, s7
	s_and_b32 s7, s8, s24
	v_mov_b32_e32 v7, s69
	v_cndmask_b32_e64 v3, 0, 1, s7
	s_and_b32 s7, s9, s25
	s_delay_alu instid0(SALU_CYCLE_1) | instskip(SKIP_1) | instid1(VALU_DEP_2)
	v_cndmask_b32_e64 v4, 0, 1, s7
	s_and_b32 s7, s10, s26
	v_cmp_ne_u32_e64 s8, 0, v3
	v_cndmask_b32_e64 v5, 0, 1, s7
	v_cmp_ne_u32_e64 s7, 0, v2
	v_cmp_ne_u32_e64 s9, 0, v4
	v_dual_mov_b32 v2, s72 :: v_dual_mov_b32 v3, s73
	s_delay_alu instid0(VALU_DEP_4) | instskip(NEXT) | instid1(VALU_DEP_4)
	v_cmp_ne_u32_e64 s10, 0, v5
	s_bcnt1_i32_b32 s7, s7
	s_bcnt1_i32_b32 s8, s8
	s_bcnt1_i32_b32 s9, s9
	s_add_i32 s7, s8, s7
	s_bcnt1_i32_b32 s8, s10
	s_add_i32 s7, s7, s9
	v_mov_b32_e32 v4, s70
	s_add_i32 s7, s7, s8
	v_mov_b32_e32 v5, s71
	s_add_u32 s66, s66, s7
	s_addc_u32 s67, s67, 0
	s_delay_alu instid0(SALU_CYCLE_1) | instskip(SKIP_1) | instid1(SALU_CYCLE_1)
	v_dual_mov_b32 v8, s66 :: v_dual_mov_b32 v9, s67
	s_or_b32 s96, vcc_lo, s96
	s_and_not1_b32 exec_lo, exec_lo, s96
	s_cbranch_execnz .LBB123_62
; %bb.63:                               ;   in Loop: Header=BB123_12 Depth=1
	s_or_b32 exec_lo, exec_lo, s96
.LBB123_64:                             ;   in Loop: Header=BB123_12 Depth=1
	s_delay_alu instid0(SALU_CYCLE_1) | instskip(SKIP_3) | instid1(VALU_DEP_1)
	s_or_b32 exec_lo, exec_lo, s95
	v_and_b32_e32 v20, 0xffff, v12
	v_add_nc_u32_e32 v12, s60, v0
	s_mov_b32 s14, exec_lo
	v_cmpx_gt_u32_e64 s64, v12
	s_cbranch_execz .LBB123_68
; %bb.65:                               ;   in Loop: Header=BB123_12 Depth=1
	v_dual_mov_b32 v19, v13 :: v_dual_mov_b32 v18, v12
	s_mov_b32 s13, 0
	s_and_b32 s12, s64, 0x7fffffff
	s_and_b32 s16, s81, 0xfe
	s_mov_b32 s15, s13
.LBB123_66:                             ;   Parent Loop BB123_12 Depth=1
                                        ; =>  This Inner Loop Header: Depth=2
	ds_load_u8 v21, v12
	v_add_co_u32 v18, vcc_lo, v18, v20
	v_add_co_ci_u32_e32 v19, vcc_lo, 0, v19, vcc_lo
	v_add_nc_u32_e32 v12, v12, v20
	s_delay_alu instid0(VALU_DEP_2) | instskip(SKIP_3) | instid1(VALU_DEP_2)
	v_cmp_le_u64_e32 vcc_lo, s[12:13], v[18:19]
	s_waitcnt lgkmcnt(0)
	v_and_b32_e32 v29, v26, v21
	v_bfe_u32 v21, v21, s16, 2
	v_cmp_eq_u32_e64 s7, v29, v27
	s_delay_alu instid0(VALU_DEP_2) | instskip(SKIP_3) | instid1(VALU_DEP_4)
	v_cmp_eq_u32_e64 s8, 0, v21
	v_cmp_eq_u32_e64 s9, 1, v21
	;; [unrolled: 1-line block ×4, first 2 shown]
	s_and_b32 s8, s7, s8
	s_delay_alu instid0(SALU_CYCLE_1) | instskip(SKIP_1) | instid1(SALU_CYCLE_1)
	v_cndmask_b32_e64 v21, 0, 1, s8
	s_and_b32 s8, s7, s9
	v_cndmask_b32_e64 v29, 0, 1, s8
	s_and_b32 s8, s7, s10
	s_and_b32 s7, s7, s11
	v_cndmask_b32_e64 v30, 0, 1, s8
	v_cndmask_b32_e64 v31, 0, 1, s7
	v_cmp_ne_u32_e64 s7, 0, v21
	v_cmp_ne_u32_e64 s8, 0, v29
	s_delay_alu instid0(VALU_DEP_4) | instskip(NEXT) | instid1(VALU_DEP_4)
	v_cmp_ne_u32_e64 s9, 0, v30
	v_cmp_ne_u32_e64 s10, 0, v31
	s_delay_alu instid0(VALU_DEP_4) | instskip(NEXT) | instid1(VALU_DEP_3)
	s_bcnt1_i32_b32 s7, s7
	s_bcnt1_i32_b32 s8, s8
	v_add_co_u32 v2, s7, v2, s7
	s_delay_alu instid0(VALU_DEP_1)
	v_add_co_ci_u32_e64 v3, s7, 0, v3, s7
	v_add_co_u32 v4, s7, v4, s8
	s_bcnt1_i32_b32 s9, s9
	v_add_co_ci_u32_e64 v5, s7, 0, v5, s7
	v_add_co_u32 v6, s7, v6, s9
	s_bcnt1_i32_b32 s10, s10
	v_add_co_ci_u32_e64 v7, s7, 0, v7, s7
	v_add_co_u32 v8, s7, v8, s10
	s_delay_alu instid0(VALU_DEP_1) | instskip(SKIP_1) | instid1(SALU_CYCLE_1)
	v_add_co_ci_u32_e64 v9, s7, 0, v9, s7
	s_or_b32 s15, vcc_lo, s15
	s_and_not1_b32 exec_lo, exec_lo, s15
	s_cbranch_execnz .LBB123_66
; %bb.67:                               ;   in Loop: Header=BB123_12 Depth=1
	s_or_b32 exec_lo, exec_lo, s15
.LBB123_68:                             ;   in Loop: Header=BB123_12 Depth=1
	s_delay_alu instid0(SALU_CYCLE_1)
	s_or_b32 exec_lo, exec_lo, s14
.LBB123_69:                             ;   in Loop: Header=BB123_12 Depth=1
	s_lshl_b32 s7, s85, 7
	s_and_saveexec_b32 s8, s2
	s_cbranch_execz .LBB123_71
; %bb.70:                               ;   in Loop: Header=BB123_12 Depth=1
	v_or_b32_e32 v12, s7, v24
	s_delay_alu instid0(VALU_DEP_1)
	v_lshlrev_b32_e32 v12, 3, v12
	ds_store_b128 v12, v[2:5] offset:3072
	ds_store_b128 v12, v[6:9] offset:3088
.LBB123_71:                             ;   in Loop: Header=BB123_12 Depth=1
	s_or_b32 exec_lo, exec_lo, s8
	s_waitcnt vmcnt(0) lgkmcnt(0)
	s_barrier
	buffer_gl0_inv
	s_and_saveexec_b32 s8, s53
	s_cbranch_execz .LBB123_82
; %bb.72:                               ;   in Loop: Header=BB123_12 Depth=1
	v_mov_b32_e32 v2, 0
	v_mov_b32_e32 v3, 0
	s_and_not1_b32 vcc_lo, exec_lo, s77
	s_cbranch_vccnz .LBB123_81
; %bb.73:                               ;   in Loop: Header=BB123_12 Depth=1
	v_mov_b32_e32 v2, 0
	v_mov_b32_e32 v3, 0
	s_and_not1_b32 vcc_lo, exec_lo, s79
	s_cbranch_vccnz .LBB123_78
; %bb.74:                               ;   in Loop: Header=BB123_12 Depth=1
	v_lshl_add_u32 v4, s85, 10, v25
	s_mov_b32 s9, 0
	s_set_inst_prefetch_distance 0x1
	.p2align	6
.LBB123_75:                             ;   Parent Loop BB123_12 Depth=1
                                        ; =>  This Inner Loop Header: Depth=2
	ds_load_2addr_b64 v[5:8], v4 offset1:4
	ds_load_2addr_b64 v[18:21], v4 offset0:8 offset1:12
	ds_load_2addr_b64 v[29:32], v4 offset0:16 offset1:20
	s_add_i32 s9, s9, 8
	s_delay_alu instid0(SALU_CYCLE_1) | instskip(SKIP_3) | instid1(VALU_DEP_2)
	s_cmp_eq_u32 s80, s9
	s_waitcnt lgkmcnt(2)
	v_add_co_u32 v2, vcc_lo, v5, v2
	v_add_co_ci_u32_e32 v3, vcc_lo, v6, v3, vcc_lo
	v_add_co_u32 v2, vcc_lo, v7, v2
	s_delay_alu instid0(VALU_DEP_2)
	v_add_co_ci_u32_e32 v3, vcc_lo, v8, v3, vcc_lo
	ds_load_2addr_b64 v[5:8], v4 offset0:24 offset1:28
	s_waitcnt lgkmcnt(2)
	v_add_co_u32 v2, vcc_lo, v18, v2
	v_add_co_ci_u32_e32 v3, vcc_lo, v19, v3, vcc_lo
	v_add_nc_u32_e32 v4, 0x100, v4
	s_delay_alu instid0(VALU_DEP_3) | instskip(NEXT) | instid1(VALU_DEP_3)
	v_add_co_u32 v2, vcc_lo, v20, v2
	v_add_co_ci_u32_e32 v3, vcc_lo, v21, v3, vcc_lo
	s_waitcnt lgkmcnt(1)
	s_delay_alu instid0(VALU_DEP_2) | instskip(NEXT) | instid1(VALU_DEP_2)
	v_add_co_u32 v2, vcc_lo, v29, v2
	v_add_co_ci_u32_e32 v3, vcc_lo, v30, v3, vcc_lo
	s_delay_alu instid0(VALU_DEP_2) | instskip(NEXT) | instid1(VALU_DEP_2)
	v_add_co_u32 v2, vcc_lo, v31, v2
	v_add_co_ci_u32_e32 v3, vcc_lo, v32, v3, vcc_lo
	s_waitcnt lgkmcnt(0)
	s_delay_alu instid0(VALU_DEP_2) | instskip(NEXT) | instid1(VALU_DEP_2)
	v_add_co_u32 v2, vcc_lo, v5, v2
	v_add_co_ci_u32_e32 v3, vcc_lo, v6, v3, vcc_lo
	s_delay_alu instid0(VALU_DEP_2) | instskip(NEXT) | instid1(VALU_DEP_2)
	v_add_co_u32 v2, vcc_lo, v7, v2
	v_add_co_ci_u32_e32 v3, vcc_lo, v8, v3, vcc_lo
	s_cbranch_scc0 .LBB123_75
; %bb.76:                               ;   in Loop: Header=BB123_12 Depth=1
	s_set_inst_prefetch_distance 0x2
	s_mov_b32 s9, s80
	s_and_not1_b32 vcc_lo, exec_lo, s83
	s_cbranch_vccz .LBB123_79
	s_branch .LBB123_81
.LBB123_77:                             ;   in Loop: Header=BB123_12 Depth=1
                                        ; implicit-def: $vgpr2_vgpr3
	s_branch .LBB123_45
.LBB123_78:                             ;   in Loop: Header=BB123_12 Depth=1
	s_mov_b32 s9, 0
	s_and_not1_b32 vcc_lo, exec_lo, s83
	s_cbranch_vccnz .LBB123_81
.LBB123_79:                             ;   in Loop: Header=BB123_12 Depth=1
	s_lshl_b32 s10, s85, 10
	s_lshl_b32 s9, s9, 5
	s_delay_alu instid0(SALU_CYCLE_1)
	v_add3_u32 v4, s10, s9, v25
	s_mov_b32 s9, s78
.LBB123_80:                             ;   Parent Loop BB123_12 Depth=1
                                        ; =>  This Inner Loop Header: Depth=2
	ds_load_b64 v[5:6], v4
	v_add_nc_u32_e32 v4, 32, v4
	s_add_i32 s9, s9, -1
	s_delay_alu instid0(SALU_CYCLE_1)
	s_cmp_lg_u32 s9, 0
	s_waitcnt lgkmcnt(0)
	v_add_co_u32 v2, vcc_lo, v5, v2
	v_add_co_ci_u32_e32 v3, vcc_lo, v6, v3, vcc_lo
	s_cbranch_scc1 .LBB123_80
.LBB123_81:                             ;   in Loop: Header=BB123_12 Depth=1
	v_add_lshl_u32 v4, s7, v23, 3
	ds_store_b64 v4, v[2:3] offset:3072
.LBB123_82:                             ;   in Loop: Header=BB123_12 Depth=1
	s_or_b32 exec_lo, exec_lo, s8
	s_lshl_b32 s7, s7, 3
	s_waitcnt lgkmcnt(0)
	v_mov_b32_e32 v6, s7
	s_barrier
	buffer_gl0_inv
	s_and_b32 s22, s81, 0xfe
	v_cmp_eq_u64_e64 s7, 1, v[16:17]
	ds_load_b128 v[2:5], v6 offset:3072
	ds_load_b128 v[6:9], v6 offset:3088
	s_lshl_b32 s20, 3, s22
	s_and_not1_b32 vcc_lo, exec_lo, s35
	s_not_b32 s21, s20
	s_waitcnt lgkmcnt(1)
	v_readfirstlane_b32 s11, v3
	v_readfirstlane_b32 s10, v2
	;; [unrolled: 1-line block ×4, first 2 shown]
	s_waitcnt lgkmcnt(0)
	v_readfirstlane_b32 s15, v7
	v_readfirstlane_b32 s14, v6
	;; [unrolled: 1-line block ×4, first 2 shown]
	s_cbranch_vccnz .LBB123_97
; %bb.83:                               ;   in Loop: Header=BB123_12 Depth=1
	s_cmp_eq_u64 s[10:11], 1
	v_dual_mov_b32 v8, v27 :: v_dual_mov_b32 v9, v26
	v_mov_b32_e32 v18, v28
	s_cselect_b32 s8, -1, 0
                                        ; implicit-def: $sgpr23
                                        ; implicit-def: $sgpr64
                                        ; implicit-def: $sgpr60
	s_delay_alu instid0(SALU_CYCLE_1)
	s_and_b32 s67, s8, s7
	s_mov_b32 s8, -1
	s_and_saveexec_b32 s24, s67
	s_cbranch_execz .LBB123_115
; %bb.84:                               ;   in Loop: Header=BB123_12 Depth=1
	ds_load_b64 v[2:3], v13 offset:5120
	s_waitcnt lgkmcnt(0)
	s_barrier
	buffer_gl0_inv
	v_readfirstlane_b32 s18, v2
	v_readfirstlane_b32 s19, v3
	s_and_saveexec_b32 s8, s6
	s_cbranch_execz .LBB123_86
; %bb.85:                               ;   in Loop: Header=BB123_12 Depth=1
	ds_store_b8 v0, v13 offset:3072
.LBB123_86:                             ;   in Loop: Header=BB123_12 Depth=1
	s_or_b32 exec_lo, exec_lo, s8
	v_and_b32_e32 v8, s21, v27
	v_or_b32_e32 v9, s20, v26
	s_cmp_eq_u64 s[18:19], 0
	s_waitcnt lgkmcnt(0)
	s_barrier
	buffer_gl0_inv
	s_cbranch_scc1 .LBB123_99
; %bb.87:                               ;   in Loop: Header=BB123_12 Depth=1
	s_add_u32 s23, s74, s18
	s_addc_u32 s9, s75, s19
	s_mov_b32 s8, s61
	s_delay_alu instid0(SALU_CYCLE_1)
	s_cmp_lg_u64 s[8:9], 0
	s_cbranch_scc0 .LBB123_141
; %bb.88:                               ;   in Loop: Header=BB123_12 Depth=1
	v_cvt_f32_u32_e32 v2, s33
	s_sub_u32 s26, 0, s33
	s_subb_u32 s56, 0, 0
	s_delay_alu instid0(VALU_DEP_1) | instskip(NEXT) | instid1(VALU_DEP_1)
	v_fmac_f32_e64 v2, 0, 0x4f800000
	v_rcp_f32_e32 v2, v2
	s_waitcnt_depctr 0xfff
	v_mul_f32_e32 v2, 0x5f7ffffc, v2
	s_delay_alu instid0(VALU_DEP_1) | instskip(NEXT) | instid1(VALU_DEP_1)
	v_mul_f32_e32 v3, 0x2f800000, v2
	v_trunc_f32_e32 v3, v3
	s_delay_alu instid0(VALU_DEP_1) | instskip(SKIP_1) | instid1(VALU_DEP_2)
	v_fmac_f32_e32 v2, 0xcf800000, v3
	v_cvt_u32_f32_e32 v3, v3
	v_cvt_u32_f32_e32 v2, v2
	s_delay_alu instid0(VALU_DEP_2) | instskip(NEXT) | instid1(VALU_DEP_2)
	v_readfirstlane_b32 s8, v3
	v_readfirstlane_b32 s25, v2
	s_delay_alu instid0(VALU_DEP_2) | instskip(NEXT) | instid1(VALU_DEP_1)
	s_mul_i32 s57, s26, s8
	s_mul_hi_u32 s64, s26, s25
	s_mul_i32 s60, s56, s25
	s_add_i32 s57, s64, s57
	s_mul_i32 s65, s26, s25
	s_add_i32 s57, s57, s60
	s_mul_hi_u32 s64, s25, s65
	s_mul_hi_u32 s66, s8, s65
	s_mul_i32 s60, s8, s65
	s_mul_hi_u32 s65, s25, s57
	s_mul_i32 s25, s25, s57
	s_mul_hi_u32 s68, s8, s57
	s_add_u32 s25, s64, s25
	s_addc_u32 s64, 0, s65
	s_add_u32 s25, s25, s60
	s_mul_i32 s57, s8, s57
	s_addc_u32 s25, s64, s66
	s_addc_u32 s60, s68, 0
	s_add_u32 s25, s25, s57
	s_addc_u32 s57, 0, s60
	v_add_co_u32 v2, s25, v2, s25
	s_delay_alu instid0(VALU_DEP_1) | instskip(SKIP_1) | instid1(VALU_DEP_1)
	s_cmp_lg_u32 s25, 0
	s_addc_u32 s8, s8, s57
	v_readfirstlane_b32 s25, v2
	s_mul_i32 s57, s26, s8
	s_delay_alu instid0(VALU_DEP_1)
	s_mul_hi_u32 s60, s26, s25
	s_mul_i32 s56, s56, s25
	s_add_i32 s57, s60, s57
	s_mul_i32 s26, s26, s25
	s_add_i32 s57, s57, s56
	s_mul_hi_u32 s60, s8, s26
	s_mul_i32 s64, s8, s26
	s_mul_hi_u32 s26, s25, s26
	s_mul_hi_u32 s65, s25, s57
	s_mul_i32 s25, s25, s57
	s_mul_hi_u32 s56, s8, s57
	s_add_u32 s25, s26, s25
	s_addc_u32 s26, 0, s65
	s_add_u32 s25, s25, s64
	s_mul_i32 s57, s8, s57
	s_addc_u32 s25, s26, s60
	s_addc_u32 s26, s56, 0
	s_add_u32 s25, s25, s57
	s_addc_u32 s26, 0, s26
	v_add_co_u32 v2, s25, v2, s25
	s_delay_alu instid0(VALU_DEP_1) | instskip(SKIP_1) | instid1(VALU_DEP_1)
	s_cmp_lg_u32 s25, 0
	s_addc_u32 s8, s8, s26
	v_readfirstlane_b32 s25, v2
	s_mul_i32 s56, s23, s8
	s_mul_hi_u32 s26, s23, s8
	s_mul_hi_u32 s57, s9, s8
	s_mul_i32 s8, s9, s8
	s_mul_hi_u32 s60, s23, s25
	s_mul_hi_u32 s64, s9, s25
	s_mul_i32 s25, s9, s25
	s_add_u32 s56, s60, s56
	s_addc_u32 s26, 0, s26
	s_add_u32 s25, s56, s25
	s_addc_u32 s25, s26, s64
	s_addc_u32 s26, s57, 0
	s_add_u32 s8, s25, s8
	s_addc_u32 s25, 0, s26
	s_mul_hi_u32 s26, s33, s8
	s_mul_i32 s8, s33, s8
	s_mul_i32 s25, s33, s25
	v_sub_co_u32 v2, s8, s23, s8
	s_add_i32 s26, s26, s25
	s_cmp_lg_u32 s8, 0
	s_delay_alu instid0(VALU_DEP_1) | instskip(SKIP_2) | instid1(VALU_DEP_1)
	v_sub_co_u32 v3, s8, v2, s33
	s_subb_u32 s25, s9, s26
	s_cmp_lg_u32 s8, 0
	v_cmp_le_u32_e32 vcc_lo, s33, v3
	v_sub_co_u32 v4, s8, v3, s33
	s_subb_u32 s26, s25, 0
	s_cmp_lg_u32 s8, 0
	v_cndmask_b32_e64 v5, 0, -1, vcc_lo
	s_subb_u32 s8, s26, 0
	s_cmp_eq_u32 s26, 0
	v_mov_b32_e32 v7, s8
	s_cselect_b32 vcc_lo, -1, 0
	s_cmp_eq_u32 s25, 0
	v_cndmask_b32_e32 v5, -1, v5, vcc_lo
	v_cmp_le_u32_e32 vcc_lo, s33, v2
	s_cselect_b32 s8, -1, 0
	v_cndmask_b32_e64 v6, 0, -1, vcc_lo
	s_delay_alu instid0(VALU_DEP_3) | instskip(NEXT) | instid1(VALU_DEP_2)
	v_cmp_ne_u32_e32 vcc_lo, 0, v5
	v_cndmask_b32_e64 v5, -1, v6, s8
	v_cndmask_b32_e32 v6, s26, v7, vcc_lo
	v_cndmask_b32_e32 v4, v3, v4, vcc_lo
	s_delay_alu instid0(VALU_DEP_3) | instskip(NEXT) | instid1(VALU_DEP_3)
	v_cmp_ne_u32_e32 vcc_lo, 0, v5
	v_cndmask_b32_e32 v3, s25, v6, vcc_lo
	s_delay_alu instid0(VALU_DEP_3)
	v_cndmask_b32_e32 v2, v2, v4, vcc_lo
	s_cbranch_execnz .LBB123_90
.LBB123_89:                             ;   in Loop: Header=BB123_12 Depth=1
	v_cvt_f32_u32_e32 v2, s33
	s_sub_i32 s8, 0, s33
	s_delay_alu instid0(VALU_DEP_1) | instskip(SKIP_2) | instid1(VALU_DEP_1)
	v_rcp_iflag_f32_e32 v2, v2
	s_waitcnt_depctr 0xfff
	v_mul_f32_e32 v2, 0x4f7ffffe, v2
	v_cvt_u32_f32_e32 v2, v2
	s_delay_alu instid0(VALU_DEP_1) | instskip(NEXT) | instid1(VALU_DEP_1)
	v_mul_lo_u32 v3, s8, v2
	v_mul_hi_u32 v3, v2, v3
	s_delay_alu instid0(VALU_DEP_1) | instskip(NEXT) | instid1(VALU_DEP_1)
	v_add_nc_u32_e32 v2, v2, v3
	v_mul_hi_u32 v2, s23, v2
	s_delay_alu instid0(VALU_DEP_1) | instskip(NEXT) | instid1(VALU_DEP_1)
	v_mul_lo_u32 v2, v2, s33
	v_sub_nc_u32_e32 v2, s23, v2
	s_delay_alu instid0(VALU_DEP_1) | instskip(SKIP_1) | instid1(VALU_DEP_2)
	v_subrev_nc_u32_e32 v3, s33, v2
	v_cmp_le_u32_e32 vcc_lo, s33, v2
	v_cndmask_b32_e32 v2, v2, v3, vcc_lo
	s_delay_alu instid0(VALU_DEP_1) | instskip(SKIP_1) | instid1(VALU_DEP_2)
	v_subrev_nc_u32_e32 v3, s33, v2
	v_cmp_le_u32_e32 vcc_lo, s33, v2
	v_cndmask_b32_e32 v12, v2, v3, vcc_lo
	s_delay_alu instid0(VALU_DEP_1)
	v_dual_mov_b32 v2, v12 :: v_dual_mov_b32 v3, v13
.LBB123_90:                             ;   in Loop: Header=BB123_12 Depth=1
	s_delay_alu instid0(VALU_DEP_1) | instskip(NEXT) | instid1(VALU_DEP_2)
	v_sub_co_u32 v2, vcc_lo, s23, v2
	v_sub_co_ci_u32_e32 v3, vcc_lo, s9, v3, vcc_lo
	s_mov_b32 s8, 0
	s_mov_b32 s9, exec_lo
                                        ; implicit-def: $vgpr18
	s_delay_alu instid0(VALU_DEP_1)
	v_cmpx_gt_u64_e64 v[2:3], v[0:1]
	s_cbranch_execz .LBB123_101
; %bb.91:                               ;   in Loop: Header=BB123_12 Depth=1
	v_dual_mov_b32 v6, v0 :: v_dual_mov_b32 v5, v1
	v_mov_b32_e32 v4, v0
	s_mov_b32 s23, 0
                                        ; implicit-def: $sgpr25
	s_set_inst_prefetch_distance 0x1
	s_branch .LBB123_93
	.p2align	6
.LBB123_92:                             ;   in Loop: Header=BB123_93 Depth=2
	s_or_b32 exec_lo, exec_lo, s8
	s_waitcnt lgkmcnt(0)
	s_barrier
	buffer_gl0_inv
	ds_load_u16 v7, v13 offset:3072
	v_add_co_u32 v4, vcc_lo, v4, s33
	v_add_co_ci_u32_e32 v5, vcc_lo, 0, v5, vcc_lo
	v_add_nc_u32_e32 v6, s33, v6
	s_waitcnt lgkmcnt(0)
	s_barrier
	s_delay_alu instid0(VALU_DEP_2) | instskip(SKIP_2) | instid1(VALU_DEP_1)
	v_cmp_ge_u64_e32 vcc_lo, v[4:5], v[2:3]
	buffer_gl0_inv
	v_and_b32_e32 v12, 0xff, v7
	v_cmp_ne_u16_e64 s8, 0, v12
	s_delay_alu instid0(VALU_DEP_1) | instskip(NEXT) | instid1(SALU_CYCLE_1)
	s_or_b32 s26, vcc_lo, s8
	s_and_b32 s26, exec_lo, s26
	s_delay_alu instid0(SALU_CYCLE_1) | instskip(SKIP_2) | instid1(SALU_CYCLE_1)
	s_or_b32 s23, s26, s23
	s_and_not1_b32 s25, s25, exec_lo
	s_and_b32 s8, s8, exec_lo
	s_or_b32 s25, s25, s8
	s_and_not1_b32 exec_lo, exec_lo, s23
	s_cbranch_execz .LBB123_100
.LBB123_93:                             ;   Parent Loop BB123_12 Depth=1
                                        ; =>  This Inner Loop Header: Depth=2
	s_delay_alu instid0(VALU_DEP_1)
	v_cmp_gt_u64_e32 vcc_lo, s[18:19], v[4:5]
	v_mov_b32_e32 v7, 0
	s_and_saveexec_b32 s8, vcc_lo
	s_cbranch_execz .LBB123_95
; %bb.94:                               ;   in Loop: Header=BB123_93 Depth=2
	ds_load_u8 v7, v6
.LBB123_95:                             ;   in Loop: Header=BB123_93 Depth=2
	s_or_b32 exec_lo, exec_lo, s8
	s_waitcnt lgkmcnt(0)
	v_and_b32_e32 v12, v7, v9
	s_delay_alu instid0(VALU_DEP_1) | instskip(NEXT) | instid1(VALU_DEP_1)
	v_and_b32_e32 v12, 0xff, v12
	v_cmp_eq_u32_e64 s8, v12, v8
	s_delay_alu instid0(VALU_DEP_1) | instskip(NEXT) | instid1(SALU_CYCLE_1)
	s_and_b32 s26, vcc_lo, s8
	s_and_saveexec_b32 s8, s26
	s_cbranch_execz .LBB123_92
; %bb.96:                               ;   in Loop: Header=BB123_93 Depth=2
	v_lshlrev_b16 v7, 8, v7
	s_delay_alu instid0(VALU_DEP_1)
	v_or_b32_e32 v7, 1, v7
	ds_store_b16 v13, v7 offset:3072
	s_branch .LBB123_92
.LBB123_97:                             ;   in Loop: Header=BB123_12 Depth=1
	s_mov_b32 s25, 0
	s_mov_b32 s24, 0
                                        ; implicit-def: $sgpr60
                                        ; implicit-def: $sgpr64
                                        ; implicit-def: $sgpr23
                                        ; implicit-def: $vgpr6
                                        ; implicit-def: $vgpr2_vgpr3
                                        ; implicit-def: $vgpr8
                                        ; implicit-def: $vgpr9
                                        ; implicit-def: $vgpr18
	s_cbranch_execnz .LBB123_273
.LBB123_98:                             ;   in Loop: Header=BB123_12 Depth=1
	s_mov_b32 s18, s23
	s_mov_b32 s19, s23
	s_and_saveexec_b32 s7, s25
	s_cbranch_execnz .LBB123_461
	s_branch .LBB123_462
.LBB123_99:                             ;   in Loop: Header=BB123_12 Depth=1
	s_mov_b32 s23, -1
	s_mov_b32 s8, 0
                                        ; implicit-def: $sgpr60
                                        ; implicit-def: $vgpr18
	s_mov_b32 s64, s23
	s_cbranch_execnz .LBB123_102
	s_branch .LBB123_114
.LBB123_100:                            ;   in Loop: Header=BB123_12 Depth=1
	s_set_inst_prefetch_distance 0x2
	s_or_b32 exec_lo, exec_lo, s23
	v_lshrrev_b16 v18, 8, v7
	s_and_b32 s8, s25, exec_lo
.LBB123_101:                            ;   in Loop: Header=BB123_12 Depth=1
	s_or_b32 exec_lo, exec_lo, s9
	s_mov_b32 s60, -1
	s_mov_b32 s23, 0
	s_delay_alu instid0(SALU_CYCLE_1)
	s_mov_b32 s64, s23
	s_branch .LBB123_114
.LBB123_102:                            ;   in Loop: Header=BB123_12 Depth=1
	s_mov_b32 s26, s61
	s_delay_alu instid0(SALU_CYCLE_1)
	s_cmp_lg_u64 s[26:27], 0
	s_cbranch_scc0 .LBB123_142
; %bb.103:                              ;   in Loop: Header=BB123_12 Depth=1
	v_cvt_f32_u32_e32 v2, s33
	s_sub_u32 s18, 0, s33
	s_subb_u32 s19, 0, 0
	s_delay_alu instid0(VALU_DEP_1) | instskip(NEXT) | instid1(VALU_DEP_1)
	v_fmac_f32_e64 v2, 0, 0x4f800000
	v_rcp_f32_e32 v2, v2
	s_waitcnt_depctr 0xfff
	v_mul_f32_e32 v2, 0x5f7ffffc, v2
	s_delay_alu instid0(VALU_DEP_1) | instskip(NEXT) | instid1(VALU_DEP_1)
	v_mul_f32_e32 v3, 0x2f800000, v2
	v_trunc_f32_e32 v3, v3
	s_delay_alu instid0(VALU_DEP_1) | instskip(SKIP_1) | instid1(VALU_DEP_2)
	v_fmac_f32_e32 v2, 0xcf800000, v3
	v_cvt_u32_f32_e32 v3, v3
	v_cvt_u32_f32_e32 v2, v2
	s_delay_alu instid0(VALU_DEP_2) | instskip(NEXT) | instid1(VALU_DEP_2)
	v_readfirstlane_b32 s8, v3
	v_readfirstlane_b32 s9, v2
	s_delay_alu instid0(VALU_DEP_2) | instskip(NEXT) | instid1(VALU_DEP_1)
	s_mul_i32 s23, s18, s8
	s_mul_hi_u32 s26, s18, s9
	s_mul_i32 s25, s19, s9
	s_add_i32 s23, s26, s23
	s_mul_i32 s56, s18, s9
	s_add_i32 s23, s23, s25
	s_mul_hi_u32 s26, s9, s56
	s_mul_hi_u32 s57, s8, s56
	s_mul_i32 s25, s8, s56
	s_mul_hi_u32 s56, s9, s23
	s_mul_i32 s9, s9, s23
	s_mul_hi_u32 s60, s8, s23
	s_add_u32 s9, s26, s9
	s_addc_u32 s26, 0, s56
	s_add_u32 s9, s9, s25
	s_mul_i32 s23, s8, s23
	s_addc_u32 s9, s26, s57
	s_addc_u32 s25, s60, 0
	s_add_u32 s9, s9, s23
	s_addc_u32 s23, 0, s25
	v_add_co_u32 v2, s9, v2, s9
	s_delay_alu instid0(VALU_DEP_1) | instskip(SKIP_1) | instid1(VALU_DEP_1)
	s_cmp_lg_u32 s9, 0
	s_addc_u32 s8, s8, s23
	v_readfirstlane_b32 s9, v2
	s_mul_i32 s23, s18, s8
	s_delay_alu instid0(VALU_DEP_1)
	s_mul_hi_u32 s25, s18, s9
	s_mul_i32 s19, s19, s9
	s_add_i32 s23, s25, s23
	s_mul_i32 s18, s18, s9
	s_add_i32 s23, s23, s19
	s_mul_hi_u32 s25, s8, s18
	s_mul_i32 s26, s8, s18
	s_mul_hi_u32 s18, s9, s18
	s_mul_hi_u32 s56, s9, s23
	s_mul_i32 s9, s9, s23
	s_mul_hi_u32 s19, s8, s23
	s_add_u32 s9, s18, s9
	s_addc_u32 s18, 0, s56
	s_add_u32 s9, s9, s26
	s_mul_i32 s23, s8, s23
	s_addc_u32 s9, s18, s25
	s_addc_u32 s18, s19, 0
	s_add_u32 s9, s9, s23
	s_addc_u32 s18, 0, s18
	v_add_co_u32 v2, s9, v2, s9
	s_delay_alu instid0(VALU_DEP_1) | instskip(SKIP_1) | instid1(VALU_DEP_1)
	s_cmp_lg_u32 s9, 0
	s_addc_u32 s8, s8, s18
	v_readfirstlane_b32 s9, v2
	s_mul_i32 s19, s76, s8
	s_mul_hi_u32 s18, s76, s8
	s_mul_hi_u32 s23, s27, s8
	s_mul_i32 s8, s27, s8
	s_mul_hi_u32 s25, s76, s9
	s_mul_hi_u32 s26, s27, s9
	s_mul_i32 s9, s27, s9
	s_add_u32 s19, s25, s19
	s_addc_u32 s18, 0, s18
	s_add_u32 s9, s19, s9
	s_addc_u32 s9, s18, s26
	s_addc_u32 s18, s23, 0
	s_add_u32 s8, s9, s8
	s_addc_u32 s9, 0, s18
	s_mul_hi_u32 s18, s33, s8
	s_mul_i32 s8, s33, s8
	s_mul_i32 s9, s33, s9
	v_sub_co_u32 v2, s8, s76, s8
	s_add_i32 s18, s18, s9
	s_cmp_lg_u32 s8, 0
	s_delay_alu instid0(VALU_DEP_1) | instskip(SKIP_2) | instid1(VALU_DEP_1)
	v_sub_co_u32 v3, s8, v2, s33
	s_subb_u32 s9, s27, s18
	s_cmp_lg_u32 s8, 0
	v_cmp_le_u32_e32 vcc_lo, s33, v3
	v_sub_co_u32 v4, s8, v3, s33
	s_subb_u32 s18, s9, 0
	s_cmp_lg_u32 s8, 0
	v_cndmask_b32_e64 v5, 0, -1, vcc_lo
	s_subb_u32 s8, s18, 0
	s_cmp_eq_u32 s18, 0
	v_mov_b32_e32 v7, s8
	s_cselect_b32 vcc_lo, -1, 0
	s_cmp_eq_u32 s9, 0
	v_cndmask_b32_e32 v5, -1, v5, vcc_lo
	v_cmp_le_u32_e32 vcc_lo, s33, v2
	s_cselect_b32 s8, -1, 0
	v_cndmask_b32_e64 v6, 0, -1, vcc_lo
	s_delay_alu instid0(VALU_DEP_3) | instskip(NEXT) | instid1(VALU_DEP_2)
	v_cmp_ne_u32_e32 vcc_lo, 0, v5
	v_cndmask_b32_e64 v5, -1, v6, s8
	v_cndmask_b32_e32 v6, s18, v7, vcc_lo
	v_cndmask_b32_e32 v4, v3, v4, vcc_lo
	s_delay_alu instid0(VALU_DEP_3) | instskip(NEXT) | instid1(VALU_DEP_3)
	v_cmp_ne_u32_e32 vcc_lo, 0, v5
	v_cndmask_b32_e32 v3, s9, v6, vcc_lo
	s_delay_alu instid0(VALU_DEP_3)
	v_cndmask_b32_e32 v2, v2, v4, vcc_lo
	s_cbranch_execnz .LBB123_105
.LBB123_104:                            ;   in Loop: Header=BB123_12 Depth=1
	v_cvt_f32_u32_e32 v2, s33
	s_sub_i32 s8, 0, s33
	s_delay_alu instid0(VALU_DEP_1) | instskip(SKIP_2) | instid1(VALU_DEP_1)
	v_rcp_iflag_f32_e32 v2, v2
	s_waitcnt_depctr 0xfff
	v_mul_f32_e32 v2, 0x4f7ffffe, v2
	v_cvt_u32_f32_e32 v2, v2
	s_delay_alu instid0(VALU_DEP_1) | instskip(NEXT) | instid1(VALU_DEP_1)
	v_mul_lo_u32 v3, s8, v2
	v_mul_hi_u32 v3, v2, v3
	s_delay_alu instid0(VALU_DEP_1) | instskip(NEXT) | instid1(VALU_DEP_1)
	v_add_nc_u32_e32 v2, v2, v3
	v_mul_hi_u32 v2, s76, v2
	s_delay_alu instid0(VALU_DEP_1) | instskip(NEXT) | instid1(VALU_DEP_1)
	v_mul_lo_u32 v2, v2, s33
	v_sub_nc_u32_e32 v2, s76, v2
	s_delay_alu instid0(VALU_DEP_1) | instskip(SKIP_1) | instid1(VALU_DEP_2)
	v_subrev_nc_u32_e32 v3, s33, v2
	v_cmp_le_u32_e32 vcc_lo, s33, v2
	v_cndmask_b32_e32 v2, v2, v3, vcc_lo
	s_delay_alu instid0(VALU_DEP_1) | instskip(SKIP_1) | instid1(VALU_DEP_2)
	v_subrev_nc_u32_e32 v3, s33, v2
	v_cmp_le_u32_e32 vcc_lo, s33, v2
	v_cndmask_b32_e32 v12, v2, v3, vcc_lo
	s_delay_alu instid0(VALU_DEP_1)
	v_dual_mov_b32 v2, v12 :: v_dual_mov_b32 v3, v13
.LBB123_105:                            ;   in Loop: Header=BB123_12 Depth=1
	s_delay_alu instid0(VALU_DEP_1) | instskip(NEXT) | instid1(VALU_DEP_2)
	v_sub_co_u32 v2, vcc_lo, s76, v2
	v_sub_co_ci_u32_e32 v3, vcc_lo, s27, v3, vcc_lo
	s_mov_b32 s8, 0
	s_mov_b32 s9, exec_lo
                                        ; implicit-def: $vgpr18
	s_delay_alu instid0(VALU_DEP_1)
	v_cmpx_gt_u64_e64 v[2:3], v[0:1]
	s_cbranch_execz .LBB123_113
; %bb.106:                              ;   in Loop: Header=BB123_12 Depth=1
	v_dual_mov_b32 v5, v1 :: v_dual_mov_b32 v4, v0
	s_mov_b32 s18, 0
                                        ; implicit-def: $sgpr19
	s_branch .LBB123_108
.LBB123_107:                            ;   in Loop: Header=BB123_108 Depth=2
	s_or_b32 exec_lo, exec_lo, s8
	s_waitcnt lgkmcnt(0)
	s_barrier
	buffer_gl0_inv
	ds_load_u16 v6, v13 offset:3072
	v_add_co_u32 v4, vcc_lo, v4, s33
	v_add_co_ci_u32_e32 v5, vcc_lo, 0, v5, vcc_lo
	s_waitcnt lgkmcnt(0)
	s_barrier
	buffer_gl0_inv
	v_cmp_ge_u64_e32 vcc_lo, v[4:5], v[2:3]
	v_and_b32_e32 v7, 0xff, v6
	s_delay_alu instid0(VALU_DEP_1) | instskip(NEXT) | instid1(VALU_DEP_1)
	v_cmp_ne_u16_e64 s8, 0, v7
	s_or_b32 s23, vcc_lo, s8
	s_delay_alu instid0(SALU_CYCLE_1) | instskip(NEXT) | instid1(SALU_CYCLE_1)
	s_and_b32 s23, exec_lo, s23
	s_or_b32 s18, s23, s18
	s_and_not1_b32 s19, s19, exec_lo
	s_and_b32 s8, s8, exec_lo
	s_delay_alu instid0(SALU_CYCLE_1)
	s_or_b32 s19, s19, s8
	s_and_not1_b32 exec_lo, exec_lo, s18
	s_cbranch_execz .LBB123_112
.LBB123_108:                            ;   Parent Loop BB123_12 Depth=1
                                        ; =>  This Inner Loop Header: Depth=2
	s_delay_alu instid0(VALU_DEP_1)
	v_cmp_gt_u64_e32 vcc_lo, s[36:37], v[4:5]
	v_mov_b32_e32 v6, 0
	s_and_saveexec_b32 s8, vcc_lo
	s_cbranch_execz .LBB123_110
; %bb.109:                              ;   in Loop: Header=BB123_108 Depth=2
	v_mad_u64_u32 v[6:7], null, v4, s30, s[28:29]
	v_mul_lo_u32 v12, v4, s31
	v_mul_lo_u32 v18, v5, s30
	s_delay_alu instid0(VALU_DEP_1)
	v_add3_u32 v7, v18, v7, v12
	global_load_u8 v6, v[6:7], off
.LBB123_110:                            ;   in Loop: Header=BB123_108 Depth=2
	s_or_b32 exec_lo, exec_lo, s8
	s_waitcnt vmcnt(0)
	v_and_b32_e32 v7, v6, v9
	s_delay_alu instid0(VALU_DEP_1) | instskip(NEXT) | instid1(VALU_DEP_1)
	v_and_b32_e32 v7, 0xff, v7
	v_cmp_eq_u32_e64 s8, v7, v8
	s_delay_alu instid0(VALU_DEP_1) | instskip(NEXT) | instid1(SALU_CYCLE_1)
	s_and_b32 s23, vcc_lo, s8
	s_and_saveexec_b32 s8, s23
	s_cbranch_execz .LBB123_107
; %bb.111:                              ;   in Loop: Header=BB123_108 Depth=2
	v_lshlrev_b16 v6, 8, v6
	s_delay_alu instid0(VALU_DEP_1)
	v_or_b32_e32 v6, 1, v6
	ds_store_b16 v13, v6 offset:3072
	s_branch .LBB123_107
.LBB123_112:                            ;   in Loop: Header=BB123_12 Depth=1
	s_or_b32 exec_lo, exec_lo, s18
	v_lshrrev_b16 v18, 8, v6
	s_and_b32 s8, s19, exec_lo
.LBB123_113:                            ;   in Loop: Header=BB123_12 Depth=1
	s_or_b32 exec_lo, exec_lo, s9
	s_mov_b32 s64, -1
	s_mov_b32 s23, 0
	s_mov_b32 s60, 0
.LBB123_114:                            ;   in Loop: Header=BB123_12 Depth=1
	s_or_not1_b32 s8, s8, exec_lo
.LBB123_115:                            ;   in Loop: Header=BB123_12 Depth=1
	s_or_b32 exec_lo, exec_lo, s24
	s_mov_b32 s65, 0
	s_mov_b32 s25, 0
	;; [unrolled: 1-line block ×3, first 2 shown]
                                        ; implicit-def: $vgpr6
                                        ; implicit-def: $vgpr2_vgpr3
	s_and_saveexec_b32 s66, s8
	s_cbranch_execz .LBB123_272
; %bb.116:                              ;   in Loop: Header=BB123_12 Depth=1
	v_mov_b32_e32 v2, 1
	v_dual_mov_b32 v3, 0 :: v_dual_mov_b32 v6, 1
	s_xor_b32 s9, s67, -1
	s_delay_alu instid0(SALU_CYCLE_1)
	s_and_saveexec_b32 s8, s9
	s_cbranch_execz .LBB123_126
; %bb.117:                              ;   in Loop: Header=BB123_12 Depth=1
	s_mov_b32 s18, exec_lo
                                        ; implicit-def: $sgpr19
                                        ; implicit-def: $sgpr9
	v_cmpx_ge_u64_e64 s[10:11], v[16:17]
	s_xor_b32 s18, exec_lo, s18
	s_cbranch_execz .LBB123_123
; %bb.118:                              ;   in Loop: Header=BB123_12 Depth=1
	ds_load_b64 v[2:3], v13 offset:5120
	s_waitcnt lgkmcnt(0)
	v_cmp_ne_u64_e32 vcc_lo, 0, v[2:3]
	s_cbranch_vccnz .LBB123_122
; %bb.119:                              ;   in Loop: Header=BB123_12 Depth=1
	s_and_saveexec_b32 s9, s5
	s_cbranch_execz .LBB123_121
; %bb.120:                              ;   in Loop: Header=BB123_12 Depth=1
	v_dual_mov_b32 v2, s10 :: v_dual_mov_b32 v3, s11
	ds_store_b64 v13, v[2:3] offset:5128
.LBB123_121:                            ;   in Loop: Header=BB123_12 Depth=1
	s_or_b32 exec_lo, exec_lo, s9
	s_waitcnt lgkmcnt(0)
	s_barrier
	buffer_gl0_inv
.LBB123_122:                            ;   in Loop: Header=BB123_12 Depth=1
	v_and_b32_e32 v8, s21, v8
	v_or_b32_e32 v9, s20, v9
	s_mov_b32 s9, 0
	s_mov_b32 s19, 8
.LBB123_123:                            ;   in Loop: Header=BB123_12 Depth=1
	s_or_saveexec_b32 s18, s18
	v_mov_b32_e32 v2, v16
	v_dual_mov_b32 v6, s19 :: v_dual_mov_b32 v3, v17
	s_xor_b32 exec_lo, exec_lo, s18
; %bb.124:                              ;   in Loop: Header=BB123_12 Depth=1
	v_sub_co_u32 v2, vcc_lo, v16, s10
	v_subrev_co_ci_u32_e32 v3, vcc_lo, s11, v17, vcc_lo
	v_mov_b32_e32 v6, 0
	s_or_b32 s9, s9, exec_lo
; %bb.125:                              ;   in Loop: Header=BB123_12 Depth=1
	s_or_b32 exec_lo, exec_lo, s18
	s_delay_alu instid0(SALU_CYCLE_1)
	s_and_b32 s24, s9, exec_lo
.LBB123_126:                            ;   in Loop: Header=BB123_12 Depth=1
	s_or_b32 exec_lo, exec_lo, s8
	s_mov_b32 s25, -1
                                        ; implicit-def: $sgpr9
                                        ; implicit-def: $sgpr18
                                        ; implicit-def: $sgpr19
	s_and_saveexec_b32 s8, s24
	s_delay_alu instid0(SALU_CYCLE_1)
	s_xor_b32 s24, exec_lo, s8
	s_cbranch_execz .LBB123_269
; %bb.127:                              ;   in Loop: Header=BB123_12 Depth=1
	v_cmp_eq_u64_e32 vcc_lo, 1, v[2:3]
	s_cmp_eq_u64 s[12:13], 1
                                        ; implicit-def: $sgpr25
                                        ; implicit-def: $sgpr68
                                        ; implicit-def: $sgpr67
	s_cselect_b32 s8, -1, 0
	s_delay_alu instid0(SALU_CYCLE_1)
	s_and_b32 s70, s8, vcc_lo
	s_mov_b32 s8, -1
	s_and_saveexec_b32 s69, s70
	s_cbranch_execz .LBB123_159
; %bb.128:                              ;   in Loop: Header=BB123_12 Depth=1
	ds_load_b64 v[4:5], v13 offset:5120
	s_waitcnt lgkmcnt(0)
	s_barrier
	buffer_gl0_inv
	v_readfirstlane_b32 s18, v4
	v_readfirstlane_b32 s19, v5
	s_and_saveexec_b32 s8, s6
	s_cbranch_execz .LBB123_130
; %bb.129:                              ;   in Loop: Header=BB123_12 Depth=1
	ds_store_b8 v0, v13 offset:3072
.LBB123_130:                            ;   in Loop: Header=BB123_12 Depth=1
	s_or_b32 exec_lo, exec_lo, s8
	s_lshl_b32 s8, 1, s22
	v_or_b32_e32 v9, s20, v9
	v_and_or_b32 v8, v8, s21, s8
	s_cmp_eq_u64 s[18:19], 0
	s_waitcnt lgkmcnt(0)
	s_barrier
	buffer_gl0_inv
	s_cbranch_scc1 .LBB123_143
; %bb.131:                              ;   in Loop: Header=BB123_12 Depth=1
	s_add_u32 s25, s74, s18
	s_addc_u32 s9, s75, s19
	s_mov_b32 s8, s61
	s_delay_alu instid0(SALU_CYCLE_1)
	s_cmp_lg_u64 s[8:9], 0
	s_cbranch_scc0 .LBB123_185
; %bb.132:                              ;   in Loop: Header=BB123_12 Depth=1
	v_cvt_f32_u32_e32 v4, s33
	s_sub_u32 s67, 0, s33
	s_subb_u32 s68, 0, 0
	s_delay_alu instid0(VALU_DEP_1) | instskip(NEXT) | instid1(VALU_DEP_1)
	v_fmac_f32_e64 v4, 0, 0x4f800000
	v_rcp_f32_e32 v4, v4
	s_waitcnt_depctr 0xfff
	v_mul_f32_e32 v4, 0x5f7ffffc, v4
	s_delay_alu instid0(VALU_DEP_1) | instskip(NEXT) | instid1(VALU_DEP_1)
	v_mul_f32_e32 v5, 0x2f800000, v4
	v_trunc_f32_e32 v5, v5
	s_delay_alu instid0(VALU_DEP_1) | instskip(SKIP_1) | instid1(VALU_DEP_2)
	v_fmac_f32_e32 v4, 0xcf800000, v5
	v_cvt_u32_f32_e32 v5, v5
	v_cvt_u32_f32_e32 v4, v4
	s_delay_alu instid0(VALU_DEP_2) | instskip(NEXT) | instid1(VALU_DEP_2)
	v_readfirstlane_b32 s8, v5
	v_readfirstlane_b32 s26, v4
	s_delay_alu instid0(VALU_DEP_2) | instskip(NEXT) | instid1(VALU_DEP_1)
	s_mul_i32 s71, s67, s8
	s_mul_hi_u32 s73, s67, s26
	s_mul_i32 s72, s68, s26
	s_add_i32 s71, s73, s71
	s_mul_i32 s95, s67, s26
	s_add_i32 s71, s71, s72
	s_mul_hi_u32 s73, s26, s95
	s_mul_hi_u32 s96, s8, s95
	s_mul_i32 s72, s8, s95
	s_mul_hi_u32 s95, s26, s71
	s_mul_i32 s26, s26, s71
	s_mul_hi_u32 s97, s8, s71
	s_add_u32 s26, s73, s26
	s_addc_u32 s73, 0, s95
	s_add_u32 s26, s26, s72
	s_mul_i32 s71, s8, s71
	s_addc_u32 s26, s73, s96
	s_addc_u32 s72, s97, 0
	s_add_u32 s26, s26, s71
	s_addc_u32 s71, 0, s72
	v_add_co_u32 v4, s26, v4, s26
	s_delay_alu instid0(VALU_DEP_1) | instskip(SKIP_1) | instid1(VALU_DEP_1)
	s_cmp_lg_u32 s26, 0
	s_addc_u32 s8, s8, s71
	v_readfirstlane_b32 s26, v4
	s_mul_i32 s71, s67, s8
	s_delay_alu instid0(VALU_DEP_1)
	s_mul_hi_u32 s72, s67, s26
	s_mul_i32 s68, s68, s26
	s_add_i32 s71, s72, s71
	s_mul_i32 s67, s67, s26
	s_add_i32 s71, s71, s68
	s_mul_hi_u32 s72, s8, s67
	s_mul_i32 s73, s8, s67
	s_mul_hi_u32 s67, s26, s67
	s_mul_hi_u32 s95, s26, s71
	s_mul_i32 s26, s26, s71
	s_mul_hi_u32 s68, s8, s71
	s_add_u32 s26, s67, s26
	s_addc_u32 s67, 0, s95
	s_add_u32 s26, s26, s73
	s_mul_i32 s71, s8, s71
	s_addc_u32 s26, s67, s72
	s_addc_u32 s67, s68, 0
	s_add_u32 s26, s26, s71
	s_addc_u32 s67, 0, s67
	v_add_co_u32 v4, s26, v4, s26
	s_delay_alu instid0(VALU_DEP_1) | instskip(SKIP_1) | instid1(VALU_DEP_1)
	s_cmp_lg_u32 s26, 0
	s_addc_u32 s8, s8, s67
	v_readfirstlane_b32 s26, v4
	s_mul_i32 s68, s25, s8
	s_mul_hi_u32 s67, s25, s8
	s_mul_hi_u32 s71, s9, s8
	s_mul_i32 s8, s9, s8
	s_mul_hi_u32 s72, s25, s26
	s_mul_hi_u32 s73, s9, s26
	s_mul_i32 s26, s9, s26
	s_add_u32 s68, s72, s68
	s_addc_u32 s67, 0, s67
	s_add_u32 s26, s68, s26
	s_addc_u32 s26, s67, s73
	s_addc_u32 s67, s71, 0
	s_add_u32 s8, s26, s8
	s_addc_u32 s26, 0, s67
	s_mul_hi_u32 s67, s33, s8
	s_mul_i32 s8, s33, s8
	s_mul_i32 s26, s33, s26
	v_sub_co_u32 v4, s8, s25, s8
	s_add_i32 s67, s67, s26
	s_cmp_lg_u32 s8, 0
	s_delay_alu instid0(VALU_DEP_1) | instskip(SKIP_2) | instid1(VALU_DEP_1)
	v_sub_co_u32 v5, s8, v4, s33
	s_subb_u32 s26, s9, s67
	s_cmp_lg_u32 s8, 0
	v_cmp_le_u32_e32 vcc_lo, s33, v5
	v_sub_co_u32 v6, s8, v5, s33
	s_subb_u32 s67, s26, 0
	s_cmp_lg_u32 s8, 0
	v_cndmask_b32_e64 v7, 0, -1, vcc_lo
	s_subb_u32 s8, s67, 0
	s_cmp_eq_u32 s67, 0
	v_mov_b32_e32 v18, s8
	s_cselect_b32 vcc_lo, -1, 0
	s_cmp_eq_u32 s26, 0
	v_cndmask_b32_e32 v7, -1, v7, vcc_lo
	v_cmp_le_u32_e32 vcc_lo, s33, v4
	s_cselect_b32 s8, -1, 0
	v_cndmask_b32_e64 v12, 0, -1, vcc_lo
	s_delay_alu instid0(VALU_DEP_3) | instskip(NEXT) | instid1(VALU_DEP_2)
	v_cmp_ne_u32_e32 vcc_lo, 0, v7
	v_cndmask_b32_e64 v7, -1, v12, s8
	v_cndmask_b32_e32 v12, s67, v18, vcc_lo
	v_cndmask_b32_e32 v6, v5, v6, vcc_lo
	s_delay_alu instid0(VALU_DEP_3) | instskip(NEXT) | instid1(VALU_DEP_3)
	v_cmp_ne_u32_e32 vcc_lo, 0, v7
	v_cndmask_b32_e32 v5, s26, v12, vcc_lo
	s_delay_alu instid0(VALU_DEP_3)
	v_cndmask_b32_e32 v4, v4, v6, vcc_lo
	s_cbranch_execnz .LBB123_134
.LBB123_133:                            ;   in Loop: Header=BB123_12 Depth=1
	v_cvt_f32_u32_e32 v4, s33
	s_sub_i32 s8, 0, s33
	s_delay_alu instid0(VALU_DEP_1) | instskip(SKIP_2) | instid1(VALU_DEP_1)
	v_rcp_iflag_f32_e32 v4, v4
	s_waitcnt_depctr 0xfff
	v_mul_f32_e32 v4, 0x4f7ffffe, v4
	v_cvt_u32_f32_e32 v4, v4
	s_delay_alu instid0(VALU_DEP_1) | instskip(NEXT) | instid1(VALU_DEP_1)
	v_mul_lo_u32 v5, s8, v4
	v_mul_hi_u32 v5, v4, v5
	s_delay_alu instid0(VALU_DEP_1) | instskip(NEXT) | instid1(VALU_DEP_1)
	v_add_nc_u32_e32 v4, v4, v5
	v_mul_hi_u32 v4, s25, v4
	s_delay_alu instid0(VALU_DEP_1) | instskip(NEXT) | instid1(VALU_DEP_1)
	v_mul_lo_u32 v4, v4, s33
	v_sub_nc_u32_e32 v4, s25, v4
	s_delay_alu instid0(VALU_DEP_1) | instskip(SKIP_1) | instid1(VALU_DEP_2)
	v_subrev_nc_u32_e32 v5, s33, v4
	v_cmp_le_u32_e32 vcc_lo, s33, v4
	v_cndmask_b32_e32 v4, v4, v5, vcc_lo
	s_delay_alu instid0(VALU_DEP_1) | instskip(SKIP_1) | instid1(VALU_DEP_2)
	v_subrev_nc_u32_e32 v5, s33, v4
	v_cmp_le_u32_e32 vcc_lo, s33, v4
	v_cndmask_b32_e32 v12, v4, v5, vcc_lo
	s_delay_alu instid0(VALU_DEP_1)
	v_dual_mov_b32 v4, v12 :: v_dual_mov_b32 v5, v13
.LBB123_134:                            ;   in Loop: Header=BB123_12 Depth=1
	s_delay_alu instid0(VALU_DEP_1) | instskip(NEXT) | instid1(VALU_DEP_2)
	v_sub_co_u32 v4, vcc_lo, s25, v4
	v_sub_co_ci_u32_e32 v5, vcc_lo, s9, v5, vcc_lo
	s_mov_b32 s8, 0
	s_mov_b32 s9, exec_lo
                                        ; implicit-def: $vgpr18
	s_delay_alu instid0(VALU_DEP_1)
	v_cmpx_gt_u64_e64 v[4:5], v[0:1]
	s_cbranch_execz .LBB123_145
; %bb.135:                              ;   in Loop: Header=BB123_12 Depth=1
	v_dual_mov_b32 v12, v0 :: v_dual_mov_b32 v7, v1
	v_mov_b32_e32 v6, v0
	s_mov_b32 s25, 0
                                        ; implicit-def: $sgpr26
	s_set_inst_prefetch_distance 0x1
	s_branch .LBB123_137
	.p2align	6
.LBB123_136:                            ;   in Loop: Header=BB123_137 Depth=2
	s_or_b32 exec_lo, exec_lo, s8
	s_waitcnt lgkmcnt(0)
	s_barrier
	buffer_gl0_inv
	ds_load_u16 v18, v13 offset:3072
	v_add_co_u32 v6, vcc_lo, v6, s33
	v_add_co_ci_u32_e32 v7, vcc_lo, 0, v7, vcc_lo
	v_add_nc_u32_e32 v12, s33, v12
	s_waitcnt lgkmcnt(0)
	s_barrier
	s_delay_alu instid0(VALU_DEP_2) | instskip(SKIP_2) | instid1(VALU_DEP_1)
	v_cmp_ge_u64_e32 vcc_lo, v[6:7], v[4:5]
	buffer_gl0_inv
	v_and_b32_e32 v19, 0xff, v18
	v_cmp_ne_u16_e64 s8, 0, v19
	s_delay_alu instid0(VALU_DEP_1) | instskip(NEXT) | instid1(SALU_CYCLE_1)
	s_or_b32 s67, vcc_lo, s8
	s_and_b32 s67, exec_lo, s67
	s_delay_alu instid0(SALU_CYCLE_1) | instskip(SKIP_2) | instid1(SALU_CYCLE_1)
	s_or_b32 s25, s67, s25
	s_and_not1_b32 s26, s26, exec_lo
	s_and_b32 s8, s8, exec_lo
	s_or_b32 s26, s26, s8
	s_and_not1_b32 exec_lo, exec_lo, s25
	s_cbranch_execz .LBB123_144
.LBB123_137:                            ;   Parent Loop BB123_12 Depth=1
                                        ; =>  This Inner Loop Header: Depth=2
	s_delay_alu instid0(VALU_DEP_1)
	v_cmp_gt_u64_e32 vcc_lo, s[18:19], v[6:7]
	v_mov_b32_e32 v18, 0
	s_and_saveexec_b32 s8, vcc_lo
	s_cbranch_execz .LBB123_139
; %bb.138:                              ;   in Loop: Header=BB123_137 Depth=2
	ds_load_u8 v18, v12
.LBB123_139:                            ;   in Loop: Header=BB123_137 Depth=2
	s_or_b32 exec_lo, exec_lo, s8
	s_waitcnt lgkmcnt(0)
	v_and_b32_e32 v19, v18, v9
	s_delay_alu instid0(VALU_DEP_1) | instskip(NEXT) | instid1(VALU_DEP_1)
	v_and_b32_e32 v19, 0xff, v19
	v_cmp_eq_u32_e64 s8, v19, v8
	s_delay_alu instid0(VALU_DEP_1) | instskip(NEXT) | instid1(SALU_CYCLE_1)
	s_and_b32 s67, vcc_lo, s8
	s_and_saveexec_b32 s8, s67
	s_cbranch_execz .LBB123_136
; %bb.140:                              ;   in Loop: Header=BB123_137 Depth=2
	v_lshlrev_b16 v18, 8, v18
	s_delay_alu instid0(VALU_DEP_1)
	v_or_b32_e32 v18, 1, v18
	ds_store_b16 v13, v18 offset:3072
	s_branch .LBB123_136
.LBB123_141:                            ;   in Loop: Header=BB123_12 Depth=1
                                        ; implicit-def: $vgpr2_vgpr3
	s_branch .LBB123_89
.LBB123_142:                            ;   in Loop: Header=BB123_12 Depth=1
                                        ; implicit-def: $vgpr2_vgpr3
	s_branch .LBB123_104
.LBB123_143:                            ;   in Loop: Header=BB123_12 Depth=1
	s_mov_b32 s25, -1
	s_mov_b32 s8, 0
                                        ; implicit-def: $sgpr67
                                        ; implicit-def: $vgpr18
	s_mov_b32 s68, s25
	s_cbranch_execnz .LBB123_146
	s_branch .LBB123_158
.LBB123_144:                            ;   in Loop: Header=BB123_12 Depth=1
	s_set_inst_prefetch_distance 0x2
	s_or_b32 exec_lo, exec_lo, s25
	v_lshrrev_b16 v18, 8, v18
	s_and_b32 s8, s26, exec_lo
.LBB123_145:                            ;   in Loop: Header=BB123_12 Depth=1
	s_or_b32 exec_lo, exec_lo, s9
	s_mov_b32 s67, -1
	s_mov_b32 s25, 0
	s_delay_alu instid0(SALU_CYCLE_1)
	s_mov_b32 s68, s25
	s_branch .LBB123_158
.LBB123_146:                            ;   in Loop: Header=BB123_12 Depth=1
	s_mov_b32 s26, s61
	s_delay_alu instid0(SALU_CYCLE_1)
	s_cmp_lg_u64 s[26:27], 0
	s_cbranch_scc0 .LBB123_186
; %bb.147:                              ;   in Loop: Header=BB123_12 Depth=1
	v_cvt_f32_u32_e32 v4, s33
	s_sub_u32 s18, 0, s33
	s_subb_u32 s19, 0, 0
	s_delay_alu instid0(VALU_DEP_1) | instskip(NEXT) | instid1(VALU_DEP_1)
	v_fmac_f32_e64 v4, 0, 0x4f800000
	v_rcp_f32_e32 v4, v4
	s_waitcnt_depctr 0xfff
	v_mul_f32_e32 v4, 0x5f7ffffc, v4
	s_delay_alu instid0(VALU_DEP_1) | instskip(NEXT) | instid1(VALU_DEP_1)
	v_mul_f32_e32 v5, 0x2f800000, v4
	v_trunc_f32_e32 v5, v5
	s_delay_alu instid0(VALU_DEP_1) | instskip(SKIP_1) | instid1(VALU_DEP_2)
	v_fmac_f32_e32 v4, 0xcf800000, v5
	v_cvt_u32_f32_e32 v5, v5
	v_cvt_u32_f32_e32 v4, v4
	s_delay_alu instid0(VALU_DEP_2) | instskip(NEXT) | instid1(VALU_DEP_2)
	v_readfirstlane_b32 s8, v5
	v_readfirstlane_b32 s9, v4
	s_delay_alu instid0(VALU_DEP_2) | instskip(NEXT) | instid1(VALU_DEP_1)
	s_mul_i32 s25, s18, s8
	s_mul_hi_u32 s67, s18, s9
	s_mul_i32 s26, s19, s9
	s_add_i32 s25, s67, s25
	s_mul_i32 s68, s18, s9
	s_add_i32 s25, s25, s26
	s_mul_hi_u32 s67, s9, s68
	s_mul_hi_u32 s71, s8, s68
	s_mul_i32 s26, s8, s68
	s_mul_hi_u32 s68, s9, s25
	s_mul_i32 s9, s9, s25
	s_mul_hi_u32 s72, s8, s25
	s_add_u32 s9, s67, s9
	s_addc_u32 s67, 0, s68
	s_add_u32 s9, s9, s26
	s_mul_i32 s25, s8, s25
	s_addc_u32 s9, s67, s71
	s_addc_u32 s26, s72, 0
	s_add_u32 s9, s9, s25
	s_addc_u32 s25, 0, s26
	v_add_co_u32 v4, s9, v4, s9
	s_delay_alu instid0(VALU_DEP_1) | instskip(SKIP_1) | instid1(VALU_DEP_1)
	s_cmp_lg_u32 s9, 0
	s_addc_u32 s8, s8, s25
	v_readfirstlane_b32 s9, v4
	s_mul_i32 s25, s18, s8
	s_delay_alu instid0(VALU_DEP_1)
	s_mul_hi_u32 s26, s18, s9
	s_mul_i32 s19, s19, s9
	s_add_i32 s25, s26, s25
	s_mul_i32 s18, s18, s9
	s_add_i32 s25, s25, s19
	s_mul_hi_u32 s26, s8, s18
	s_mul_i32 s67, s8, s18
	s_mul_hi_u32 s18, s9, s18
	s_mul_hi_u32 s68, s9, s25
	s_mul_i32 s9, s9, s25
	s_mul_hi_u32 s19, s8, s25
	s_add_u32 s9, s18, s9
	s_addc_u32 s18, 0, s68
	s_add_u32 s9, s9, s67
	s_mul_i32 s25, s8, s25
	s_addc_u32 s9, s18, s26
	s_addc_u32 s18, s19, 0
	s_add_u32 s9, s9, s25
	s_addc_u32 s18, 0, s18
	v_add_co_u32 v4, s9, v4, s9
	s_delay_alu instid0(VALU_DEP_1) | instskip(SKIP_1) | instid1(VALU_DEP_1)
	s_cmp_lg_u32 s9, 0
	s_addc_u32 s8, s8, s18
	v_readfirstlane_b32 s9, v4
	s_mul_i32 s19, s76, s8
	s_mul_hi_u32 s18, s76, s8
	s_mul_hi_u32 s25, s27, s8
	s_mul_i32 s8, s27, s8
	s_mul_hi_u32 s26, s76, s9
	s_mul_hi_u32 s67, s27, s9
	s_mul_i32 s9, s27, s9
	s_add_u32 s19, s26, s19
	s_addc_u32 s18, 0, s18
	s_add_u32 s9, s19, s9
	s_addc_u32 s9, s18, s67
	s_addc_u32 s18, s25, 0
	s_add_u32 s8, s9, s8
	s_addc_u32 s9, 0, s18
	s_mul_hi_u32 s18, s33, s8
	s_mul_i32 s8, s33, s8
	s_mul_i32 s9, s33, s9
	v_sub_co_u32 v4, s8, s76, s8
	s_add_i32 s18, s18, s9
	s_cmp_lg_u32 s8, 0
	s_delay_alu instid0(VALU_DEP_1) | instskip(SKIP_2) | instid1(VALU_DEP_1)
	v_sub_co_u32 v5, s8, v4, s33
	s_subb_u32 s9, s27, s18
	s_cmp_lg_u32 s8, 0
	v_cmp_le_u32_e32 vcc_lo, s33, v5
	v_sub_co_u32 v6, s8, v5, s33
	s_subb_u32 s18, s9, 0
	s_cmp_lg_u32 s8, 0
	v_cndmask_b32_e64 v7, 0, -1, vcc_lo
	s_subb_u32 s8, s18, 0
	s_cmp_eq_u32 s18, 0
	v_mov_b32_e32 v18, s8
	s_cselect_b32 vcc_lo, -1, 0
	s_cmp_eq_u32 s9, 0
	v_cndmask_b32_e32 v7, -1, v7, vcc_lo
	v_cmp_le_u32_e32 vcc_lo, s33, v4
	s_cselect_b32 s8, -1, 0
	v_cndmask_b32_e64 v12, 0, -1, vcc_lo
	s_delay_alu instid0(VALU_DEP_3) | instskip(NEXT) | instid1(VALU_DEP_2)
	v_cmp_ne_u32_e32 vcc_lo, 0, v7
	v_cndmask_b32_e64 v7, -1, v12, s8
	v_cndmask_b32_e32 v12, s18, v18, vcc_lo
	v_cndmask_b32_e32 v6, v5, v6, vcc_lo
	s_delay_alu instid0(VALU_DEP_3) | instskip(NEXT) | instid1(VALU_DEP_3)
	v_cmp_ne_u32_e32 vcc_lo, 0, v7
	v_cndmask_b32_e32 v5, s9, v12, vcc_lo
	s_delay_alu instid0(VALU_DEP_3)
	v_cndmask_b32_e32 v4, v4, v6, vcc_lo
	s_cbranch_execnz .LBB123_149
.LBB123_148:                            ;   in Loop: Header=BB123_12 Depth=1
	v_cvt_f32_u32_e32 v4, s33
	s_sub_i32 s8, 0, s33
	s_delay_alu instid0(VALU_DEP_1) | instskip(SKIP_2) | instid1(VALU_DEP_1)
	v_rcp_iflag_f32_e32 v4, v4
	s_waitcnt_depctr 0xfff
	v_mul_f32_e32 v4, 0x4f7ffffe, v4
	v_cvt_u32_f32_e32 v4, v4
	s_delay_alu instid0(VALU_DEP_1) | instskip(NEXT) | instid1(VALU_DEP_1)
	v_mul_lo_u32 v5, s8, v4
	v_mul_hi_u32 v5, v4, v5
	s_delay_alu instid0(VALU_DEP_1) | instskip(NEXT) | instid1(VALU_DEP_1)
	v_add_nc_u32_e32 v4, v4, v5
	v_mul_hi_u32 v4, s76, v4
	s_delay_alu instid0(VALU_DEP_1) | instskip(NEXT) | instid1(VALU_DEP_1)
	v_mul_lo_u32 v4, v4, s33
	v_sub_nc_u32_e32 v4, s76, v4
	s_delay_alu instid0(VALU_DEP_1) | instskip(SKIP_1) | instid1(VALU_DEP_2)
	v_subrev_nc_u32_e32 v5, s33, v4
	v_cmp_le_u32_e32 vcc_lo, s33, v4
	v_cndmask_b32_e32 v4, v4, v5, vcc_lo
	s_delay_alu instid0(VALU_DEP_1) | instskip(SKIP_1) | instid1(VALU_DEP_2)
	v_subrev_nc_u32_e32 v5, s33, v4
	v_cmp_le_u32_e32 vcc_lo, s33, v4
	v_cndmask_b32_e32 v12, v4, v5, vcc_lo
	s_delay_alu instid0(VALU_DEP_1)
	v_dual_mov_b32 v4, v12 :: v_dual_mov_b32 v5, v13
.LBB123_149:                            ;   in Loop: Header=BB123_12 Depth=1
	s_delay_alu instid0(VALU_DEP_1) | instskip(NEXT) | instid1(VALU_DEP_2)
	v_sub_co_u32 v4, vcc_lo, s76, v4
	v_sub_co_ci_u32_e32 v5, vcc_lo, s27, v5, vcc_lo
	s_mov_b32 s8, 0
	s_mov_b32 s9, exec_lo
                                        ; implicit-def: $vgpr18
	s_delay_alu instid0(VALU_DEP_1)
	v_cmpx_gt_u64_e64 v[4:5], v[0:1]
	s_cbranch_execz .LBB123_157
; %bb.150:                              ;   in Loop: Header=BB123_12 Depth=1
	v_dual_mov_b32 v7, v1 :: v_dual_mov_b32 v6, v0
	s_mov_b32 s18, 0
                                        ; implicit-def: $sgpr19
	s_branch .LBB123_152
.LBB123_151:                            ;   in Loop: Header=BB123_152 Depth=2
	s_or_b32 exec_lo, exec_lo, s8
	s_waitcnt lgkmcnt(0)
	s_barrier
	buffer_gl0_inv
	ds_load_u16 v12, v13 offset:3072
	v_add_co_u32 v6, vcc_lo, v6, s33
	v_add_co_ci_u32_e32 v7, vcc_lo, 0, v7, vcc_lo
	s_waitcnt lgkmcnt(0)
	s_barrier
	buffer_gl0_inv
	v_cmp_ge_u64_e32 vcc_lo, v[6:7], v[4:5]
	v_and_b32_e32 v18, 0xff, v12
	s_delay_alu instid0(VALU_DEP_1) | instskip(NEXT) | instid1(VALU_DEP_1)
	v_cmp_ne_u16_e64 s8, 0, v18
	s_or_b32 s25, vcc_lo, s8
	s_delay_alu instid0(SALU_CYCLE_1) | instskip(NEXT) | instid1(SALU_CYCLE_1)
	s_and_b32 s25, exec_lo, s25
	s_or_b32 s18, s25, s18
	s_and_not1_b32 s19, s19, exec_lo
	s_and_b32 s8, s8, exec_lo
	s_delay_alu instid0(SALU_CYCLE_1)
	s_or_b32 s19, s19, s8
	s_and_not1_b32 exec_lo, exec_lo, s18
	s_cbranch_execz .LBB123_156
.LBB123_152:                            ;   Parent Loop BB123_12 Depth=1
                                        ; =>  This Inner Loop Header: Depth=2
	s_delay_alu instid0(VALU_DEP_1)
	v_cmp_gt_u64_e32 vcc_lo, s[36:37], v[6:7]
	v_mov_b32_e32 v12, 0
	s_and_saveexec_b32 s8, vcc_lo
	s_cbranch_execz .LBB123_154
; %bb.153:                              ;   in Loop: Header=BB123_152 Depth=2
	v_mad_u64_u32 v[18:19], null, v6, s30, s[28:29]
	v_mul_lo_u32 v12, v6, s31
	v_mul_lo_u32 v20, v7, s30
	s_delay_alu instid0(VALU_DEP_1)
	v_add3_u32 v19, v20, v19, v12
	global_load_u8 v12, v[18:19], off
.LBB123_154:                            ;   in Loop: Header=BB123_152 Depth=2
	s_or_b32 exec_lo, exec_lo, s8
	s_waitcnt vmcnt(0)
	v_and_b32_e32 v18, v12, v9
	s_delay_alu instid0(VALU_DEP_1) | instskip(NEXT) | instid1(VALU_DEP_1)
	v_and_b32_e32 v18, 0xff, v18
	v_cmp_eq_u32_e64 s8, v18, v8
	s_delay_alu instid0(VALU_DEP_1) | instskip(NEXT) | instid1(SALU_CYCLE_1)
	s_and_b32 s25, vcc_lo, s8
	s_and_saveexec_b32 s8, s25
	s_cbranch_execz .LBB123_151
; %bb.155:                              ;   in Loop: Header=BB123_152 Depth=2
	v_lshlrev_b16 v12, 8, v12
	s_delay_alu instid0(VALU_DEP_1)
	v_or_b32_e32 v12, 1, v12
	ds_store_b16 v13, v12 offset:3072
	s_branch .LBB123_151
.LBB123_156:                            ;   in Loop: Header=BB123_12 Depth=1
	s_or_b32 exec_lo, exec_lo, s18
	v_lshrrev_b16 v18, 8, v12
	s_and_b32 s8, s19, exec_lo
.LBB123_157:                            ;   in Loop: Header=BB123_12 Depth=1
	s_or_b32 exec_lo, exec_lo, s9
	s_mov_b32 s68, -1
	s_mov_b32 s25, 0
	s_mov_b32 s67, 0
.LBB123_158:                            ;   in Loop: Header=BB123_12 Depth=1
	s_or_not1_b32 s8, s8, exec_lo
.LBB123_159:                            ;   in Loop: Header=BB123_12 Depth=1
	s_or_b32 exec_lo, exec_lo, s69
	s_mov_b32 s26, 0
                                        ; implicit-def: $vgpr6
	s_and_saveexec_b32 s69, s8
	s_cbranch_execz .LBB123_268
; %bb.160:                              ;   in Loop: Header=BB123_12 Depth=1
	v_mov_b32_e32 v4, 1
	v_dual_mov_b32 v5, 0 :: v_dual_mov_b32 v6, 1
	s_xor_b32 s9, s70, -1
	s_delay_alu instid0(SALU_CYCLE_1)
	s_and_saveexec_b32 s8, s9
	s_cbranch_execz .LBB123_170
; %bb.161:                              ;   in Loop: Header=BB123_12 Depth=1
	s_mov_b32 s18, exec_lo
                                        ; implicit-def: $sgpr19
                                        ; implicit-def: $sgpr9
	v_cmpx_ge_u64_e64 s[12:13], v[2:3]
	s_xor_b32 s18, exec_lo, s18
	s_cbranch_execz .LBB123_167
; %bb.162:                              ;   in Loop: Header=BB123_12 Depth=1
	ds_load_b64 v[4:5], v13 offset:5120
	s_waitcnt lgkmcnt(0)
	v_cmp_ne_u64_e32 vcc_lo, 0, v[4:5]
	s_cbranch_vccnz .LBB123_166
; %bb.163:                              ;   in Loop: Header=BB123_12 Depth=1
	s_and_saveexec_b32 s9, s5
	s_cbranch_execz .LBB123_165
; %bb.164:                              ;   in Loop: Header=BB123_12 Depth=1
	v_dual_mov_b32 v4, s12 :: v_dual_mov_b32 v5, s13
	ds_store_b64 v13, v[4:5] offset:5128
.LBB123_165:                            ;   in Loop: Header=BB123_12 Depth=1
	s_or_b32 exec_lo, exec_lo, s9
	s_waitcnt lgkmcnt(0)
	s_barrier
	buffer_gl0_inv
.LBB123_166:                            ;   in Loop: Header=BB123_12 Depth=1
	s_lshl_b32 s9, 1, s22
	v_or_b32_e32 v9, s20, v9
	v_and_or_b32 v8, v8, s21, s9
	s_mov_b32 s9, 0
	s_mov_b32 s19, 8
.LBB123_167:                            ;   in Loop: Header=BB123_12 Depth=1
	s_or_saveexec_b32 s18, s18
	v_mov_b32_e32 v6, s19
	s_xor_b32 exec_lo, exec_lo, s18
; %bb.168:                              ;   in Loop: Header=BB123_12 Depth=1
	v_sub_co_u32 v2, vcc_lo, v2, s12
	v_subrev_co_ci_u32_e32 v3, vcc_lo, s13, v3, vcc_lo
	v_mov_b32_e32 v6, 0
	s_or_b32 s9, s9, exec_lo
; %bb.169:                              ;   in Loop: Header=BB123_12 Depth=1
	s_or_b32 exec_lo, exec_lo, s18
	s_delay_alu instid0(VALU_DEP_2)
	v_dual_mov_b32 v5, v3 :: v_dual_mov_b32 v4, v2
	s_and_b32 s26, s9, exec_lo
.LBB123_170:                            ;   in Loop: Header=BB123_12 Depth=1
	s_or_b32 exec_lo, exec_lo, s8
	s_mov_b32 s8, -1
                                        ; implicit-def: $sgpr9
                                        ; implicit-def: $sgpr18
                                        ; implicit-def: $sgpr19
	s_and_saveexec_b32 s70, s26
	s_cbranch_execz .LBB123_267
; %bb.171:                              ;   in Loop: Header=BB123_12 Depth=1
	v_cmp_eq_u64_e32 vcc_lo, 1, v[4:5]
	s_cmp_eq_u64 s[14:15], 1
                                        ; implicit-def: $sgpr71
                                        ; implicit-def: $sgpr73
                                        ; implicit-def: $sgpr72
	s_cselect_b32 s8, -1, 0
	s_delay_alu instid0(SALU_CYCLE_1)
	s_and_b32 s96, s8, vcc_lo
	s_mov_b32 s8, -1
	s_and_saveexec_b32 s95, s96
	s_cbranch_execz .LBB123_203
; %bb.172:                              ;   in Loop: Header=BB123_12 Depth=1
	ds_load_b64 v[2:3], v13 offset:5120
	s_waitcnt lgkmcnt(0)
	s_barrier
	buffer_gl0_inv
	v_readfirstlane_b32 s18, v2
	v_readfirstlane_b32 s19, v3
	s_and_saveexec_b32 s8, s6
	s_cbranch_execz .LBB123_174
; %bb.173:                              ;   in Loop: Header=BB123_12 Depth=1
	ds_store_b8 v0, v13 offset:3072
.LBB123_174:                            ;   in Loop: Header=BB123_12 Depth=1
	s_or_b32 exec_lo, exec_lo, s8
	s_lshl_b32 s8, 2, s22
	v_or_b32_e32 v9, s20, v9
	v_and_or_b32 v8, v8, s21, s8
	s_cmp_eq_u64 s[18:19], 0
	s_waitcnt lgkmcnt(0)
	s_barrier
	buffer_gl0_inv
	s_cbranch_scc1 .LBB123_187
; %bb.175:                              ;   in Loop: Header=BB123_12 Depth=1
	s_add_u32 s26, s74, s18
	s_addc_u32 s9, s75, s19
	s_mov_b32 s8, s61
	s_mov_b64 s[56:57], s[102:103]
	s_cmp_lg_u64 s[8:9], 0
	s_cbranch_scc0 .LBB123_221
; %bb.176:                              ;   in Loop: Header=BB123_12 Depth=1
	v_cvt_f32_u32_e32 v2, s33
	s_sub_u32 s72, 0, s33
	s_subb_u32 s73, 0, 0
	s_delay_alu instid0(VALU_DEP_1) | instskip(NEXT) | instid1(VALU_DEP_1)
	v_fmac_f32_e64 v2, 0, 0x4f800000
	v_rcp_f32_e32 v2, v2
	s_waitcnt_depctr 0xfff
	v_mul_f32_e32 v2, 0x5f7ffffc, v2
	s_delay_alu instid0(VALU_DEP_1) | instskip(NEXT) | instid1(VALU_DEP_1)
	v_mul_f32_e32 v3, 0x2f800000, v2
	v_trunc_f32_e32 v3, v3
	s_delay_alu instid0(VALU_DEP_1) | instskip(SKIP_1) | instid1(VALU_DEP_2)
	v_fmac_f32_e32 v2, 0xcf800000, v3
	v_cvt_u32_f32_e32 v3, v3
	v_cvt_u32_f32_e32 v2, v2
	s_delay_alu instid0(VALU_DEP_2) | instskip(NEXT) | instid1(VALU_DEP_2)
	v_readfirstlane_b32 s8, v3
	v_readfirstlane_b32 s71, v2
	s_delay_alu instid0(VALU_DEP_2) | instskip(NEXT) | instid1(VALU_DEP_1)
	s_mul_i32 s97, s72, s8
	s_mul_hi_u32 s99, s72, s71
	s_mul_i32 s98, s73, s71
	s_add_i32 s97, s99, s97
	s_mul_i32 s100, s72, s71
	s_add_i32 s97, s97, s98
	s_mul_hi_u32 s99, s71, s100
	s_mul_hi_u32 s101, s8, s100
	s_mul_i32 s98, s8, s100
	s_mul_hi_u32 s100, s71, s97
	s_mul_i32 s71, s71, s97
	s_mul_hi_u32 s102, s8, s97
	s_add_u32 s71, s99, s71
	s_addc_u32 s99, 0, s100
	s_add_u32 s71, s71, s98
	s_mul_i32 s97, s8, s97
	s_addc_u32 s71, s99, s101
	s_addc_u32 s98, s102, 0
	s_add_u32 s71, s71, s97
	s_addc_u32 s97, 0, s98
	v_add_co_u32 v2, s71, v2, s71
	s_delay_alu instid0(VALU_DEP_1) | instskip(SKIP_1) | instid1(VALU_DEP_1)
	s_cmp_lg_u32 s71, 0
	s_addc_u32 s8, s8, s97
	v_readfirstlane_b32 s71, v2
	s_mul_i32 s97, s72, s8
	s_delay_alu instid0(VALU_DEP_1)
	s_mul_hi_u32 s98, s72, s71
	s_mul_i32 s73, s73, s71
	s_add_i32 s97, s98, s97
	s_mul_i32 s72, s72, s71
	s_add_i32 s97, s97, s73
	s_mul_hi_u32 s98, s8, s72
	s_mul_i32 s99, s8, s72
	s_mul_hi_u32 s72, s71, s72
	s_mul_hi_u32 s100, s71, s97
	s_mul_i32 s71, s71, s97
	s_mul_hi_u32 s73, s8, s97
	s_add_u32 s71, s72, s71
	s_addc_u32 s72, 0, s100
	s_add_u32 s71, s71, s99
	s_mul_i32 s97, s8, s97
	s_addc_u32 s71, s72, s98
	s_addc_u32 s72, s73, 0
	s_add_u32 s71, s71, s97
	s_addc_u32 s72, 0, s72
	v_add_co_u32 v2, s71, v2, s71
	s_delay_alu instid0(VALU_DEP_1) | instskip(SKIP_1) | instid1(VALU_DEP_1)
	s_cmp_lg_u32 s71, 0
	s_addc_u32 s8, s8, s72
	v_readfirstlane_b32 s71, v2
	s_mul_i32 s73, s26, s8
	s_mul_hi_u32 s72, s26, s8
	s_mul_hi_u32 s97, s9, s8
	s_mul_i32 s8, s9, s8
	s_mul_hi_u32 s98, s26, s71
	s_mul_hi_u32 s99, s9, s71
	s_mul_i32 s71, s9, s71
	s_add_u32 s73, s98, s73
	s_addc_u32 s72, 0, s72
	s_add_u32 s71, s73, s71
	s_addc_u32 s71, s72, s99
	s_addc_u32 s72, s97, 0
	s_add_u32 s8, s71, s8
	s_addc_u32 s71, 0, s72
	s_mul_hi_u32 s72, s33, s8
	s_mul_i32 s8, s33, s8
	s_mul_i32 s71, s33, s71
	v_sub_co_u32 v2, s8, s26, s8
	s_add_i32 s72, s72, s71
	s_cmp_lg_u32 s8, 0
	s_delay_alu instid0(VALU_DEP_1) | instskip(SKIP_2) | instid1(VALU_DEP_1)
	v_sub_co_u32 v3, s8, v2, s33
	s_subb_u32 s71, s9, s72
	s_cmp_lg_u32 s8, 0
	v_cmp_le_u32_e32 vcc_lo, s33, v3
	v_sub_co_u32 v6, s8, v3, s33
	s_subb_u32 s72, s71, 0
	s_cmp_lg_u32 s8, 0
	v_cndmask_b32_e64 v7, 0, -1, vcc_lo
	s_subb_u32 s8, s72, 0
	s_cmp_eq_u32 s72, 0
	v_mov_b32_e32 v18, s8
	s_cselect_b32 vcc_lo, -1, 0
	s_cmp_eq_u32 s71, 0
	v_cndmask_b32_e32 v7, -1, v7, vcc_lo
	v_cmp_le_u32_e32 vcc_lo, s33, v2
	s_cselect_b32 s8, -1, 0
	v_cndmask_b32_e64 v12, 0, -1, vcc_lo
	s_delay_alu instid0(VALU_DEP_3) | instskip(NEXT) | instid1(VALU_DEP_2)
	v_cmp_ne_u32_e32 vcc_lo, 0, v7
	v_cndmask_b32_e64 v7, -1, v12, s8
	v_cndmask_b32_e32 v12, s72, v18, vcc_lo
	v_cndmask_b32_e32 v6, v3, v6, vcc_lo
	s_delay_alu instid0(VALU_DEP_3) | instskip(NEXT) | instid1(VALU_DEP_3)
	v_cmp_ne_u32_e32 vcc_lo, 0, v7
	v_cndmask_b32_e32 v3, s71, v12, vcc_lo
	s_delay_alu instid0(VALU_DEP_3)
	v_cndmask_b32_e32 v2, v2, v6, vcc_lo
	s_cbranch_execnz .LBB123_178
.LBB123_177:                            ;   in Loop: Header=BB123_12 Depth=1
	v_cvt_f32_u32_e32 v2, s33
	s_sub_i32 s8, 0, s33
	s_delay_alu instid0(VALU_DEP_1) | instskip(SKIP_2) | instid1(VALU_DEP_1)
	v_rcp_iflag_f32_e32 v2, v2
	s_waitcnt_depctr 0xfff
	v_mul_f32_e32 v2, 0x4f7ffffe, v2
	v_cvt_u32_f32_e32 v2, v2
	s_delay_alu instid0(VALU_DEP_1) | instskip(NEXT) | instid1(VALU_DEP_1)
	v_mul_lo_u32 v3, s8, v2
	v_mul_hi_u32 v3, v2, v3
	s_delay_alu instid0(VALU_DEP_1) | instskip(NEXT) | instid1(VALU_DEP_1)
	v_add_nc_u32_e32 v2, v2, v3
	v_mul_hi_u32 v2, s26, v2
	s_delay_alu instid0(VALU_DEP_1) | instskip(NEXT) | instid1(VALU_DEP_1)
	v_mul_lo_u32 v2, v2, s33
	v_sub_nc_u32_e32 v2, s26, v2
	s_delay_alu instid0(VALU_DEP_1) | instskip(SKIP_1) | instid1(VALU_DEP_2)
	v_subrev_nc_u32_e32 v3, s33, v2
	v_cmp_le_u32_e32 vcc_lo, s33, v2
	v_cndmask_b32_e32 v2, v2, v3, vcc_lo
	s_delay_alu instid0(VALU_DEP_1) | instskip(SKIP_1) | instid1(VALU_DEP_2)
	v_subrev_nc_u32_e32 v3, s33, v2
	v_cmp_le_u32_e32 vcc_lo, s33, v2
	v_cndmask_b32_e32 v12, v2, v3, vcc_lo
	s_delay_alu instid0(VALU_DEP_1)
	v_dual_mov_b32 v2, v12 :: v_dual_mov_b32 v3, v13
.LBB123_178:                            ;   in Loop: Header=BB123_12 Depth=1
	s_delay_alu instid0(VALU_DEP_1) | instskip(NEXT) | instid1(VALU_DEP_2)
	v_sub_co_u32 v2, vcc_lo, s26, v2
	v_sub_co_ci_u32_e32 v3, vcc_lo, s9, v3, vcc_lo
	s_mov_b32 s8, 0
	s_mov_b32 s9, exec_lo
                                        ; implicit-def: $vgpr18
	s_delay_alu instid0(VALU_DEP_1)
	v_cmpx_gt_u64_e64 v[2:3], v[0:1]
	s_mov_b64 s[102:103], s[56:57]
	s_cbranch_execz .LBB123_189
; %bb.179:                              ;   in Loop: Header=BB123_12 Depth=1
	v_dual_mov_b32 v12, v0 :: v_dual_mov_b32 v7, v1
	v_mov_b32_e32 v6, v0
	s_mov_b32 s26, 0
                                        ; implicit-def: $sgpr71
	s_set_inst_prefetch_distance 0x1
	s_branch .LBB123_181
	.p2align	6
.LBB123_180:                            ;   in Loop: Header=BB123_181 Depth=2
	s_or_b32 exec_lo, exec_lo, s8
	s_waitcnt lgkmcnt(0)
	s_barrier
	buffer_gl0_inv
	ds_load_u16 v18, v13 offset:3072
	v_add_co_u32 v6, vcc_lo, v6, s33
	v_add_co_ci_u32_e32 v7, vcc_lo, 0, v7, vcc_lo
	v_add_nc_u32_e32 v12, s33, v12
	s_waitcnt lgkmcnt(0)
	s_barrier
	s_delay_alu instid0(VALU_DEP_2) | instskip(SKIP_2) | instid1(VALU_DEP_1)
	v_cmp_ge_u64_e32 vcc_lo, v[6:7], v[2:3]
	buffer_gl0_inv
	v_and_b32_e32 v19, 0xff, v18
	v_cmp_ne_u16_e64 s8, 0, v19
	s_delay_alu instid0(VALU_DEP_1) | instskip(NEXT) | instid1(SALU_CYCLE_1)
	s_or_b32 s72, vcc_lo, s8
	s_and_b32 s72, exec_lo, s72
	s_delay_alu instid0(SALU_CYCLE_1) | instskip(SKIP_2) | instid1(SALU_CYCLE_1)
	s_or_b32 s26, s72, s26
	s_and_not1_b32 s71, s71, exec_lo
	s_and_b32 s8, s8, exec_lo
	s_or_b32 s71, s71, s8
	s_and_not1_b32 exec_lo, exec_lo, s26
	s_cbranch_execz .LBB123_188
.LBB123_181:                            ;   Parent Loop BB123_12 Depth=1
                                        ; =>  This Inner Loop Header: Depth=2
	s_delay_alu instid0(VALU_DEP_1)
	v_cmp_gt_u64_e32 vcc_lo, s[18:19], v[6:7]
	v_mov_b32_e32 v18, 0
	s_and_saveexec_b32 s8, vcc_lo
	s_cbranch_execz .LBB123_183
; %bb.182:                              ;   in Loop: Header=BB123_181 Depth=2
	ds_load_u8 v18, v12
.LBB123_183:                            ;   in Loop: Header=BB123_181 Depth=2
	s_or_b32 exec_lo, exec_lo, s8
	s_waitcnt lgkmcnt(0)
	v_and_b32_e32 v19, v18, v9
	s_delay_alu instid0(VALU_DEP_1) | instskip(NEXT) | instid1(VALU_DEP_1)
	v_and_b32_e32 v19, 0xff, v19
	v_cmp_eq_u32_e64 s8, v19, v8
	s_delay_alu instid0(VALU_DEP_1) | instskip(NEXT) | instid1(SALU_CYCLE_1)
	s_and_b32 s72, vcc_lo, s8
	s_and_saveexec_b32 s8, s72
	s_cbranch_execz .LBB123_180
; %bb.184:                              ;   in Loop: Header=BB123_181 Depth=2
	v_lshlrev_b16 v18, 8, v18
	s_delay_alu instid0(VALU_DEP_1)
	v_or_b32_e32 v18, 1, v18
	ds_store_b16 v13, v18 offset:3072
	s_branch .LBB123_180
.LBB123_185:                            ;   in Loop: Header=BB123_12 Depth=1
                                        ; implicit-def: $vgpr4_vgpr5
	s_branch .LBB123_133
.LBB123_186:                            ;   in Loop: Header=BB123_12 Depth=1
                                        ; implicit-def: $vgpr4_vgpr5
	s_branch .LBB123_148
.LBB123_187:                            ;   in Loop: Header=BB123_12 Depth=1
	s_mov_b32 s71, -1
	s_mov_b32 s8, 0
                                        ; implicit-def: $sgpr72
                                        ; implicit-def: $vgpr18
	s_mov_b32 s73, s71
	s_cbranch_execnz .LBB123_190
	s_branch .LBB123_202
.LBB123_188:                            ;   in Loop: Header=BB123_12 Depth=1
	s_set_inst_prefetch_distance 0x2
	s_or_b32 exec_lo, exec_lo, s26
	v_lshrrev_b16 v18, 8, v18
	s_and_b32 s8, s71, exec_lo
.LBB123_189:                            ;   in Loop: Header=BB123_12 Depth=1
	s_or_b32 exec_lo, exec_lo, s9
	s_mov_b32 s72, -1
	s_mov_b32 s71, 0
	s_delay_alu instid0(SALU_CYCLE_1)
	s_mov_b32 s73, s71
	s_branch .LBB123_202
.LBB123_190:                            ;   in Loop: Header=BB123_12 Depth=1
	s_mov_b32 s26, s61
	s_delay_alu instid0(SALU_CYCLE_1)
	s_cmp_lg_u64 s[26:27], 0
	s_cbranch_scc0 .LBB123_222
; %bb.191:                              ;   in Loop: Header=BB123_12 Depth=1
	v_cvt_f32_u32_e32 v2, s33
	s_sub_u32 s18, 0, s33
	s_subb_u32 s19, 0, 0
	s_delay_alu instid0(VALU_DEP_1) | instskip(NEXT) | instid1(VALU_DEP_1)
	v_fmac_f32_e64 v2, 0, 0x4f800000
	v_rcp_f32_e32 v2, v2
	s_waitcnt_depctr 0xfff
	v_mul_f32_e32 v2, 0x5f7ffffc, v2
	s_delay_alu instid0(VALU_DEP_1) | instskip(NEXT) | instid1(VALU_DEP_1)
	v_mul_f32_e32 v3, 0x2f800000, v2
	v_trunc_f32_e32 v3, v3
	s_delay_alu instid0(VALU_DEP_1) | instskip(SKIP_1) | instid1(VALU_DEP_2)
	v_fmac_f32_e32 v2, 0xcf800000, v3
	v_cvt_u32_f32_e32 v3, v3
	v_cvt_u32_f32_e32 v2, v2
	s_delay_alu instid0(VALU_DEP_2) | instskip(NEXT) | instid1(VALU_DEP_2)
	v_readfirstlane_b32 s8, v3
	v_readfirstlane_b32 s9, v2
	s_delay_alu instid0(VALU_DEP_2) | instskip(NEXT) | instid1(VALU_DEP_1)
	s_mul_i32 s26, s18, s8
	s_mul_hi_u32 s72, s18, s9
	s_mul_i32 s71, s19, s9
	s_add_i32 s26, s72, s26
	s_mul_i32 s73, s18, s9
	s_add_i32 s26, s26, s71
	s_mul_hi_u32 s72, s9, s73
	s_mul_hi_u32 s97, s8, s73
	s_mul_i32 s71, s8, s73
	s_mul_hi_u32 s73, s9, s26
	s_mul_i32 s9, s9, s26
	s_mul_hi_u32 s98, s8, s26
	s_add_u32 s9, s72, s9
	s_addc_u32 s72, 0, s73
	s_add_u32 s9, s9, s71
	s_mul_i32 s26, s8, s26
	s_addc_u32 s9, s72, s97
	s_addc_u32 s71, s98, 0
	s_add_u32 s9, s9, s26
	s_addc_u32 s26, 0, s71
	v_add_co_u32 v2, s9, v2, s9
	s_delay_alu instid0(VALU_DEP_1) | instskip(SKIP_1) | instid1(VALU_DEP_1)
	s_cmp_lg_u32 s9, 0
	s_addc_u32 s8, s8, s26
	v_readfirstlane_b32 s9, v2
	s_mul_i32 s26, s18, s8
	s_delay_alu instid0(VALU_DEP_1)
	s_mul_hi_u32 s71, s18, s9
	s_mul_i32 s19, s19, s9
	s_add_i32 s26, s71, s26
	s_mul_i32 s18, s18, s9
	s_add_i32 s26, s26, s19
	s_mul_hi_u32 s71, s8, s18
	s_mul_i32 s72, s8, s18
	s_mul_hi_u32 s18, s9, s18
	s_mul_hi_u32 s73, s9, s26
	s_mul_i32 s9, s9, s26
	s_mul_hi_u32 s19, s8, s26
	s_add_u32 s9, s18, s9
	s_addc_u32 s18, 0, s73
	s_add_u32 s9, s9, s72
	s_mul_i32 s26, s8, s26
	s_addc_u32 s9, s18, s71
	s_addc_u32 s18, s19, 0
	s_add_u32 s9, s9, s26
	s_addc_u32 s18, 0, s18
	v_add_co_u32 v2, s9, v2, s9
	s_delay_alu instid0(VALU_DEP_1) | instskip(SKIP_1) | instid1(VALU_DEP_1)
	s_cmp_lg_u32 s9, 0
	s_addc_u32 s8, s8, s18
	v_readfirstlane_b32 s9, v2
	s_mul_i32 s19, s76, s8
	s_mul_hi_u32 s18, s76, s8
	s_mul_hi_u32 s26, s27, s8
	s_mul_i32 s8, s27, s8
	s_mul_hi_u32 s71, s76, s9
	s_mul_hi_u32 s72, s27, s9
	s_mul_i32 s9, s27, s9
	s_add_u32 s19, s71, s19
	s_addc_u32 s18, 0, s18
	s_add_u32 s9, s19, s9
	s_addc_u32 s9, s18, s72
	s_addc_u32 s18, s26, 0
	s_add_u32 s8, s9, s8
	s_addc_u32 s9, 0, s18
	s_mul_hi_u32 s18, s33, s8
	s_mul_i32 s8, s33, s8
	s_mul_i32 s9, s33, s9
	v_sub_co_u32 v2, s8, s76, s8
	s_add_i32 s18, s18, s9
	s_cmp_lg_u32 s8, 0
	s_delay_alu instid0(VALU_DEP_1) | instskip(SKIP_2) | instid1(VALU_DEP_1)
	v_sub_co_u32 v3, s8, v2, s33
	s_subb_u32 s9, s27, s18
	s_cmp_lg_u32 s8, 0
	v_cmp_le_u32_e32 vcc_lo, s33, v3
	v_sub_co_u32 v6, s8, v3, s33
	s_subb_u32 s18, s9, 0
	s_cmp_lg_u32 s8, 0
	v_cndmask_b32_e64 v7, 0, -1, vcc_lo
	s_subb_u32 s8, s18, 0
	s_cmp_eq_u32 s18, 0
	v_mov_b32_e32 v18, s8
	s_cselect_b32 vcc_lo, -1, 0
	s_cmp_eq_u32 s9, 0
	v_cndmask_b32_e32 v7, -1, v7, vcc_lo
	v_cmp_le_u32_e32 vcc_lo, s33, v2
	s_cselect_b32 s8, -1, 0
	v_cndmask_b32_e64 v12, 0, -1, vcc_lo
	s_delay_alu instid0(VALU_DEP_3) | instskip(NEXT) | instid1(VALU_DEP_2)
	v_cmp_ne_u32_e32 vcc_lo, 0, v7
	v_cndmask_b32_e64 v7, -1, v12, s8
	v_cndmask_b32_e32 v12, s18, v18, vcc_lo
	v_cndmask_b32_e32 v6, v3, v6, vcc_lo
	s_delay_alu instid0(VALU_DEP_3) | instskip(NEXT) | instid1(VALU_DEP_3)
	v_cmp_ne_u32_e32 vcc_lo, 0, v7
	v_cndmask_b32_e32 v3, s9, v12, vcc_lo
	s_delay_alu instid0(VALU_DEP_3)
	v_cndmask_b32_e32 v2, v2, v6, vcc_lo
	s_cbranch_execnz .LBB123_193
.LBB123_192:                            ;   in Loop: Header=BB123_12 Depth=1
	v_cvt_f32_u32_e32 v2, s33
	s_sub_i32 s8, 0, s33
	s_delay_alu instid0(VALU_DEP_1) | instskip(SKIP_2) | instid1(VALU_DEP_1)
	v_rcp_iflag_f32_e32 v2, v2
	s_waitcnt_depctr 0xfff
	v_mul_f32_e32 v2, 0x4f7ffffe, v2
	v_cvt_u32_f32_e32 v2, v2
	s_delay_alu instid0(VALU_DEP_1) | instskip(NEXT) | instid1(VALU_DEP_1)
	v_mul_lo_u32 v3, s8, v2
	v_mul_hi_u32 v3, v2, v3
	s_delay_alu instid0(VALU_DEP_1) | instskip(NEXT) | instid1(VALU_DEP_1)
	v_add_nc_u32_e32 v2, v2, v3
	v_mul_hi_u32 v2, s76, v2
	s_delay_alu instid0(VALU_DEP_1) | instskip(NEXT) | instid1(VALU_DEP_1)
	v_mul_lo_u32 v2, v2, s33
	v_sub_nc_u32_e32 v2, s76, v2
	s_delay_alu instid0(VALU_DEP_1) | instskip(SKIP_1) | instid1(VALU_DEP_2)
	v_subrev_nc_u32_e32 v3, s33, v2
	v_cmp_le_u32_e32 vcc_lo, s33, v2
	v_cndmask_b32_e32 v2, v2, v3, vcc_lo
	s_delay_alu instid0(VALU_DEP_1) | instskip(SKIP_1) | instid1(VALU_DEP_2)
	v_subrev_nc_u32_e32 v3, s33, v2
	v_cmp_le_u32_e32 vcc_lo, s33, v2
	v_cndmask_b32_e32 v12, v2, v3, vcc_lo
	s_delay_alu instid0(VALU_DEP_1)
	v_dual_mov_b32 v2, v12 :: v_dual_mov_b32 v3, v13
.LBB123_193:                            ;   in Loop: Header=BB123_12 Depth=1
	s_delay_alu instid0(VALU_DEP_1) | instskip(NEXT) | instid1(VALU_DEP_2)
	v_sub_co_u32 v2, vcc_lo, s76, v2
	v_sub_co_ci_u32_e32 v3, vcc_lo, s27, v3, vcc_lo
	s_mov_b32 s8, 0
	s_mov_b32 s9, exec_lo
                                        ; implicit-def: $vgpr18
	s_delay_alu instid0(VALU_DEP_1)
	v_cmpx_gt_u64_e64 v[2:3], v[0:1]
	s_cbranch_execz .LBB123_201
; %bb.194:                              ;   in Loop: Header=BB123_12 Depth=1
	v_dual_mov_b32 v7, v1 :: v_dual_mov_b32 v6, v0
	s_mov_b32 s18, 0
                                        ; implicit-def: $sgpr19
	s_branch .LBB123_196
.LBB123_195:                            ;   in Loop: Header=BB123_196 Depth=2
	s_or_b32 exec_lo, exec_lo, s8
	s_waitcnt lgkmcnt(0)
	s_barrier
	buffer_gl0_inv
	ds_load_u16 v12, v13 offset:3072
	v_add_co_u32 v6, vcc_lo, v6, s33
	v_add_co_ci_u32_e32 v7, vcc_lo, 0, v7, vcc_lo
	s_waitcnt lgkmcnt(0)
	s_barrier
	buffer_gl0_inv
	v_cmp_ge_u64_e32 vcc_lo, v[6:7], v[2:3]
	v_and_b32_e32 v18, 0xff, v12
	s_delay_alu instid0(VALU_DEP_1) | instskip(NEXT) | instid1(VALU_DEP_1)
	v_cmp_ne_u16_e64 s8, 0, v18
	s_or_b32 s26, vcc_lo, s8
	s_delay_alu instid0(SALU_CYCLE_1) | instskip(NEXT) | instid1(SALU_CYCLE_1)
	s_and_b32 s26, exec_lo, s26
	s_or_b32 s18, s26, s18
	s_and_not1_b32 s19, s19, exec_lo
	s_and_b32 s8, s8, exec_lo
	s_delay_alu instid0(SALU_CYCLE_1)
	s_or_b32 s19, s19, s8
	s_and_not1_b32 exec_lo, exec_lo, s18
	s_cbranch_execz .LBB123_200
.LBB123_196:                            ;   Parent Loop BB123_12 Depth=1
                                        ; =>  This Inner Loop Header: Depth=2
	s_delay_alu instid0(VALU_DEP_1)
	v_cmp_gt_u64_e32 vcc_lo, s[36:37], v[6:7]
	v_mov_b32_e32 v12, 0
	s_and_saveexec_b32 s8, vcc_lo
	s_cbranch_execz .LBB123_198
; %bb.197:                              ;   in Loop: Header=BB123_196 Depth=2
	v_mad_u64_u32 v[18:19], null, v6, s30, s[28:29]
	v_mul_lo_u32 v12, v6, s31
	v_mul_lo_u32 v20, v7, s30
	s_delay_alu instid0(VALU_DEP_1)
	v_add3_u32 v19, v20, v19, v12
	global_load_u8 v12, v[18:19], off
.LBB123_198:                            ;   in Loop: Header=BB123_196 Depth=2
	s_or_b32 exec_lo, exec_lo, s8
	s_waitcnt vmcnt(0)
	v_and_b32_e32 v18, v12, v9
	s_delay_alu instid0(VALU_DEP_1) | instskip(NEXT) | instid1(VALU_DEP_1)
	v_and_b32_e32 v18, 0xff, v18
	v_cmp_eq_u32_e64 s8, v18, v8
	s_delay_alu instid0(VALU_DEP_1) | instskip(NEXT) | instid1(SALU_CYCLE_1)
	s_and_b32 s26, vcc_lo, s8
	s_and_saveexec_b32 s8, s26
	s_cbranch_execz .LBB123_195
; %bb.199:                              ;   in Loop: Header=BB123_196 Depth=2
	v_lshlrev_b16 v12, 8, v12
	s_delay_alu instid0(VALU_DEP_1)
	v_or_b32_e32 v12, 1, v12
	ds_store_b16 v13, v12 offset:3072
	s_branch .LBB123_195
.LBB123_200:                            ;   in Loop: Header=BB123_12 Depth=1
	s_or_b32 exec_lo, exec_lo, s18
	v_lshrrev_b16 v18, 8, v12
	s_and_b32 s8, s19, exec_lo
.LBB123_201:                            ;   in Loop: Header=BB123_12 Depth=1
	s_or_b32 exec_lo, exec_lo, s9
	s_mov_b32 s73, -1
	s_mov_b32 s71, 0
	s_mov_b32 s72, 0
.LBB123_202:                            ;   in Loop: Header=BB123_12 Depth=1
	s_or_not1_b32 s8, s8, exec_lo
.LBB123_203:                            ;   in Loop: Header=BB123_12 Depth=1
	s_or_b32 exec_lo, exec_lo, s95
	s_mov_b32 s26, 0
                                        ; implicit-def: $vgpr6
	s_and_saveexec_b32 s95, s8
	s_cbranch_execz .LBB123_266
; %bb.204:                              ;   in Loop: Header=BB123_12 Depth=1
	v_mov_b32_e32 v2, 1
	v_dual_mov_b32 v3, 0 :: v_dual_mov_b32 v6, 1
	s_xor_b32 s9, s96, -1
	s_delay_alu instid0(SALU_CYCLE_1)
	s_and_saveexec_b32 s8, s9
	s_cbranch_execz .LBB123_214
; %bb.205:                              ;   in Loop: Header=BB123_12 Depth=1
	s_mov_b32 s18, exec_lo
                                        ; implicit-def: $sgpr19
                                        ; implicit-def: $sgpr9
	v_cmpx_ge_u64_e64 s[14:15], v[4:5]
	s_xor_b32 s18, exec_lo, s18
	s_cbranch_execz .LBB123_211
; %bb.206:                              ;   in Loop: Header=BB123_12 Depth=1
	ds_load_b64 v[2:3], v13 offset:5120
	s_waitcnt lgkmcnt(0)
	v_cmp_ne_u64_e32 vcc_lo, 0, v[2:3]
	s_cbranch_vccnz .LBB123_210
; %bb.207:                              ;   in Loop: Header=BB123_12 Depth=1
	s_and_saveexec_b32 s9, s5
	s_cbranch_execz .LBB123_209
; %bb.208:                              ;   in Loop: Header=BB123_12 Depth=1
	v_dual_mov_b32 v2, s14 :: v_dual_mov_b32 v3, s15
	ds_store_b64 v13, v[2:3] offset:5128
.LBB123_209:                            ;   in Loop: Header=BB123_12 Depth=1
	s_or_b32 exec_lo, exec_lo, s9
	s_waitcnt lgkmcnt(0)
	s_barrier
	buffer_gl0_inv
.LBB123_210:                            ;   in Loop: Header=BB123_12 Depth=1
	s_lshl_b32 s9, 2, s22
	v_or_b32_e32 v9, s20, v9
	v_and_or_b32 v8, v8, s21, s9
	s_mov_b32 s9, 0
	s_mov_b32 s19, 8
.LBB123_211:                            ;   in Loop: Header=BB123_12 Depth=1
	s_or_saveexec_b32 s18, s18
	v_mov_b32_e32 v6, s19
	s_xor_b32 exec_lo, exec_lo, s18
; %bb.212:                              ;   in Loop: Header=BB123_12 Depth=1
	v_sub_co_u32 v4, vcc_lo, v4, s14
	v_subrev_co_ci_u32_e32 v5, vcc_lo, s15, v5, vcc_lo
	v_mov_b32_e32 v6, 0
	s_or_b32 s9, s9, exec_lo
; %bb.213:                              ;   in Loop: Header=BB123_12 Depth=1
	s_or_b32 exec_lo, exec_lo, s18
	s_delay_alu instid0(VALU_DEP_2)
	v_dual_mov_b32 v2, v4 :: v_dual_mov_b32 v3, v5
	s_and_b32 s26, s9, exec_lo
.LBB123_214:                            ;   in Loop: Header=BB123_12 Depth=1
	s_or_b32 exec_lo, exec_lo, s8
	s_mov_b32 s19, -1
                                        ; implicit-def: $sgpr8
                                        ; implicit-def: $sgpr18
                                        ; implicit-def: $sgpr9
	s_and_saveexec_b32 s96, s26
	s_cbranch_execz .LBB123_265
; %bb.215:                              ;   in Loop: Header=BB123_12 Depth=1
	v_cmp_eq_u64_e32 vcc_lo, 1, v[2:3]
	s_cmp_eq_u64 s[16:17], 1
	s_mov_b32 s26, -1
	s_cselect_b32 s8, -1, 0
                                        ; implicit-def: $sgpr18
                                        ; implicit-def: $sgpr9
	s_delay_alu instid0(SALU_CYCLE_1) | instskip(NEXT) | instid1(SALU_CYCLE_1)
	s_and_b32 s97, s8, vcc_lo
                                        ; implicit-def: $sgpr8
	s_and_saveexec_b32 s98, s97
	s_cbranch_execz .LBB123_252
; %bb.216:                              ;   in Loop: Header=BB123_12 Depth=1
	ds_load_b64 v[4:5], v13 offset:5120
	s_waitcnt lgkmcnt(0)
	s_barrier
	buffer_gl0_inv
	v_readfirstlane_b32 s18, v4
	v_readfirstlane_b32 s19, v5
	s_and_saveexec_b32 s8, s6
	s_cbranch_execz .LBB123_218
; %bb.217:                              ;   in Loop: Header=BB123_12 Depth=1
	ds_store_b8 v0, v13 offset:3072
.LBB123_218:                            ;   in Loop: Header=BB123_12 Depth=1
	s_or_b32 exec_lo, exec_lo, s8
	v_or_b32_e32 v8, s20, v8
	v_or_b32_e32 v9, s20, v9
	s_cmp_eq_u64 s[18:19], 0
	s_waitcnt lgkmcnt(0)
	s_barrier
	buffer_gl0_inv
	s_cbranch_scc1 .LBB123_223
; %bb.219:                              ;   in Loop: Header=BB123_12 Depth=1
	s_add_u32 s26, s74, s18
	s_addc_u32 s9, s75, s19
	s_mov_b32 s8, s61
	s_mov_b64 s[42:43], s[40:41]
	s_mov_b64 s[40:41], s[58:59]
	;; [unrolled: 1-line block ×3, first 2 shown]
	s_cmp_lg_u64 s[8:9], 0
	s_cbranch_scc0 .LBB123_224
; %bb.220:                              ;   in Loop: Header=BB123_12 Depth=1
	v_cvt_f32_u32_e32 v4, s33
	s_sub_u32 s100, 0, s33
	s_subb_u32 s101, 0, 0
	s_delay_alu instid0(VALU_DEP_1) | instskip(NEXT) | instid1(VALU_DEP_1)
	v_fmac_f32_e64 v4, 0, 0x4f800000
	v_rcp_f32_e32 v4, v4
	s_waitcnt_depctr 0xfff
	v_mul_f32_e32 v4, 0x5f7ffffc, v4
	s_delay_alu instid0(VALU_DEP_1) | instskip(NEXT) | instid1(VALU_DEP_1)
	v_mul_f32_e32 v5, 0x2f800000, v4
	v_trunc_f32_e32 v5, v5
	s_delay_alu instid0(VALU_DEP_1) | instskip(SKIP_1) | instid1(VALU_DEP_2)
	v_fmac_f32_e32 v4, 0xcf800000, v5
	v_cvt_u32_f32_e32 v5, v5
	v_cvt_u32_f32_e32 v4, v4
	s_delay_alu instid0(VALU_DEP_2) | instskip(NEXT) | instid1(VALU_DEP_2)
	v_readfirstlane_b32 s8, v5
	v_readfirstlane_b32 s99, v4
	s_delay_alu instid0(VALU_DEP_2) | instskip(NEXT) | instid1(VALU_DEP_1)
	s_mul_i32 s102, s100, s8
	s_mul_hi_u32 s104, s100, s99
	s_mul_i32 s103, s101, s99
	s_add_i32 s102, s104, s102
	s_mul_i32 vcc_lo, s100, s99
	s_add_i32 s102, s102, s103
	s_mul_hi_u32 s104, s99, vcc_lo
	s_mul_hi_u32 vcc_hi, s8, vcc_lo
	s_mul_i32 s103, s8, vcc_lo
	s_mul_hi_u32 vcc_lo, s99, s102
	s_mul_i32 s99, s99, s102
	s_mul_hi_u32 s56, s8, s102
	s_add_u32 s99, s104, s99
	s_mul_i32 s57, s8, s102
	s_addc_u32 s102, 0, vcc_lo
	s_add_u32 s99, s99, s103
	s_addc_u32 s99, s102, vcc_hi
	s_addc_u32 s56, s56, 0
	s_add_u32 s57, s99, s57
	s_addc_u32 s56, 0, s56
	v_add_co_u32 v4, s57, v4, s57
	s_delay_alu instid0(VALU_DEP_1) | instskip(SKIP_1) | instid1(VALU_DEP_1)
	s_cmp_lg_u32 s57, 0
	s_addc_u32 s8, s8, s56
	v_readfirstlane_b32 s57, v4
	s_mul_i32 s56, s100, s8
	s_delay_alu instid0(VALU_DEP_1)
	s_mul_hi_u32 s99, s100, s57
	s_mul_i32 s101, s101, s57
	s_add_i32 s56, s99, s56
	s_mul_i32 s100, s100, s57
	s_add_i32 s56, s56, s101
	s_mul_hi_u32 s99, s8, s100
	s_mul_i32 s102, s8, s100
	s_mul_hi_u32 s100, s57, s100
	s_mul_hi_u32 s103, s57, s56
	s_mul_i32 s57, s57, s56
	s_mul_hi_u32 s101, s8, s56
	s_add_u32 s57, s100, s57
	s_addc_u32 s100, 0, s103
	s_add_u32 s57, s57, s102
	s_mul_i32 s56, s8, s56
	s_addc_u32 s57, s100, s99
	s_addc_u32 s99, s101, 0
	s_add_u32 s56, s57, s56
	s_addc_u32 s57, 0, s99
	v_add_co_u32 v4, s56, v4, s56
	s_delay_alu instid0(VALU_DEP_1) | instskip(SKIP_1) | instid1(VALU_DEP_1)
	s_cmp_lg_u32 s56, 0
	s_addc_u32 s8, s8, s57
	v_readfirstlane_b32 s56, v4
	s_mul_i32 s99, s26, s8
	s_mul_hi_u32 s57, s26, s8
	s_mul_hi_u32 s100, s9, s8
	s_mul_i32 s8, s9, s8
	s_mul_hi_u32 s101, s26, s56
	s_mul_hi_u32 s102, s9, s56
	s_mul_i32 s56, s9, s56
	s_add_u32 s99, s101, s99
	s_addc_u32 s57, 0, s57
	s_add_u32 s56, s99, s56
	s_addc_u32 s56, s57, s102
	s_addc_u32 s57, s100, 0
	s_add_u32 s8, s56, s8
	s_addc_u32 s56, 0, s57
	s_mul_hi_u32 s57, s33, s8
	s_mul_i32 s8, s33, s8
	s_mul_i32 s56, s33, s56
	v_sub_co_u32 v4, s8, s26, s8
	s_add_i32 s57, s57, s56
	s_cmp_lg_u32 s8, 0
	s_delay_alu instid0(VALU_DEP_1) | instskip(SKIP_3) | instid1(VALU_DEP_2)
	v_sub_co_u32 v5, s8, v4, s33
	s_subb_u32 s56, s9, s57
	s_cmp_lg_u32 s8, 0
	v_cmp_le_u32_e32 vcc_lo, s33, v4
	v_cmp_le_u32_e64 s8, s33, v5
	v_sub_co_u32 v6, s57, v5, s33
	s_subb_u32 s99, s56, 0
	s_cmp_lg_u32 s57, 0
	s_delay_alu instid0(VALU_DEP_2)
	v_cndmask_b32_e64 v7, 0, -1, s8
	s_subb_u32 s57, s99, 0
	s_cmp_eq_u32 s99, 0
	v_mov_b32_e32 v18, s57
	v_cndmask_b32_e64 v12, 0, -1, vcc_lo
	s_cselect_b32 vcc_lo, -1, 0
	s_cmp_eq_u32 s56, 0
	v_cndmask_b32_e32 v7, -1, v7, vcc_lo
	s_cselect_b32 vcc_lo, -1, 0
	v_cndmask_b32_e32 v12, -1, v12, vcc_lo
	s_delay_alu instid0(VALU_DEP_2) | instskip(NEXT) | instid1(VALU_DEP_2)
	v_cmp_ne_u32_e32 vcc_lo, 0, v7
	v_cmp_ne_u32_e64 s8, 0, v12
	v_cndmask_b32_e32 v7, s99, v18, vcc_lo
	v_cndmask_b32_e32 v6, v5, v6, vcc_lo
	s_delay_alu instid0(VALU_DEP_2) | instskip(NEXT) | instid1(VALU_DEP_2)
	v_cndmask_b32_e64 v5, s56, v7, s8
	v_cndmask_b32_e64 v4, v4, v6, s8
	s_mov_b32 s8, 0
	s_branch .LBB123_225
.LBB123_221:                            ;   in Loop: Header=BB123_12 Depth=1
                                        ; implicit-def: $vgpr2_vgpr3
	s_branch .LBB123_177
.LBB123_222:                            ;   in Loop: Header=BB123_12 Depth=1
                                        ; implicit-def: $vgpr2_vgpr3
	s_branch .LBB123_192
.LBB123_223:                            ;   in Loop: Header=BB123_12 Depth=1
	s_mov_b32 s8, -1
	s_mov_b32 s26, 0
                                        ; implicit-def: $sgpr9
                                        ; implicit-def: $vgpr18
	s_branch .LBB123_236
.LBB123_224:                            ;   in Loop: Header=BB123_12 Depth=1
	s_mov_b32 s8, -1
                                        ; implicit-def: $vgpr4_vgpr5
.LBB123_225:                            ;   in Loop: Header=BB123_12 Depth=1
	s_delay_alu instid0(SALU_CYCLE_1)
	s_and_not1_b32 vcc_lo, exec_lo, s8
	s_cbranch_vccnz .LBB123_227
; %bb.226:                              ;   in Loop: Header=BB123_12 Depth=1
	v_cvt_f32_u32_e32 v4, s33
	s_sub_i32 s8, 0, s33
	s_delay_alu instid0(VALU_DEP_1) | instskip(SKIP_2) | instid1(VALU_DEP_1)
	v_rcp_iflag_f32_e32 v4, v4
	s_waitcnt_depctr 0xfff
	v_mul_f32_e32 v4, 0x4f7ffffe, v4
	v_cvt_u32_f32_e32 v4, v4
	s_delay_alu instid0(VALU_DEP_1) | instskip(NEXT) | instid1(VALU_DEP_1)
	v_mul_lo_u32 v5, s8, v4
	v_mul_hi_u32 v5, v4, v5
	s_delay_alu instid0(VALU_DEP_1) | instskip(NEXT) | instid1(VALU_DEP_1)
	v_add_nc_u32_e32 v4, v4, v5
	v_mul_hi_u32 v4, s26, v4
	s_delay_alu instid0(VALU_DEP_1) | instskip(NEXT) | instid1(VALU_DEP_1)
	v_mul_lo_u32 v4, v4, s33
	v_sub_nc_u32_e32 v4, s26, v4
	s_delay_alu instid0(VALU_DEP_1) | instskip(SKIP_1) | instid1(VALU_DEP_2)
	v_subrev_nc_u32_e32 v5, s33, v4
	v_cmp_le_u32_e32 vcc_lo, s33, v4
	v_cndmask_b32_e32 v4, v4, v5, vcc_lo
	s_delay_alu instid0(VALU_DEP_1) | instskip(SKIP_1) | instid1(VALU_DEP_2)
	v_subrev_nc_u32_e32 v5, s33, v4
	v_cmp_le_u32_e32 vcc_lo, s33, v4
	v_cndmask_b32_e32 v12, v4, v5, vcc_lo
	s_delay_alu instid0(VALU_DEP_1)
	v_dual_mov_b32 v4, v12 :: v_dual_mov_b32 v5, v13
.LBB123_227:                            ;   in Loop: Header=BB123_12 Depth=1
	s_delay_alu instid0(VALU_DEP_1) | instskip(NEXT) | instid1(VALU_DEP_2)
	v_sub_co_u32 v4, vcc_lo, s26, v4
	v_sub_co_ci_u32_e32 v5, vcc_lo, s9, v5, vcc_lo
	s_mov_b32 s26, 0
	s_mov_b32 s9, exec_lo
                                        ; implicit-def: $vgpr18
	s_delay_alu instid0(VALU_DEP_1)
	v_cmpx_gt_u64_e64 v[4:5], v[0:1]
	s_mov_b64 s[102:103], s[58:59]
	s_mov_b64 s[58:59], s[40:41]
	s_mov_b64 s[40:41], s[42:43]
	s_load_b64 s[42:43], s[0:1], 0x380
	s_cbranch_execz .LBB123_235
; %bb.228:                              ;   in Loop: Header=BB123_12 Depth=1
	v_dual_mov_b32 v12, v0 :: v_dual_mov_b32 v7, v1
	v_mov_b32_e32 v6, v0
                                        ; implicit-def: $sgpr99
	s_set_inst_prefetch_distance 0x1
	s_branch .LBB123_230
	.p2align	6
.LBB123_229:                            ;   in Loop: Header=BB123_230 Depth=2
	s_or_b32 exec_lo, exec_lo, s8
	s_waitcnt lgkmcnt(0)
	s_barrier
	buffer_gl0_inv
	ds_load_u16 v18, v13 offset:3072
	v_add_co_u32 v6, vcc_lo, v6, s33
	v_add_co_ci_u32_e32 v7, vcc_lo, 0, v7, vcc_lo
	v_add_nc_u32_e32 v12, s33, v12
	s_waitcnt lgkmcnt(0)
	s_barrier
	s_delay_alu instid0(VALU_DEP_2) | instskip(SKIP_2) | instid1(VALU_DEP_1)
	v_cmp_ge_u64_e32 vcc_lo, v[6:7], v[4:5]
	buffer_gl0_inv
	v_and_b32_e32 v19, 0xff, v18
	v_cmp_ne_u16_e64 s8, 0, v19
	s_delay_alu instid0(VALU_DEP_1) | instskip(NEXT) | instid1(SALU_CYCLE_1)
	s_or_b32 s56, vcc_lo, s8
	s_and_b32 s56, exec_lo, s56
	s_delay_alu instid0(SALU_CYCLE_1) | instskip(SKIP_2) | instid1(SALU_CYCLE_1)
	s_or_b32 s26, s56, s26
	s_and_not1_b32 s56, s99, exec_lo
	s_and_b32 s8, s8, exec_lo
	s_or_b32 s99, s56, s8
	s_and_not1_b32 exec_lo, exec_lo, s26
	s_cbranch_execz .LBB123_234
.LBB123_230:                            ;   Parent Loop BB123_12 Depth=1
                                        ; =>  This Inner Loop Header: Depth=2
	s_delay_alu instid0(VALU_DEP_1)
	v_cmp_gt_u64_e32 vcc_lo, s[18:19], v[6:7]
	v_mov_b32_e32 v18, 0
	s_and_saveexec_b32 s8, vcc_lo
	s_cbranch_execz .LBB123_232
; %bb.231:                              ;   in Loop: Header=BB123_230 Depth=2
	ds_load_u8 v18, v12
.LBB123_232:                            ;   in Loop: Header=BB123_230 Depth=2
	s_or_b32 exec_lo, exec_lo, s8
	s_waitcnt lgkmcnt(0)
	v_and_b32_e32 v19, v18, v9
	s_delay_alu instid0(VALU_DEP_1) | instskip(NEXT) | instid1(VALU_DEP_1)
	v_and_b32_e32 v19, 0xff, v19
	v_cmp_eq_u32_e64 s8, v19, v8
	s_delay_alu instid0(VALU_DEP_1) | instskip(NEXT) | instid1(SALU_CYCLE_1)
	s_and_b32 s56, vcc_lo, s8
	s_and_saveexec_b32 s8, s56
	s_cbranch_execz .LBB123_229
; %bb.233:                              ;   in Loop: Header=BB123_230 Depth=2
	v_lshlrev_b16 v18, 8, v18
	s_delay_alu instid0(VALU_DEP_1)
	v_or_b32_e32 v18, 1, v18
	ds_store_b16 v13, v18 offset:3072
	s_branch .LBB123_229
.LBB123_234:                            ;   in Loop: Header=BB123_12 Depth=1
	s_set_inst_prefetch_distance 0x2
	s_or_b32 exec_lo, exec_lo, s26
	v_lshrrev_b16 v18, 8, v18
	s_and_b32 s26, s99, exec_lo
.LBB123_235:                            ;   in Loop: Header=BB123_12 Depth=1
	s_or_b32 exec_lo, exec_lo, s9
	s_mov_b32 s9, -1
	s_mov_b32 s8, 0
.LBB123_236:                            ;   in Loop: Header=BB123_12 Depth=1
	s_delay_alu instid0(SALU_CYCLE_1)
	s_and_b32 vcc_lo, exec_lo, s8
	s_mov_b32 s18, s8
	s_cbranch_vccz .LBB123_251
; %bb.237:                              ;   in Loop: Header=BB123_12 Depth=1
	s_mov_b32 s26, s61
	s_delay_alu instid0(SALU_CYCLE_1)
	s_cmp_lg_u64 s[26:27], 0
	s_cbranch_scc0 .LBB123_239
; %bb.238:                              ;   in Loop: Header=BB123_12 Depth=1
	v_cvt_f32_u32_e32 v4, s33
	s_sub_u32 s18, 0, s33
	s_subb_u32 s19, 0, 0
	s_delay_alu instid0(VALU_DEP_1) | instskip(NEXT) | instid1(VALU_DEP_1)
	v_fmac_f32_e64 v4, 0, 0x4f800000
	v_rcp_f32_e32 v4, v4
	s_waitcnt_depctr 0xfff
	v_mul_f32_e32 v4, 0x5f7ffffc, v4
	s_delay_alu instid0(VALU_DEP_1) | instskip(NEXT) | instid1(VALU_DEP_1)
	v_mul_f32_e32 v5, 0x2f800000, v4
	v_trunc_f32_e32 v5, v5
	s_delay_alu instid0(VALU_DEP_1) | instskip(SKIP_1) | instid1(VALU_DEP_2)
	v_fmac_f32_e32 v4, 0xcf800000, v5
	v_cvt_u32_f32_e32 v5, v5
	v_cvt_u32_f32_e32 v4, v4
	s_delay_alu instid0(VALU_DEP_2) | instskip(NEXT) | instid1(VALU_DEP_2)
	v_readfirstlane_b32 s8, v5
	v_readfirstlane_b32 s9, v4
	s_delay_alu instid0(VALU_DEP_2) | instskip(NEXT) | instid1(VALU_DEP_1)
	s_mul_i32 s26, s18, s8
	s_mul_hi_u32 s57, s18, s9
	s_mul_i32 s56, s19, s9
	s_add_i32 s26, s57, s26
	s_mul_i32 s99, s18, s9
	s_add_i32 s26, s26, s56
	s_mul_hi_u32 s57, s9, s99
	s_mul_hi_u32 s100, s8, s99
	s_mul_i32 s56, s8, s99
	s_mul_hi_u32 s99, s9, s26
	s_mul_i32 s9, s9, s26
	s_mul_hi_u32 s101, s8, s26
	s_add_u32 s9, s57, s9
	s_addc_u32 s57, 0, s99
	s_add_u32 s9, s9, s56
	s_mul_i32 s26, s8, s26
	s_addc_u32 s9, s57, s100
	s_addc_u32 s56, s101, 0
	s_add_u32 s9, s9, s26
	s_addc_u32 s26, 0, s56
	v_add_co_u32 v4, s9, v4, s9
	s_delay_alu instid0(VALU_DEP_1) | instskip(SKIP_1) | instid1(VALU_DEP_1)
	s_cmp_lg_u32 s9, 0
	s_addc_u32 s8, s8, s26
	v_readfirstlane_b32 s9, v4
	s_mul_i32 s26, s18, s8
	s_delay_alu instid0(VALU_DEP_1)
	s_mul_hi_u32 s56, s18, s9
	s_mul_i32 s19, s19, s9
	s_add_i32 s26, s56, s26
	s_mul_i32 s18, s18, s9
	s_add_i32 s26, s26, s19
	s_mul_hi_u32 s56, s8, s18
	s_mul_i32 s57, s8, s18
	s_mul_hi_u32 s18, s9, s18
	s_mul_hi_u32 s99, s9, s26
	s_mul_i32 s9, s9, s26
	s_mul_hi_u32 s19, s8, s26
	s_add_u32 s9, s18, s9
	s_addc_u32 s18, 0, s99
	s_add_u32 s9, s9, s57
	s_mul_i32 s26, s8, s26
	s_addc_u32 s9, s18, s56
	s_addc_u32 s18, s19, 0
	s_add_u32 s9, s9, s26
	s_addc_u32 s18, 0, s18
	v_add_co_u32 v4, s9, v4, s9
	s_delay_alu instid0(VALU_DEP_1) | instskip(SKIP_1) | instid1(VALU_DEP_1)
	s_cmp_lg_u32 s9, 0
	s_addc_u32 s8, s8, s18
	v_readfirstlane_b32 s9, v4
	s_mul_i32 s19, s76, s8
	s_mul_hi_u32 s18, s76, s8
	s_mul_hi_u32 s26, s27, s8
	s_mul_i32 s8, s27, s8
	s_mul_hi_u32 s56, s76, s9
	s_mul_hi_u32 s57, s27, s9
	s_mul_i32 s9, s27, s9
	s_add_u32 s19, s56, s19
	s_addc_u32 s18, 0, s18
	s_add_u32 s9, s19, s9
	s_addc_u32 s9, s18, s57
	s_addc_u32 s18, s26, 0
	s_add_u32 s8, s9, s8
	s_addc_u32 s9, 0, s18
	s_mul_hi_u32 s18, s33, s8
	s_mul_i32 s8, s33, s8
	s_mul_i32 s9, s33, s9
	v_sub_co_u32 v4, s8, s76, s8
	s_add_i32 s18, s18, s9
	s_cmp_lg_u32 s8, 0
	s_delay_alu instid0(VALU_DEP_1) | instskip(SKIP_2) | instid1(VALU_DEP_1)
	v_sub_co_u32 v5, s8, v4, s33
	s_subb_u32 s9, s27, s18
	s_cmp_lg_u32 s8, 0
	v_cmp_le_u32_e32 vcc_lo, s33, v5
	v_sub_co_u32 v6, s8, v5, s33
	s_subb_u32 s18, s9, 0
	s_cmp_lg_u32 s8, 0
	v_cndmask_b32_e64 v7, 0, -1, vcc_lo
	s_subb_u32 s8, s18, 0
	s_cmp_eq_u32 s18, 0
	v_mov_b32_e32 v18, s8
	s_cselect_b32 vcc_lo, -1, 0
	s_cmp_eq_u32 s9, 0
	v_cndmask_b32_e32 v7, -1, v7, vcc_lo
	v_cmp_le_u32_e32 vcc_lo, s33, v4
	s_cselect_b32 s8, -1, 0
	v_cndmask_b32_e64 v12, 0, -1, vcc_lo
	s_delay_alu instid0(VALU_DEP_3) | instskip(NEXT) | instid1(VALU_DEP_2)
	v_cmp_ne_u32_e32 vcc_lo, 0, v7
	v_cndmask_b32_e64 v7, -1, v12, s8
	v_cndmask_b32_e32 v12, s18, v18, vcc_lo
	v_cndmask_b32_e32 v6, v5, v6, vcc_lo
	s_mov_b32 s8, 0
	s_delay_alu instid0(VALU_DEP_3) | instskip(NEXT) | instid1(VALU_DEP_3)
	v_cmp_ne_u32_e32 vcc_lo, 0, v7
	v_cndmask_b32_e32 v5, s9, v12, vcc_lo
	s_delay_alu instid0(VALU_DEP_3)
	v_cndmask_b32_e32 v4, v4, v6, vcc_lo
	s_branch .LBB123_240
.LBB123_239:                            ;   in Loop: Header=BB123_12 Depth=1
	s_mov_b32 s8, -1
                                        ; implicit-def: $vgpr4_vgpr5
.LBB123_240:                            ;   in Loop: Header=BB123_12 Depth=1
	s_delay_alu instid0(SALU_CYCLE_1)
	s_and_not1_b32 vcc_lo, exec_lo, s8
	s_cbranch_vccnz .LBB123_242
; %bb.241:                              ;   in Loop: Header=BB123_12 Depth=1
	v_cvt_f32_u32_e32 v4, s33
	s_sub_i32 s8, 0, s33
	s_delay_alu instid0(VALU_DEP_1) | instskip(SKIP_2) | instid1(VALU_DEP_1)
	v_rcp_iflag_f32_e32 v4, v4
	s_waitcnt_depctr 0xfff
	v_mul_f32_e32 v4, 0x4f7ffffe, v4
	v_cvt_u32_f32_e32 v4, v4
	s_delay_alu instid0(VALU_DEP_1) | instskip(NEXT) | instid1(VALU_DEP_1)
	v_mul_lo_u32 v5, s8, v4
	v_mul_hi_u32 v5, v4, v5
	s_delay_alu instid0(VALU_DEP_1) | instskip(NEXT) | instid1(VALU_DEP_1)
	v_add_nc_u32_e32 v4, v4, v5
	v_mul_hi_u32 v4, s76, v4
	s_delay_alu instid0(VALU_DEP_1) | instskip(NEXT) | instid1(VALU_DEP_1)
	v_mul_lo_u32 v4, v4, s33
	v_sub_nc_u32_e32 v4, s76, v4
	s_delay_alu instid0(VALU_DEP_1) | instskip(SKIP_1) | instid1(VALU_DEP_2)
	v_subrev_nc_u32_e32 v5, s33, v4
	v_cmp_le_u32_e32 vcc_lo, s33, v4
	v_cndmask_b32_e32 v4, v4, v5, vcc_lo
	s_delay_alu instid0(VALU_DEP_1) | instskip(SKIP_1) | instid1(VALU_DEP_2)
	v_subrev_nc_u32_e32 v5, s33, v4
	v_cmp_le_u32_e32 vcc_lo, s33, v4
	v_cndmask_b32_e32 v12, v4, v5, vcc_lo
	s_delay_alu instid0(VALU_DEP_1)
	v_dual_mov_b32 v4, v12 :: v_dual_mov_b32 v5, v13
.LBB123_242:                            ;   in Loop: Header=BB123_12 Depth=1
	s_delay_alu instid0(VALU_DEP_1) | instskip(NEXT) | instid1(VALU_DEP_2)
	v_sub_co_u32 v4, vcc_lo, s76, v4
	v_sub_co_ci_u32_e32 v5, vcc_lo, s27, v5, vcc_lo
	s_mov_b32 s26, 0
	s_mov_b32 s9, exec_lo
                                        ; implicit-def: $vgpr18
	s_delay_alu instid0(VALU_DEP_1)
	v_cmpx_gt_u64_e64 v[4:5], v[0:1]
	s_cbranch_execz .LBB123_250
; %bb.243:                              ;   in Loop: Header=BB123_12 Depth=1
	v_dual_mov_b32 v7, v1 :: v_dual_mov_b32 v6, v0
	s_mov_b32 s18, 0
                                        ; implicit-def: $sgpr19
	s_branch .LBB123_245
.LBB123_244:                            ;   in Loop: Header=BB123_245 Depth=2
	s_or_b32 exec_lo, exec_lo, s8
	s_waitcnt lgkmcnt(0)
	s_barrier
	buffer_gl0_inv
	ds_load_u16 v12, v13 offset:3072
	v_add_co_u32 v6, vcc_lo, v6, s33
	v_add_co_ci_u32_e32 v7, vcc_lo, 0, v7, vcc_lo
	s_waitcnt lgkmcnt(0)
	s_barrier
	buffer_gl0_inv
	v_cmp_ge_u64_e32 vcc_lo, v[6:7], v[4:5]
	v_and_b32_e32 v18, 0xff, v12
	s_delay_alu instid0(VALU_DEP_1) | instskip(NEXT) | instid1(VALU_DEP_1)
	v_cmp_ne_u16_e64 s8, 0, v18
	s_or_b32 s26, vcc_lo, s8
	s_delay_alu instid0(SALU_CYCLE_1) | instskip(NEXT) | instid1(SALU_CYCLE_1)
	s_and_b32 s26, exec_lo, s26
	s_or_b32 s18, s26, s18
	s_and_not1_b32 s19, s19, exec_lo
	s_and_b32 s8, s8, exec_lo
	s_delay_alu instid0(SALU_CYCLE_1)
	s_or_b32 s19, s19, s8
	s_and_not1_b32 exec_lo, exec_lo, s18
	s_cbranch_execz .LBB123_249
.LBB123_245:                            ;   Parent Loop BB123_12 Depth=1
                                        ; =>  This Inner Loop Header: Depth=2
	s_delay_alu instid0(VALU_DEP_1)
	v_cmp_gt_u64_e32 vcc_lo, s[36:37], v[6:7]
	v_mov_b32_e32 v12, 0
	s_and_saveexec_b32 s8, vcc_lo
	s_cbranch_execz .LBB123_247
; %bb.246:                              ;   in Loop: Header=BB123_245 Depth=2
	v_mad_u64_u32 v[18:19], null, v6, s30, s[28:29]
	v_mul_lo_u32 v12, v6, s31
	v_mul_lo_u32 v20, v7, s30
	s_delay_alu instid0(VALU_DEP_1)
	v_add3_u32 v19, v20, v19, v12
	global_load_u8 v12, v[18:19], off
.LBB123_247:                            ;   in Loop: Header=BB123_245 Depth=2
	s_or_b32 exec_lo, exec_lo, s8
	s_waitcnt vmcnt(0)
	v_and_b32_e32 v18, v12, v9
	s_delay_alu instid0(VALU_DEP_1) | instskip(NEXT) | instid1(VALU_DEP_1)
	v_and_b32_e32 v18, 0xff, v18
	v_cmp_eq_u32_e64 s8, v18, v8
	s_delay_alu instid0(VALU_DEP_1) | instskip(NEXT) | instid1(SALU_CYCLE_1)
	s_and_b32 s26, vcc_lo, s8
	s_and_saveexec_b32 s8, s26
	s_cbranch_execz .LBB123_244
; %bb.248:                              ;   in Loop: Header=BB123_245 Depth=2
	v_lshlrev_b16 v12, 8, v12
	s_delay_alu instid0(VALU_DEP_1)
	v_or_b32_e32 v12, 1, v12
	ds_store_b16 v13, v12 offset:3072
	s_branch .LBB123_244
.LBB123_249:                            ;   in Loop: Header=BB123_12 Depth=1
	s_or_b32 exec_lo, exec_lo, s18
	v_lshrrev_b16 v18, 8, v12
	s_and_b32 s26, s19, exec_lo
.LBB123_250:                            ;   in Loop: Header=BB123_12 Depth=1
	s_or_b32 exec_lo, exec_lo, s9
	s_mov_b32 s18, -1
	s_mov_b32 s8, 0
	s_mov_b32 s9, 0
.LBB123_251:                            ;   in Loop: Header=BB123_12 Depth=1
	s_or_not1_b32 s26, s26, exec_lo
.LBB123_252:                            ;   in Loop: Header=BB123_12 Depth=1
	s_or_b32 exec_lo, exec_lo, s98
	s_mov_b32 s98, 0
                                        ; implicit-def: $vgpr6
                                        ; implicit-def: $vgpr4_vgpr5
	s_and_saveexec_b32 s19, s26
	s_cbranch_execz .LBB123_264
; %bb.253:                              ;   in Loop: Header=BB123_12 Depth=1
	v_mov_b32_e32 v4, 1
	v_dual_mov_b32 v5, 0 :: v_dual_mov_b32 v6, 1
	s_xor_b32 s56, s97, -1
	s_delay_alu instid0(SALU_CYCLE_1)
	s_and_saveexec_b32 s26, s56
	s_cbranch_execz .LBB123_263
; %bb.254:                              ;   in Loop: Header=BB123_12 Depth=1
                                        ; implicit-def: $sgpr98
	s_mov_b32 s56, exec_lo
	v_cmpx_ge_u64_e64 s[16:17], v[2:3]
	s_xor_b32 s97, exec_lo, s56
	s_cbranch_execz .LBB123_260
; %bb.255:                              ;   in Loop: Header=BB123_12 Depth=1
	ds_load_b64 v[4:5], v13 offset:5120
	s_waitcnt lgkmcnt(0)
	v_cmp_ne_u64_e32 vcc_lo, 0, v[4:5]
	s_cbranch_vccnz .LBB123_259
; %bb.256:                              ;   in Loop: Header=BB123_12 Depth=1
	s_and_saveexec_b32 s98, s5
	s_cbranch_execz .LBB123_258
; %bb.257:                              ;   in Loop: Header=BB123_12 Depth=1
	v_dual_mov_b32 v4, s16 :: v_dual_mov_b32 v5, s17
	ds_store_b64 v13, v[4:5] offset:5128
.LBB123_258:                            ;   in Loop: Header=BB123_12 Depth=1
	s_or_b32 exec_lo, exec_lo, s98
	s_waitcnt lgkmcnt(0)
	s_barrier
	buffer_gl0_inv
.LBB123_259:                            ;   in Loop: Header=BB123_12 Depth=1
	v_or_b32_e32 v8, s20, v8
	v_or_b32_e32 v9, s20, v9
	s_mov_b32 s98, 8
.LBB123_260:                            ;   in Loop: Header=BB123_12 Depth=1
	s_or_saveexec_b32 s97, s97
	v_mov_b32_e32 v6, s98
	s_xor_b32 exec_lo, exec_lo, s97
; %bb.261:                              ;   in Loop: Header=BB123_12 Depth=1
	v_sub_co_u32 v2, vcc_lo, v2, s16
	v_subrev_co_ci_u32_e32 v3, vcc_lo, s17, v3, vcc_lo
	v_mov_b32_e32 v6, 8
; %bb.262:                              ;   in Loop: Header=BB123_12 Depth=1
	s_or_b32 exec_lo, exec_lo, s97
	s_delay_alu instid0(VALU_DEP_2)
	v_dual_mov_b32 v5, v3 :: v_dual_mov_b32 v4, v2
.LBB123_263:                            ;   in Loop: Header=BB123_12 Depth=1
	s_or_b32 exec_lo, exec_lo, s26
	s_delay_alu instid0(SALU_CYCLE_1)
	s_mov_b32 s98, exec_lo
.LBB123_264:                            ;   in Loop: Header=BB123_12 Depth=1
	s_or_b32 exec_lo, exec_lo, s19
	s_delay_alu instid0(VALU_DEP_1)
	v_dual_mov_b32 v2, v4 :: v_dual_mov_b32 v3, v5
	s_or_not1_b32 s19, s98, exec_lo
.LBB123_265:                            ;   in Loop: Header=BB123_12 Depth=1
	s_or_b32 exec_lo, exec_lo, s96
	s_delay_alu instid0(SALU_CYCLE_1)
	s_and_not1_b32 s26, s71, exec_lo
	s_and_b32 s8, s8, exec_lo
	v_dual_mov_b32 v5, v3 :: v_dual_mov_b32 v4, v2
	s_or_b32 s71, s26, s8
	s_and_not1_b32 s8, s73, exec_lo
	s_and_b32 s18, s18, exec_lo
	s_and_not1_b32 s26, s72, exec_lo
	s_and_b32 s9, s9, exec_lo
	s_or_b32 s73, s8, s18
	s_or_b32 s72, s26, s9
	s_and_b32 s26, s19, exec_lo
.LBB123_266:                            ;   in Loop: Header=BB123_12 Depth=1
	s_or_b32 exec_lo, exec_lo, s95
	s_delay_alu instid0(SALU_CYCLE_1)
	s_and_b32 s19, s71, exec_lo
	s_and_b32 s18, s73, exec_lo
	;; [unrolled: 1-line block ×3, first 2 shown]
	s_or_not1_b32 s8, s26, exec_lo
.LBB123_267:                            ;   in Loop: Header=BB123_12 Depth=1
	s_or_b32 exec_lo, exec_lo, s70
	s_delay_alu instid0(SALU_CYCLE_1)
	s_and_not1_b32 s25, s25, exec_lo
	s_and_b32 s19, s19, exec_lo
	v_dual_mov_b32 v2, v4 :: v_dual_mov_b32 v3, v5
	s_or_b32 s25, s25, s19
	s_and_not1_b32 s19, s68, exec_lo
	s_and_b32 s18, s18, exec_lo
	s_and_not1_b32 s26, s67, exec_lo
	s_and_b32 s9, s9, exec_lo
	s_or_b32 s68, s19, s18
	s_or_b32 s67, s26, s9
	s_and_b32 s26, s8, exec_lo
.LBB123_268:                            ;   in Loop: Header=BB123_12 Depth=1
	s_or_b32 exec_lo, exec_lo, s69
	s_delay_alu instid0(SALU_CYCLE_1)
	s_and_b32 s19, s25, exec_lo
	s_and_b32 s18, s68, exec_lo
	;; [unrolled: 1-line block ×3, first 2 shown]
	s_or_not1_b32 s25, s26, exec_lo
.LBB123_269:                            ;   in Loop: Header=BB123_12 Depth=1
	s_or_b32 exec_lo, exec_lo, s24
	s_mov_b32 s8, 0
	s_mov_b32 s24, 0
	s_and_saveexec_b32 s26, s25
	s_delay_alu instid0(SALU_CYCLE_1)
	s_xor_b32 s25, exec_lo, s26
; %bb.270:                              ;   in Loop: Header=BB123_12 Depth=1
	v_cmp_ne_u32_e32 vcc_lo, 8, v6
	v_cmp_eq_u32_e64 s8, 8, v6
	s_and_not1_b32 s19, s19, exec_lo
	s_and_not1_b32 s18, s18, exec_lo
	;; [unrolled: 1-line block ×3, first 2 shown]
	s_and_b32 s24, vcc_lo, exec_lo
	s_and_b32 s8, s8, exec_lo
; %bb.271:                              ;   in Loop: Header=BB123_12 Depth=1
	s_or_b32 exec_lo, exec_lo, s25
	s_delay_alu instid0(SALU_CYCLE_1)
	s_and_not1_b32 s23, s23, exec_lo
	s_and_b32 s19, s19, exec_lo
	s_and_b32 s18, s18, exec_lo
	s_or_b32 s23, s23, s19
	s_and_not1_b32 s19, s64, exec_lo
	s_and_not1_b32 s25, s60, exec_lo
	s_and_b32 s9, s9, exec_lo
	s_or_b32 s64, s19, s18
	s_or_b32 s60, s25, s9
	s_and_b32 s24, s24, exec_lo
	s_and_b32 s25, s8, exec_lo
.LBB123_272:                            ;   in Loop: Header=BB123_12 Depth=1
	s_or_b32 exec_lo, exec_lo, s66
	s_delay_alu instid0(SALU_CYCLE_1)
	s_and_b32 vcc_lo, exec_lo, s65
	s_cbranch_vccz .LBB123_98
.LBB123_273:                            ;   in Loop: Header=BB123_12 Depth=1
	s_cmp_eq_u64 s[16:17], 1
                                        ; implicit-def: $sgpr18
                                        ; implicit-def: $sgpr19
                                        ; implicit-def: $sgpr23
	s_cselect_b32 s8, -1, 0
	s_delay_alu instid0(SALU_CYCLE_1)
	s_and_b32 s64, s8, s7
	s_mov_b32 s7, -1
	s_and_saveexec_b32 s60, s64
	s_cbranch_execz .LBB123_303
; %bb.274:                              ;   in Loop: Header=BB123_12 Depth=1
	ds_load_b64 v[2:3], v13 offset:5120
	s_waitcnt lgkmcnt(0)
	s_barrier
	buffer_gl0_inv
	v_readfirstlane_b32 s8, v2
	v_readfirstlane_b32 s9, v3
	s_and_saveexec_b32 s7, s6
	s_cbranch_execz .LBB123_276
; %bb.275:                              ;   in Loop: Header=BB123_12 Depth=1
	ds_store_b8 v0, v13 offset:3072
.LBB123_276:                            ;   in Loop: Header=BB123_12 Depth=1
	s_or_b32 exec_lo, exec_lo, s7
	v_or_b32_e32 v27, s20, v27
	v_or_b32_e32 v26, s20, v26
	s_cmp_eq_u64 s[8:9], 0
	s_waitcnt lgkmcnt(0)
	s_barrier
	buffer_gl0_inv
	s_cbranch_scc1 .LBB123_287
; %bb.277:                              ;   in Loop: Header=BB123_12 Depth=1
	s_add_u32 s23, s74, s8
	s_addc_u32 s19, s75, s9
	s_mov_b32 s18, s61
	s_delay_alu instid0(SALU_CYCLE_1)
	s_cmp_lg_u64 s[18:19], 0
	s_cbranch_scc0 .LBB123_329
; %bb.278:                              ;   in Loop: Header=BB123_12 Depth=1
	v_cvt_f32_u32_e32 v2, s33
	s_sub_u32 s26, 0, s33
	s_subb_u32 s65, 0, 0
	s_delay_alu instid0(VALU_DEP_1) | instskip(NEXT) | instid1(VALU_DEP_1)
	v_fmac_f32_e64 v2, 0, 0x4f800000
	v_rcp_f32_e32 v2, v2
	s_waitcnt_depctr 0xfff
	v_mul_f32_e32 v2, 0x5f7ffffc, v2
	s_delay_alu instid0(VALU_DEP_1) | instskip(NEXT) | instid1(VALU_DEP_1)
	v_mul_f32_e32 v3, 0x2f800000, v2
	v_trunc_f32_e32 v3, v3
	s_delay_alu instid0(VALU_DEP_1) | instskip(SKIP_1) | instid1(VALU_DEP_2)
	v_fmac_f32_e32 v2, 0xcf800000, v3
	v_cvt_u32_f32_e32 v3, v3
	v_cvt_u32_f32_e32 v2, v2
	s_delay_alu instid0(VALU_DEP_2) | instskip(NEXT) | instid1(VALU_DEP_2)
	v_readfirstlane_b32 s7, v3
	v_readfirstlane_b32 s18, v2
	s_delay_alu instid0(VALU_DEP_2) | instskip(NEXT) | instid1(VALU_DEP_1)
	s_mul_i32 s66, s26, s7
	s_mul_hi_u32 s68, s26, s18
	s_mul_i32 s67, s65, s18
	s_add_i32 s66, s68, s66
	s_mul_i32 s69, s26, s18
	s_add_i32 s66, s66, s67
	s_mul_hi_u32 s68, s18, s69
	s_mul_hi_u32 s70, s7, s69
	s_mul_i32 s67, s7, s69
	s_mul_hi_u32 s69, s18, s66
	s_mul_i32 s18, s18, s66
	s_mul_hi_u32 s71, s7, s66
	s_add_u32 s18, s68, s18
	s_addc_u32 s68, 0, s69
	s_add_u32 s18, s18, s67
	s_mul_i32 s66, s7, s66
	s_addc_u32 s18, s68, s70
	s_addc_u32 s67, s71, 0
	s_add_u32 s18, s18, s66
	s_addc_u32 s66, 0, s67
	v_add_co_u32 v2, s18, v2, s18
	s_delay_alu instid0(VALU_DEP_1) | instskip(SKIP_1) | instid1(VALU_DEP_1)
	s_cmp_lg_u32 s18, 0
	s_addc_u32 s7, s7, s66
	v_readfirstlane_b32 s18, v2
	s_mul_i32 s66, s26, s7
	s_delay_alu instid0(VALU_DEP_1)
	s_mul_hi_u32 s67, s26, s18
	s_mul_i32 s65, s65, s18
	s_add_i32 s66, s67, s66
	s_mul_i32 s26, s26, s18
	s_add_i32 s66, s66, s65
	s_mul_hi_u32 s67, s7, s26
	s_mul_i32 s68, s7, s26
	s_mul_hi_u32 s26, s18, s26
	s_mul_hi_u32 s69, s18, s66
	s_mul_i32 s18, s18, s66
	s_mul_hi_u32 s65, s7, s66
	s_add_u32 s18, s26, s18
	s_addc_u32 s26, 0, s69
	s_add_u32 s18, s18, s68
	s_mul_i32 s66, s7, s66
	s_addc_u32 s18, s26, s67
	s_addc_u32 s26, s65, 0
	s_add_u32 s18, s18, s66
	s_addc_u32 s26, 0, s26
	v_add_co_u32 v2, s18, v2, s18
	s_delay_alu instid0(VALU_DEP_1) | instskip(SKIP_1) | instid1(VALU_DEP_1)
	s_cmp_lg_u32 s18, 0
	s_addc_u32 s7, s7, s26
	v_readfirstlane_b32 s18, v2
	s_mul_i32 s65, s23, s7
	s_mul_hi_u32 s26, s23, s7
	s_mul_hi_u32 s66, s19, s7
	s_mul_i32 s7, s19, s7
	s_mul_hi_u32 s67, s23, s18
	s_mul_hi_u32 s68, s19, s18
	s_mul_i32 s18, s19, s18
	s_add_u32 s65, s67, s65
	s_addc_u32 s26, 0, s26
	s_add_u32 s18, s65, s18
	s_addc_u32 s18, s26, s68
	s_addc_u32 s26, s66, 0
	s_add_u32 s7, s18, s7
	s_addc_u32 s18, 0, s26
	s_mul_hi_u32 s26, s33, s7
	s_mul_i32 s7, s33, s7
	s_mul_i32 s18, s33, s18
	v_sub_co_u32 v2, s7, s23, s7
	s_add_i32 s26, s26, s18
	s_cmp_lg_u32 s7, 0
	s_delay_alu instid0(VALU_DEP_1) | instskip(SKIP_2) | instid1(VALU_DEP_1)
	v_sub_co_u32 v3, s7, v2, s33
	s_subb_u32 s18, s19, s26
	s_cmp_lg_u32 s7, 0
	v_cmp_le_u32_e32 vcc_lo, s33, v3
	v_sub_co_u32 v4, s7, v3, s33
	s_subb_u32 s26, s18, 0
	s_cmp_lg_u32 s7, 0
	v_cndmask_b32_e64 v5, 0, -1, vcc_lo
	s_subb_u32 s7, s26, 0
	s_cmp_eq_u32 s26, 0
	v_mov_b32_e32 v7, s7
	s_cselect_b32 vcc_lo, -1, 0
	s_cmp_eq_u32 s18, 0
	v_cndmask_b32_e32 v5, -1, v5, vcc_lo
	v_cmp_le_u32_e32 vcc_lo, s33, v2
	s_cselect_b32 s7, -1, 0
	v_cndmask_b32_e64 v6, 0, -1, vcc_lo
	s_delay_alu instid0(VALU_DEP_3) | instskip(NEXT) | instid1(VALU_DEP_2)
	v_cmp_ne_u32_e32 vcc_lo, 0, v5
	v_cndmask_b32_e64 v5, -1, v6, s7
	v_cndmask_b32_e32 v6, s26, v7, vcc_lo
	v_cndmask_b32_e32 v4, v3, v4, vcc_lo
	s_delay_alu instid0(VALU_DEP_3) | instskip(NEXT) | instid1(VALU_DEP_3)
	v_cmp_ne_u32_e32 vcc_lo, 0, v5
	v_cndmask_b32_e32 v3, s18, v6, vcc_lo
	s_delay_alu instid0(VALU_DEP_3)
	v_cndmask_b32_e32 v2, v2, v4, vcc_lo
	s_cbranch_execnz .LBB123_280
.LBB123_279:                            ;   in Loop: Header=BB123_12 Depth=1
	v_cvt_f32_u32_e32 v2, s33
	s_sub_i32 s7, 0, s33
	s_delay_alu instid0(VALU_DEP_1) | instskip(SKIP_2) | instid1(VALU_DEP_1)
	v_rcp_iflag_f32_e32 v2, v2
	s_waitcnt_depctr 0xfff
	v_mul_f32_e32 v2, 0x4f7ffffe, v2
	v_cvt_u32_f32_e32 v2, v2
	s_delay_alu instid0(VALU_DEP_1) | instskip(NEXT) | instid1(VALU_DEP_1)
	v_mul_lo_u32 v3, s7, v2
	v_mul_hi_u32 v3, v2, v3
	s_delay_alu instid0(VALU_DEP_1) | instskip(NEXT) | instid1(VALU_DEP_1)
	v_add_nc_u32_e32 v2, v2, v3
	v_mul_hi_u32 v2, s23, v2
	s_delay_alu instid0(VALU_DEP_1) | instskip(NEXT) | instid1(VALU_DEP_1)
	v_mul_lo_u32 v2, v2, s33
	v_sub_nc_u32_e32 v2, s23, v2
	s_delay_alu instid0(VALU_DEP_1) | instskip(SKIP_1) | instid1(VALU_DEP_2)
	v_subrev_nc_u32_e32 v3, s33, v2
	v_cmp_le_u32_e32 vcc_lo, s33, v2
	v_cndmask_b32_e32 v2, v2, v3, vcc_lo
	s_delay_alu instid0(VALU_DEP_1) | instskip(SKIP_1) | instid1(VALU_DEP_2)
	v_subrev_nc_u32_e32 v3, s33, v2
	v_cmp_le_u32_e32 vcc_lo, s33, v2
	v_cndmask_b32_e32 v12, v2, v3, vcc_lo
	s_delay_alu instid0(VALU_DEP_1)
	v_dual_mov_b32 v2, v12 :: v_dual_mov_b32 v3, v13
.LBB123_280:                            ;   in Loop: Header=BB123_12 Depth=1
	s_delay_alu instid0(VALU_DEP_1) | instskip(NEXT) | instid1(VALU_DEP_2)
	v_sub_co_u32 v2, vcc_lo, s23, v2
	v_sub_co_ci_u32_e32 v3, vcc_lo, s19, v3, vcc_lo
	s_mov_b32 s7, 0
	s_mov_b32 s18, exec_lo
                                        ; implicit-def: $vgpr28
	s_delay_alu instid0(VALU_DEP_1)
	v_cmpx_gt_u64_e64 v[2:3], v[0:1]
	s_cbranch_execz .LBB123_289
; %bb.281:                              ;   in Loop: Header=BB123_12 Depth=1
	v_dual_mov_b32 v6, v0 :: v_dual_mov_b32 v5, v1
	v_mov_b32_e32 v4, v0
	s_mov_b32 s19, 0
                                        ; implicit-def: $sgpr23
	s_set_inst_prefetch_distance 0x1
	s_branch .LBB123_283
	.p2align	6
.LBB123_282:                            ;   in Loop: Header=BB123_283 Depth=2
	s_or_b32 exec_lo, exec_lo, s7
	s_waitcnt lgkmcnt(0)
	s_barrier
	buffer_gl0_inv
	ds_load_u16 v7, v13 offset:3072
	v_add_co_u32 v4, vcc_lo, v4, s33
	v_add_co_ci_u32_e32 v5, vcc_lo, 0, v5, vcc_lo
	v_add_nc_u32_e32 v6, s33, v6
	s_waitcnt lgkmcnt(0)
	s_barrier
	s_delay_alu instid0(VALU_DEP_2) | instskip(SKIP_2) | instid1(VALU_DEP_1)
	v_cmp_ge_u64_e32 vcc_lo, v[4:5], v[2:3]
	buffer_gl0_inv
	v_and_b32_e32 v8, 0xff, v7
	v_cmp_ne_u16_e64 s7, 0, v8
	s_delay_alu instid0(VALU_DEP_1) | instskip(NEXT) | instid1(SALU_CYCLE_1)
	s_or_b32 s26, vcc_lo, s7
	s_and_b32 s26, exec_lo, s26
	s_delay_alu instid0(SALU_CYCLE_1) | instskip(SKIP_2) | instid1(SALU_CYCLE_1)
	s_or_b32 s19, s26, s19
	s_and_not1_b32 s23, s23, exec_lo
	s_and_b32 s7, s7, exec_lo
	s_or_b32 s23, s23, s7
	s_and_not1_b32 exec_lo, exec_lo, s19
	s_cbranch_execz .LBB123_288
.LBB123_283:                            ;   Parent Loop BB123_12 Depth=1
                                        ; =>  This Inner Loop Header: Depth=2
	s_delay_alu instid0(VALU_DEP_1)
	v_cmp_gt_u64_e32 vcc_lo, s[8:9], v[4:5]
	v_mov_b32_e32 v7, 0
	s_and_saveexec_b32 s7, vcc_lo
	s_cbranch_execz .LBB123_285
; %bb.284:                              ;   in Loop: Header=BB123_283 Depth=2
	ds_load_u8 v7, v6
.LBB123_285:                            ;   in Loop: Header=BB123_283 Depth=2
	s_or_b32 exec_lo, exec_lo, s7
	s_waitcnt lgkmcnt(0)
	v_and_b32_e32 v8, v7, v26
	s_delay_alu instid0(VALU_DEP_1) | instskip(NEXT) | instid1(VALU_DEP_1)
	v_and_b32_e32 v8, 0xff, v8
	v_cmp_eq_u32_e64 s7, v8, v27
	s_delay_alu instid0(VALU_DEP_1) | instskip(NEXT) | instid1(SALU_CYCLE_1)
	s_and_b32 s26, vcc_lo, s7
	s_and_saveexec_b32 s7, s26
	s_cbranch_execz .LBB123_282
; %bb.286:                              ;   in Loop: Header=BB123_283 Depth=2
	v_lshlrev_b16 v7, 8, v7
	s_delay_alu instid0(VALU_DEP_1)
	v_or_b32_e32 v7, 1, v7
	ds_store_b16 v13, v7 offset:3072
	s_branch .LBB123_282
.LBB123_287:                            ;   in Loop: Header=BB123_12 Depth=1
	s_mov_b32 s18, -1
	s_mov_b32 s7, 0
                                        ; implicit-def: $sgpr19
                                        ; implicit-def: $vgpr28
	s_mov_b32 s23, s18
	s_cbranch_execnz .LBB123_290
	s_branch .LBB123_302
.LBB123_288:                            ;   in Loop: Header=BB123_12 Depth=1
	s_set_inst_prefetch_distance 0x2
	s_or_b32 exec_lo, exec_lo, s19
	v_lshrrev_b16 v28, 8, v7
	s_and_b32 s7, s23, exec_lo
.LBB123_289:                            ;   in Loop: Header=BB123_12 Depth=1
	s_or_b32 exec_lo, exec_lo, s18
	s_mov_b32 s18, 0
	s_mov_b32 s19, -1
	s_mov_b32 s23, s18
	s_branch .LBB123_302
.LBB123_290:                            ;   in Loop: Header=BB123_12 Depth=1
	s_mov_b32 s26, s61
	s_delay_alu instid0(SALU_CYCLE_1)
	s_cmp_lg_u64 s[26:27], 0
	s_cbranch_scc0 .LBB123_330
; %bb.291:                              ;   in Loop: Header=BB123_12 Depth=1
	v_cvt_f32_u32_e32 v2, s33
	s_sub_u32 s9, 0, s33
	s_subb_u32 s18, 0, 0
	s_delay_alu instid0(VALU_DEP_1) | instskip(NEXT) | instid1(VALU_DEP_1)
	v_fmac_f32_e64 v2, 0, 0x4f800000
	v_rcp_f32_e32 v2, v2
	s_waitcnt_depctr 0xfff
	v_mul_f32_e32 v2, 0x5f7ffffc, v2
	s_delay_alu instid0(VALU_DEP_1) | instskip(NEXT) | instid1(VALU_DEP_1)
	v_mul_f32_e32 v3, 0x2f800000, v2
	v_trunc_f32_e32 v3, v3
	s_delay_alu instid0(VALU_DEP_1) | instskip(SKIP_1) | instid1(VALU_DEP_2)
	v_fmac_f32_e32 v2, 0xcf800000, v3
	v_cvt_u32_f32_e32 v3, v3
	v_cvt_u32_f32_e32 v2, v2
	s_delay_alu instid0(VALU_DEP_2) | instskip(NEXT) | instid1(VALU_DEP_2)
	v_readfirstlane_b32 s7, v3
	v_readfirstlane_b32 s8, v2
	s_delay_alu instid0(VALU_DEP_2) | instskip(NEXT) | instid1(VALU_DEP_1)
	s_mul_i32 s19, s9, s7
	s_mul_hi_u32 s26, s9, s8
	s_mul_i32 s23, s18, s8
	s_add_i32 s19, s26, s19
	s_mul_i32 s65, s9, s8
	s_add_i32 s19, s19, s23
	s_mul_hi_u32 s26, s8, s65
	s_mul_hi_u32 s66, s7, s65
	s_mul_i32 s23, s7, s65
	s_mul_hi_u32 s65, s8, s19
	s_mul_i32 s8, s8, s19
	s_mul_hi_u32 s67, s7, s19
	s_add_u32 s8, s26, s8
	s_addc_u32 s26, 0, s65
	s_add_u32 s8, s8, s23
	s_mul_i32 s19, s7, s19
	s_addc_u32 s8, s26, s66
	s_addc_u32 s23, s67, 0
	s_add_u32 s8, s8, s19
	s_addc_u32 s19, 0, s23
	v_add_co_u32 v2, s8, v2, s8
	s_delay_alu instid0(VALU_DEP_1) | instskip(SKIP_1) | instid1(VALU_DEP_1)
	s_cmp_lg_u32 s8, 0
	s_addc_u32 s7, s7, s19
	v_readfirstlane_b32 s8, v2
	s_mul_i32 s19, s9, s7
	s_delay_alu instid0(VALU_DEP_1)
	s_mul_hi_u32 s23, s9, s8
	s_mul_i32 s18, s18, s8
	s_add_i32 s19, s23, s19
	s_mul_i32 s9, s9, s8
	s_add_i32 s19, s19, s18
	s_mul_hi_u32 s23, s7, s9
	s_mul_i32 s26, s7, s9
	s_mul_hi_u32 s9, s8, s9
	s_mul_hi_u32 s65, s8, s19
	s_mul_i32 s8, s8, s19
	s_mul_hi_u32 s18, s7, s19
	s_add_u32 s8, s9, s8
	s_addc_u32 s9, 0, s65
	s_add_u32 s8, s8, s26
	s_mul_i32 s19, s7, s19
	s_addc_u32 s8, s9, s23
	s_addc_u32 s9, s18, 0
	s_add_u32 s8, s8, s19
	s_addc_u32 s9, 0, s9
	v_add_co_u32 v2, s8, v2, s8
	s_delay_alu instid0(VALU_DEP_1) | instskip(SKIP_1) | instid1(VALU_DEP_1)
	s_cmp_lg_u32 s8, 0
	s_addc_u32 s7, s7, s9
	v_readfirstlane_b32 s8, v2
	s_mul_i32 s18, s76, s7
	s_mul_hi_u32 s9, s76, s7
	s_mul_hi_u32 s19, s27, s7
	s_mul_i32 s7, s27, s7
	s_mul_hi_u32 s23, s76, s8
	s_mul_hi_u32 s26, s27, s8
	s_mul_i32 s8, s27, s8
	s_add_u32 s18, s23, s18
	s_addc_u32 s9, 0, s9
	s_add_u32 s8, s18, s8
	s_addc_u32 s8, s9, s26
	s_addc_u32 s9, s19, 0
	s_add_u32 s7, s8, s7
	s_addc_u32 s8, 0, s9
	s_mul_hi_u32 s9, s33, s7
	s_mul_i32 s7, s33, s7
	s_mul_i32 s8, s33, s8
	v_sub_co_u32 v2, s7, s76, s7
	s_add_i32 s9, s9, s8
	s_cmp_lg_u32 s7, 0
	s_delay_alu instid0(VALU_DEP_1) | instskip(SKIP_2) | instid1(VALU_DEP_1)
	v_sub_co_u32 v3, s7, v2, s33
	s_subb_u32 s8, s27, s9
	s_cmp_lg_u32 s7, 0
	v_cmp_le_u32_e32 vcc_lo, s33, v3
	v_sub_co_u32 v4, s7, v3, s33
	s_subb_u32 s9, s8, 0
	s_cmp_lg_u32 s7, 0
	v_cndmask_b32_e64 v5, 0, -1, vcc_lo
	s_subb_u32 s7, s9, 0
	s_cmp_eq_u32 s9, 0
	v_mov_b32_e32 v7, s7
	s_cselect_b32 vcc_lo, -1, 0
	s_cmp_eq_u32 s8, 0
	v_cndmask_b32_e32 v5, -1, v5, vcc_lo
	v_cmp_le_u32_e32 vcc_lo, s33, v2
	s_cselect_b32 s7, -1, 0
	v_cndmask_b32_e64 v6, 0, -1, vcc_lo
	s_delay_alu instid0(VALU_DEP_3) | instskip(NEXT) | instid1(VALU_DEP_2)
	v_cmp_ne_u32_e32 vcc_lo, 0, v5
	v_cndmask_b32_e64 v5, -1, v6, s7
	v_cndmask_b32_e32 v6, s9, v7, vcc_lo
	v_cndmask_b32_e32 v4, v3, v4, vcc_lo
	s_delay_alu instid0(VALU_DEP_3) | instskip(NEXT) | instid1(VALU_DEP_3)
	v_cmp_ne_u32_e32 vcc_lo, 0, v5
	v_cndmask_b32_e32 v3, s8, v6, vcc_lo
	s_delay_alu instid0(VALU_DEP_3)
	v_cndmask_b32_e32 v2, v2, v4, vcc_lo
	s_cbranch_execnz .LBB123_293
.LBB123_292:                            ;   in Loop: Header=BB123_12 Depth=1
	v_cvt_f32_u32_e32 v2, s33
	s_sub_i32 s7, 0, s33
	s_delay_alu instid0(VALU_DEP_1) | instskip(SKIP_2) | instid1(VALU_DEP_1)
	v_rcp_iflag_f32_e32 v2, v2
	s_waitcnt_depctr 0xfff
	v_mul_f32_e32 v2, 0x4f7ffffe, v2
	v_cvt_u32_f32_e32 v2, v2
	s_delay_alu instid0(VALU_DEP_1) | instskip(NEXT) | instid1(VALU_DEP_1)
	v_mul_lo_u32 v3, s7, v2
	v_mul_hi_u32 v3, v2, v3
	s_delay_alu instid0(VALU_DEP_1) | instskip(NEXT) | instid1(VALU_DEP_1)
	v_add_nc_u32_e32 v2, v2, v3
	v_mul_hi_u32 v2, s76, v2
	s_delay_alu instid0(VALU_DEP_1) | instskip(NEXT) | instid1(VALU_DEP_1)
	v_mul_lo_u32 v2, v2, s33
	v_sub_nc_u32_e32 v2, s76, v2
	s_delay_alu instid0(VALU_DEP_1) | instskip(SKIP_1) | instid1(VALU_DEP_2)
	v_subrev_nc_u32_e32 v3, s33, v2
	v_cmp_le_u32_e32 vcc_lo, s33, v2
	v_cndmask_b32_e32 v2, v2, v3, vcc_lo
	s_delay_alu instid0(VALU_DEP_1) | instskip(SKIP_1) | instid1(VALU_DEP_2)
	v_subrev_nc_u32_e32 v3, s33, v2
	v_cmp_le_u32_e32 vcc_lo, s33, v2
	v_cndmask_b32_e32 v12, v2, v3, vcc_lo
	s_delay_alu instid0(VALU_DEP_1)
	v_dual_mov_b32 v2, v12 :: v_dual_mov_b32 v3, v13
.LBB123_293:                            ;   in Loop: Header=BB123_12 Depth=1
	s_delay_alu instid0(VALU_DEP_1) | instskip(NEXT) | instid1(VALU_DEP_2)
	v_sub_co_u32 v2, vcc_lo, s76, v2
	v_sub_co_ci_u32_e32 v3, vcc_lo, s27, v3, vcc_lo
	s_mov_b32 s7, 0
	s_mov_b32 s8, exec_lo
                                        ; implicit-def: $vgpr28
	s_delay_alu instid0(VALU_DEP_1)
	v_cmpx_gt_u64_e64 v[2:3], v[0:1]
	s_cbranch_execz .LBB123_301
; %bb.294:                              ;   in Loop: Header=BB123_12 Depth=1
	v_dual_mov_b32 v5, v1 :: v_dual_mov_b32 v4, v0
	s_mov_b32 s9, 0
                                        ; implicit-def: $sgpr18
	s_branch .LBB123_296
.LBB123_295:                            ;   in Loop: Header=BB123_296 Depth=2
	s_or_b32 exec_lo, exec_lo, s7
	s_waitcnt lgkmcnt(0)
	s_barrier
	buffer_gl0_inv
	ds_load_u16 v6, v13 offset:3072
	v_add_co_u32 v4, vcc_lo, v4, s33
	v_add_co_ci_u32_e32 v5, vcc_lo, 0, v5, vcc_lo
	s_waitcnt lgkmcnt(0)
	s_barrier
	buffer_gl0_inv
	v_cmp_ge_u64_e32 vcc_lo, v[4:5], v[2:3]
	v_and_b32_e32 v7, 0xff, v6
	s_delay_alu instid0(VALU_DEP_1) | instskip(NEXT) | instid1(VALU_DEP_1)
	v_cmp_ne_u16_e64 s7, 0, v7
	s_or_b32 s19, vcc_lo, s7
	s_delay_alu instid0(SALU_CYCLE_1) | instskip(NEXT) | instid1(SALU_CYCLE_1)
	s_and_b32 s19, exec_lo, s19
	s_or_b32 s9, s19, s9
	s_and_not1_b32 s18, s18, exec_lo
	s_and_b32 s7, s7, exec_lo
	s_delay_alu instid0(SALU_CYCLE_1)
	s_or_b32 s18, s18, s7
	s_and_not1_b32 exec_lo, exec_lo, s9
	s_cbranch_execz .LBB123_300
.LBB123_296:                            ;   Parent Loop BB123_12 Depth=1
                                        ; =>  This Inner Loop Header: Depth=2
	s_delay_alu instid0(VALU_DEP_1)
	v_cmp_gt_u64_e32 vcc_lo, s[36:37], v[4:5]
	v_mov_b32_e32 v6, 0
	s_and_saveexec_b32 s7, vcc_lo
	s_cbranch_execz .LBB123_298
; %bb.297:                              ;   in Loop: Header=BB123_296 Depth=2
	v_mad_u64_u32 v[6:7], null, v4, s30, s[28:29]
	v_mul_lo_u32 v8, v4, s31
	v_mul_lo_u32 v9, v5, s30
	s_delay_alu instid0(VALU_DEP_1)
	v_add3_u32 v7, v9, v7, v8
	global_load_u8 v6, v[6:7], off
.LBB123_298:                            ;   in Loop: Header=BB123_296 Depth=2
	s_or_b32 exec_lo, exec_lo, s7
	s_waitcnt vmcnt(0)
	v_and_b32_e32 v7, v6, v26
	s_delay_alu instid0(VALU_DEP_1) | instskip(NEXT) | instid1(VALU_DEP_1)
	v_and_b32_e32 v7, 0xff, v7
	v_cmp_eq_u32_e64 s7, v7, v27
	s_delay_alu instid0(VALU_DEP_1) | instskip(NEXT) | instid1(SALU_CYCLE_1)
	s_and_b32 s19, vcc_lo, s7
	s_and_saveexec_b32 s7, s19
	s_cbranch_execz .LBB123_295
; %bb.299:                              ;   in Loop: Header=BB123_296 Depth=2
	v_lshlrev_b16 v6, 8, v6
	s_delay_alu instid0(VALU_DEP_1)
	v_or_b32_e32 v6, 1, v6
	ds_store_b16 v13, v6 offset:3072
	s_branch .LBB123_295
.LBB123_300:                            ;   in Loop: Header=BB123_12 Depth=1
	s_or_b32 exec_lo, exec_lo, s9
	v_lshrrev_b16 v28, 8, v6
	s_and_b32 s7, s18, exec_lo
.LBB123_301:                            ;   in Loop: Header=BB123_12 Depth=1
	s_or_b32 exec_lo, exec_lo, s8
	s_mov_b32 s19, 0
	s_mov_b32 s18, -1
	s_mov_b32 s23, 0
.LBB123_302:                            ;   in Loop: Header=BB123_12 Depth=1
	s_or_not1_b32 s7, s7, exec_lo
.LBB123_303:                            ;   in Loop: Header=BB123_12 Depth=1
	s_or_b32 exec_lo, exec_lo, s60
                                        ; implicit-def: $vgpr6
                                        ; implicit-def: $vgpr2_vgpr3
                                        ; implicit-def: $vgpr8
                                        ; implicit-def: $vgpr9
                                        ; implicit-def: $vgpr18
	s_and_saveexec_b32 s60, s7
	s_cbranch_execz .LBB123_460
; %bb.304:                              ;   in Loop: Header=BB123_12 Depth=1
	v_mov_b32_e32 v2, 1
	v_dual_mov_b32 v3, 0 :: v_dual_mov_b32 v6, 1
	s_xor_b32 s8, s64, -1
	s_mov_b32 s26, 0
	s_and_saveexec_b32 s7, s8
	s_cbranch_execz .LBB123_314
; %bb.305:                              ;   in Loop: Header=BB123_12 Depth=1
	s_mov_b32 s9, exec_lo
                                        ; implicit-def: $sgpr26
                                        ; implicit-def: $sgpr8
	v_cmpx_ge_u64_e64 s[16:17], v[16:17]
	s_xor_b32 s9, exec_lo, s9
	s_cbranch_execz .LBB123_311
; %bb.306:                              ;   in Loop: Header=BB123_12 Depth=1
	ds_load_b64 v[2:3], v13 offset:5120
	s_waitcnt lgkmcnt(0)
	v_cmp_ne_u64_e32 vcc_lo, 0, v[2:3]
	s_cbranch_vccnz .LBB123_310
; %bb.307:                              ;   in Loop: Header=BB123_12 Depth=1
	s_and_saveexec_b32 s8, s5
	s_cbranch_execz .LBB123_309
; %bb.308:                              ;   in Loop: Header=BB123_12 Depth=1
	v_dual_mov_b32 v2, s16 :: v_dual_mov_b32 v3, s17
	ds_store_b64 v13, v[2:3] offset:5128
.LBB123_309:                            ;   in Loop: Header=BB123_12 Depth=1
	s_or_b32 exec_lo, exec_lo, s8
	s_waitcnt lgkmcnt(0)
	s_barrier
	buffer_gl0_inv
.LBB123_310:                            ;   in Loop: Header=BB123_12 Depth=1
	v_or_b32_e32 v27, s20, v27
	v_or_b32_e32 v26, s20, v26
	s_mov_b32 s8, 0
	s_mov_b32 s26, 5
.LBB123_311:                            ;   in Loop: Header=BB123_12 Depth=1
	s_or_saveexec_b32 s9, s9
	v_mov_b32_e32 v6, s26
	s_xor_b32 exec_lo, exec_lo, s9
; %bb.312:                              ;   in Loop: Header=BB123_12 Depth=1
	v_sub_co_u32 v16, vcc_lo, v16, s16
	v_subrev_co_ci_u32_e32 v17, vcc_lo, s17, v17, vcc_lo
	v_mov_b32_e32 v6, 0
	s_or_b32 s8, s8, exec_lo
; %bb.313:                              ;   in Loop: Header=BB123_12 Depth=1
	s_or_b32 exec_lo, exec_lo, s9
	s_delay_alu instid0(VALU_DEP_2)
	v_dual_mov_b32 v2, v16 :: v_dual_mov_b32 v3, v17
	s_and_b32 s26, s8, exec_lo
.LBB123_314:                            ;   in Loop: Header=BB123_12 Depth=1
	s_or_b32 exec_lo, exec_lo, s7
	s_mov_b32 s17, -1
                                        ; implicit-def: $sgpr8
                                        ; implicit-def: $sgpr9
                                        ; implicit-def: $sgpr16
	s_and_saveexec_b32 s7, s26
	s_delay_alu instid0(SALU_CYCLE_1)
	s_xor_b32 s64, exec_lo, s7
	s_cbranch_execz .LBB123_457
; %bb.315:                              ;   in Loop: Header=BB123_12 Depth=1
	v_cmp_eq_u64_e32 vcc_lo, 1, v[2:3]
	s_cmp_eq_u64 s[14:15], 1
                                        ; implicit-def: $sgpr16
                                        ; implicit-def: $sgpr17
                                        ; implicit-def: $sgpr65
	s_cselect_b32 s7, -1, 0
	s_delay_alu instid0(SALU_CYCLE_1)
	s_and_b32 s67, s7, vcc_lo
	s_mov_b32 s7, -1
	s_and_saveexec_b32 s66, s67
	s_cbranch_execz .LBB123_347
; %bb.316:                              ;   in Loop: Header=BB123_12 Depth=1
	ds_load_b64 v[4:5], v13 offset:5120
	s_waitcnt lgkmcnt(0)
	s_barrier
	buffer_gl0_inv
	v_readfirstlane_b32 s8, v4
	v_readfirstlane_b32 s9, v5
	s_and_saveexec_b32 s7, s6
	s_cbranch_execz .LBB123_318
; %bb.317:                              ;   in Loop: Header=BB123_12 Depth=1
	ds_store_b8 v0, v13 offset:3072
.LBB123_318:                            ;   in Loop: Header=BB123_12 Depth=1
	s_or_b32 exec_lo, exec_lo, s7
	s_lshl_b32 s7, 2, s22
	v_or_b32_e32 v26, s20, v26
	v_and_or_b32 v27, v27, s21, s7
	s_cmp_eq_u64 s[8:9], 0
	s_waitcnt lgkmcnt(0)
	s_barrier
	buffer_gl0_inv
	s_cbranch_scc1 .LBB123_331
; %bb.319:                              ;   in Loop: Header=BB123_12 Depth=1
	s_add_u32 s26, s74, s8
	s_addc_u32 s17, s75, s9
	s_mov_b32 s16, s61
	s_delay_alu instid0(SALU_CYCLE_1)
	s_cmp_lg_u64 s[16:17], 0
	s_cbranch_scc0 .LBB123_373
; %bb.320:                              ;   in Loop: Header=BB123_12 Depth=1
	v_cvt_f32_u32_e32 v4, s33
	s_sub_u32 s65, 0, s33
	s_subb_u32 s68, 0, 0
	s_delay_alu instid0(VALU_DEP_1) | instskip(NEXT) | instid1(VALU_DEP_1)
	v_fmac_f32_e64 v4, 0, 0x4f800000
	v_rcp_f32_e32 v4, v4
	s_waitcnt_depctr 0xfff
	v_mul_f32_e32 v4, 0x5f7ffffc, v4
	s_delay_alu instid0(VALU_DEP_1) | instskip(NEXT) | instid1(VALU_DEP_1)
	v_mul_f32_e32 v5, 0x2f800000, v4
	v_trunc_f32_e32 v5, v5
	s_delay_alu instid0(VALU_DEP_1) | instskip(SKIP_1) | instid1(VALU_DEP_2)
	v_fmac_f32_e32 v4, 0xcf800000, v5
	v_cvt_u32_f32_e32 v5, v5
	v_cvt_u32_f32_e32 v4, v4
	s_delay_alu instid0(VALU_DEP_2) | instskip(NEXT) | instid1(VALU_DEP_2)
	v_readfirstlane_b32 s7, v5
	v_readfirstlane_b32 s16, v4
	s_delay_alu instid0(VALU_DEP_2) | instskip(NEXT) | instid1(VALU_DEP_1)
	s_mul_i32 s69, s65, s7
	s_mul_hi_u32 s71, s65, s16
	s_mul_i32 s70, s68, s16
	s_add_i32 s69, s71, s69
	s_mul_i32 s72, s65, s16
	s_add_i32 s69, s69, s70
	s_mul_hi_u32 s71, s16, s72
	s_mul_hi_u32 s73, s7, s72
	s_mul_i32 s70, s7, s72
	s_mul_hi_u32 s72, s16, s69
	s_mul_i32 s16, s16, s69
	s_mul_hi_u32 s95, s7, s69
	s_add_u32 s16, s71, s16
	s_addc_u32 s71, 0, s72
	s_add_u32 s16, s16, s70
	s_mul_i32 s69, s7, s69
	s_addc_u32 s16, s71, s73
	s_addc_u32 s70, s95, 0
	s_add_u32 s16, s16, s69
	s_addc_u32 s69, 0, s70
	v_add_co_u32 v4, s16, v4, s16
	s_delay_alu instid0(VALU_DEP_1) | instskip(SKIP_1) | instid1(VALU_DEP_1)
	s_cmp_lg_u32 s16, 0
	s_addc_u32 s7, s7, s69
	v_readfirstlane_b32 s16, v4
	s_mul_i32 s69, s65, s7
	s_delay_alu instid0(VALU_DEP_1)
	s_mul_hi_u32 s70, s65, s16
	s_mul_i32 s68, s68, s16
	s_add_i32 s69, s70, s69
	s_mul_i32 s65, s65, s16
	s_add_i32 s69, s69, s68
	s_mul_hi_u32 s70, s7, s65
	s_mul_i32 s71, s7, s65
	s_mul_hi_u32 s65, s16, s65
	s_mul_hi_u32 s72, s16, s69
	s_mul_i32 s16, s16, s69
	s_mul_hi_u32 s68, s7, s69
	s_add_u32 s16, s65, s16
	s_addc_u32 s65, 0, s72
	s_add_u32 s16, s16, s71
	s_mul_i32 s69, s7, s69
	s_addc_u32 s16, s65, s70
	s_addc_u32 s65, s68, 0
	s_add_u32 s16, s16, s69
	s_addc_u32 s65, 0, s65
	v_add_co_u32 v4, s16, v4, s16
	s_delay_alu instid0(VALU_DEP_1) | instskip(SKIP_1) | instid1(VALU_DEP_1)
	s_cmp_lg_u32 s16, 0
	s_addc_u32 s7, s7, s65
	v_readfirstlane_b32 s16, v4
	s_mul_i32 s68, s26, s7
	s_mul_hi_u32 s65, s26, s7
	s_mul_hi_u32 s69, s17, s7
	s_mul_i32 s7, s17, s7
	s_mul_hi_u32 s70, s26, s16
	s_mul_hi_u32 s71, s17, s16
	s_mul_i32 s16, s17, s16
	s_add_u32 s68, s70, s68
	s_addc_u32 s65, 0, s65
	s_add_u32 s16, s68, s16
	s_addc_u32 s16, s65, s71
	s_addc_u32 s65, s69, 0
	s_add_u32 s7, s16, s7
	s_addc_u32 s16, 0, s65
	s_mul_hi_u32 s65, s33, s7
	s_mul_i32 s7, s33, s7
	s_mul_i32 s16, s33, s16
	v_sub_co_u32 v4, s7, s26, s7
	s_add_i32 s65, s65, s16
	s_cmp_lg_u32 s7, 0
	s_delay_alu instid0(VALU_DEP_1) | instskip(SKIP_2) | instid1(VALU_DEP_1)
	v_sub_co_u32 v5, s7, v4, s33
	s_subb_u32 s16, s17, s65
	s_cmp_lg_u32 s7, 0
	v_cmp_le_u32_e32 vcc_lo, s33, v5
	v_sub_co_u32 v6, s7, v5, s33
	s_subb_u32 s65, s16, 0
	s_cmp_lg_u32 s7, 0
	v_cndmask_b32_e64 v7, 0, -1, vcc_lo
	s_subb_u32 s7, s65, 0
	s_cmp_eq_u32 s65, 0
	v_mov_b32_e32 v9, s7
	s_cselect_b32 vcc_lo, -1, 0
	s_cmp_eq_u32 s16, 0
	v_cndmask_b32_e32 v7, -1, v7, vcc_lo
	v_cmp_le_u32_e32 vcc_lo, s33, v4
	s_cselect_b32 s7, -1, 0
	v_cndmask_b32_e64 v8, 0, -1, vcc_lo
	s_delay_alu instid0(VALU_DEP_3) | instskip(NEXT) | instid1(VALU_DEP_2)
	v_cmp_ne_u32_e32 vcc_lo, 0, v7
	v_cndmask_b32_e64 v7, -1, v8, s7
	v_cndmask_b32_e32 v8, s65, v9, vcc_lo
	v_cndmask_b32_e32 v6, v5, v6, vcc_lo
	s_delay_alu instid0(VALU_DEP_3) | instskip(NEXT) | instid1(VALU_DEP_3)
	v_cmp_ne_u32_e32 vcc_lo, 0, v7
	v_cndmask_b32_e32 v5, s16, v8, vcc_lo
	s_delay_alu instid0(VALU_DEP_3)
	v_cndmask_b32_e32 v4, v4, v6, vcc_lo
	s_cbranch_execnz .LBB123_322
.LBB123_321:                            ;   in Loop: Header=BB123_12 Depth=1
	v_cvt_f32_u32_e32 v4, s33
	s_sub_i32 s7, 0, s33
	s_delay_alu instid0(VALU_DEP_1) | instskip(SKIP_2) | instid1(VALU_DEP_1)
	v_rcp_iflag_f32_e32 v4, v4
	s_waitcnt_depctr 0xfff
	v_mul_f32_e32 v4, 0x4f7ffffe, v4
	v_cvt_u32_f32_e32 v4, v4
	s_delay_alu instid0(VALU_DEP_1) | instskip(NEXT) | instid1(VALU_DEP_1)
	v_mul_lo_u32 v5, s7, v4
	v_mul_hi_u32 v5, v4, v5
	s_delay_alu instid0(VALU_DEP_1) | instskip(NEXT) | instid1(VALU_DEP_1)
	v_add_nc_u32_e32 v4, v4, v5
	v_mul_hi_u32 v4, s26, v4
	s_delay_alu instid0(VALU_DEP_1) | instskip(NEXT) | instid1(VALU_DEP_1)
	v_mul_lo_u32 v4, v4, s33
	v_sub_nc_u32_e32 v4, s26, v4
	s_delay_alu instid0(VALU_DEP_1) | instskip(SKIP_1) | instid1(VALU_DEP_2)
	v_subrev_nc_u32_e32 v5, s33, v4
	v_cmp_le_u32_e32 vcc_lo, s33, v4
	v_cndmask_b32_e32 v4, v4, v5, vcc_lo
	s_delay_alu instid0(VALU_DEP_1) | instskip(SKIP_1) | instid1(VALU_DEP_2)
	v_subrev_nc_u32_e32 v5, s33, v4
	v_cmp_le_u32_e32 vcc_lo, s33, v4
	v_cndmask_b32_e32 v12, v4, v5, vcc_lo
	s_delay_alu instid0(VALU_DEP_1)
	v_dual_mov_b32 v4, v12 :: v_dual_mov_b32 v5, v13
.LBB123_322:                            ;   in Loop: Header=BB123_12 Depth=1
	s_delay_alu instid0(VALU_DEP_1) | instskip(NEXT) | instid1(VALU_DEP_2)
	v_sub_co_u32 v4, vcc_lo, s26, v4
	v_sub_co_ci_u32_e32 v5, vcc_lo, s17, v5, vcc_lo
	s_mov_b32 s7, 0
	s_mov_b32 s16, exec_lo
                                        ; implicit-def: $vgpr28
	s_delay_alu instid0(VALU_DEP_1)
	v_cmpx_gt_u64_e64 v[4:5], v[0:1]
	s_cbranch_execz .LBB123_333
; %bb.323:                              ;   in Loop: Header=BB123_12 Depth=1
	v_dual_mov_b32 v8, v0 :: v_dual_mov_b32 v7, v1
	v_mov_b32_e32 v6, v0
	s_mov_b32 s17, 0
                                        ; implicit-def: $sgpr26
	s_set_inst_prefetch_distance 0x1
	s_branch .LBB123_325
	.p2align	6
.LBB123_324:                            ;   in Loop: Header=BB123_325 Depth=2
	s_or_b32 exec_lo, exec_lo, s7
	s_waitcnt lgkmcnt(0)
	s_barrier
	buffer_gl0_inv
	ds_load_u16 v9, v13 offset:3072
	v_add_co_u32 v6, vcc_lo, v6, s33
	v_add_co_ci_u32_e32 v7, vcc_lo, 0, v7, vcc_lo
	v_add_nc_u32_e32 v8, s33, v8
	s_waitcnt lgkmcnt(0)
	s_barrier
	s_delay_alu instid0(VALU_DEP_2) | instskip(SKIP_2) | instid1(VALU_DEP_1)
	v_cmp_ge_u64_e32 vcc_lo, v[6:7], v[4:5]
	buffer_gl0_inv
	v_and_b32_e32 v12, 0xff, v9
	v_cmp_ne_u16_e64 s7, 0, v12
	s_delay_alu instid0(VALU_DEP_1) | instskip(NEXT) | instid1(SALU_CYCLE_1)
	s_or_b32 s65, vcc_lo, s7
	s_and_b32 s65, exec_lo, s65
	s_delay_alu instid0(SALU_CYCLE_1) | instskip(SKIP_2) | instid1(SALU_CYCLE_1)
	s_or_b32 s17, s65, s17
	s_and_not1_b32 s26, s26, exec_lo
	s_and_b32 s7, s7, exec_lo
	s_or_b32 s26, s26, s7
	s_and_not1_b32 exec_lo, exec_lo, s17
	s_cbranch_execz .LBB123_332
.LBB123_325:                            ;   Parent Loop BB123_12 Depth=1
                                        ; =>  This Inner Loop Header: Depth=2
	s_delay_alu instid0(VALU_DEP_1)
	v_cmp_gt_u64_e32 vcc_lo, s[8:9], v[6:7]
	v_mov_b32_e32 v9, 0
	s_and_saveexec_b32 s7, vcc_lo
	s_cbranch_execz .LBB123_327
; %bb.326:                              ;   in Loop: Header=BB123_325 Depth=2
	ds_load_u8 v9, v8
.LBB123_327:                            ;   in Loop: Header=BB123_325 Depth=2
	s_or_b32 exec_lo, exec_lo, s7
	s_waitcnt lgkmcnt(0)
	v_and_b32_e32 v12, v9, v26
	s_delay_alu instid0(VALU_DEP_1) | instskip(NEXT) | instid1(VALU_DEP_1)
	v_and_b32_e32 v12, 0xff, v12
	v_cmp_eq_u32_e64 s7, v12, v27
	s_delay_alu instid0(VALU_DEP_1) | instskip(NEXT) | instid1(SALU_CYCLE_1)
	s_and_b32 s65, vcc_lo, s7
	s_and_saveexec_b32 s7, s65
	s_cbranch_execz .LBB123_324
; %bb.328:                              ;   in Loop: Header=BB123_325 Depth=2
	v_lshlrev_b16 v9, 8, v9
	s_delay_alu instid0(VALU_DEP_1)
	v_or_b32_e32 v9, 1, v9
	ds_store_b16 v13, v9 offset:3072
	s_branch .LBB123_324
.LBB123_329:                            ;   in Loop: Header=BB123_12 Depth=1
                                        ; implicit-def: $vgpr2_vgpr3
	s_branch .LBB123_279
.LBB123_330:                            ;   in Loop: Header=BB123_12 Depth=1
                                        ; implicit-def: $vgpr2_vgpr3
	s_branch .LBB123_292
.LBB123_331:                            ;   in Loop: Header=BB123_12 Depth=1
	s_mov_b32 s16, -1
	s_mov_b32 s7, 0
                                        ; implicit-def: $sgpr17
                                        ; implicit-def: $vgpr28
	s_mov_b32 s65, s16
	s_cbranch_execnz .LBB123_334
	s_branch .LBB123_346
.LBB123_332:                            ;   in Loop: Header=BB123_12 Depth=1
	s_set_inst_prefetch_distance 0x2
	s_or_b32 exec_lo, exec_lo, s17
	v_lshrrev_b16 v28, 8, v9
	s_and_b32 s7, s26, exec_lo
.LBB123_333:                            ;   in Loop: Header=BB123_12 Depth=1
	s_or_b32 exec_lo, exec_lo, s16
	s_mov_b32 s16, 0
	s_mov_b32 s17, -1
	s_mov_b32 s65, s16
	s_branch .LBB123_346
.LBB123_334:                            ;   in Loop: Header=BB123_12 Depth=1
	s_mov_b32 s26, s61
	s_delay_alu instid0(SALU_CYCLE_1)
	s_cmp_lg_u64 s[26:27], 0
	s_cbranch_scc0 .LBB123_374
; %bb.335:                              ;   in Loop: Header=BB123_12 Depth=1
	v_cvt_f32_u32_e32 v4, s33
	s_sub_u32 s9, 0, s33
	s_subb_u32 s16, 0, 0
	s_delay_alu instid0(VALU_DEP_1) | instskip(NEXT) | instid1(VALU_DEP_1)
	v_fmac_f32_e64 v4, 0, 0x4f800000
	v_rcp_f32_e32 v4, v4
	s_waitcnt_depctr 0xfff
	v_mul_f32_e32 v4, 0x5f7ffffc, v4
	s_delay_alu instid0(VALU_DEP_1) | instskip(NEXT) | instid1(VALU_DEP_1)
	v_mul_f32_e32 v5, 0x2f800000, v4
	v_trunc_f32_e32 v5, v5
	s_delay_alu instid0(VALU_DEP_1) | instskip(SKIP_1) | instid1(VALU_DEP_2)
	v_fmac_f32_e32 v4, 0xcf800000, v5
	v_cvt_u32_f32_e32 v5, v5
	v_cvt_u32_f32_e32 v4, v4
	s_delay_alu instid0(VALU_DEP_2) | instskip(NEXT) | instid1(VALU_DEP_2)
	v_readfirstlane_b32 s7, v5
	v_readfirstlane_b32 s8, v4
	s_delay_alu instid0(VALU_DEP_2) | instskip(NEXT) | instid1(VALU_DEP_1)
	s_mul_i32 s17, s9, s7
	s_mul_hi_u32 s65, s9, s8
	s_mul_i32 s26, s16, s8
	s_add_i32 s17, s65, s17
	s_mul_i32 s68, s9, s8
	s_add_i32 s17, s17, s26
	s_mul_hi_u32 s65, s8, s68
	s_mul_hi_u32 s69, s7, s68
	s_mul_i32 s26, s7, s68
	s_mul_hi_u32 s68, s8, s17
	s_mul_i32 s8, s8, s17
	s_mul_hi_u32 s70, s7, s17
	s_add_u32 s8, s65, s8
	s_addc_u32 s65, 0, s68
	s_add_u32 s8, s8, s26
	s_mul_i32 s17, s7, s17
	s_addc_u32 s8, s65, s69
	s_addc_u32 s26, s70, 0
	s_add_u32 s8, s8, s17
	s_addc_u32 s17, 0, s26
	v_add_co_u32 v4, s8, v4, s8
	s_delay_alu instid0(VALU_DEP_1) | instskip(SKIP_1) | instid1(VALU_DEP_1)
	s_cmp_lg_u32 s8, 0
	s_addc_u32 s7, s7, s17
	v_readfirstlane_b32 s8, v4
	s_mul_i32 s17, s9, s7
	s_delay_alu instid0(VALU_DEP_1)
	s_mul_hi_u32 s26, s9, s8
	s_mul_i32 s16, s16, s8
	s_add_i32 s17, s26, s17
	s_mul_i32 s9, s9, s8
	s_add_i32 s17, s17, s16
	s_mul_hi_u32 s26, s7, s9
	s_mul_i32 s65, s7, s9
	s_mul_hi_u32 s9, s8, s9
	s_mul_hi_u32 s68, s8, s17
	s_mul_i32 s8, s8, s17
	s_mul_hi_u32 s16, s7, s17
	s_add_u32 s8, s9, s8
	s_addc_u32 s9, 0, s68
	s_add_u32 s8, s8, s65
	s_mul_i32 s17, s7, s17
	s_addc_u32 s8, s9, s26
	s_addc_u32 s9, s16, 0
	s_add_u32 s8, s8, s17
	s_addc_u32 s9, 0, s9
	v_add_co_u32 v4, s8, v4, s8
	s_delay_alu instid0(VALU_DEP_1) | instskip(SKIP_1) | instid1(VALU_DEP_1)
	s_cmp_lg_u32 s8, 0
	s_addc_u32 s7, s7, s9
	v_readfirstlane_b32 s8, v4
	s_mul_i32 s16, s76, s7
	s_mul_hi_u32 s9, s76, s7
	s_mul_hi_u32 s17, s27, s7
	s_mul_i32 s7, s27, s7
	s_mul_hi_u32 s26, s76, s8
	s_mul_hi_u32 s65, s27, s8
	s_mul_i32 s8, s27, s8
	s_add_u32 s16, s26, s16
	s_addc_u32 s9, 0, s9
	s_add_u32 s8, s16, s8
	s_addc_u32 s8, s9, s65
	s_addc_u32 s9, s17, 0
	s_add_u32 s7, s8, s7
	s_addc_u32 s8, 0, s9
	s_mul_hi_u32 s9, s33, s7
	s_mul_i32 s7, s33, s7
	s_mul_i32 s8, s33, s8
	v_sub_co_u32 v4, s7, s76, s7
	s_add_i32 s9, s9, s8
	s_cmp_lg_u32 s7, 0
	s_delay_alu instid0(VALU_DEP_1) | instskip(SKIP_2) | instid1(VALU_DEP_1)
	v_sub_co_u32 v5, s7, v4, s33
	s_subb_u32 s8, s27, s9
	s_cmp_lg_u32 s7, 0
	v_cmp_le_u32_e32 vcc_lo, s33, v5
	v_sub_co_u32 v6, s7, v5, s33
	s_subb_u32 s9, s8, 0
	s_cmp_lg_u32 s7, 0
	v_cndmask_b32_e64 v7, 0, -1, vcc_lo
	s_subb_u32 s7, s9, 0
	s_cmp_eq_u32 s9, 0
	v_mov_b32_e32 v9, s7
	s_cselect_b32 vcc_lo, -1, 0
	s_cmp_eq_u32 s8, 0
	v_cndmask_b32_e32 v7, -1, v7, vcc_lo
	v_cmp_le_u32_e32 vcc_lo, s33, v4
	s_cselect_b32 s7, -1, 0
	v_cndmask_b32_e64 v8, 0, -1, vcc_lo
	s_delay_alu instid0(VALU_DEP_3) | instskip(NEXT) | instid1(VALU_DEP_2)
	v_cmp_ne_u32_e32 vcc_lo, 0, v7
	v_cndmask_b32_e64 v7, -1, v8, s7
	v_cndmask_b32_e32 v8, s9, v9, vcc_lo
	v_cndmask_b32_e32 v6, v5, v6, vcc_lo
	s_delay_alu instid0(VALU_DEP_3) | instskip(NEXT) | instid1(VALU_DEP_3)
	v_cmp_ne_u32_e32 vcc_lo, 0, v7
	v_cndmask_b32_e32 v5, s8, v8, vcc_lo
	s_delay_alu instid0(VALU_DEP_3)
	v_cndmask_b32_e32 v4, v4, v6, vcc_lo
	s_cbranch_execnz .LBB123_337
.LBB123_336:                            ;   in Loop: Header=BB123_12 Depth=1
	v_cvt_f32_u32_e32 v4, s33
	s_sub_i32 s7, 0, s33
	s_delay_alu instid0(VALU_DEP_1) | instskip(SKIP_2) | instid1(VALU_DEP_1)
	v_rcp_iflag_f32_e32 v4, v4
	s_waitcnt_depctr 0xfff
	v_mul_f32_e32 v4, 0x4f7ffffe, v4
	v_cvt_u32_f32_e32 v4, v4
	s_delay_alu instid0(VALU_DEP_1) | instskip(NEXT) | instid1(VALU_DEP_1)
	v_mul_lo_u32 v5, s7, v4
	v_mul_hi_u32 v5, v4, v5
	s_delay_alu instid0(VALU_DEP_1) | instskip(NEXT) | instid1(VALU_DEP_1)
	v_add_nc_u32_e32 v4, v4, v5
	v_mul_hi_u32 v4, s76, v4
	s_delay_alu instid0(VALU_DEP_1) | instskip(NEXT) | instid1(VALU_DEP_1)
	v_mul_lo_u32 v4, v4, s33
	v_sub_nc_u32_e32 v4, s76, v4
	s_delay_alu instid0(VALU_DEP_1) | instskip(SKIP_1) | instid1(VALU_DEP_2)
	v_subrev_nc_u32_e32 v5, s33, v4
	v_cmp_le_u32_e32 vcc_lo, s33, v4
	v_cndmask_b32_e32 v4, v4, v5, vcc_lo
	s_delay_alu instid0(VALU_DEP_1) | instskip(SKIP_1) | instid1(VALU_DEP_2)
	v_subrev_nc_u32_e32 v5, s33, v4
	v_cmp_le_u32_e32 vcc_lo, s33, v4
	v_cndmask_b32_e32 v12, v4, v5, vcc_lo
	s_delay_alu instid0(VALU_DEP_1)
	v_dual_mov_b32 v4, v12 :: v_dual_mov_b32 v5, v13
.LBB123_337:                            ;   in Loop: Header=BB123_12 Depth=1
	s_delay_alu instid0(VALU_DEP_1) | instskip(NEXT) | instid1(VALU_DEP_2)
	v_sub_co_u32 v4, vcc_lo, s76, v4
	v_sub_co_ci_u32_e32 v5, vcc_lo, s27, v5, vcc_lo
	s_mov_b32 s7, 0
	s_mov_b32 s8, exec_lo
                                        ; implicit-def: $vgpr28
	s_delay_alu instid0(VALU_DEP_1)
	v_cmpx_gt_u64_e64 v[4:5], v[0:1]
	s_cbranch_execz .LBB123_345
; %bb.338:                              ;   in Loop: Header=BB123_12 Depth=1
	v_dual_mov_b32 v7, v1 :: v_dual_mov_b32 v6, v0
	s_mov_b32 s9, 0
                                        ; implicit-def: $sgpr16
	s_branch .LBB123_340
.LBB123_339:                            ;   in Loop: Header=BB123_340 Depth=2
	s_or_b32 exec_lo, exec_lo, s7
	s_waitcnt lgkmcnt(0)
	s_barrier
	buffer_gl0_inv
	ds_load_u16 v8, v13 offset:3072
	v_add_co_u32 v6, vcc_lo, v6, s33
	v_add_co_ci_u32_e32 v7, vcc_lo, 0, v7, vcc_lo
	s_waitcnt lgkmcnt(0)
	s_barrier
	buffer_gl0_inv
	v_cmp_ge_u64_e32 vcc_lo, v[6:7], v[4:5]
	v_and_b32_e32 v9, 0xff, v8
	s_delay_alu instid0(VALU_DEP_1) | instskip(NEXT) | instid1(VALU_DEP_1)
	v_cmp_ne_u16_e64 s7, 0, v9
	s_or_b32 s17, vcc_lo, s7
	s_delay_alu instid0(SALU_CYCLE_1) | instskip(NEXT) | instid1(SALU_CYCLE_1)
	s_and_b32 s17, exec_lo, s17
	s_or_b32 s9, s17, s9
	s_and_not1_b32 s16, s16, exec_lo
	s_and_b32 s7, s7, exec_lo
	s_delay_alu instid0(SALU_CYCLE_1)
	s_or_b32 s16, s16, s7
	s_and_not1_b32 exec_lo, exec_lo, s9
	s_cbranch_execz .LBB123_344
.LBB123_340:                            ;   Parent Loop BB123_12 Depth=1
                                        ; =>  This Inner Loop Header: Depth=2
	s_delay_alu instid0(VALU_DEP_1)
	v_cmp_gt_u64_e32 vcc_lo, s[36:37], v[6:7]
	v_mov_b32_e32 v8, 0
	s_and_saveexec_b32 s7, vcc_lo
	s_cbranch_execz .LBB123_342
; %bb.341:                              ;   in Loop: Header=BB123_340 Depth=2
	v_mad_u64_u32 v[8:9], null, v6, s30, s[28:29]
	v_mul_lo_u32 v12, v6, s31
	v_mul_lo_u32 v16, v7, s30
	s_delay_alu instid0(VALU_DEP_1)
	v_add3_u32 v9, v16, v9, v12
	global_load_u8 v8, v[8:9], off
.LBB123_342:                            ;   in Loop: Header=BB123_340 Depth=2
	s_or_b32 exec_lo, exec_lo, s7
	s_waitcnt vmcnt(0)
	v_and_b32_e32 v9, v8, v26
	s_delay_alu instid0(VALU_DEP_1) | instskip(NEXT) | instid1(VALU_DEP_1)
	v_and_b32_e32 v9, 0xff, v9
	v_cmp_eq_u32_e64 s7, v9, v27
	s_delay_alu instid0(VALU_DEP_1) | instskip(NEXT) | instid1(SALU_CYCLE_1)
	s_and_b32 s17, vcc_lo, s7
	s_and_saveexec_b32 s7, s17
	s_cbranch_execz .LBB123_339
; %bb.343:                              ;   in Loop: Header=BB123_340 Depth=2
	v_lshlrev_b16 v8, 8, v8
	s_delay_alu instid0(VALU_DEP_1)
	v_or_b32_e32 v8, 1, v8
	ds_store_b16 v13, v8 offset:3072
	s_branch .LBB123_339
.LBB123_344:                            ;   in Loop: Header=BB123_12 Depth=1
	s_or_b32 exec_lo, exec_lo, s9
	v_lshrrev_b16 v28, 8, v8
	s_and_b32 s7, s16, exec_lo
.LBB123_345:                            ;   in Loop: Header=BB123_12 Depth=1
	s_or_b32 exec_lo, exec_lo, s8
	s_mov_b32 s17, 0
	s_mov_b32 s16, -1
	s_mov_b32 s65, 0
.LBB123_346:                            ;   in Loop: Header=BB123_12 Depth=1
	s_or_not1_b32 s7, s7, exec_lo
.LBB123_347:                            ;   in Loop: Header=BB123_12 Depth=1
	s_or_b32 exec_lo, exec_lo, s66
	s_mov_b32 s26, 0
                                        ; implicit-def: $vgpr6
	s_and_saveexec_b32 s66, s7
	s_cbranch_execz .LBB123_456
; %bb.348:                              ;   in Loop: Header=BB123_12 Depth=1
	v_mov_b32_e32 v4, 1
	v_dual_mov_b32 v5, 0 :: v_dual_mov_b32 v6, 1
	s_xor_b32 s8, s67, -1
	s_delay_alu instid0(SALU_CYCLE_1)
	s_and_saveexec_b32 s7, s8
	s_cbranch_execz .LBB123_358
; %bb.349:                              ;   in Loop: Header=BB123_12 Depth=1
	s_mov_b32 s9, exec_lo
                                        ; implicit-def: $sgpr26
                                        ; implicit-def: $sgpr8
	v_cmpx_ge_u64_e64 s[14:15], v[2:3]
	s_xor_b32 s9, exec_lo, s9
	s_cbranch_execz .LBB123_355
; %bb.350:                              ;   in Loop: Header=BB123_12 Depth=1
	ds_load_b64 v[4:5], v13 offset:5120
	s_waitcnt lgkmcnt(0)
	v_cmp_ne_u64_e32 vcc_lo, 0, v[4:5]
	s_cbranch_vccnz .LBB123_354
; %bb.351:                              ;   in Loop: Header=BB123_12 Depth=1
	s_and_saveexec_b32 s8, s5
	s_cbranch_execz .LBB123_353
; %bb.352:                              ;   in Loop: Header=BB123_12 Depth=1
	v_dual_mov_b32 v4, s14 :: v_dual_mov_b32 v5, s15
	ds_store_b64 v13, v[4:5] offset:5128
.LBB123_353:                            ;   in Loop: Header=BB123_12 Depth=1
	s_or_b32 exec_lo, exec_lo, s8
	s_waitcnt lgkmcnt(0)
	s_barrier
	buffer_gl0_inv
.LBB123_354:                            ;   in Loop: Header=BB123_12 Depth=1
	s_lshl_b32 s8, 2, s22
	v_or_b32_e32 v26, s20, v26
	v_and_or_b32 v27, v27, s21, s8
	s_mov_b32 s8, 0
	s_mov_b32 s26, 5
.LBB123_355:                            ;   in Loop: Header=BB123_12 Depth=1
	s_or_saveexec_b32 s9, s9
	v_mov_b32_e32 v6, s26
	s_xor_b32 exec_lo, exec_lo, s9
; %bb.356:                              ;   in Loop: Header=BB123_12 Depth=1
	v_sub_co_u32 v2, vcc_lo, v2, s14
	v_subrev_co_ci_u32_e32 v3, vcc_lo, s15, v3, vcc_lo
	v_mov_b32_e32 v6, 0
	s_or_b32 s8, s8, exec_lo
; %bb.357:                              ;   in Loop: Header=BB123_12 Depth=1
	s_or_b32 exec_lo, exec_lo, s9
	s_delay_alu instid0(VALU_DEP_2)
	v_dual_mov_b32 v5, v3 :: v_dual_mov_b32 v4, v2
	s_and_b32 s26, s8, exec_lo
.LBB123_358:                            ;   in Loop: Header=BB123_12 Depth=1
	s_or_b32 exec_lo, exec_lo, s7
	s_mov_b32 s7, -1
                                        ; implicit-def: $sgpr8
                                        ; implicit-def: $sgpr9
                                        ; implicit-def: $sgpr14
	s_and_saveexec_b32 s67, s26
	s_cbranch_execz .LBB123_455
; %bb.359:                              ;   in Loop: Header=BB123_12 Depth=1
	v_cmp_eq_u64_e32 vcc_lo, 1, v[4:5]
	s_cmp_eq_u64 s[12:13], 1
                                        ; implicit-def: $sgpr14
                                        ; implicit-def: $sgpr15
                                        ; implicit-def: $sgpr68
	s_cselect_b32 s7, -1, 0
	s_delay_alu instid0(SALU_CYCLE_1)
	s_and_b32 s70, s7, vcc_lo
	s_mov_b32 s7, -1
	s_and_saveexec_b32 s69, s70
	s_cbranch_execz .LBB123_391
; %bb.360:                              ;   in Loop: Header=BB123_12 Depth=1
	ds_load_b64 v[2:3], v13 offset:5120
	s_waitcnt lgkmcnt(0)
	s_barrier
	buffer_gl0_inv
	v_readfirstlane_b32 s8, v2
	v_readfirstlane_b32 s9, v3
	s_and_saveexec_b32 s7, s6
	s_cbranch_execz .LBB123_362
; %bb.361:                              ;   in Loop: Header=BB123_12 Depth=1
	ds_store_b8 v0, v13 offset:3072
.LBB123_362:                            ;   in Loop: Header=BB123_12 Depth=1
	s_or_b32 exec_lo, exec_lo, s7
	s_lshl_b32 s7, 1, s22
	v_or_b32_e32 v26, s20, v26
	v_and_or_b32 v27, v27, s21, s7
	s_cmp_eq_u64 s[8:9], 0
	s_waitcnt lgkmcnt(0)
	s_barrier
	buffer_gl0_inv
	s_cbranch_scc1 .LBB123_375
; %bb.363:                              ;   in Loop: Header=BB123_12 Depth=1
	s_add_u32 s26, s74, s8
	s_addc_u32 s15, s75, s9
	s_mov_b32 s14, s61
	s_delay_alu instid0(SALU_CYCLE_1)
	s_cmp_lg_u64 s[14:15], 0
	s_cbranch_scc0 .LBB123_409
; %bb.364:                              ;   in Loop: Header=BB123_12 Depth=1
	v_cvt_f32_u32_e32 v2, s33
	s_sub_u32 s68, 0, s33
	s_subb_u32 s71, 0, 0
	s_delay_alu instid0(VALU_DEP_1) | instskip(NEXT) | instid1(VALU_DEP_1)
	v_fmac_f32_e64 v2, 0, 0x4f800000
	v_rcp_f32_e32 v2, v2
	s_waitcnt_depctr 0xfff
	v_mul_f32_e32 v2, 0x5f7ffffc, v2
	s_delay_alu instid0(VALU_DEP_1) | instskip(NEXT) | instid1(VALU_DEP_1)
	v_mul_f32_e32 v3, 0x2f800000, v2
	v_trunc_f32_e32 v3, v3
	s_delay_alu instid0(VALU_DEP_1) | instskip(SKIP_1) | instid1(VALU_DEP_2)
	v_fmac_f32_e32 v2, 0xcf800000, v3
	v_cvt_u32_f32_e32 v3, v3
	v_cvt_u32_f32_e32 v2, v2
	s_delay_alu instid0(VALU_DEP_2) | instskip(NEXT) | instid1(VALU_DEP_2)
	v_readfirstlane_b32 s7, v3
	v_readfirstlane_b32 s14, v2
	s_delay_alu instid0(VALU_DEP_2) | instskip(NEXT) | instid1(VALU_DEP_1)
	s_mul_i32 s72, s68, s7
	s_mul_hi_u32 s95, s68, s14
	s_mul_i32 s73, s71, s14
	s_add_i32 s72, s95, s72
	s_mul_i32 s96, s68, s14
	s_add_i32 s72, s72, s73
	s_mul_hi_u32 s95, s14, s96
	s_mul_hi_u32 s97, s7, s96
	s_mul_i32 s73, s7, s96
	s_mul_hi_u32 s96, s14, s72
	s_mul_i32 s14, s14, s72
	s_mul_hi_u32 s98, s7, s72
	s_add_u32 s14, s95, s14
	s_addc_u32 s95, 0, s96
	s_add_u32 s14, s14, s73
	s_mul_i32 s72, s7, s72
	s_addc_u32 s14, s95, s97
	s_addc_u32 s73, s98, 0
	s_add_u32 s14, s14, s72
	s_addc_u32 s72, 0, s73
	v_add_co_u32 v2, s14, v2, s14
	s_delay_alu instid0(VALU_DEP_1) | instskip(SKIP_1) | instid1(VALU_DEP_1)
	s_cmp_lg_u32 s14, 0
	s_addc_u32 s7, s7, s72
	v_readfirstlane_b32 s14, v2
	s_mul_i32 s72, s68, s7
	s_delay_alu instid0(VALU_DEP_1)
	s_mul_hi_u32 s73, s68, s14
	s_mul_i32 s71, s71, s14
	s_add_i32 s72, s73, s72
	s_mul_i32 s68, s68, s14
	s_add_i32 s72, s72, s71
	s_mul_hi_u32 s73, s7, s68
	s_mul_i32 s95, s7, s68
	s_mul_hi_u32 s68, s14, s68
	s_mul_hi_u32 s96, s14, s72
	s_mul_i32 s14, s14, s72
	s_mul_hi_u32 s71, s7, s72
	s_add_u32 s14, s68, s14
	s_addc_u32 s68, 0, s96
	s_add_u32 s14, s14, s95
	s_mul_i32 s72, s7, s72
	s_addc_u32 s14, s68, s73
	s_addc_u32 s68, s71, 0
	s_add_u32 s14, s14, s72
	s_addc_u32 s68, 0, s68
	v_add_co_u32 v2, s14, v2, s14
	s_delay_alu instid0(VALU_DEP_1) | instskip(SKIP_1) | instid1(VALU_DEP_1)
	s_cmp_lg_u32 s14, 0
	s_addc_u32 s7, s7, s68
	v_readfirstlane_b32 s14, v2
	s_mul_i32 s71, s26, s7
	s_mul_hi_u32 s68, s26, s7
	s_mul_hi_u32 s72, s15, s7
	s_mul_i32 s7, s15, s7
	s_mul_hi_u32 s73, s26, s14
	s_mul_hi_u32 s95, s15, s14
	s_mul_i32 s14, s15, s14
	s_add_u32 s71, s73, s71
	s_addc_u32 s68, 0, s68
	s_add_u32 s14, s71, s14
	s_addc_u32 s14, s68, s95
	s_addc_u32 s68, s72, 0
	s_add_u32 s7, s14, s7
	s_addc_u32 s14, 0, s68
	s_mul_hi_u32 s68, s33, s7
	s_mul_i32 s7, s33, s7
	s_mul_i32 s14, s33, s14
	v_sub_co_u32 v2, s7, s26, s7
	s_add_i32 s68, s68, s14
	s_cmp_lg_u32 s7, 0
	s_delay_alu instid0(VALU_DEP_1) | instskip(SKIP_2) | instid1(VALU_DEP_1)
	v_sub_co_u32 v3, s7, v2, s33
	s_subb_u32 s14, s15, s68
	s_cmp_lg_u32 s7, 0
	v_cmp_le_u32_e32 vcc_lo, s33, v3
	v_sub_co_u32 v6, s7, v3, s33
	s_subb_u32 s68, s14, 0
	s_cmp_lg_u32 s7, 0
	v_cndmask_b32_e64 v7, 0, -1, vcc_lo
	s_subb_u32 s7, s68, 0
	s_cmp_eq_u32 s68, 0
	v_mov_b32_e32 v9, s7
	s_cselect_b32 vcc_lo, -1, 0
	s_cmp_eq_u32 s14, 0
	v_cndmask_b32_e32 v7, -1, v7, vcc_lo
	v_cmp_le_u32_e32 vcc_lo, s33, v2
	s_cselect_b32 s7, -1, 0
	v_cndmask_b32_e64 v8, 0, -1, vcc_lo
	s_delay_alu instid0(VALU_DEP_3) | instskip(NEXT) | instid1(VALU_DEP_2)
	v_cmp_ne_u32_e32 vcc_lo, 0, v7
	v_cndmask_b32_e64 v7, -1, v8, s7
	v_cndmask_b32_e32 v8, s68, v9, vcc_lo
	v_cndmask_b32_e32 v6, v3, v6, vcc_lo
	s_delay_alu instid0(VALU_DEP_3) | instskip(NEXT) | instid1(VALU_DEP_3)
	v_cmp_ne_u32_e32 vcc_lo, 0, v7
	v_cndmask_b32_e32 v3, s14, v8, vcc_lo
	s_delay_alu instid0(VALU_DEP_3)
	v_cndmask_b32_e32 v2, v2, v6, vcc_lo
	s_cbranch_execnz .LBB123_366
.LBB123_365:                            ;   in Loop: Header=BB123_12 Depth=1
	v_cvt_f32_u32_e32 v2, s33
	s_sub_i32 s7, 0, s33
	s_delay_alu instid0(VALU_DEP_1) | instskip(SKIP_2) | instid1(VALU_DEP_1)
	v_rcp_iflag_f32_e32 v2, v2
	s_waitcnt_depctr 0xfff
	v_mul_f32_e32 v2, 0x4f7ffffe, v2
	v_cvt_u32_f32_e32 v2, v2
	s_delay_alu instid0(VALU_DEP_1) | instskip(NEXT) | instid1(VALU_DEP_1)
	v_mul_lo_u32 v3, s7, v2
	v_mul_hi_u32 v3, v2, v3
	s_delay_alu instid0(VALU_DEP_1) | instskip(NEXT) | instid1(VALU_DEP_1)
	v_add_nc_u32_e32 v2, v2, v3
	v_mul_hi_u32 v2, s26, v2
	s_delay_alu instid0(VALU_DEP_1) | instskip(NEXT) | instid1(VALU_DEP_1)
	v_mul_lo_u32 v2, v2, s33
	v_sub_nc_u32_e32 v2, s26, v2
	s_delay_alu instid0(VALU_DEP_1) | instskip(SKIP_1) | instid1(VALU_DEP_2)
	v_subrev_nc_u32_e32 v3, s33, v2
	v_cmp_le_u32_e32 vcc_lo, s33, v2
	v_cndmask_b32_e32 v2, v2, v3, vcc_lo
	s_delay_alu instid0(VALU_DEP_1) | instskip(SKIP_1) | instid1(VALU_DEP_2)
	v_subrev_nc_u32_e32 v3, s33, v2
	v_cmp_le_u32_e32 vcc_lo, s33, v2
	v_cndmask_b32_e32 v12, v2, v3, vcc_lo
	s_delay_alu instid0(VALU_DEP_1)
	v_dual_mov_b32 v2, v12 :: v_dual_mov_b32 v3, v13
.LBB123_366:                            ;   in Loop: Header=BB123_12 Depth=1
	s_delay_alu instid0(VALU_DEP_1) | instskip(NEXT) | instid1(VALU_DEP_2)
	v_sub_co_u32 v2, vcc_lo, s26, v2
	v_sub_co_ci_u32_e32 v3, vcc_lo, s15, v3, vcc_lo
	s_mov_b32 s7, 0
	s_mov_b32 s14, exec_lo
                                        ; implicit-def: $vgpr28
	s_delay_alu instid0(VALU_DEP_1)
	v_cmpx_gt_u64_e64 v[2:3], v[0:1]
	s_cbranch_execz .LBB123_377
; %bb.367:                              ;   in Loop: Header=BB123_12 Depth=1
	v_dual_mov_b32 v8, v0 :: v_dual_mov_b32 v7, v1
	v_mov_b32_e32 v6, v0
	s_mov_b32 s15, 0
                                        ; implicit-def: $sgpr26
	s_set_inst_prefetch_distance 0x1
	s_branch .LBB123_369
	.p2align	6
.LBB123_368:                            ;   in Loop: Header=BB123_369 Depth=2
	s_or_b32 exec_lo, exec_lo, s7
	s_waitcnt lgkmcnt(0)
	s_barrier
	buffer_gl0_inv
	ds_load_u16 v9, v13 offset:3072
	v_add_co_u32 v6, vcc_lo, v6, s33
	v_add_co_ci_u32_e32 v7, vcc_lo, 0, v7, vcc_lo
	v_add_nc_u32_e32 v8, s33, v8
	s_waitcnt lgkmcnt(0)
	s_barrier
	s_delay_alu instid0(VALU_DEP_2) | instskip(SKIP_2) | instid1(VALU_DEP_1)
	v_cmp_ge_u64_e32 vcc_lo, v[6:7], v[2:3]
	buffer_gl0_inv
	v_and_b32_e32 v12, 0xff, v9
	v_cmp_ne_u16_e64 s7, 0, v12
	s_delay_alu instid0(VALU_DEP_1) | instskip(NEXT) | instid1(SALU_CYCLE_1)
	s_or_b32 s68, vcc_lo, s7
	s_and_b32 s68, exec_lo, s68
	s_delay_alu instid0(SALU_CYCLE_1) | instskip(SKIP_2) | instid1(SALU_CYCLE_1)
	s_or_b32 s15, s68, s15
	s_and_not1_b32 s26, s26, exec_lo
	s_and_b32 s7, s7, exec_lo
	s_or_b32 s26, s26, s7
	s_and_not1_b32 exec_lo, exec_lo, s15
	s_cbranch_execz .LBB123_376
.LBB123_369:                            ;   Parent Loop BB123_12 Depth=1
                                        ; =>  This Inner Loop Header: Depth=2
	s_delay_alu instid0(VALU_DEP_1)
	v_cmp_gt_u64_e32 vcc_lo, s[8:9], v[6:7]
	v_mov_b32_e32 v9, 0
	s_and_saveexec_b32 s7, vcc_lo
	s_cbranch_execz .LBB123_371
; %bb.370:                              ;   in Loop: Header=BB123_369 Depth=2
	ds_load_u8 v9, v8
.LBB123_371:                            ;   in Loop: Header=BB123_369 Depth=2
	s_or_b32 exec_lo, exec_lo, s7
	s_waitcnt lgkmcnt(0)
	v_and_b32_e32 v12, v9, v26
	s_delay_alu instid0(VALU_DEP_1) | instskip(NEXT) | instid1(VALU_DEP_1)
	v_and_b32_e32 v12, 0xff, v12
	v_cmp_eq_u32_e64 s7, v12, v27
	s_delay_alu instid0(VALU_DEP_1) | instskip(NEXT) | instid1(SALU_CYCLE_1)
	s_and_b32 s68, vcc_lo, s7
	s_and_saveexec_b32 s7, s68
	s_cbranch_execz .LBB123_368
; %bb.372:                              ;   in Loop: Header=BB123_369 Depth=2
	v_lshlrev_b16 v9, 8, v9
	s_delay_alu instid0(VALU_DEP_1)
	v_or_b32_e32 v9, 1, v9
	ds_store_b16 v13, v9 offset:3072
	s_branch .LBB123_368
.LBB123_373:                            ;   in Loop: Header=BB123_12 Depth=1
                                        ; implicit-def: $vgpr4_vgpr5
	s_branch .LBB123_321
.LBB123_374:                            ;   in Loop: Header=BB123_12 Depth=1
                                        ; implicit-def: $vgpr4_vgpr5
	s_branch .LBB123_336
.LBB123_375:                            ;   in Loop: Header=BB123_12 Depth=1
	s_mov_b32 s14, -1
	s_mov_b32 s7, 0
                                        ; implicit-def: $sgpr15
                                        ; implicit-def: $vgpr28
	s_mov_b32 s68, s14
	s_cbranch_execnz .LBB123_378
	s_branch .LBB123_390
.LBB123_376:                            ;   in Loop: Header=BB123_12 Depth=1
	s_set_inst_prefetch_distance 0x2
	s_or_b32 exec_lo, exec_lo, s15
	v_lshrrev_b16 v28, 8, v9
	s_and_b32 s7, s26, exec_lo
.LBB123_377:                            ;   in Loop: Header=BB123_12 Depth=1
	s_or_b32 exec_lo, exec_lo, s14
	s_mov_b32 s14, 0
	s_mov_b32 s15, -1
	s_mov_b32 s68, s14
	s_branch .LBB123_390
.LBB123_378:                            ;   in Loop: Header=BB123_12 Depth=1
	s_mov_b32 s26, s61
	s_delay_alu instid0(SALU_CYCLE_1)
	s_cmp_lg_u64 s[26:27], 0
	s_cbranch_scc0 .LBB123_410
; %bb.379:                              ;   in Loop: Header=BB123_12 Depth=1
	v_cvt_f32_u32_e32 v2, s33
	s_sub_u32 s9, 0, s33
	s_subb_u32 s14, 0, 0
	s_delay_alu instid0(VALU_DEP_1) | instskip(NEXT) | instid1(VALU_DEP_1)
	v_fmac_f32_e64 v2, 0, 0x4f800000
	v_rcp_f32_e32 v2, v2
	s_waitcnt_depctr 0xfff
	v_mul_f32_e32 v2, 0x5f7ffffc, v2
	s_delay_alu instid0(VALU_DEP_1) | instskip(NEXT) | instid1(VALU_DEP_1)
	v_mul_f32_e32 v3, 0x2f800000, v2
	v_trunc_f32_e32 v3, v3
	s_delay_alu instid0(VALU_DEP_1) | instskip(SKIP_1) | instid1(VALU_DEP_2)
	v_fmac_f32_e32 v2, 0xcf800000, v3
	v_cvt_u32_f32_e32 v3, v3
	v_cvt_u32_f32_e32 v2, v2
	s_delay_alu instid0(VALU_DEP_2) | instskip(NEXT) | instid1(VALU_DEP_2)
	v_readfirstlane_b32 s7, v3
	v_readfirstlane_b32 s8, v2
	s_delay_alu instid0(VALU_DEP_2) | instskip(NEXT) | instid1(VALU_DEP_1)
	s_mul_i32 s15, s9, s7
	s_mul_hi_u32 s68, s9, s8
	s_mul_i32 s26, s14, s8
	s_add_i32 s15, s68, s15
	s_mul_i32 s71, s9, s8
	s_add_i32 s15, s15, s26
	s_mul_hi_u32 s68, s8, s71
	s_mul_hi_u32 s72, s7, s71
	s_mul_i32 s26, s7, s71
	s_mul_hi_u32 s71, s8, s15
	s_mul_i32 s8, s8, s15
	s_mul_hi_u32 s73, s7, s15
	s_add_u32 s8, s68, s8
	s_addc_u32 s68, 0, s71
	s_add_u32 s8, s8, s26
	s_mul_i32 s15, s7, s15
	s_addc_u32 s8, s68, s72
	s_addc_u32 s26, s73, 0
	s_add_u32 s8, s8, s15
	s_addc_u32 s15, 0, s26
	v_add_co_u32 v2, s8, v2, s8
	s_delay_alu instid0(VALU_DEP_1) | instskip(SKIP_1) | instid1(VALU_DEP_1)
	s_cmp_lg_u32 s8, 0
	s_addc_u32 s7, s7, s15
	v_readfirstlane_b32 s8, v2
	s_mul_i32 s15, s9, s7
	s_delay_alu instid0(VALU_DEP_1)
	s_mul_hi_u32 s26, s9, s8
	s_mul_i32 s14, s14, s8
	s_add_i32 s15, s26, s15
	s_mul_i32 s9, s9, s8
	s_add_i32 s15, s15, s14
	s_mul_hi_u32 s26, s7, s9
	s_mul_i32 s68, s7, s9
	s_mul_hi_u32 s9, s8, s9
	s_mul_hi_u32 s71, s8, s15
	s_mul_i32 s8, s8, s15
	s_mul_hi_u32 s14, s7, s15
	s_add_u32 s8, s9, s8
	s_addc_u32 s9, 0, s71
	s_add_u32 s8, s8, s68
	s_mul_i32 s15, s7, s15
	s_addc_u32 s8, s9, s26
	s_addc_u32 s9, s14, 0
	s_add_u32 s8, s8, s15
	s_addc_u32 s9, 0, s9
	v_add_co_u32 v2, s8, v2, s8
	s_delay_alu instid0(VALU_DEP_1) | instskip(SKIP_1) | instid1(VALU_DEP_1)
	s_cmp_lg_u32 s8, 0
	s_addc_u32 s7, s7, s9
	v_readfirstlane_b32 s8, v2
	s_mul_i32 s14, s76, s7
	s_mul_hi_u32 s9, s76, s7
	s_mul_hi_u32 s15, s27, s7
	s_mul_i32 s7, s27, s7
	s_mul_hi_u32 s26, s76, s8
	s_mul_hi_u32 s68, s27, s8
	s_mul_i32 s8, s27, s8
	s_add_u32 s14, s26, s14
	s_addc_u32 s9, 0, s9
	s_add_u32 s8, s14, s8
	s_addc_u32 s8, s9, s68
	s_addc_u32 s9, s15, 0
	s_add_u32 s7, s8, s7
	s_addc_u32 s8, 0, s9
	s_mul_hi_u32 s9, s33, s7
	s_mul_i32 s7, s33, s7
	s_mul_i32 s8, s33, s8
	v_sub_co_u32 v2, s7, s76, s7
	s_add_i32 s9, s9, s8
	s_cmp_lg_u32 s7, 0
	s_delay_alu instid0(VALU_DEP_1) | instskip(SKIP_2) | instid1(VALU_DEP_1)
	v_sub_co_u32 v3, s7, v2, s33
	s_subb_u32 s8, s27, s9
	s_cmp_lg_u32 s7, 0
	v_cmp_le_u32_e32 vcc_lo, s33, v3
	v_sub_co_u32 v6, s7, v3, s33
	s_subb_u32 s9, s8, 0
	s_cmp_lg_u32 s7, 0
	v_cndmask_b32_e64 v7, 0, -1, vcc_lo
	s_subb_u32 s7, s9, 0
	s_cmp_eq_u32 s9, 0
	v_mov_b32_e32 v9, s7
	s_cselect_b32 vcc_lo, -1, 0
	s_cmp_eq_u32 s8, 0
	v_cndmask_b32_e32 v7, -1, v7, vcc_lo
	v_cmp_le_u32_e32 vcc_lo, s33, v2
	s_cselect_b32 s7, -1, 0
	v_cndmask_b32_e64 v8, 0, -1, vcc_lo
	s_delay_alu instid0(VALU_DEP_3) | instskip(NEXT) | instid1(VALU_DEP_2)
	v_cmp_ne_u32_e32 vcc_lo, 0, v7
	v_cndmask_b32_e64 v7, -1, v8, s7
	v_cndmask_b32_e32 v8, s9, v9, vcc_lo
	v_cndmask_b32_e32 v6, v3, v6, vcc_lo
	s_delay_alu instid0(VALU_DEP_3) | instskip(NEXT) | instid1(VALU_DEP_3)
	v_cmp_ne_u32_e32 vcc_lo, 0, v7
	v_cndmask_b32_e32 v3, s8, v8, vcc_lo
	s_delay_alu instid0(VALU_DEP_3)
	v_cndmask_b32_e32 v2, v2, v6, vcc_lo
	s_cbranch_execnz .LBB123_381
.LBB123_380:                            ;   in Loop: Header=BB123_12 Depth=1
	v_cvt_f32_u32_e32 v2, s33
	s_sub_i32 s7, 0, s33
	s_delay_alu instid0(VALU_DEP_1) | instskip(SKIP_2) | instid1(VALU_DEP_1)
	v_rcp_iflag_f32_e32 v2, v2
	s_waitcnt_depctr 0xfff
	v_mul_f32_e32 v2, 0x4f7ffffe, v2
	v_cvt_u32_f32_e32 v2, v2
	s_delay_alu instid0(VALU_DEP_1) | instskip(NEXT) | instid1(VALU_DEP_1)
	v_mul_lo_u32 v3, s7, v2
	v_mul_hi_u32 v3, v2, v3
	s_delay_alu instid0(VALU_DEP_1) | instskip(NEXT) | instid1(VALU_DEP_1)
	v_add_nc_u32_e32 v2, v2, v3
	v_mul_hi_u32 v2, s76, v2
	s_delay_alu instid0(VALU_DEP_1) | instskip(NEXT) | instid1(VALU_DEP_1)
	v_mul_lo_u32 v2, v2, s33
	v_sub_nc_u32_e32 v2, s76, v2
	s_delay_alu instid0(VALU_DEP_1) | instskip(SKIP_1) | instid1(VALU_DEP_2)
	v_subrev_nc_u32_e32 v3, s33, v2
	v_cmp_le_u32_e32 vcc_lo, s33, v2
	v_cndmask_b32_e32 v2, v2, v3, vcc_lo
	s_delay_alu instid0(VALU_DEP_1) | instskip(SKIP_1) | instid1(VALU_DEP_2)
	v_subrev_nc_u32_e32 v3, s33, v2
	v_cmp_le_u32_e32 vcc_lo, s33, v2
	v_cndmask_b32_e32 v12, v2, v3, vcc_lo
	s_delay_alu instid0(VALU_DEP_1)
	v_dual_mov_b32 v2, v12 :: v_dual_mov_b32 v3, v13
.LBB123_381:                            ;   in Loop: Header=BB123_12 Depth=1
	s_delay_alu instid0(VALU_DEP_1) | instskip(NEXT) | instid1(VALU_DEP_2)
	v_sub_co_u32 v2, vcc_lo, s76, v2
	v_sub_co_ci_u32_e32 v3, vcc_lo, s27, v3, vcc_lo
	s_mov_b32 s7, 0
	s_mov_b32 s8, exec_lo
                                        ; implicit-def: $vgpr28
	s_delay_alu instid0(VALU_DEP_1)
	v_cmpx_gt_u64_e64 v[2:3], v[0:1]
	s_cbranch_execz .LBB123_389
; %bb.382:                              ;   in Loop: Header=BB123_12 Depth=1
	v_dual_mov_b32 v7, v1 :: v_dual_mov_b32 v6, v0
	s_mov_b32 s9, 0
                                        ; implicit-def: $sgpr14
	s_branch .LBB123_384
.LBB123_383:                            ;   in Loop: Header=BB123_384 Depth=2
	s_or_b32 exec_lo, exec_lo, s7
	s_waitcnt lgkmcnt(0)
	s_barrier
	buffer_gl0_inv
	ds_load_u16 v8, v13 offset:3072
	v_add_co_u32 v6, vcc_lo, v6, s33
	v_add_co_ci_u32_e32 v7, vcc_lo, 0, v7, vcc_lo
	s_waitcnt lgkmcnt(0)
	s_barrier
	buffer_gl0_inv
	v_cmp_ge_u64_e32 vcc_lo, v[6:7], v[2:3]
	v_and_b32_e32 v9, 0xff, v8
	s_delay_alu instid0(VALU_DEP_1) | instskip(NEXT) | instid1(VALU_DEP_1)
	v_cmp_ne_u16_e64 s7, 0, v9
	s_or_b32 s15, vcc_lo, s7
	s_delay_alu instid0(SALU_CYCLE_1) | instskip(NEXT) | instid1(SALU_CYCLE_1)
	s_and_b32 s15, exec_lo, s15
	s_or_b32 s9, s15, s9
	s_and_not1_b32 s14, s14, exec_lo
	s_and_b32 s7, s7, exec_lo
	s_delay_alu instid0(SALU_CYCLE_1)
	s_or_b32 s14, s14, s7
	s_and_not1_b32 exec_lo, exec_lo, s9
	s_cbranch_execz .LBB123_388
.LBB123_384:                            ;   Parent Loop BB123_12 Depth=1
                                        ; =>  This Inner Loop Header: Depth=2
	s_delay_alu instid0(VALU_DEP_1)
	v_cmp_gt_u64_e32 vcc_lo, s[36:37], v[6:7]
	v_mov_b32_e32 v8, 0
	s_and_saveexec_b32 s7, vcc_lo
	s_cbranch_execz .LBB123_386
; %bb.385:                              ;   in Loop: Header=BB123_384 Depth=2
	v_mad_u64_u32 v[8:9], null, v6, s30, s[28:29]
	v_mul_lo_u32 v12, v6, s31
	v_mul_lo_u32 v16, v7, s30
	s_delay_alu instid0(VALU_DEP_1)
	v_add3_u32 v9, v16, v9, v12
	global_load_u8 v8, v[8:9], off
.LBB123_386:                            ;   in Loop: Header=BB123_384 Depth=2
	s_or_b32 exec_lo, exec_lo, s7
	s_waitcnt vmcnt(0)
	v_and_b32_e32 v9, v8, v26
	s_delay_alu instid0(VALU_DEP_1) | instskip(NEXT) | instid1(VALU_DEP_1)
	v_and_b32_e32 v9, 0xff, v9
	v_cmp_eq_u32_e64 s7, v9, v27
	s_delay_alu instid0(VALU_DEP_1) | instskip(NEXT) | instid1(SALU_CYCLE_1)
	s_and_b32 s15, vcc_lo, s7
	s_and_saveexec_b32 s7, s15
	s_cbranch_execz .LBB123_383
; %bb.387:                              ;   in Loop: Header=BB123_384 Depth=2
	v_lshlrev_b16 v8, 8, v8
	s_delay_alu instid0(VALU_DEP_1)
	v_or_b32_e32 v8, 1, v8
	ds_store_b16 v13, v8 offset:3072
	s_branch .LBB123_383
.LBB123_388:                            ;   in Loop: Header=BB123_12 Depth=1
	s_or_b32 exec_lo, exec_lo, s9
	v_lshrrev_b16 v28, 8, v8
	s_and_b32 s7, s14, exec_lo
.LBB123_389:                            ;   in Loop: Header=BB123_12 Depth=1
	s_or_b32 exec_lo, exec_lo, s8
	s_mov_b32 s15, 0
	s_mov_b32 s14, -1
	s_mov_b32 s68, 0
.LBB123_390:                            ;   in Loop: Header=BB123_12 Depth=1
	s_or_not1_b32 s7, s7, exec_lo
.LBB123_391:                            ;   in Loop: Header=BB123_12 Depth=1
	s_or_b32 exec_lo, exec_lo, s69
	s_mov_b32 s26, 0
                                        ; implicit-def: $vgpr6
	s_and_saveexec_b32 s69, s7
	s_cbranch_execz .LBB123_454
; %bb.392:                              ;   in Loop: Header=BB123_12 Depth=1
	v_mov_b32_e32 v2, 1
	v_dual_mov_b32 v3, 0 :: v_dual_mov_b32 v6, 1
	s_xor_b32 s8, s70, -1
	s_delay_alu instid0(SALU_CYCLE_1)
	s_and_saveexec_b32 s7, s8
	s_cbranch_execz .LBB123_402
; %bb.393:                              ;   in Loop: Header=BB123_12 Depth=1
	s_mov_b32 s9, exec_lo
                                        ; implicit-def: $sgpr26
                                        ; implicit-def: $sgpr8
	v_cmpx_ge_u64_e64 s[12:13], v[4:5]
	s_xor_b32 s9, exec_lo, s9
	s_cbranch_execz .LBB123_399
; %bb.394:                              ;   in Loop: Header=BB123_12 Depth=1
	ds_load_b64 v[2:3], v13 offset:5120
	s_waitcnt lgkmcnt(0)
	v_cmp_ne_u64_e32 vcc_lo, 0, v[2:3]
	s_cbranch_vccnz .LBB123_398
; %bb.395:                              ;   in Loop: Header=BB123_12 Depth=1
	s_and_saveexec_b32 s8, s5
	s_cbranch_execz .LBB123_397
; %bb.396:                              ;   in Loop: Header=BB123_12 Depth=1
	v_dual_mov_b32 v2, s12 :: v_dual_mov_b32 v3, s13
	ds_store_b64 v13, v[2:3] offset:5128
.LBB123_397:                            ;   in Loop: Header=BB123_12 Depth=1
	s_or_b32 exec_lo, exec_lo, s8
	s_waitcnt lgkmcnt(0)
	s_barrier
	buffer_gl0_inv
.LBB123_398:                            ;   in Loop: Header=BB123_12 Depth=1
	s_lshl_b32 s8, 1, s22
	v_or_b32_e32 v26, s20, v26
	v_and_or_b32 v27, v27, s21, s8
	s_mov_b32 s8, 0
	s_mov_b32 s26, 5
.LBB123_399:                            ;   in Loop: Header=BB123_12 Depth=1
	s_or_saveexec_b32 s9, s9
	v_mov_b32_e32 v6, s26
	s_xor_b32 exec_lo, exec_lo, s9
; %bb.400:                              ;   in Loop: Header=BB123_12 Depth=1
	v_sub_co_u32 v4, vcc_lo, v4, s12
	v_subrev_co_ci_u32_e32 v5, vcc_lo, s13, v5, vcc_lo
	v_mov_b32_e32 v6, 0
	s_or_b32 s8, s8, exec_lo
; %bb.401:                              ;   in Loop: Header=BB123_12 Depth=1
	s_or_b32 exec_lo, exec_lo, s9
	s_delay_alu instid0(VALU_DEP_2)
	v_dual_mov_b32 v2, v4 :: v_dual_mov_b32 v3, v5
	s_and_b32 s26, s8, exec_lo
.LBB123_402:                            ;   in Loop: Header=BB123_12 Depth=1
	s_or_b32 exec_lo, exec_lo, s7
	s_mov_b32 s12, -1
                                        ; implicit-def: $sgpr7
                                        ; implicit-def: $sgpr8
                                        ; implicit-def: $sgpr9
	s_and_saveexec_b32 s22, s26
	s_cbranch_execz .LBB123_453
; %bb.403:                              ;   in Loop: Header=BB123_12 Depth=1
	v_cmp_eq_u64_e32 vcc_lo, 1, v[2:3]
	s_cmp_eq_u64 s[10:11], 1
	s_mov_b32 s13, -1
	s_cselect_b32 s7, -1, 0
                                        ; implicit-def: $sgpr8
                                        ; implicit-def: $sgpr9
	s_delay_alu instid0(SALU_CYCLE_1) | instskip(NEXT) | instid1(SALU_CYCLE_1)
	s_and_b32 s70, s7, vcc_lo
                                        ; implicit-def: $sgpr7
	s_and_saveexec_b32 s71, s70
	s_cbranch_execz .LBB123_440
; %bb.404:                              ;   in Loop: Header=BB123_12 Depth=1
	ds_load_b64 v[4:5], v13 offset:5120
	s_waitcnt lgkmcnt(0)
	s_barrier
	buffer_gl0_inv
	v_readfirstlane_b32 s8, v4
	v_readfirstlane_b32 s9, v5
	s_and_saveexec_b32 s7, s6
	s_cbranch_execz .LBB123_406
; %bb.405:                              ;   in Loop: Header=BB123_12 Depth=1
	ds_store_b8 v0, v13 offset:3072
.LBB123_406:                            ;   in Loop: Header=BB123_12 Depth=1
	s_or_b32 exec_lo, exec_lo, s7
	v_and_b32_e32 v27, s21, v27
	v_or_b32_e32 v26, s20, v26
	s_cmp_eq_u64 s[8:9], 0
	s_waitcnt lgkmcnt(0)
	s_barrier
	buffer_gl0_inv
	s_cbranch_scc1 .LBB123_411
; %bb.407:                              ;   in Loop: Header=BB123_12 Depth=1
	s_add_u32 s26, s74, s8
	s_addc_u32 s13, s75, s9
	s_mov_b32 s12, s61
	s_delay_alu instid0(SALU_CYCLE_1)
	s_cmp_lg_u64 s[12:13], 0
	s_cbranch_scc0 .LBB123_412
; %bb.408:                              ;   in Loop: Header=BB123_12 Depth=1
	v_cvt_f32_u32_e32 v4, s33
	s_sub_u32 s72, 0, s33
	s_subb_u32 s73, 0, 0
	s_delay_alu instid0(VALU_DEP_1) | instskip(NEXT) | instid1(VALU_DEP_1)
	v_fmac_f32_e64 v4, 0, 0x4f800000
	v_rcp_f32_e32 v4, v4
	s_waitcnt_depctr 0xfff
	v_mul_f32_e32 v4, 0x5f7ffffc, v4
	s_delay_alu instid0(VALU_DEP_1) | instskip(NEXT) | instid1(VALU_DEP_1)
	v_mul_f32_e32 v5, 0x2f800000, v4
	v_trunc_f32_e32 v5, v5
	s_delay_alu instid0(VALU_DEP_1) | instskip(SKIP_1) | instid1(VALU_DEP_2)
	v_fmac_f32_e32 v4, 0xcf800000, v5
	v_cvt_u32_f32_e32 v5, v5
	v_cvt_u32_f32_e32 v4, v4
	s_delay_alu instid0(VALU_DEP_2) | instskip(NEXT) | instid1(VALU_DEP_2)
	v_readfirstlane_b32 s7, v5
	v_readfirstlane_b32 s12, v4
	s_delay_alu instid0(VALU_DEP_2) | instskip(NEXT) | instid1(VALU_DEP_1)
	s_mul_i32 s95, s72, s7
	s_mul_hi_u32 s97, s72, s12
	s_mul_i32 s96, s73, s12
	s_add_i32 s95, s97, s95
	s_mul_i32 s98, s72, s12
	s_add_i32 s95, s95, s96
	s_mul_hi_u32 s97, s12, s98
	s_mul_hi_u32 s99, s7, s98
	s_mul_i32 s96, s7, s98
	s_mul_hi_u32 s98, s12, s95
	s_mul_i32 s12, s12, s95
	s_mul_hi_u32 s100, s7, s95
	s_add_u32 s12, s97, s12
	s_addc_u32 s97, 0, s98
	s_add_u32 s12, s12, s96
	s_mul_i32 s95, s7, s95
	s_addc_u32 s12, s97, s99
	s_addc_u32 s96, s100, 0
	s_add_u32 s12, s12, s95
	s_addc_u32 s95, 0, s96
	v_add_co_u32 v4, s12, v4, s12
	s_delay_alu instid0(VALU_DEP_1) | instskip(SKIP_1) | instid1(VALU_DEP_1)
	s_cmp_lg_u32 s12, 0
	s_addc_u32 s7, s7, s95
	v_readfirstlane_b32 s12, v4
	s_mul_i32 s95, s72, s7
	s_delay_alu instid0(VALU_DEP_1)
	s_mul_hi_u32 s96, s72, s12
	s_mul_i32 s73, s73, s12
	s_add_i32 s95, s96, s95
	s_mul_i32 s72, s72, s12
	s_add_i32 s95, s95, s73
	s_mul_hi_u32 s96, s7, s72
	s_mul_i32 s97, s7, s72
	s_mul_hi_u32 s72, s12, s72
	s_mul_hi_u32 s98, s12, s95
	s_mul_i32 s12, s12, s95
	s_mul_hi_u32 s73, s7, s95
	s_add_u32 s12, s72, s12
	s_addc_u32 s72, 0, s98
	s_add_u32 s12, s12, s97
	s_mul_i32 s95, s7, s95
	s_addc_u32 s12, s72, s96
	s_addc_u32 s72, s73, 0
	s_add_u32 s12, s12, s95
	s_addc_u32 s72, 0, s72
	v_add_co_u32 v4, s12, v4, s12
	s_delay_alu instid0(VALU_DEP_1) | instskip(SKIP_1) | instid1(VALU_DEP_1)
	s_cmp_lg_u32 s12, 0
	s_addc_u32 s7, s7, s72
	v_readfirstlane_b32 s12, v4
	s_mul_i32 s73, s26, s7
	s_mul_hi_u32 s72, s26, s7
	s_mul_hi_u32 s95, s13, s7
	s_mul_i32 s7, s13, s7
	s_mul_hi_u32 s96, s26, s12
	s_mul_hi_u32 s97, s13, s12
	s_mul_i32 s12, s13, s12
	s_add_u32 s73, s96, s73
	s_addc_u32 s72, 0, s72
	s_add_u32 s12, s73, s12
	s_addc_u32 s12, s72, s97
	s_addc_u32 s72, s95, 0
	s_add_u32 s7, s12, s7
	s_addc_u32 s12, 0, s72
	s_mul_hi_u32 s72, s33, s7
	s_mul_i32 s7, s33, s7
	s_mul_i32 s12, s33, s12
	v_sub_co_u32 v4, s7, s26, s7
	s_add_i32 s72, s72, s12
	s_cmp_lg_u32 s7, 0
	s_delay_alu instid0(VALU_DEP_1) | instskip(SKIP_2) | instid1(VALU_DEP_1)
	v_sub_co_u32 v5, s7, v4, s33
	s_subb_u32 s12, s13, s72
	s_cmp_lg_u32 s7, 0
	v_cmp_le_u32_e32 vcc_lo, s33, v5
	v_sub_co_u32 v6, s7, v5, s33
	s_subb_u32 s72, s12, 0
	s_cmp_lg_u32 s7, 0
	v_cndmask_b32_e64 v7, 0, -1, vcc_lo
	s_subb_u32 s7, s72, 0
	s_cmp_eq_u32 s72, 0
	v_mov_b32_e32 v9, s7
	s_cselect_b32 vcc_lo, -1, 0
	s_cmp_eq_u32 s12, 0
	v_cndmask_b32_e32 v7, -1, v7, vcc_lo
	v_cmp_le_u32_e32 vcc_lo, s33, v4
	s_cselect_b32 s7, -1, 0
	v_cndmask_b32_e64 v8, 0, -1, vcc_lo
	s_delay_alu instid0(VALU_DEP_3) | instskip(NEXT) | instid1(VALU_DEP_2)
	v_cmp_ne_u32_e32 vcc_lo, 0, v7
	v_cndmask_b32_e64 v7, -1, v8, s7
	v_cndmask_b32_e32 v8, s72, v9, vcc_lo
	v_cndmask_b32_e32 v6, v5, v6, vcc_lo
	s_mov_b32 s7, 0
	s_delay_alu instid0(VALU_DEP_3) | instskip(NEXT) | instid1(VALU_DEP_3)
	v_cmp_ne_u32_e32 vcc_lo, 0, v7
	v_cndmask_b32_e32 v5, s12, v8, vcc_lo
	s_delay_alu instid0(VALU_DEP_3)
	v_cndmask_b32_e32 v4, v4, v6, vcc_lo
	s_branch .LBB123_413
.LBB123_409:                            ;   in Loop: Header=BB123_12 Depth=1
                                        ; implicit-def: $vgpr2_vgpr3
	s_branch .LBB123_365
.LBB123_410:                            ;   in Loop: Header=BB123_12 Depth=1
                                        ; implicit-def: $vgpr2_vgpr3
	s_branch .LBB123_380
.LBB123_411:                            ;   in Loop: Header=BB123_12 Depth=1
	s_mov_b32 s7, -1
	s_mov_b32 s12, 0
                                        ; implicit-def: $sgpr8
                                        ; implicit-def: $vgpr28
	s_branch .LBB123_424
.LBB123_412:                            ;   in Loop: Header=BB123_12 Depth=1
	s_mov_b32 s7, -1
                                        ; implicit-def: $vgpr4_vgpr5
.LBB123_413:                            ;   in Loop: Header=BB123_12 Depth=1
	s_delay_alu instid0(SALU_CYCLE_1)
	s_and_not1_b32 vcc_lo, exec_lo, s7
	s_cbranch_vccnz .LBB123_415
; %bb.414:                              ;   in Loop: Header=BB123_12 Depth=1
	v_cvt_f32_u32_e32 v4, s33
	s_sub_i32 s7, 0, s33
	s_delay_alu instid0(VALU_DEP_1) | instskip(SKIP_2) | instid1(VALU_DEP_1)
	v_rcp_iflag_f32_e32 v4, v4
	s_waitcnt_depctr 0xfff
	v_mul_f32_e32 v4, 0x4f7ffffe, v4
	v_cvt_u32_f32_e32 v4, v4
	s_delay_alu instid0(VALU_DEP_1) | instskip(NEXT) | instid1(VALU_DEP_1)
	v_mul_lo_u32 v5, s7, v4
	v_mul_hi_u32 v5, v4, v5
	s_delay_alu instid0(VALU_DEP_1) | instskip(NEXT) | instid1(VALU_DEP_1)
	v_add_nc_u32_e32 v4, v4, v5
	v_mul_hi_u32 v4, s26, v4
	s_delay_alu instid0(VALU_DEP_1) | instskip(NEXT) | instid1(VALU_DEP_1)
	v_mul_lo_u32 v4, v4, s33
	v_sub_nc_u32_e32 v4, s26, v4
	s_delay_alu instid0(VALU_DEP_1) | instskip(SKIP_1) | instid1(VALU_DEP_2)
	v_subrev_nc_u32_e32 v5, s33, v4
	v_cmp_le_u32_e32 vcc_lo, s33, v4
	v_cndmask_b32_e32 v4, v4, v5, vcc_lo
	s_delay_alu instid0(VALU_DEP_1) | instskip(SKIP_1) | instid1(VALU_DEP_2)
	v_subrev_nc_u32_e32 v5, s33, v4
	v_cmp_le_u32_e32 vcc_lo, s33, v4
	v_cndmask_b32_e32 v12, v4, v5, vcc_lo
	s_delay_alu instid0(VALU_DEP_1)
	v_dual_mov_b32 v4, v12 :: v_dual_mov_b32 v5, v13
.LBB123_415:                            ;   in Loop: Header=BB123_12 Depth=1
	s_delay_alu instid0(VALU_DEP_1) | instskip(NEXT) | instid1(VALU_DEP_2)
	v_sub_co_u32 v4, vcc_lo, s26, v4
	v_sub_co_ci_u32_e32 v5, vcc_lo, s13, v5, vcc_lo
	s_mov_b32 s12, 0
	s_mov_b32 s13, exec_lo
                                        ; implicit-def: $vgpr28
	s_delay_alu instid0(VALU_DEP_1)
	v_cmpx_gt_u64_e64 v[4:5], v[0:1]
	s_cbranch_execz .LBB123_423
; %bb.416:                              ;   in Loop: Header=BB123_12 Depth=1
	v_dual_mov_b32 v8, v0 :: v_dual_mov_b32 v7, v1
	v_mov_b32_e32 v6, v0
                                        ; implicit-def: $sgpr26
	s_set_inst_prefetch_distance 0x1
	s_branch .LBB123_418
	.p2align	6
.LBB123_417:                            ;   in Loop: Header=BB123_418 Depth=2
	s_or_b32 exec_lo, exec_lo, s7
	s_waitcnt lgkmcnt(0)
	s_barrier
	buffer_gl0_inv
	ds_load_u16 v9, v13 offset:3072
	v_add_co_u32 v6, vcc_lo, v6, s33
	v_add_co_ci_u32_e32 v7, vcc_lo, 0, v7, vcc_lo
	v_add_nc_u32_e32 v8, s33, v8
	s_waitcnt lgkmcnt(0)
	s_barrier
	s_delay_alu instid0(VALU_DEP_2) | instskip(SKIP_2) | instid1(VALU_DEP_1)
	v_cmp_ge_u64_e32 vcc_lo, v[6:7], v[4:5]
	buffer_gl0_inv
	v_and_b32_e32 v12, 0xff, v9
	v_cmp_ne_u16_e64 s7, 0, v12
	s_delay_alu instid0(VALU_DEP_1) | instskip(NEXT) | instid1(SALU_CYCLE_1)
	s_or_b32 s72, vcc_lo, s7
	s_and_b32 s72, exec_lo, s72
	s_delay_alu instid0(SALU_CYCLE_1) | instskip(SKIP_2) | instid1(SALU_CYCLE_1)
	s_or_b32 s12, s72, s12
	s_and_not1_b32 s26, s26, exec_lo
	s_and_b32 s7, s7, exec_lo
	s_or_b32 s26, s26, s7
	s_and_not1_b32 exec_lo, exec_lo, s12
	s_cbranch_execz .LBB123_422
.LBB123_418:                            ;   Parent Loop BB123_12 Depth=1
                                        ; =>  This Inner Loop Header: Depth=2
	s_delay_alu instid0(VALU_DEP_1)
	v_cmp_gt_u64_e32 vcc_lo, s[8:9], v[6:7]
	v_mov_b32_e32 v9, 0
	s_and_saveexec_b32 s7, vcc_lo
	s_cbranch_execz .LBB123_420
; %bb.419:                              ;   in Loop: Header=BB123_418 Depth=2
	ds_load_u8 v9, v8
.LBB123_420:                            ;   in Loop: Header=BB123_418 Depth=2
	s_or_b32 exec_lo, exec_lo, s7
	s_waitcnt lgkmcnt(0)
	v_and_b32_e32 v12, v9, v26
	s_delay_alu instid0(VALU_DEP_1) | instskip(NEXT) | instid1(VALU_DEP_1)
	v_and_b32_e32 v12, 0xff, v12
	v_cmp_eq_u32_e64 s7, v12, v27
	s_delay_alu instid0(VALU_DEP_1) | instskip(NEXT) | instid1(SALU_CYCLE_1)
	s_and_b32 s72, vcc_lo, s7
	s_and_saveexec_b32 s7, s72
	s_cbranch_execz .LBB123_417
; %bb.421:                              ;   in Loop: Header=BB123_418 Depth=2
	v_lshlrev_b16 v9, 8, v9
	s_delay_alu instid0(VALU_DEP_1)
	v_or_b32_e32 v9, 1, v9
	ds_store_b16 v13, v9 offset:3072
	s_branch .LBB123_417
.LBB123_422:                            ;   in Loop: Header=BB123_12 Depth=1
	s_set_inst_prefetch_distance 0x2
	s_or_b32 exec_lo, exec_lo, s12
	v_lshrrev_b16 v28, 8, v9
	s_and_b32 s12, s26, exec_lo
.LBB123_423:                            ;   in Loop: Header=BB123_12 Depth=1
	s_or_b32 exec_lo, exec_lo, s13
	s_mov_b32 s7, 0
	s_mov_b32 s8, -1
.LBB123_424:                            ;   in Loop: Header=BB123_12 Depth=1
	s_and_b32 vcc_lo, exec_lo, s7
	s_mov_b32 s9, s7
	s_cbranch_vccz .LBB123_439
; %bb.425:                              ;   in Loop: Header=BB123_12 Depth=1
	s_mov_b32 s26, s61
	s_delay_alu instid0(SALU_CYCLE_1)
	s_cmp_lg_u64 s[26:27], 0
	s_cbranch_scc0 .LBB123_427
; %bb.426:                              ;   in Loop: Header=BB123_12 Depth=1
	v_cvt_f32_u32_e32 v4, s33
	s_sub_u32 s9, 0, s33
	s_subb_u32 s12, 0, 0
	s_delay_alu instid0(VALU_DEP_1) | instskip(NEXT) | instid1(VALU_DEP_1)
	v_fmac_f32_e64 v4, 0, 0x4f800000
	v_rcp_f32_e32 v4, v4
	s_waitcnt_depctr 0xfff
	v_mul_f32_e32 v4, 0x5f7ffffc, v4
	s_delay_alu instid0(VALU_DEP_1) | instskip(NEXT) | instid1(VALU_DEP_1)
	v_mul_f32_e32 v5, 0x2f800000, v4
	v_trunc_f32_e32 v5, v5
	s_delay_alu instid0(VALU_DEP_1) | instskip(SKIP_1) | instid1(VALU_DEP_2)
	v_fmac_f32_e32 v4, 0xcf800000, v5
	v_cvt_u32_f32_e32 v5, v5
	v_cvt_u32_f32_e32 v4, v4
	s_delay_alu instid0(VALU_DEP_2) | instskip(NEXT) | instid1(VALU_DEP_2)
	v_readfirstlane_b32 s7, v5
	v_readfirstlane_b32 s8, v4
	s_delay_alu instid0(VALU_DEP_2) | instskip(NEXT) | instid1(VALU_DEP_1)
	s_mul_i32 s13, s9, s7
	s_mul_hi_u32 s72, s9, s8
	s_mul_i32 s26, s12, s8
	s_add_i32 s13, s72, s13
	s_mul_i32 s73, s9, s8
	s_add_i32 s13, s13, s26
	s_mul_hi_u32 s72, s8, s73
	s_mul_hi_u32 s95, s7, s73
	s_mul_i32 s26, s7, s73
	s_mul_hi_u32 s73, s8, s13
	s_mul_i32 s8, s8, s13
	s_mul_hi_u32 s96, s7, s13
	s_add_u32 s8, s72, s8
	s_addc_u32 s72, 0, s73
	s_add_u32 s8, s8, s26
	s_mul_i32 s13, s7, s13
	s_addc_u32 s8, s72, s95
	s_addc_u32 s26, s96, 0
	s_add_u32 s8, s8, s13
	s_addc_u32 s13, 0, s26
	v_add_co_u32 v4, s8, v4, s8
	s_delay_alu instid0(VALU_DEP_1) | instskip(SKIP_1) | instid1(VALU_DEP_1)
	s_cmp_lg_u32 s8, 0
	s_addc_u32 s7, s7, s13
	v_readfirstlane_b32 s8, v4
	s_mul_i32 s13, s9, s7
	s_delay_alu instid0(VALU_DEP_1)
	s_mul_hi_u32 s26, s9, s8
	s_mul_i32 s12, s12, s8
	s_add_i32 s13, s26, s13
	s_mul_i32 s9, s9, s8
	s_add_i32 s13, s13, s12
	s_mul_hi_u32 s26, s7, s9
	s_mul_i32 s72, s7, s9
	s_mul_hi_u32 s9, s8, s9
	s_mul_hi_u32 s73, s8, s13
	s_mul_i32 s8, s8, s13
	s_mul_hi_u32 s12, s7, s13
	s_add_u32 s8, s9, s8
	s_addc_u32 s9, 0, s73
	s_add_u32 s8, s8, s72
	s_mul_i32 s13, s7, s13
	s_addc_u32 s8, s9, s26
	s_addc_u32 s9, s12, 0
	s_add_u32 s8, s8, s13
	s_addc_u32 s9, 0, s9
	v_add_co_u32 v4, s8, v4, s8
	s_delay_alu instid0(VALU_DEP_1) | instskip(SKIP_1) | instid1(VALU_DEP_1)
	s_cmp_lg_u32 s8, 0
	s_addc_u32 s7, s7, s9
	v_readfirstlane_b32 s8, v4
	s_mul_i32 s12, s76, s7
	s_mul_hi_u32 s9, s76, s7
	s_mul_hi_u32 s13, s27, s7
	s_mul_i32 s7, s27, s7
	s_mul_hi_u32 s26, s76, s8
	s_mul_hi_u32 s72, s27, s8
	s_mul_i32 s8, s27, s8
	s_add_u32 s12, s26, s12
	s_addc_u32 s9, 0, s9
	s_add_u32 s8, s12, s8
	s_addc_u32 s8, s9, s72
	s_addc_u32 s9, s13, 0
	s_add_u32 s7, s8, s7
	s_addc_u32 s8, 0, s9
	s_mul_hi_u32 s9, s33, s7
	s_mul_i32 s7, s33, s7
	s_mul_i32 s8, s33, s8
	v_sub_co_u32 v4, s7, s76, s7
	s_add_i32 s9, s9, s8
	s_cmp_lg_u32 s7, 0
	s_delay_alu instid0(VALU_DEP_1) | instskip(SKIP_2) | instid1(VALU_DEP_1)
	v_sub_co_u32 v5, s7, v4, s33
	s_subb_u32 s8, s27, s9
	s_cmp_lg_u32 s7, 0
	v_cmp_le_u32_e32 vcc_lo, s33, v5
	v_sub_co_u32 v6, s7, v5, s33
	s_subb_u32 s9, s8, 0
	s_cmp_lg_u32 s7, 0
	v_cndmask_b32_e64 v7, 0, -1, vcc_lo
	s_subb_u32 s7, s9, 0
	s_cmp_eq_u32 s9, 0
	v_mov_b32_e32 v9, s7
	s_cselect_b32 vcc_lo, -1, 0
	s_cmp_eq_u32 s8, 0
	v_cndmask_b32_e32 v7, -1, v7, vcc_lo
	v_cmp_le_u32_e32 vcc_lo, s33, v4
	s_cselect_b32 s7, -1, 0
	v_cndmask_b32_e64 v8, 0, -1, vcc_lo
	s_delay_alu instid0(VALU_DEP_3) | instskip(NEXT) | instid1(VALU_DEP_2)
	v_cmp_ne_u32_e32 vcc_lo, 0, v7
	v_cndmask_b32_e64 v7, -1, v8, s7
	v_cndmask_b32_e32 v8, s9, v9, vcc_lo
	v_cndmask_b32_e32 v6, v5, v6, vcc_lo
	s_mov_b32 s7, 0
	s_delay_alu instid0(VALU_DEP_3) | instskip(NEXT) | instid1(VALU_DEP_3)
	v_cmp_ne_u32_e32 vcc_lo, 0, v7
	v_cndmask_b32_e32 v5, s8, v8, vcc_lo
	s_delay_alu instid0(VALU_DEP_3)
	v_cndmask_b32_e32 v4, v4, v6, vcc_lo
	s_branch .LBB123_428
.LBB123_427:                            ;   in Loop: Header=BB123_12 Depth=1
	s_mov_b32 s7, -1
                                        ; implicit-def: $vgpr4_vgpr5
.LBB123_428:                            ;   in Loop: Header=BB123_12 Depth=1
	s_delay_alu instid0(SALU_CYCLE_1)
	s_and_not1_b32 vcc_lo, exec_lo, s7
	s_cbranch_vccnz .LBB123_430
; %bb.429:                              ;   in Loop: Header=BB123_12 Depth=1
	v_cvt_f32_u32_e32 v4, s33
	s_sub_i32 s7, 0, s33
	s_delay_alu instid0(VALU_DEP_1) | instskip(SKIP_2) | instid1(VALU_DEP_1)
	v_rcp_iflag_f32_e32 v4, v4
	s_waitcnt_depctr 0xfff
	v_mul_f32_e32 v4, 0x4f7ffffe, v4
	v_cvt_u32_f32_e32 v4, v4
	s_delay_alu instid0(VALU_DEP_1) | instskip(NEXT) | instid1(VALU_DEP_1)
	v_mul_lo_u32 v5, s7, v4
	v_mul_hi_u32 v5, v4, v5
	s_delay_alu instid0(VALU_DEP_1) | instskip(NEXT) | instid1(VALU_DEP_1)
	v_add_nc_u32_e32 v4, v4, v5
	v_mul_hi_u32 v4, s76, v4
	s_delay_alu instid0(VALU_DEP_1) | instskip(NEXT) | instid1(VALU_DEP_1)
	v_mul_lo_u32 v4, v4, s33
	v_sub_nc_u32_e32 v4, s76, v4
	s_delay_alu instid0(VALU_DEP_1) | instskip(SKIP_1) | instid1(VALU_DEP_2)
	v_subrev_nc_u32_e32 v5, s33, v4
	v_cmp_le_u32_e32 vcc_lo, s33, v4
	v_cndmask_b32_e32 v4, v4, v5, vcc_lo
	s_delay_alu instid0(VALU_DEP_1) | instskip(SKIP_1) | instid1(VALU_DEP_2)
	v_subrev_nc_u32_e32 v5, s33, v4
	v_cmp_le_u32_e32 vcc_lo, s33, v4
	v_cndmask_b32_e32 v12, v4, v5, vcc_lo
	s_delay_alu instid0(VALU_DEP_1)
	v_dual_mov_b32 v4, v12 :: v_dual_mov_b32 v5, v13
.LBB123_430:                            ;   in Loop: Header=BB123_12 Depth=1
	s_delay_alu instid0(VALU_DEP_1) | instskip(NEXT) | instid1(VALU_DEP_2)
	v_sub_co_u32 v4, vcc_lo, s76, v4
	v_sub_co_ci_u32_e32 v5, vcc_lo, s27, v5, vcc_lo
	s_mov_b32 s12, 0
	s_mov_b32 s8, exec_lo
                                        ; implicit-def: $vgpr28
	s_delay_alu instid0(VALU_DEP_1)
	v_cmpx_gt_u64_e64 v[4:5], v[0:1]
	s_cbranch_execz .LBB123_438
; %bb.431:                              ;   in Loop: Header=BB123_12 Depth=1
	v_dual_mov_b32 v7, v1 :: v_dual_mov_b32 v6, v0
	s_mov_b32 s9, 0
                                        ; implicit-def: $sgpr12
	s_branch .LBB123_433
.LBB123_432:                            ;   in Loop: Header=BB123_433 Depth=2
	s_or_b32 exec_lo, exec_lo, s7
	s_waitcnt lgkmcnt(0)
	s_barrier
	buffer_gl0_inv
	ds_load_u16 v8, v13 offset:3072
	v_add_co_u32 v6, vcc_lo, v6, s33
	v_add_co_ci_u32_e32 v7, vcc_lo, 0, v7, vcc_lo
	s_waitcnt lgkmcnt(0)
	s_barrier
	buffer_gl0_inv
	v_cmp_ge_u64_e32 vcc_lo, v[6:7], v[4:5]
	v_and_b32_e32 v9, 0xff, v8
	s_delay_alu instid0(VALU_DEP_1) | instskip(NEXT) | instid1(VALU_DEP_1)
	v_cmp_ne_u16_e64 s7, 0, v9
	s_or_b32 s13, vcc_lo, s7
	s_delay_alu instid0(SALU_CYCLE_1) | instskip(NEXT) | instid1(SALU_CYCLE_1)
	s_and_b32 s13, exec_lo, s13
	s_or_b32 s9, s13, s9
	s_and_not1_b32 s12, s12, exec_lo
	s_and_b32 s7, s7, exec_lo
	s_delay_alu instid0(SALU_CYCLE_1)
	s_or_b32 s12, s12, s7
	s_and_not1_b32 exec_lo, exec_lo, s9
	s_cbranch_execz .LBB123_437
.LBB123_433:                            ;   Parent Loop BB123_12 Depth=1
                                        ; =>  This Inner Loop Header: Depth=2
	s_delay_alu instid0(VALU_DEP_1)
	v_cmp_gt_u64_e32 vcc_lo, s[36:37], v[6:7]
	v_mov_b32_e32 v8, 0
	s_and_saveexec_b32 s7, vcc_lo
	s_cbranch_execz .LBB123_435
; %bb.434:                              ;   in Loop: Header=BB123_433 Depth=2
	v_mad_u64_u32 v[8:9], null, v6, s30, s[28:29]
	v_mul_lo_u32 v12, v6, s31
	v_mul_lo_u32 v16, v7, s30
	s_delay_alu instid0(VALU_DEP_1)
	v_add3_u32 v9, v16, v9, v12
	global_load_u8 v8, v[8:9], off
.LBB123_435:                            ;   in Loop: Header=BB123_433 Depth=2
	s_or_b32 exec_lo, exec_lo, s7
	s_waitcnt vmcnt(0)
	v_and_b32_e32 v9, v8, v26
	s_delay_alu instid0(VALU_DEP_1) | instskip(NEXT) | instid1(VALU_DEP_1)
	v_and_b32_e32 v9, 0xff, v9
	v_cmp_eq_u32_e64 s7, v9, v27
	s_delay_alu instid0(VALU_DEP_1) | instskip(NEXT) | instid1(SALU_CYCLE_1)
	s_and_b32 s13, vcc_lo, s7
	s_and_saveexec_b32 s7, s13
	s_cbranch_execz .LBB123_432
; %bb.436:                              ;   in Loop: Header=BB123_433 Depth=2
	v_lshlrev_b16 v8, 8, v8
	s_delay_alu instid0(VALU_DEP_1)
	v_or_b32_e32 v8, 1, v8
	ds_store_b16 v13, v8 offset:3072
	s_branch .LBB123_432
.LBB123_437:                            ;   in Loop: Header=BB123_12 Depth=1
	s_or_b32 exec_lo, exec_lo, s9
	v_lshrrev_b16 v28, 8, v8
	s_and_b32 s12, s12, exec_lo
.LBB123_438:                            ;   in Loop: Header=BB123_12 Depth=1
	s_or_b32 exec_lo, exec_lo, s8
	s_mov_b32 s8, 0
	s_mov_b32 s7, -1
	s_mov_b32 s9, 0
.LBB123_439:                            ;   in Loop: Header=BB123_12 Depth=1
	s_or_not1_b32 s13, s12, exec_lo
.LBB123_440:                            ;   in Loop: Header=BB123_12 Depth=1
	s_or_b32 exec_lo, exec_lo, s71
	s_mov_b32 s26, 0
                                        ; implicit-def: $vgpr6
                                        ; implicit-def: $vgpr4_vgpr5
	s_and_saveexec_b32 s12, s13
	s_cbranch_execz .LBB123_452
; %bb.441:                              ;   in Loop: Header=BB123_12 Depth=1
	v_mov_b32_e32 v4, 1
	v_dual_mov_b32 v5, 0 :: v_dual_mov_b32 v6, 1
	s_xor_b32 s26, s70, -1
	s_delay_alu instid0(SALU_CYCLE_1)
	s_and_saveexec_b32 s13, s26
	s_cbranch_execz .LBB123_451
; %bb.442:                              ;   in Loop: Header=BB123_12 Depth=1
	s_mov_b32 s26, exec_lo
                                        ; implicit-def: $sgpr70
	v_cmpx_ge_u64_e64 s[10:11], v[2:3]
	s_xor_b32 s26, exec_lo, s26
	s_cbranch_execz .LBB123_448
; %bb.443:                              ;   in Loop: Header=BB123_12 Depth=1
	ds_load_b64 v[4:5], v13 offset:5120
	s_waitcnt lgkmcnt(0)
	v_cmp_ne_u64_e32 vcc_lo, 0, v[4:5]
	s_cbranch_vccnz .LBB123_447
; %bb.444:                              ;   in Loop: Header=BB123_12 Depth=1
	s_and_saveexec_b32 s70, s5
	s_cbranch_execz .LBB123_446
; %bb.445:                              ;   in Loop: Header=BB123_12 Depth=1
	v_dual_mov_b32 v4, s10 :: v_dual_mov_b32 v5, s11
	ds_store_b64 v13, v[4:5] offset:5128
.LBB123_446:                            ;   in Loop: Header=BB123_12 Depth=1
	s_or_b32 exec_lo, exec_lo, s70
	s_waitcnt lgkmcnt(0)
	s_barrier
	buffer_gl0_inv
.LBB123_447:                            ;   in Loop: Header=BB123_12 Depth=1
	v_and_b32_e32 v27, s21, v27
	v_or_b32_e32 v26, s20, v26
	s_mov_b32 s70, 5
.LBB123_448:                            ;   in Loop: Header=BB123_12 Depth=1
	s_or_saveexec_b32 s20, s26
	v_mov_b32_e32 v6, s70
	s_xor_b32 exec_lo, exec_lo, s20
; %bb.449:                              ;   in Loop: Header=BB123_12 Depth=1
	v_sub_co_u32 v2, vcc_lo, v2, s10
	v_subrev_co_ci_u32_e32 v3, vcc_lo, s11, v3, vcc_lo
	v_mov_b32_e32 v6, 5
; %bb.450:                              ;   in Loop: Header=BB123_12 Depth=1
	s_or_b32 exec_lo, exec_lo, s20
	s_delay_alu instid0(VALU_DEP_2)
	v_dual_mov_b32 v5, v3 :: v_dual_mov_b32 v4, v2
.LBB123_451:                            ;   in Loop: Header=BB123_12 Depth=1
	s_or_b32 exec_lo, exec_lo, s13
	s_delay_alu instid0(SALU_CYCLE_1)
	s_mov_b32 s26, exec_lo
.LBB123_452:                            ;   in Loop: Header=BB123_12 Depth=1
	s_or_b32 exec_lo, exec_lo, s12
	s_delay_alu instid0(VALU_DEP_1)
	v_dual_mov_b32 v2, v4 :: v_dual_mov_b32 v3, v5
	s_or_not1_b32 s12, s26, exec_lo
.LBB123_453:                            ;   in Loop: Header=BB123_12 Depth=1
	s_or_b32 exec_lo, exec_lo, s22
	s_delay_alu instid0(SALU_CYCLE_1)
	s_and_not1_b32 s10, s14, exec_lo
	s_and_b32 s7, s7, exec_lo
	s_and_b32 s8, s8, exec_lo
	s_or_b32 s14, s10, s7
	s_and_not1_b32 s7, s15, exec_lo
	s_and_not1_b32 s10, s68, exec_lo
	s_and_b32 s9, s9, exec_lo
	v_dual_mov_b32 v5, v3 :: v_dual_mov_b32 v4, v2
	s_or_b32 s15, s7, s8
	s_or_b32 s68, s10, s9
	s_and_b32 s26, s12, exec_lo
.LBB123_454:                            ;   in Loop: Header=BB123_12 Depth=1
	s_or_b32 exec_lo, exec_lo, s69
	s_delay_alu instid0(SALU_CYCLE_1)
	s_and_b32 s14, s14, exec_lo
	s_and_b32 s9, s15, exec_lo
	;; [unrolled: 1-line block ×3, first 2 shown]
	s_or_not1_b32 s7, s26, exec_lo
.LBB123_455:                            ;   in Loop: Header=BB123_12 Depth=1
	s_or_b32 exec_lo, exec_lo, s67
	s_delay_alu instid0(SALU_CYCLE_1)
	s_and_not1_b32 s10, s16, exec_lo
	s_and_b32 s11, s14, exec_lo
	s_and_b32 s9, s9, exec_lo
	s_or_b32 s16, s10, s11
	s_and_not1_b32 s10, s17, exec_lo
	s_and_not1_b32 s11, s65, exec_lo
	s_and_b32 s8, s8, exec_lo
	v_dual_mov_b32 v2, v4 :: v_dual_mov_b32 v3, v5
	s_or_b32 s17, s10, s9
	s_or_b32 s65, s11, s8
	s_and_b32 s26, s7, exec_lo
.LBB123_456:                            ;   in Loop: Header=BB123_12 Depth=1
	s_or_b32 exec_lo, exec_lo, s66
	s_delay_alu instid0(SALU_CYCLE_1)
	s_and_b32 s16, s16, exec_lo
	s_and_b32 s9, s17, exec_lo
	;; [unrolled: 1-line block ×3, first 2 shown]
	s_or_not1_b32 s17, s26, exec_lo
.LBB123_457:                            ;   in Loop: Header=BB123_12 Depth=1
	s_or_b32 exec_lo, exec_lo, s64
	s_mov_b32 s7, s25
	s_mov_b32 s10, s24
	s_and_saveexec_b32 s11, s17
; %bb.458:                              ;   in Loop: Header=BB123_12 Depth=1
	v_cmp_eq_u32_e32 vcc_lo, 5, v6
	v_cmp_ne_u32_e64 s7, 5, v6
	s_and_not1_b32 s10, s24, exec_lo
	s_and_not1_b32 s12, s25, exec_lo
	;; [unrolled: 1-line block ×3, first 2 shown]
	s_and_b32 s13, vcc_lo, exec_lo
	s_and_b32 s7, s7, exec_lo
	s_and_not1_b32 s9, s9, exec_lo
	s_and_not1_b32 s8, s8, exec_lo
	s_or_b32 s10, s10, s7
	s_or_b32 s7, s12, s13
; %bb.459:                              ;   in Loop: Header=BB123_12 Depth=1
	s_or_b32 exec_lo, exec_lo, s11
	s_delay_alu instid0(SALU_CYCLE_1)
	s_and_not1_b32 s11, s18, exec_lo
	s_and_b32 s12, s16, exec_lo
	s_and_b32 s9, s9, exec_lo
	s_or_b32 s18, s11, s12
	s_and_not1_b32 s11, s19, exec_lo
	s_and_not1_b32 s12, s23, exec_lo
	s_and_b32 s8, s8, exec_lo
	v_dual_mov_b32 v8, v27 :: v_dual_mov_b32 v9, v26
	v_mov_b32_e32 v18, v28
	s_or_b32 s19, s11, s9
	s_or_b32 s23, s12, s8
	s_and_not1_b32 s8, s24, exec_lo
	s_and_b32 s9, s10, exec_lo
	s_and_not1_b32 s10, s25, exec_lo
	s_and_b32 s7, s7, exec_lo
	s_or_b32 s24, s8, s9
	s_or_b32 s25, s10, s7
.LBB123_460:                            ;   in Loop: Header=BB123_12 Depth=1
	s_or_b32 exec_lo, exec_lo, s60
	s_mov_b32 s64, s23
	s_mov_b32 s60, s23
	s_and_saveexec_b32 s7, s25
.LBB123_461:                            ;   in Loop: Header=BB123_12 Depth=1
	v_mov_b32_e32 v6, 0
	s_and_not1_b32 s23, s23, exec_lo
	s_and_not1_b32 s18, s18, exec_lo
	;; [unrolled: 1-line block ×5, first 2 shown]
	s_or_b32 s24, s24, exec_lo
.LBB123_462:                            ;   in Loop: Header=BB123_12 Depth=1
	s_or_b32 exec_lo, exec_lo, s7
	s_delay_alu instid0(SALU_CYCLE_1)
	s_and_not1_b32 s7, s94, exec_lo
	s_and_b32 s9, s23, exec_lo
	s_and_not1_b32 s10, s91, exec_lo
	s_or_b32 s94, s7, s9
	s_and_not1_b32 s7, s93, exec_lo
	s_and_b32 s9, s18, exec_lo
	s_and_b32 s11, s19, exec_lo
	s_or_b32 s93, s7, s9
	s_or_b32 s91, s10, s11
	s_and_not1_b32 s7, s92, exec_lo
	s_and_b32 s9, s64, exec_lo
	s_and_not1_b32 s10, s90, exec_lo
	s_and_b32 s11, s60, exec_lo
	s_mov_b32 s8, -1
	s_or_b32 s92, s7, s9
	s_or_b32 s90, s10, s11
                                        ; implicit-def: $vgpr26
                                        ; implicit-def: $vgpr27
                                        ; implicit-def: $vgpr16_vgpr17
                                        ; implicit-def: $vgpr28
	s_and_saveexec_b32 s7, s24
	s_delay_alu instid0(SALU_CYCLE_1)
	s_xor_b32 s7, exec_lo, s7
	s_cbranch_execz .LBB123_11
; %bb.463:                              ;   in Loop: Header=BB123_12 Depth=1
	s_mov_b32 s9, -1
	s_mov_b32 s10, exec_lo
	v_cmpx_eq_u32_e32 0, v6
	s_cbranch_execz .LBB123_10
; %bb.464:                              ;   in Loop: Header=BB123_12 Depth=1
	s_xor_b32 s85, s85, 1
	s_add_i32 s11, s81, -2
	s_cmp_eq_u32 s81, 0
	s_mov_b32 s81, s11
	s_cselect_b32 s8, -1, 0
	s_xor_b32 s9, exec_lo, -1
	s_or_not1_b32 s8, s8, exec_lo
	s_branch .LBB123_10
.LBB123_465:
	s_or_b32 exec_lo, exec_lo, s82
	s_xor_b32 s7, s89, -1
	s_xor_b32 s9, s87, -1
	;; [unrolled: 1-line block ×5, first 2 shown]
	s_mov_b32 s8, 0
	s_and_saveexec_b32 s12, s11
	s_delay_alu instid0(SALU_CYCLE_1)
	s_xor_b32 s14, exec_lo, s12
	s_cbranch_execz .LBB123_522
; %bb.466:
	s_and_saveexec_b32 s11, s10
	s_delay_alu instid0(SALU_CYCLE_1)
	s_xor_b32 s15, exec_lo, s11
	s_cbranch_execz .LBB123_520
; %bb.467:
	s_and_saveexec_b32 s10, s9
	s_delay_alu instid0(SALU_CYCLE_1)
	s_xor_b32 s16, exec_lo, s10
	s_cbranch_execz .LBB123_518
; %bb.468:
	s_and_saveexec_b32 s9, s7
	s_delay_alu instid0(SALU_CYCLE_1)
	s_xor_b32 s17, exec_lo, s9
	s_cbranch_execz .LBB123_516
; %bb.469:
	s_and_saveexec_b32 s7, s6
	s_delay_alu instid0(SALU_CYCLE_1)
	s_xor_b32 s6, exec_lo, s7
; %bb.470:
	v_mov_b32_e32 v18, v8
; %bb.471:
	s_or_b32 exec_lo, exec_lo, s6
	s_and_saveexec_b32 s6, s5
	s_cbranch_execz .LBB123_473
; %bb.472:
	v_mov_b32_e32 v2, 0
	s_delay_alu instid0(VALU_DEP_1)
	v_mov_b32_e32 v3, v2
	ds_store_b64 v2, v[2:3] offset:5136
.LBB123_473:
	s_or_b32 exec_lo, exec_lo, s6
	v_mov_b32_e32 v15, 0
	s_waitcnt lgkmcnt(0)
	s_barrier
	buffer_gl0_inv
	s_and_saveexec_b32 s5, s4
	s_cbranch_execz .LBB123_475
; %bb.474:
	global_load_u8 v15, v[10:11], off
.LBB123_475:
	s_or_b32 exec_lo, exec_lo, s5
	s_add_u32 s5, s36, 31
	s_addc_u32 s7, s37, 0
	s_and_b32 s6, s5, 0xffffffe0
	s_mul_i32 s5, s52, s41
	s_mul_hi_u32 s8, s52, s40
	s_mul_i32 s9, s52, s40
	s_add_i32 s8, s8, s5
	s_sub_u32 s5, s34, s9
	s_subb_u32 s8, 0, s8
	s_mul_i32 s9, s5, s51
	s_mul_hi_u32 s10, s5, s50
	s_mul_i32 s8, s8, s50
	s_add_i32 s9, s10, s9
	s_mul_i32 s10, s54, s42
	s_add_i32 s13, s9, s8
	s_mul_i32 s8, s52, s49
	s_mul_hi_u32 s9, s52, s48
	s_mul_hi_u32 s11, s54, s44
	s_add_i32 s12, s9, s8
	s_mul_i32 s8, s54, s43
	s_mul_hi_u32 s9, s54, s42
	s_mul_i32 s22, s52, s48
	s_add_i32 s9, s9, s8
	s_sub_u32 s18, s34, s10
	s_subb_u32 s9, 0, s9
	s_mul_i32 s8, s18, s47
	s_mul_hi_u32 s10, s18, s46
	s_mul_i32 s9, s9, s46
	s_add_i32 s8, s10, s8
	s_mul_i32 s10, s54, s45
	s_add_i32 s19, s8, s9
	s_add_i32 s21, s11, s10
	s_clause 0x1
	s_load_b64 s[8:9], s[0:1], 0x368
	s_load_b64 s[10:11], s[0:1], 0x510
	s_mul_i32 s5, s5, s50
	s_add_u32 s0, s58, s22
	s_mul_i32 s20, s54, s44
	s_addc_u32 s1, s59, s12
	s_add_u32 s12, s0, s5
	s_addc_u32 s13, s1, s13
	s_lshl_b64 s[0:1], s[20:21], 3
	s_mul_i32 s18, s18, s46
	s_add_u32 s0, s102, s0
	s_addc_u32 s5, s103, s1
	s_lshl_b64 s[18:19], s[18:19], 3
	v_and_b32_e32 v14, 0xff, v18
	s_add_u32 s1, s0, s18
	s_addc_u32 s5, s5, s19
	s_mov_b32 s0, -1
	s_mov_b32 s19, 0
	s_mov_b32 s18, 0
	s_mov_b32 s20, exec_lo
	v_cmpx_gt_u64_e64 s[6:7], v[0:1]
	s_cbranch_execz .LBB123_491
; %bb.476:
	v_mov_b32_e32 v9, v1
	v_dual_mov_b32 v3, 0 :: v_dual_mov_b32 v8, v0
                                        ; implicit-def: $sgpr21
                                        ; implicit-def: $vgpr6_vgpr7
	s_branch .LBB123_478
.LBB123_477:                            ;   in Loop: Header=BB123_478 Depth=1
	s_or_b32 exec_lo, exec_lo, s22
	s_xor_b32 s22, s24, -1
	s_and_b32 s0, exec_lo, s0
	v_mov_b32_e32 v15, v16
	s_or_b32 s18, s0, s18
	v_dual_mov_b32 v9, v5 :: v_dual_mov_b32 v8, v4
	s_and_not1_b32 s0, s21, exec_lo
	s_and_b32 s21, s22, exec_lo
	s_delay_alu instid0(SALU_CYCLE_1)
	s_or_b32 s21, s0, s21
	s_and_not1_b32 exec_lo, exec_lo, s18
	s_cbranch_execz .LBB123_490
.LBB123_478:                            ; =>This Inner Loop Header: Depth=1
	s_delay_alu instid0(VALU_DEP_1) | instskip(NEXT) | instid1(VALU_DEP_3)
	v_add_co_u32 v4, vcc_lo, v8, s33
	v_add_co_ci_u32_e32 v5, vcc_lo, 0, v9, vcc_lo
	v_mov_b32_e32 v16, 0
	s_mov_b32 s0, exec_lo
	s_delay_alu instid0(VALU_DEP_2)
	v_cmpx_gt_u64_e64 s[36:37], v[4:5]
	s_cbranch_execz .LBB123_480
; %bb.479:                              ;   in Loop: Header=BB123_478 Depth=1
	v_mad_u64_u32 v[12:13], null, v4, s30, s[28:29]
	v_mul_lo_u32 v2, v4, s31
	v_mul_lo_u32 v16, v5, s30
	s_delay_alu instid0(VALU_DEP_1)
	v_add3_u32 v13, v16, v13, v2
	global_load_u8 v16, v[12:13], off
.LBB123_480:                            ;   in Loop: Header=BB123_478 Depth=1
	s_or_b32 exec_lo, exec_lo, s0
	s_waitcnt vmcnt(0)
	v_and_b32_e32 v2, 0xff, v15
	s_delay_alu instid0(VALU_DEP_1) | instskip(SKIP_4) | instid1(VALU_DEP_2)
	v_cmp_gt_u16_e32 vcc_lo, v2, v14
	v_cndmask_b32_e64 v12, 0, 1, vcc_lo
	v_cmp_lt_u16_e32 vcc_lo, v2, v14
	v_cndmask_b32_e64 v2, 0, 1, vcc_lo
	v_cmp_gt_u64_e32 vcc_lo, s[36:37], v[8:9]
	v_cndmask_b32_e64 v2, v2, v12, s3
	s_delay_alu instid0(VALU_DEP_1) | instskip(NEXT) | instid1(VALU_DEP_1)
	v_and_b32_e32 v2, 1, v2
	v_cmp_eq_u32_e64 s0, 1, v2
	s_delay_alu instid0(VALU_DEP_1) | instskip(NEXT) | instid1(SALU_CYCLE_1)
	s_and_b32 s22, vcc_lo, s0
	v_cndmask_b32_e64 v2, 0, 1, s22
	s_delay_alu instid0(VALU_DEP_1) | instskip(SKIP_2) | instid1(SALU_CYCLE_1)
	v_cmp_ne_u32_e32 vcc_lo, 0, v2
	s_cmp_lg_u32 vcc_lo, 0
	s_cselect_b32 s0, -1, 0
	s_and_b32 s0, s2, s0
	s_delay_alu instid0(SALU_CYCLE_1)
	s_and_saveexec_b32 s23, s0
	s_cbranch_execz .LBB123_484
; %bb.481:                              ;   in Loop: Header=BB123_478 Depth=1
	s_mov_b32 s26, exec_lo
	s_bcnt1_i32_b32 s24, vcc_lo
	v_mbcnt_lo_u32_b32 v12, s26, 0
	s_mov_b32 s25, exec_lo
                                        ; implicit-def: $vgpr6_vgpr7
	s_delay_alu instid0(VALU_DEP_1)
	v_cmpx_eq_u32_e32 0, v12
	s_cbranch_execz .LBB123_483
; %bb.482:                              ;   in Loop: Header=BB123_478 Depth=1
	s_bcnt1_i32_b32 s0, s26
	s_delay_alu instid0(SALU_CYCLE_1) | instskip(NEXT) | instid1(SALU_CYCLE_1)
	s_mul_i32 s0, s24, s0
	v_mov_b32_e32 v2, s0
	s_waitcnt lgkmcnt(0)
	ds_add_rtn_u64 v[6:7], v3, v[2:3] offset:5136
.LBB123_483:                            ;   in Loop: Header=BB123_478 Depth=1
	s_or_b32 exec_lo, exec_lo, s25
	s_waitcnt lgkmcnt(0)
	v_readfirstlane_b32 s27, v7
	v_readfirstlane_b32 s26, v6
	s_delay_alu instid0(VALU_DEP_1)
	v_mad_u64_u32 v[6:7], null, s24, v12, s[26:27]
.LBB123_484:                            ;   in Loop: Header=BB123_478 Depth=1
	s_or_b32 exec_lo, exec_lo, s23
	s_waitcnt lgkmcnt(0)
	ds_bpermute_b32 v6, v3, v6
	ds_bpermute_b32 v7, v3, v7
	s_mov_b32 s0, -1
	s_mov_b32 s25, -1
                                        ; implicit-def: $sgpr24
	s_and_saveexec_b32 s23, s22
	s_cbranch_execz .LBB123_488
; %bb.485:                              ;   in Loop: Header=BB123_478 Depth=1
	v_and_b32_e32 v2, vcc_lo, v22
	s_mov_b32 s22, 0
	s_mov_b32 s24, exec_lo
	s_delay_alu instid0(VALU_DEP_1) | instskip(SKIP_1) | instid1(VALU_DEP_1)
	v_bcnt_u32_b32 v2, v2, 0
	s_waitcnt lgkmcnt(0)
	v_add_co_u32 v12, vcc_lo, v6, v2
	v_add_co_ci_u32_e32 v13, vcc_lo, 0, v7, vcc_lo
	s_delay_alu instid0(VALU_DEP_1)
	v_cmpx_gt_u64_e64 s[38:39], v[12:13]
	s_cbranch_execz .LBB123_487
; %bb.486:                              ;   in Loop: Header=BB123_478 Depth=1
	v_mul_lo_u32 v2, v13, s10
	v_mul_lo_u32 v17, v12, s11
	v_mad_u64_u32 v[19:20], null, v12, s10, 0
	v_mad_u64_u32 v[23:24], null, v12, s8, s[12:13]
	v_mul_lo_u32 v21, v12, s9
	s_mov_b32 s22, exec_lo
	s_delay_alu instid0(VALU_DEP_3) | instskip(SKIP_1) | instid1(VALU_DEP_2)
	v_add3_u32 v20, v20, v17, v2
	v_mul_lo_u32 v2, v13, s8
	v_lshlrev_b64 v[12:13], 3, v[19:20]
	s_delay_alu instid0(VALU_DEP_2) | instskip(NEXT) | instid1(VALU_DEP_2)
	v_add3_u32 v24, v2, v24, v21
	v_add_co_u32 v12, vcc_lo, s1, v12
	s_delay_alu instid0(VALU_DEP_3)
	v_add_co_ci_u32_e32 v13, vcc_lo, s5, v13, vcc_lo
	global_store_b8 v[23:24], v15, off
	global_store_b64 v[12:13], v[8:9], off
.LBB123_487:                            ;   in Loop: Header=BB123_478 Depth=1
	s_or_b32 exec_lo, exec_lo, s24
	s_mov_b32 s24, -1
	s_or_not1_b32 s25, s22, exec_lo
.LBB123_488:                            ;   in Loop: Header=BB123_478 Depth=1
	s_or_b32 exec_lo, exec_lo, s23
	s_and_saveexec_b32 s22, s25
	s_cbranch_execz .LBB123_477
; %bb.489:                              ;   in Loop: Header=BB123_478 Depth=1
	v_cmp_le_u64_e32 vcc_lo, s[6:7], v[4:5]
	s_and_not1_b32 s24, s24, exec_lo
	s_or_not1_b32 s0, vcc_lo, exec_lo
	s_branch .LBB123_477
.LBB123_490:
	s_or_b32 exec_lo, exec_lo, s18
	s_delay_alu instid0(SALU_CYCLE_1)
	s_mov_b32 s18, exec_lo
	s_or_not1_b32 s0, s21, exec_lo
.LBB123_491:
	s_or_b32 exec_lo, exec_lo, s20
	s_and_saveexec_b32 s3, s0
	s_cbranch_execz .LBB123_514
; %bb.492:
	v_dual_mov_b32 v3, 0 :: v_dual_mov_b32 v8, 0
	s_waitcnt vmcnt(0) lgkmcnt(0)
	s_waitcnt_vscnt null, 0x0
	s_barrier
	buffer_gl0_inv
	s_and_saveexec_b32 s0, s4
	s_cbranch_execz .LBB123_494
; %bb.493:
	global_load_u8 v8, v[10:11], off
.LBB123_494:
	s_or_b32 exec_lo, exec_lo, s0
	s_mov_b32 s19, 0
                                        ; implicit-def: $sgpr4
                                        ; implicit-def: $sgpr20
                                        ; implicit-def: $sgpr21
                                        ; implicit-def: $vgpr4_vgpr5
	s_branch .LBB123_497
.LBB123_495:                            ;   in Loop: Header=BB123_497 Depth=1
	s_or_b32 exec_lo, exec_lo, s24
	v_dual_mov_b32 v0, v6 :: v_dual_mov_b32 v1, v7
	s_and_not1_b32 s0, s21, exec_lo
	s_and_b32 s21, s26, exec_lo
	s_and_not1_b32 s20, s20, exec_lo
	s_and_b32 s23, s23, exec_lo
	s_or_b32 s21, s0, s21
	s_or_b32 s20, s20, s23
.LBB123_496:                            ;   in Loop: Header=BB123_497 Depth=1
	s_or_b32 exec_lo, exec_lo, s22
	s_xor_b32 s0, s21, -1
	s_and_b32 s22, exec_lo, s20
	s_delay_alu instid0(SALU_CYCLE_1) | instskip(SKIP_2) | instid1(SALU_CYCLE_1)
	s_or_b32 s19, s22, s19
	s_and_not1_b32 s4, s4, exec_lo
	s_and_b32 s0, s0, exec_lo
	s_or_b32 s4, s4, s0
	s_and_not1_b32 exec_lo, exec_lo, s19
	s_cbranch_execz .LBB123_512
.LBB123_497:                            ; =>This Inner Loop Header: Depth=1
	s_or_b32 s21, s21, exec_lo
	s_or_b32 s20, s20, exec_lo
	s_mov_b32 s22, exec_lo
	v_cmpx_gt_u64_e64 s[6:7], v[0:1]
	s_cbranch_execz .LBB123_496
; %bb.498:                              ;   in Loop: Header=BB123_497 Depth=1
	v_add_co_u32 v6, vcc_lo, v0, s33
	v_add_co_ci_u32_e32 v7, vcc_lo, 0, v1, vcc_lo
	v_mov_b32_e32 v10, 0
	s_mov_b32 s0, exec_lo
	s_delay_alu instid0(VALU_DEP_2)
	v_cmpx_gt_u64_e64 s[36:37], v[6:7]
	s_cbranch_execz .LBB123_500
; %bb.499:                              ;   in Loop: Header=BB123_497 Depth=1
	v_mad_u64_u32 v[9:10], null, v6, s30, s[28:29]
	v_mul_lo_u32 v2, v6, s31
	v_mul_lo_u32 v11, v7, s30
	s_delay_alu instid0(VALU_DEP_1)
	v_add3_u32 v10, v11, v10, v2
	global_load_u8 v10, v[9:10], off
.LBB123_500:                            ;   in Loop: Header=BB123_497 Depth=1
	s_or_b32 exec_lo, exec_lo, s0
	s_waitcnt vmcnt(0)
	v_and_b32_e32 v2, 0xff, v8
	v_cmp_gt_u64_e32 vcc_lo, s[36:37], v[0:1]
	s_delay_alu instid0(VALU_DEP_2) | instskip(NEXT) | instid1(VALU_DEP_1)
	v_cmp_eq_u16_e64 s0, v2, v14
	s_and_b32 s24, vcc_lo, s0
	s_delay_alu instid0(SALU_CYCLE_1) | instskip(NEXT) | instid1(VALU_DEP_1)
	v_cndmask_b32_e64 v2, 0, 1, s24
	v_cmp_ne_u32_e32 vcc_lo, 0, v2
	s_cmp_lg_u32 vcc_lo, 0
	s_cselect_b32 s0, -1, 0
	s_delay_alu instid0(SALU_CYCLE_1) | instskip(NEXT) | instid1(SALU_CYCLE_1)
	s_and_b32 s0, s2, s0
	s_and_saveexec_b32 s23, s0
	s_cbranch_execz .LBB123_504
; %bb.501:                              ;   in Loop: Header=BB123_497 Depth=1
	s_mov_b32 s27, exec_lo
	s_bcnt1_i32_b32 s25, vcc_lo
	v_mbcnt_lo_u32_b32 v9, s27, 0
	s_mov_b32 s26, exec_lo
                                        ; implicit-def: $vgpr4_vgpr5
	s_delay_alu instid0(VALU_DEP_1)
	v_cmpx_eq_u32_e32 0, v9
	s_cbranch_execz .LBB123_503
; %bb.502:                              ;   in Loop: Header=BB123_497 Depth=1
	s_bcnt1_i32_b32 s0, s27
	s_delay_alu instid0(SALU_CYCLE_1) | instskip(NEXT) | instid1(SALU_CYCLE_1)
	s_mul_i32 s0, s25, s0
	v_mov_b32_e32 v2, s0
	ds_add_rtn_u64 v[4:5], v3, v[2:3] offset:5136
.LBB123_503:                            ;   in Loop: Header=BB123_497 Depth=1
	s_or_b32 exec_lo, exec_lo, s26
	s_waitcnt lgkmcnt(0)
	v_readfirstlane_b32 s27, v5
	v_readfirstlane_b32 s26, v4
	s_delay_alu instid0(VALU_DEP_1)
	v_mad_u64_u32 v[4:5], null, s25, v9, s[26:27]
.LBB123_504:                            ;   in Loop: Header=BB123_497 Depth=1
	s_or_b32 exec_lo, exec_lo, s23
	ds_bpermute_b32 v4, v3, v4
	ds_bpermute_b32 v5, v3, v5
	s_cmp_eq_u32 vcc_lo, 0
	s_mov_b32 s23, -1
	s_cselect_b32 s25, -1, 0
	s_mov_b32 s26, -1
	s_waitcnt lgkmcnt(0)
	v_cmp_gt_u64_e64 s0, s[38:39], v[4:5]
	s_delay_alu instid0(VALU_DEP_1) | instskip(SKIP_3) | instid1(SALU_CYCLE_1)
	s_or_b32 s0, s25, s0
	s_mov_b32 s25, -1
	v_cndmask_b32_e64 v8, v8, v10, s0
	s_and_b32 s27, s24, s0
	s_and_saveexec_b32 s24, s27
	s_cbranch_execz .LBB123_510
; %bb.505:                              ;   in Loop: Header=BB123_497 Depth=1
	v_and_b32_e32 v2, vcc_lo, v22
	v_sub_co_u32 v8, vcc_lo, s38, v4
	v_sub_co_ci_u32_e32 v9, vcc_lo, s39, v5, vcc_lo
	s_delay_alu instid0(VALU_DEP_3) | instskip(SKIP_2) | instid1(VALU_DEP_1)
	v_bcnt_u32_b32 v2, v2, 0
	s_mov_b32 s27, -1
	s_mov_b32 s26, exec_lo
	v_cmp_le_u64_e64 s25, v[8:9], v[2:3]
	v_cmpx_gt_u64_e64 v[8:9], v[2:3]
	s_cbranch_execz .LBB123_509
; %bb.506:                              ;   in Loop: Header=BB123_497 Depth=1
	v_add_co_u32 v8, vcc_lo, v4, v2
	v_add_co_ci_u32_e32 v9, vcc_lo, 0, v5, vcc_lo
	s_delay_alu instid0(VALU_DEP_4) | instskip(SKIP_1) | instid1(VALU_DEP_1)
	s_mov_b32 s34, s25
	s_mov_b32 s27, exec_lo
	v_cmpx_gt_u64_e64 s[38:39], v[8:9]
	s_cbranch_execz .LBB123_508
; %bb.507:                              ;   in Loop: Header=BB123_497 Depth=1
	v_mul_lo_u32 v2, v9, s10
	v_mul_lo_u32 v13, v8, s11
	v_mad_u64_u32 v[11:12], null, v8, s10, 0
	v_mad_u64_u32 v[15:16], null, v8, s8, s[12:13]
	v_mul_lo_u32 v17, v8, s9
	s_or_b32 s34, s25, exec_lo
	s_delay_alu instid0(VALU_DEP_3) | instskip(SKIP_1) | instid1(VALU_DEP_2)
	v_add3_u32 v12, v12, v13, v2
	v_mul_lo_u32 v2, v9, s8
	v_lshlrev_b64 v[8:9], 3, v[11:12]
	s_delay_alu instid0(VALU_DEP_2) | instskip(NEXT) | instid1(VALU_DEP_2)
	v_add3_u32 v16, v2, v16, v17
	v_add_co_u32 v8, vcc_lo, s1, v8
	s_delay_alu instid0(VALU_DEP_3)
	v_add_co_ci_u32_e32 v9, vcc_lo, s5, v9, vcc_lo
	global_store_b8 v[15:16], v18, off
	global_store_b64 v[8:9], v[0:1], off
.LBB123_508:                            ;   in Loop: Header=BB123_497 Depth=1
	s_or_b32 exec_lo, exec_lo, s27
	s_delay_alu instid0(SALU_CYCLE_1)
	s_and_not1_b32 s25, s25, exec_lo
	s_and_b32 s34, s34, exec_lo
	s_xor_b32 s27, exec_lo, -1
	s_or_b32 s25, s25, s34
.LBB123_509:                            ;   in Loop: Header=BB123_497 Depth=1
	s_or_b32 exec_lo, exec_lo, s26
	v_mov_b32_e32 v8, v10
	s_or_not1_b32 s26, s27, exec_lo
	s_or_b32 s0, s0, exec_lo
	s_or_not1_b32 s25, s25, exec_lo
.LBB123_510:                            ;   in Loop: Header=BB123_497 Depth=1
	s_or_b32 exec_lo, exec_lo, s24
	s_and_saveexec_b32 s24, s25
	s_cbranch_execz .LBB123_495
; %bb.511:                              ;   in Loop: Header=BB123_497 Depth=1
	s_xor_b32 s0, s0, -1
	s_or_b32 s26, s26, exec_lo
	s_or_not1_b32 s23, s0, exec_lo
	s_branch .LBB123_495
.LBB123_512:
	s_or_b32 exec_lo, exec_lo, s19
	s_mov_b32 s0, 0
	s_and_saveexec_b32 s1, s4
	s_delay_alu instid0(SALU_CYCLE_1)
	s_xor_b32 s1, exec_lo, s1
	s_cbranch_execnz .LBB123_544
.LBB123_513:
	s_or_b32 exec_lo, exec_lo, s1
	s_delay_alu instid0(SALU_CYCLE_1)
	s_and_b32 s19, s0, exec_lo
	s_and_not1_b32 s18, s18, exec_lo
.LBB123_514:
	s_or_b32 exec_lo, exec_lo, s3
	s_and_saveexec_b32 s0, s18
	s_delay_alu instid0(SALU_CYCLE_1)
	s_xor_b32 s0, exec_lo, s0
	s_cbranch_execnz .LBB123_540
.LBB123_515:
	s_or_b32 exec_lo, exec_lo, s0
	s_waitcnt lgkmcnt(0)
	s_and_b32 s8, s19, exec_lo
.LBB123_516:
	s_and_not1_saveexec_b32 s0, s17
	s_cbranch_execnz .LBB123_536
.LBB123_517:
	s_or_b32 exec_lo, exec_lo, s0
	s_delay_alu instid0(SALU_CYCLE_1)
	s_and_b32 s8, s8, exec_lo
.LBB123_518:
	s_and_not1_saveexec_b32 s0, s16
	s_cbranch_execnz .LBB123_532
.LBB123_519:
	s_or_b32 exec_lo, exec_lo, s0
	s_delay_alu instid0(SALU_CYCLE_1)
	s_and_b32 s8, s8, exec_lo
.LBB123_520:
	s_and_not1_saveexec_b32 s0, s15
	s_cbranch_execnz .LBB123_528
.LBB123_521:
	s_or_b32 exec_lo, exec_lo, s0
	s_delay_alu instid0(SALU_CYCLE_1)
	s_and_b32 s8, s8, exec_lo
.LBB123_522:
	s_and_not1_saveexec_b32 s0, s14
	s_cbranch_execnz .LBB123_526
; %bb.523:
	s_or_b32 exec_lo, exec_lo, s0
	s_and_saveexec_b32 s0, s8
.LBB123_524:
	; divergent unreachable
.LBB123_525:
	s_nop 0
	s_sendmsg sendmsg(MSG_DEALLOC_VGPRS)
	s_endpgm
.LBB123_526:
	s_cbranch_execnz .LBB123_530
; %bb.527:
	s_or_b32 s8, s8, exec_lo
	s_or_b32 exec_lo, exec_lo, s0
	s_and_saveexec_b32 s0, s8
	s_cbranch_execnz .LBB123_524
	s_branch .LBB123_525
.LBB123_528:
	s_cbranch_execnz .LBB123_534
; %bb.529:
	s_or_b32 s8, s8, exec_lo
	s_branch .LBB123_521
.LBB123_530:
	s_trap 2
	s_sendmsg_rtn_b32 s0, sendmsg(MSG_RTN_GET_DOORBELL)
	s_mov_b32 ttmp2, m0
	s_waitcnt lgkmcnt(0)
	s_and_b32 s0, s0, 0x3ff
	s_delay_alu instid0(SALU_CYCLE_1) | instskip(NEXT) | instid1(SALU_CYCLE_1)
	s_bitset1_b32 s0, 10
	s_mov_b32 m0, s0
	s_sendmsg sendmsg(MSG_INTERRUPT)
	s_mov_b32 m0, ttmp2
.LBB123_531:                            ; =>This Inner Loop Header: Depth=1
	s_sethalt 5
	s_branch .LBB123_531
.LBB123_532:
	s_cbranch_execnz .LBB123_538
; %bb.533:
	s_or_b32 s8, s8, exec_lo
	s_branch .LBB123_519
.LBB123_534:
	s_trap 2
	s_sendmsg_rtn_b32 s0, sendmsg(MSG_RTN_GET_DOORBELL)
	s_mov_b32 ttmp2, m0
	s_waitcnt lgkmcnt(0)
	s_and_b32 s0, s0, 0x3ff
	s_delay_alu instid0(SALU_CYCLE_1) | instskip(NEXT) | instid1(SALU_CYCLE_1)
	s_bitset1_b32 s0, 10
	s_mov_b32 m0, s0
	s_sendmsg sendmsg(MSG_INTERRUPT)
	s_mov_b32 m0, ttmp2
.LBB123_535:                            ; =>This Inner Loop Header: Depth=1
	s_sethalt 5
	s_branch .LBB123_535
.LBB123_536:
	s_cbranch_execnz .LBB123_542
; %bb.537:
	s_or_b32 s8, s8, exec_lo
	s_branch .LBB123_517
.LBB123_538:
	s_trap 2
	s_sendmsg_rtn_b32 s0, sendmsg(MSG_RTN_GET_DOORBELL)
	s_mov_b32 ttmp2, m0
	s_waitcnt lgkmcnt(0)
	s_and_b32 s0, s0, 0x3ff
	s_delay_alu instid0(SALU_CYCLE_1) | instskip(NEXT) | instid1(SALU_CYCLE_1)
	s_bitset1_b32 s0, 10
	s_mov_b32 m0, s0
	s_sendmsg sendmsg(MSG_INTERRUPT)
	s_mov_b32 m0, ttmp2
.LBB123_539:                            ; =>This Inner Loop Header: Depth=1
	s_sethalt 5
	s_branch .LBB123_539
.LBB123_540:
	s_cbranch_execnz .LBB123_546
; %bb.541:
	s_or_b32 s19, s19, exec_lo
	s_branch .LBB123_515
.LBB123_542:
	s_trap 2
	s_sendmsg_rtn_b32 s0, sendmsg(MSG_RTN_GET_DOORBELL)
	s_mov_b32 ttmp2, m0
	s_waitcnt lgkmcnt(0)
	s_and_b32 s0, s0, 0x3ff
	s_delay_alu instid0(SALU_CYCLE_1) | instskip(NEXT) | instid1(SALU_CYCLE_1)
	s_bitset1_b32 s0, 10
	s_mov_b32 m0, s0
	s_sendmsg sendmsg(MSG_INTERRUPT)
	s_mov_b32 m0, ttmp2
.LBB123_543:                            ; =>This Inner Loop Header: Depth=1
	s_sethalt 5
	s_branch .LBB123_543
.LBB123_544:
	s_cbranch_execnz .LBB123_548
; %bb.545:
	s_mov_b32 s0, exec_lo
	s_branch .LBB123_513
.LBB123_546:
	s_trap 2
	s_sendmsg_rtn_b32 s0, sendmsg(MSG_RTN_GET_DOORBELL)
	s_mov_b32 ttmp2, m0
	s_waitcnt lgkmcnt(0)
	s_and_b32 s0, s0, 0x3ff
	s_delay_alu instid0(SALU_CYCLE_1) | instskip(NEXT) | instid1(SALU_CYCLE_1)
	s_bitset1_b32 s0, 10
	s_mov_b32 m0, s0
	s_sendmsg sendmsg(MSG_INTERRUPT)
	s_mov_b32 m0, ttmp2
.LBB123_547:                            ; =>This Inner Loop Header: Depth=1
	s_sethalt 5
	s_branch .LBB123_547
.LBB123_548:
	s_trap 2
	s_sendmsg_rtn_b32 s0, sendmsg(MSG_RTN_GET_DOORBELL)
	s_mov_b32 ttmp2, m0
	s_waitcnt lgkmcnt(0)
	s_and_b32 s0, s0, 0x3ff
	s_delay_alu instid0(SALU_CYCLE_1) | instskip(NEXT) | instid1(SALU_CYCLE_1)
	s_bitset1_b32 s0, 10
	s_mov_b32 m0, s0
	s_sendmsg sendmsg(MSG_INTERRUPT)
	s_mov_b32 m0, ttmp2
.LBB123_549:                            ; =>This Inner Loop Header: Depth=1
	s_sethalt 5
	s_branch .LBB123_549
	.section	.rodata,"a",@progbits
	.p2align	6, 0x0
	.amdhsa_kernel _ZN2at6native6sbtopk10gatherTopKIhmLi2ELb0EEEvNS_4cuda6detail10TensorInfoIKT_T0_EES8_S8_bS8_S8_NS5_IS6_S8_EES8_NS5_IlS8_EES8_PS6_
		.amdhsa_group_segment_fixed_size 5152
		.amdhsa_private_segment_fixed_size 0
		.amdhsa_kernarg_size 1568
		.amdhsa_user_sgpr_count 13
		.amdhsa_user_sgpr_dispatch_ptr 0
		.amdhsa_user_sgpr_queue_ptr 0
		.amdhsa_user_sgpr_kernarg_segment_ptr 1
		.amdhsa_user_sgpr_dispatch_id 0
		.amdhsa_user_sgpr_private_segment_size 0
		.amdhsa_wavefront_size32 1
		.amdhsa_uses_dynamic_stack 0
		.amdhsa_enable_private_segment 0
		.amdhsa_system_sgpr_workgroup_id_x 1
		.amdhsa_system_sgpr_workgroup_id_y 1
		.amdhsa_system_sgpr_workgroup_id_z 1
		.amdhsa_system_sgpr_workgroup_info 0
		.amdhsa_system_vgpr_workitem_id 0
		.amdhsa_next_free_vgpr 33
		.amdhsa_next_free_sgpr 105
		.amdhsa_reserve_vcc 1
		.amdhsa_float_round_mode_32 0
		.amdhsa_float_round_mode_16_64 0
		.amdhsa_float_denorm_mode_32 3
		.amdhsa_float_denorm_mode_16_64 3
		.amdhsa_dx10_clamp 1
		.amdhsa_ieee_mode 1
		.amdhsa_fp16_overflow 0
		.amdhsa_workgroup_processor_mode 1
		.amdhsa_memory_ordered 1
		.amdhsa_forward_progress 0
		.amdhsa_shared_vgpr_count 0
		.amdhsa_exception_fp_ieee_invalid_op 0
		.amdhsa_exception_fp_denorm_src 0
		.amdhsa_exception_fp_ieee_div_zero 0
		.amdhsa_exception_fp_ieee_overflow 0
		.amdhsa_exception_fp_ieee_underflow 0
		.amdhsa_exception_fp_ieee_inexact 0
		.amdhsa_exception_int_div_zero 0
	.end_amdhsa_kernel
	.section	.text._ZN2at6native6sbtopk10gatherTopKIhmLi2ELb0EEEvNS_4cuda6detail10TensorInfoIKT_T0_EES8_S8_bS8_S8_NS5_IS6_S8_EES8_NS5_IlS8_EES8_PS6_,"axG",@progbits,_ZN2at6native6sbtopk10gatherTopKIhmLi2ELb0EEEvNS_4cuda6detail10TensorInfoIKT_T0_EES8_S8_bS8_S8_NS5_IS6_S8_EES8_NS5_IlS8_EES8_PS6_,comdat
.Lfunc_end123:
	.size	_ZN2at6native6sbtopk10gatherTopKIhmLi2ELb0EEEvNS_4cuda6detail10TensorInfoIKT_T0_EES8_S8_bS8_S8_NS5_IS6_S8_EES8_NS5_IlS8_EES8_PS6_, .Lfunc_end123-_ZN2at6native6sbtopk10gatherTopKIhmLi2ELb0EEEvNS_4cuda6detail10TensorInfoIKT_T0_EES8_S8_bS8_S8_NS5_IS6_S8_EES8_NS5_IlS8_EES8_PS6_
                                        ; -- End function
	.section	.AMDGPU.csdata,"",@progbits
; Kernel info:
; codeLenInByte = 28752
; NumSgprs: 107
; NumVgprs: 33
; ScratchSize: 0
; MemoryBound: 0
; FloatMode: 240
; IeeeMode: 1
; LDSByteSize: 5152 bytes/workgroup (compile time only)
; SGPRBlocks: 13
; VGPRBlocks: 4
; NumSGPRsForWavesPerEU: 107
; NumVGPRsForWavesPerEU: 33
; Occupancy: 16
; WaveLimiterHint : 1
; COMPUTE_PGM_RSRC2:SCRATCH_EN: 0
; COMPUTE_PGM_RSRC2:USER_SGPR: 13
; COMPUTE_PGM_RSRC2:TRAP_HANDLER: 0
; COMPUTE_PGM_RSRC2:TGID_X_EN: 1
; COMPUTE_PGM_RSRC2:TGID_Y_EN: 1
; COMPUTE_PGM_RSRC2:TGID_Z_EN: 1
; COMPUTE_PGM_RSRC2:TIDIG_COMP_CNT: 0
	.section	.text._ZN2at6native6mbtopk23computeBlockDigitCountsIhmjLi3EEEvNS_4cuda6detail10TensorInfoIKT_T0_EEjPjjS8_iijT1_PSB_Ps,"axG",@progbits,_ZN2at6native6mbtopk23computeBlockDigitCountsIhmjLi3EEEvNS_4cuda6detail10TensorInfoIKT_T0_EEjPjjS8_iijT1_PSB_Ps,comdat
	.protected	_ZN2at6native6mbtopk23computeBlockDigitCountsIhmjLi3EEEvNS_4cuda6detail10TensorInfoIKT_T0_EEjPjjS8_iijT1_PSB_Ps ; -- Begin function _ZN2at6native6mbtopk23computeBlockDigitCountsIhmjLi3EEEvNS_4cuda6detail10TensorInfoIKT_T0_EEjPjjS8_iijT1_PSB_Ps
	.globl	_ZN2at6native6mbtopk23computeBlockDigitCountsIhmjLi3EEEvNS_4cuda6detail10TensorInfoIKT_T0_EEjPjjS8_iijT1_PSB_Ps
	.p2align	8
	.type	_ZN2at6native6mbtopk23computeBlockDigitCountsIhmjLi3EEEvNS_4cuda6detail10TensorInfoIKT_T0_EEjPjjS8_iijT1_PSB_Ps,@function
_ZN2at6native6mbtopk23computeBlockDigitCountsIhmjLi3EEEvNS_4cuda6detail10TensorInfoIKT_T0_EEjPjjS8_iijT1_PSB_Ps: ; @_ZN2at6native6mbtopk23computeBlockDigitCountsIhmjLi3EEEvNS_4cuda6detail10TensorInfoIKT_T0_EEjPjjS8_iijT1_PSB_Ps
; %bb.0:
	s_clause 0x2
	s_load_b128 s[4:7], s[0:1], 0x1c0
	s_load_b32 s9, s[0:1], 0x1b0
	s_load_b64 s[2:3], s[0:1], 0x1e0
	s_mov_b32 s21, 0
	s_waitcnt lgkmcnt(0)
	v_cvt_f32_u32_e32 v1, s6
	s_sub_i32 s10, 0, s6
	s_mul_i32 s3, s3, s15
	s_delay_alu instid0(SALU_CYCLE_1) | instskip(NEXT) | instid1(VALU_DEP_1)
	s_add_i32 s3, s3, s14
	v_rcp_iflag_f32_e32 v1, v1
	s_mul_i32 s24, s3, s2
	s_delay_alu instid0(SALU_CYCLE_1) | instskip(SKIP_2) | instid1(VALU_DEP_1)
	s_add_i32 s24, s24, s13
	s_waitcnt_depctr 0xfff
	v_mul_f32_e32 v1, 0x4f7ffffe, v1
	v_cvt_u32_f32_e32 v1, v1
	s_delay_alu instid0(VALU_DEP_1) | instskip(NEXT) | instid1(VALU_DEP_1)
	v_readfirstlane_b32 s8, v1
	s_mul_i32 s10, s10, s8
	s_delay_alu instid0(SALU_CYCLE_1) | instskip(NEXT) | instid1(SALU_CYCLE_1)
	s_mul_hi_u32 s2, s8, s10
	s_add_i32 s8, s8, s2
	s_delay_alu instid0(SALU_CYCLE_1) | instskip(NEXT) | instid1(SALU_CYCLE_1)
	s_mul_hi_u32 s2, s24, s8
	s_mul_i32 s3, s2, s6
	s_add_i32 s8, s2, 1
	s_sub_i32 s3, s24, s3
	s_delay_alu instid0(SALU_CYCLE_1)
	s_sub_i32 s10, s3, s6
	s_cmp_ge_u32 s3, s6
	s_cselect_b32 s2, s8, s2
	s_cselect_b32 s3, s10, s3
	s_add_i32 s8, s2, 1
	s_cmp_ge_u32 s3, s6
	s_cselect_b32 s20, s8, s2
	s_delay_alu instid0(SALU_CYCLE_1)
	s_cmp_ge_u32 s20, s9
	s_cbranch_scc1 .LBB124_31
; %bb.1:
	s_clause 0x1
	s_load_b128 s[12:15], s[0:1], 0x10
	s_load_b128 s[8:11], s[0:1], 0x1d0
	s_lshl_b64 s[2:3], s[20:21], 2
	s_mov_b64 s[22:23], 0
	s_waitcnt lgkmcnt(0)
	v_cmp_lt_u64_e64 s16, s[20:21], s[14:15]
	s_add_u32 s2, s8, s2
	s_addc_u32 s3, s9, s3
	s_mov_b64 s[8:9], 0
	s_delay_alu instid0(VALU_DEP_1)
	s_and_b32 vcc_lo, exec_lo, s16
	s_cbranch_vccz .LBB124_32
; %bb.2:
	v_cmp_lt_u64_e64 s9, s[22:23], s[12:13]
	s_delay_alu instid0(VALU_DEP_1)
	s_and_b32 vcc_lo, exec_lo, s9
	s_cbranch_vccz .LBB124_33
.LBB124_3:
	v_cmp_gt_u32_e32 vcc_lo, 0x100, v0
	v_lshlrev_b32_e32 v1, 2, v0
	s_and_saveexec_b32 s9, vcc_lo
	s_cbranch_execz .LBB124_5
.LBB124_4:
	v_mov_b32_e32 v2, 0
	ds_store_b32 v1, v2
.LBB124_5:
	s_or_b32 exec_lo, exec_lo, s9
	s_load_b32 s21, s[0:1], 0x1a0
	s_mul_i32 s9, s20, s6
	s_mov_b32 s26, 0
	s_sub_i32 s9, s24, s9
	s_waitcnt lgkmcnt(0)
	s_mul_i32 s16, s5, s9
	s_add_i32 s9, s9, 1
	s_lshl_b32 s25, s16, 8
	s_barrier
	buffer_gl0_inv
	s_sub_i32 s16, s21, s25
	s_delay_alu instid0(SALU_CYCLE_1) | instskip(SKIP_3) | instid1(VALU_DEP_1)
	s_add_u32 s16, s16, 0xff
	s_addc_u32 s17, 0, 0
	s_cmp_lt_u32 s9, s6
	v_alignbit_b32 v2, s17, s16, 8
	v_readfirstlane_b32 s16, v2
	s_delay_alu instid0(VALU_DEP_1) | instskip(NEXT) | instid1(SALU_CYCLE_1)
	s_cselect_b32 s6, s5, s16
	s_cmp_lt_i32 s6, 1
	s_cbranch_scc1 .LBB124_27
; %bb.6:
	s_clause 0x2
	s_load_b64 s[28:29], s[0:1], 0xe0
	s_load_b128 s[16:19], s[0:1], 0xd0
	s_load_b64 s[30:31], s[0:1], 0x0
	s_load_b32 s5, s[2:3], 0x0
	s_mul_i32 s9, s22, s15
	s_mul_hi_u32 s15, s22, s14
	s_mul_i32 s14, s22, s14
	s_add_i32 s15, s15, s9
	s_mul_i32 s13, s8, s13
	s_mul_hi_u32 s27, s8, s12
	s_load_b64 s[2:3], s[0:1], 0x1b8
	s_sub_u32 s0, s20, s14
	s_subb_u32 s1, 0, s15
	s_add_i32 s27, s27, s13
	s_mul_i32 s12, s8, s12
	s_waitcnt lgkmcnt(0)
	s_mul_i32 s9, s0, s29
	s_mul_hi_u32 s13, s0, s28
	s_mul_i32 s1, s1, s28
	s_add_i32 s9, s13, s9
	s_mul_i32 s14, s8, s17
	s_add_i32 s9, s9, s1
	s_sub_u32 s1, s22, s12
	s_mul_hi_u32 s15, s8, s16
	s_mul_i32 s8, s8, s16
	s_subb_u32 s12, s23, s27
	s_mul_i32 s13, s1, s19
	s_mul_hi_u32 s16, s1, s18
	s_mul_i32 s12, s12, s18
	s_add_i32 s13, s16, s13
	s_add_i32 s15, s15, s14
	;; [unrolled: 1-line block ×3, first 2 shown]
	s_mul_i32 s1, s1, s18
	s_add_u32 s8, s30, s8
	s_addc_u32 s12, s31, s15
	s_mul_i32 s0, s0, s28
	s_add_u32 s1, s8, s1
	s_addc_u32 s12, s12, s13
	s_add_u32 s8, s1, s0
	s_addc_u32 s9, s12, s9
	s_and_b32 s1, s4, 0xff
	s_cmp_lt_u32 s6, 4
	s_cbranch_scc1 .LBB124_21
; %bb.7:
	v_dual_mov_b32 v3, 1 :: v_dual_add_nc_u32 v2, s25, v0
	s_and_b32 s26, s6, 0x7ffffffc
	s_mov_b32 s4, 0
	s_branch .LBB124_9
.LBB124_8:                              ;   in Loop: Header=BB124_9 Depth=1
	s_or_b32 exec_lo, exec_lo, s12
	v_add_nc_u32_e32 v2, 0x400, v2
	s_add_i32 s4, s4, 4
	s_delay_alu instid0(SALU_CYCLE_1)
	s_cmp_eq_u32 s26, s4
	s_cbranch_scc1 .LBB124_21
.LBB124_9:                              ; =>This Inner Loop Header: Depth=1
	s_mov_b32 s12, exec_lo
	v_cmpx_gt_u32_e64 s21, v2
	s_cbranch_execz .LBB124_12
; %bb.10:                               ;   in Loop: Header=BB124_9 Depth=1
	v_mad_u64_u32 v[4:5], null, v2, s2, s[8:9]
	s_delay_alu instid0(VALU_DEP_1) | instskip(NEXT) | instid1(VALU_DEP_1)
	v_mad_u64_u32 v[6:7], null, v2, s3, v[5:6]
	v_mov_b32_e32 v5, v6
	global_load_u8 v4, v[4:5], off
	s_waitcnt vmcnt(0)
	v_xor_b32_e32 v5, s5, v4
	s_delay_alu instid0(VALU_DEP_1) | instskip(NEXT) | instid1(VALU_DEP_1)
	v_and_b32_e32 v5, s7, v5
	v_cmp_eq_u32_e64 s0, 0, v5
	s_delay_alu instid0(VALU_DEP_1)
	s_and_b32 exec_lo, exec_lo, s0
	s_cbranch_execz .LBB124_12
; %bb.11:                               ;   in Loop: Header=BB124_9 Depth=1
	v_lshrrev_b32_e32 v4, s1, v4
	s_delay_alu instid0(VALU_DEP_1)
	v_lshlrev_b32_e32 v4, 2, v4
	ds_add_u32 v4, v3
.LBB124_12:                             ;   in Loop: Header=BB124_9 Depth=1
	s_or_b32 exec_lo, exec_lo, s12
	v_add_nc_u32_e32 v4, 0x100, v2
	s_mov_b32 s12, exec_lo
	s_delay_alu instid0(VALU_DEP_1)
	v_cmpx_gt_u32_e64 s21, v4
	s_cbranch_execz .LBB124_15
; %bb.13:                               ;   in Loop: Header=BB124_9 Depth=1
	v_mad_u64_u32 v[5:6], null, v4, s2, s[8:9]
	s_delay_alu instid0(VALU_DEP_1) | instskip(NEXT) | instid1(VALU_DEP_1)
	v_mad_u64_u32 v[7:8], null, v4, s3, v[6:7]
	v_mov_b32_e32 v6, v7
	global_load_u8 v4, v[5:6], off
	s_waitcnt vmcnt(0)
	v_xor_b32_e32 v5, s5, v4
	s_delay_alu instid0(VALU_DEP_1) | instskip(NEXT) | instid1(VALU_DEP_1)
	v_and_b32_e32 v5, s7, v5
	v_cmp_eq_u32_e64 s0, 0, v5
	s_delay_alu instid0(VALU_DEP_1)
	s_and_b32 exec_lo, exec_lo, s0
	s_cbranch_execz .LBB124_15
; %bb.14:                               ;   in Loop: Header=BB124_9 Depth=1
	v_lshrrev_b32_e32 v4, s1, v4
	s_delay_alu instid0(VALU_DEP_1)
	v_lshlrev_b32_e32 v4, 2, v4
	ds_add_u32 v4, v3
.LBB124_15:                             ;   in Loop: Header=BB124_9 Depth=1
	s_or_b32 exec_lo, exec_lo, s12
	v_add_nc_u32_e32 v4, 0x200, v2
	s_mov_b32 s12, exec_lo
	s_delay_alu instid0(VALU_DEP_1)
	;; [unrolled: 26-line block ×3, first 2 shown]
	v_cmpx_gt_u32_e64 s21, v4
	s_cbranch_execz .LBB124_8
; %bb.19:                               ;   in Loop: Header=BB124_9 Depth=1
	v_mad_u64_u32 v[5:6], null, v4, s2, s[8:9]
	s_delay_alu instid0(VALU_DEP_1) | instskip(NEXT) | instid1(VALU_DEP_1)
	v_mad_u64_u32 v[7:8], null, v4, s3, v[6:7]
	v_mov_b32_e32 v6, v7
	global_load_u8 v4, v[5:6], off
	s_waitcnt vmcnt(0)
	v_xor_b32_e32 v5, s5, v4
	s_delay_alu instid0(VALU_DEP_1) | instskip(NEXT) | instid1(VALU_DEP_1)
	v_and_b32_e32 v5, s7, v5
	v_cmp_eq_u32_e64 s0, 0, v5
	s_delay_alu instid0(VALU_DEP_1)
	s_and_b32 exec_lo, exec_lo, s0
	s_cbranch_execz .LBB124_8
; %bb.20:                               ;   in Loop: Header=BB124_9 Depth=1
	v_lshrrev_b32_e32 v4, s1, v4
	s_delay_alu instid0(VALU_DEP_1)
	v_lshlrev_b32_e32 v4, 2, v4
	ds_add_u32 v4, v3
	s_branch .LBB124_8
.LBB124_21:
	s_and_b32 s4, s6, 3
	s_delay_alu instid0(SALU_CYCLE_1)
	s_cmp_eq_u32 s4, 0
	s_cbranch_scc1 .LBB124_27
; %bb.22:
	s_lshl_b32 s0, s26, 8
	v_mov_b32_e32 v3, 1
	v_add3_u32 v2, s0, s25, v0
	s_set_inst_prefetch_distance 0x1
	s_branch .LBB124_24
	.p2align	6
.LBB124_23:                             ;   in Loop: Header=BB124_24 Depth=1
	s_or_b32 exec_lo, exec_lo, s6
	v_add_nc_u32_e32 v2, 0x100, v2
	s_add_i32 s4, s4, -1
	s_delay_alu instid0(SALU_CYCLE_1)
	s_cmp_lg_u32 s4, 0
	s_cbranch_scc0 .LBB124_27
.LBB124_24:                             ; =>This Inner Loop Header: Depth=1
	s_mov_b32 s6, exec_lo
	s_delay_alu instid0(VALU_DEP_1)
	v_cmpx_gt_u32_e64 s21, v2
	s_cbranch_execz .LBB124_23
; %bb.25:                               ;   in Loop: Header=BB124_24 Depth=1
	v_mad_u64_u32 v[4:5], null, v2, s2, s[8:9]
	s_delay_alu instid0(VALU_DEP_1) | instskip(NEXT) | instid1(VALU_DEP_1)
	v_mad_u64_u32 v[6:7], null, v2, s3, v[5:6]
	v_mov_b32_e32 v5, v6
	global_load_u8 v4, v[4:5], off
	s_waitcnt vmcnt(0)
	v_xor_b32_e32 v5, s5, v4
	s_delay_alu instid0(VALU_DEP_1) | instskip(NEXT) | instid1(VALU_DEP_1)
	v_and_b32_e32 v5, s7, v5
	v_cmp_eq_u32_e64 s0, 0, v5
	s_delay_alu instid0(VALU_DEP_1)
	s_and_b32 exec_lo, exec_lo, s0
	s_cbranch_execz .LBB124_23
; %bb.26:                               ;   in Loop: Header=BB124_24 Depth=1
	v_lshrrev_b32_e32 v4, s1, v4
	s_delay_alu instid0(VALU_DEP_1)
	v_lshlrev_b32_e32 v4, 2, v4
	ds_add_u32 v4, v3
	s_branch .LBB124_23
.LBB124_27:
	s_set_inst_prefetch_distance 0x2
	v_mov_b32_e32 v2, 0
	s_waitcnt lgkmcnt(0)
	s_barrier
	buffer_gl0_inv
	s_and_saveexec_b32 s0, vcc_lo
	s_cbranch_execz .LBB124_29
; %bb.28:
	ds_load_b32 v2, v1
.LBB124_29:
	s_or_b32 exec_lo, exec_lo, s0
	s_and_saveexec_b32 s0, vcc_lo
	s_cbranch_execz .LBB124_31
; %bb.30:
	v_lshl_or_b32 v0, s24, 8, v0
	v_mov_b32_e32 v1, 0
	s_delay_alu instid0(VALU_DEP_1) | instskip(NEXT) | instid1(VALU_DEP_1)
	v_lshlrev_b64 v[0:1], 1, v[0:1]
	v_add_co_u32 v0, vcc_lo, s10, v0
	s_delay_alu instid0(VALU_DEP_2)
	v_add_co_ci_u32_e32 v1, vcc_lo, s11, v1, vcc_lo
	s_waitcnt lgkmcnt(0)
	global_store_b16 v[0:1], v2, off
.LBB124_31:
	s_nop 0
	s_sendmsg sendmsg(MSG_DEALLOC_VGPRS)
	s_endpgm
.LBB124_32:
	v_cvt_f32_u32_e32 v1, s14
	s_sub_i32 s16, 0, s14
	s_mov_b32 s23, 0
	s_delay_alu instid0(VALU_DEP_1) | instskip(SKIP_2) | instid1(VALU_DEP_1)
	v_rcp_iflag_f32_e32 v1, v1
	s_waitcnt_depctr 0xfff
	v_mul_f32_e32 v1, 0x4f7ffffe, v1
	v_cvt_u32_f32_e32 v1, v1
	s_delay_alu instid0(VALU_DEP_1) | instskip(NEXT) | instid1(VALU_DEP_1)
	v_readfirstlane_b32 s9, v1
	s_mul_i32 s16, s16, s9
	s_delay_alu instid0(SALU_CYCLE_1) | instskip(NEXT) | instid1(SALU_CYCLE_1)
	s_mul_hi_u32 s16, s9, s16
	s_add_i32 s9, s9, s16
	s_delay_alu instid0(SALU_CYCLE_1) | instskip(NEXT) | instid1(SALU_CYCLE_1)
	s_mul_hi_u32 s9, s20, s9
	s_mul_i32 s16, s9, s14
	s_add_i32 s17, s9, 1
	s_sub_i32 s16, s20, s16
	s_delay_alu instid0(SALU_CYCLE_1)
	s_sub_i32 s18, s16, s14
	s_cmp_ge_u32 s16, s14
	s_cselect_b32 s9, s17, s9
	s_cselect_b32 s16, s18, s16
	s_add_i32 s17, s9, 1
	s_cmp_ge_u32 s16, s14
	s_cselect_b32 s22, s17, s9
	s_delay_alu instid0(SALU_CYCLE_1) | instskip(NEXT) | instid1(VALU_DEP_1)
	v_cmp_lt_u64_e64 s9, s[22:23], s[12:13]
	s_and_b32 vcc_lo, exec_lo, s9
	s_cbranch_vccnz .LBB124_3
.LBB124_33:
	v_cvt_f32_u32_e32 v1, s12
	s_sub_i32 s9, 0, s12
	s_delay_alu instid0(VALU_DEP_1) | instskip(SKIP_2) | instid1(VALU_DEP_1)
	v_rcp_iflag_f32_e32 v1, v1
	s_waitcnt_depctr 0xfff
	v_mul_f32_e32 v1, 0x4f7ffffe, v1
	v_cvt_u32_f32_e32 v1, v1
	s_delay_alu instid0(VALU_DEP_1) | instskip(NEXT) | instid1(VALU_DEP_1)
	v_readfirstlane_b32 s8, v1
	s_mul_i32 s9, s9, s8
	s_delay_alu instid0(SALU_CYCLE_1) | instskip(NEXT) | instid1(SALU_CYCLE_1)
	s_mul_hi_u32 s9, s8, s9
	s_add_i32 s8, s8, s9
	s_delay_alu instid0(SALU_CYCLE_1) | instskip(NEXT) | instid1(SALU_CYCLE_1)
	s_mul_hi_u32 s8, s22, s8
	s_mul_i32 s9, s8, s12
	s_add_i32 s16, s8, 1
	s_sub_i32 s9, s22, s9
	s_delay_alu instid0(SALU_CYCLE_1)
	s_sub_i32 s17, s9, s12
	s_cmp_ge_u32 s9, s12
	s_cselect_b32 s8, s16, s8
	s_cselect_b32 s9, s17, s9
	s_add_i32 s16, s8, 1
	s_cmp_ge_u32 s9, s12
	s_cselect_b32 s8, s16, s8
	v_cmp_gt_u32_e32 vcc_lo, 0x100, v0
	v_lshlrev_b32_e32 v1, 2, v0
	s_and_saveexec_b32 s9, vcc_lo
	s_cbranch_execnz .LBB124_4
	s_branch .LBB124_5
	.section	.rodata,"a",@progbits
	.p2align	6, 0x0
	.amdhsa_kernel _ZN2at6native6mbtopk23computeBlockDigitCountsIhmjLi3EEEvNS_4cuda6detail10TensorInfoIKT_T0_EEjPjjS8_iijT1_PSB_Ps
		.amdhsa_group_segment_fixed_size 1024
		.amdhsa_private_segment_fixed_size 0
		.amdhsa_kernarg_size 736
		.amdhsa_user_sgpr_count 13
		.amdhsa_user_sgpr_dispatch_ptr 0
		.amdhsa_user_sgpr_queue_ptr 0
		.amdhsa_user_sgpr_kernarg_segment_ptr 1
		.amdhsa_user_sgpr_dispatch_id 0
		.amdhsa_user_sgpr_private_segment_size 0
		.amdhsa_wavefront_size32 1
		.amdhsa_uses_dynamic_stack 0
		.amdhsa_enable_private_segment 0
		.amdhsa_system_sgpr_workgroup_id_x 1
		.amdhsa_system_sgpr_workgroup_id_y 1
		.amdhsa_system_sgpr_workgroup_id_z 1
		.amdhsa_system_sgpr_workgroup_info 0
		.amdhsa_system_vgpr_workitem_id 0
		.amdhsa_next_free_vgpr 9
		.amdhsa_next_free_sgpr 32
		.amdhsa_reserve_vcc 1
		.amdhsa_float_round_mode_32 0
		.amdhsa_float_round_mode_16_64 0
		.amdhsa_float_denorm_mode_32 3
		.amdhsa_float_denorm_mode_16_64 3
		.amdhsa_dx10_clamp 1
		.amdhsa_ieee_mode 1
		.amdhsa_fp16_overflow 0
		.amdhsa_workgroup_processor_mode 1
		.amdhsa_memory_ordered 1
		.amdhsa_forward_progress 0
		.amdhsa_shared_vgpr_count 0
		.amdhsa_exception_fp_ieee_invalid_op 0
		.amdhsa_exception_fp_denorm_src 0
		.amdhsa_exception_fp_ieee_div_zero 0
		.amdhsa_exception_fp_ieee_overflow 0
		.amdhsa_exception_fp_ieee_underflow 0
		.amdhsa_exception_fp_ieee_inexact 0
		.amdhsa_exception_int_div_zero 0
	.end_amdhsa_kernel
	.section	.text._ZN2at6native6mbtopk23computeBlockDigitCountsIhmjLi3EEEvNS_4cuda6detail10TensorInfoIKT_T0_EEjPjjS8_iijT1_PSB_Ps,"axG",@progbits,_ZN2at6native6mbtopk23computeBlockDigitCountsIhmjLi3EEEvNS_4cuda6detail10TensorInfoIKT_T0_EEjPjjS8_iijT1_PSB_Ps,comdat
.Lfunc_end124:
	.size	_ZN2at6native6mbtopk23computeBlockDigitCountsIhmjLi3EEEvNS_4cuda6detail10TensorInfoIKT_T0_EEjPjjS8_iijT1_PSB_Ps, .Lfunc_end124-_ZN2at6native6mbtopk23computeBlockDigitCountsIhmjLi3EEEvNS_4cuda6detail10TensorInfoIKT_T0_EEjPjjS8_iijT1_PSB_Ps
                                        ; -- End function
	.section	.AMDGPU.csdata,"",@progbits
; Kernel info:
; codeLenInByte = 1676
; NumSgprs: 34
; NumVgprs: 9
; ScratchSize: 0
; MemoryBound: 0
; FloatMode: 240
; IeeeMode: 1
; LDSByteSize: 1024 bytes/workgroup (compile time only)
; SGPRBlocks: 4
; VGPRBlocks: 1
; NumSGPRsForWavesPerEU: 34
; NumVGPRsForWavesPerEU: 9
; Occupancy: 16
; WaveLimiterHint : 1
; COMPUTE_PGM_RSRC2:SCRATCH_EN: 0
; COMPUTE_PGM_RSRC2:USER_SGPR: 13
; COMPUTE_PGM_RSRC2:TRAP_HANDLER: 0
; COMPUTE_PGM_RSRC2:TGID_X_EN: 1
; COMPUTE_PGM_RSRC2:TGID_Y_EN: 1
; COMPUTE_PGM_RSRC2:TGID_Z_EN: 1
; COMPUTE_PGM_RSRC2:TIDIG_COMP_CNT: 0
	.section	.text._ZN2at6native6mbtopk10gatherTopKIhmLi3EEEvNS_4cuda6detail10TensorInfoIKT_T0_EES8_S8_bjS8_NS5_IS6_S8_EES8_NS5_IlS8_EES8_jjPS6_PjSD_j,"axG",@progbits,_ZN2at6native6mbtopk10gatherTopKIhmLi3EEEvNS_4cuda6detail10TensorInfoIKT_T0_EES8_S8_bjS8_NS5_IS6_S8_EES8_NS5_IlS8_EES8_jjPS6_PjSD_j,comdat
	.protected	_ZN2at6native6mbtopk10gatherTopKIhmLi3EEEvNS_4cuda6detail10TensorInfoIKT_T0_EES8_S8_bjS8_NS5_IS6_S8_EES8_NS5_IlS8_EES8_jjPS6_PjSD_j ; -- Begin function _ZN2at6native6mbtopk10gatherTopKIhmLi3EEEvNS_4cuda6detail10TensorInfoIKT_T0_EES8_S8_bjS8_NS5_IS6_S8_EES8_NS5_IlS8_EES8_jjPS6_PjSD_j
	.globl	_ZN2at6native6mbtopk10gatherTopKIhmLi3EEEvNS_4cuda6detail10TensorInfoIKT_T0_EES8_S8_bjS8_NS5_IS6_S8_EES8_NS5_IlS8_EES8_jjPS6_PjSD_j
	.p2align	8
	.type	_ZN2at6native6mbtopk10gatherTopKIhmLi3EEEvNS_4cuda6detail10TensorInfoIKT_T0_EES8_S8_bjS8_NS5_IS6_S8_EES8_NS5_IlS8_EES8_jjPS6_PjSD_j,@function
_ZN2at6native6mbtopk10gatherTopKIhmLi3EEEvNS_4cuda6detail10TensorInfoIKT_T0_EES8_S8_bjS8_NS5_IS6_S8_EES8_NS5_IlS8_EES8_jjPS6_PjSD_j: ; @_ZN2at6native6mbtopk10gatherTopKIhmLi3EEEvNS_4cuda6detail10TensorInfoIKT_T0_EES8_S8_bjS8_NS5_IS6_S8_EES8_NS5_IlS8_EES8_jjPS6_PjSD_j
; %bb.0:
	s_clause 0x1
	s_load_b64 s[2:3], s[0:1], 0x538
	s_load_b32 s4, s[0:1], 0x530
	s_waitcnt lgkmcnt(0)
	s_mul_i32 s3, s3, s15
	s_delay_alu instid0(SALU_CYCLE_1) | instskip(NEXT) | instid1(SALU_CYCLE_1)
	s_add_i32 s3, s3, s14
	s_mul_i32 s2, s3, s2
	s_delay_alu instid0(SALU_CYCLE_1) | instskip(NEXT) | instid1(SALU_CYCLE_1)
	s_add_i32 s2, s2, s13
	s_cmp_ge_u32 s2, s4
	s_cbranch_scc1 .LBB125_54
; %bb.1:
	s_load_b64 s[34:35], s[0:1], 0x510
	s_mov_b32 s45, 0
	s_waitcnt lgkmcnt(0)
	v_cvt_f32_u32_e32 v1, s35
	s_sub_i32 s4, 0, s35
	s_lshl_b32 s33, s34, 8
	s_delay_alu instid0(VALU_DEP_1) | instskip(SKIP_2) | instid1(VALU_DEP_1)
	v_rcp_iflag_f32_e32 v1, v1
	s_waitcnt_depctr 0xfff
	v_mul_f32_e32 v1, 0x4f7ffffe, v1
	v_cvt_u32_f32_e32 v1, v1
	s_delay_alu instid0(VALU_DEP_1) | instskip(NEXT) | instid1(VALU_DEP_1)
	v_readfirstlane_b32 s3, v1
	s_mul_i32 s4, s4, s3
	s_delay_alu instid0(SALU_CYCLE_1) | instskip(NEXT) | instid1(SALU_CYCLE_1)
	s_mul_hi_u32 s4, s3, s4
	s_add_i32 s3, s3, s4
	s_clause 0x1
	s_load_b128 s[4:7], s[0:1], 0x1a0
	s_load_b128 s[8:11], s[0:1], 0x10
	s_mul_hi_u32 s3, s2, s3
	s_delay_alu instid0(SALU_CYCLE_1) | instskip(SKIP_2) | instid1(SALU_CYCLE_1)
	s_mul_i32 s12, s3, s35
	s_add_i32 s13, s3, 1
	s_sub_i32 s12, s2, s12
	s_sub_i32 s14, s12, s35
	s_cmp_ge_u32 s12, s35
	s_cselect_b32 s3, s13, s3
	s_cselect_b32 s12, s14, s12
	s_add_i32 s13, s3, 1
	s_cmp_ge_u32 s12, s35
	s_cselect_b32 s44, s13, s3
	s_delay_alu instid0(SALU_CYCLE_1) | instskip(NEXT) | instid1(SALU_CYCLE_1)
	s_mul_i32 s50, s44, s35
	s_sub_i32 s72, s2, s50
	s_delay_alu instid0(SALU_CYCLE_1) | instskip(NEXT) | instid1(SALU_CYCLE_1)
	s_add_i32 s2, s72, 1
	s_cmp_lt_u32 s2, s35
	s_cbranch_scc1 .LBB125_3
; %bb.2:
	s_mul_i32 s2, s72, s33
	s_waitcnt lgkmcnt(0)
	s_sub_u32 s2, s4, s2
	s_subb_u32 s3, s5, 0
	s_add_u32 s2, s2, 0xff
	s_addc_u32 s3, s3, 0
	s_delay_alu instid0(SALU_CYCLE_1) | instskip(NEXT) | instid1(SALU_CYCLE_1)
	s_ashr_i32 s12, s3, 31
	s_lshr_b32 s12, s12, 24
	s_delay_alu instid0(SALU_CYCLE_1) | instskip(SKIP_1) | instid1(SALU_CYCLE_1)
	s_add_u32 s2, s2, s12
	s_addc_u32 s3, s3, 0
	v_alignbit_b32 v1, s3, s2, 8
	s_delay_alu instid0(VALU_DEP_1)
	v_readfirstlane_b32 s34, v1
.LBB125_3:
	s_waitcnt lgkmcnt(0)
	v_cmp_lt_u64_e64 s2, s[44:45], s[10:11]
	s_mov_b64 s[46:47], 0
	s_mov_b64 s[48:49], 0
	s_delay_alu instid0(VALU_DEP_1)
	s_and_b32 vcc_lo, exec_lo, s2
	s_cbranch_vccnz .LBB125_5
; %bb.4:
	v_cvt_f32_u32_e32 v1, s10
	s_sub_i32 s3, 0, s10
	s_mov_b32 s49, 0
	s_delay_alu instid0(VALU_DEP_1) | instskip(SKIP_2) | instid1(VALU_DEP_1)
	v_rcp_iflag_f32_e32 v1, v1
	s_waitcnt_depctr 0xfff
	v_mul_f32_e32 v1, 0x4f7ffffe, v1
	v_cvt_u32_f32_e32 v1, v1
	s_delay_alu instid0(VALU_DEP_1) | instskip(NEXT) | instid1(VALU_DEP_1)
	v_readfirstlane_b32 s2, v1
	s_mul_i32 s3, s3, s2
	s_delay_alu instid0(SALU_CYCLE_1) | instskip(NEXT) | instid1(SALU_CYCLE_1)
	s_mul_hi_u32 s3, s2, s3
	s_add_i32 s2, s2, s3
	s_delay_alu instid0(SALU_CYCLE_1) | instskip(NEXT) | instid1(SALU_CYCLE_1)
	s_mul_hi_u32 s2, s44, s2
	s_mul_i32 s3, s2, s10
	s_add_i32 s12, s2, 1
	s_sub_i32 s3, s44, s3
	s_delay_alu instid0(SALU_CYCLE_1)
	s_sub_i32 s13, s3, s10
	s_cmp_ge_u32 s3, s10
	s_cselect_b32 s2, s12, s2
	s_cselect_b32 s3, s13, s3
	s_add_i32 s12, s2, 1
	s_cmp_ge_u32 s3, s10
	s_cselect_b32 s48, s12, s2
.LBB125_5:
	s_load_b128 s[20:23], s[0:1], 0x1d0
	v_cmp_lt_u64_e64 s2, s[48:49], s[8:9]
	s_delay_alu instid0(VALU_DEP_1)
	s_and_b32 vcc_lo, exec_lo, s2
	s_cbranch_vccnz .LBB125_7
; %bb.6:
	v_cvt_f32_u32_e32 v1, s8
	s_sub_i32 s3, 0, s8
	s_delay_alu instid0(VALU_DEP_1) | instskip(SKIP_2) | instid1(VALU_DEP_1)
	v_rcp_iflag_f32_e32 v1, v1
	s_waitcnt_depctr 0xfff
	v_mul_f32_e32 v1, 0x4f7ffffe, v1
	v_cvt_u32_f32_e32 v1, v1
	s_delay_alu instid0(VALU_DEP_1) | instskip(NEXT) | instid1(VALU_DEP_1)
	v_readfirstlane_b32 s2, v1
	s_mul_i32 s3, s3, s2
	s_delay_alu instid0(SALU_CYCLE_1) | instskip(NEXT) | instid1(SALU_CYCLE_1)
	s_mul_hi_u32 s3, s2, s3
	s_add_i32 s2, s2, s3
	s_delay_alu instid0(SALU_CYCLE_1) | instskip(NEXT) | instid1(SALU_CYCLE_1)
	s_mul_hi_u32 s2, s48, s2
	s_mul_i32 s3, s2, s8
	s_add_i32 s12, s2, 1
	s_sub_i32 s3, s48, s3
	s_delay_alu instid0(SALU_CYCLE_1)
	s_sub_i32 s13, s3, s8
	s_cmp_ge_u32 s3, s8
	s_cselect_b32 s2, s12, s2
	s_cselect_b32 s3, s13, s3
	s_add_i32 s12, s2, 1
	s_cmp_ge_u32 s3, s8
	s_cselect_b32 s46, s12, s2
.LBB125_7:
	s_waitcnt lgkmcnt(0)
	v_cmp_lt_u64_e64 s2, s[44:45], s[22:23]
	s_mov_b64 s[54:55], 0
	s_mov_b64 s[56:57], 0
	s_delay_alu instid0(VALU_DEP_1)
	s_and_b32 vcc_lo, exec_lo, s2
	s_cbranch_vccnz .LBB125_9
; %bb.8:
	v_cvt_f32_u32_e32 v1, s22
	s_sub_i32 s3, 0, s22
	s_mov_b32 s57, 0
	s_delay_alu instid0(VALU_DEP_1) | instskip(SKIP_2) | instid1(VALU_DEP_1)
	v_rcp_iflag_f32_e32 v1, v1
	s_waitcnt_depctr 0xfff
	v_mul_f32_e32 v1, 0x4f7ffffe, v1
	v_cvt_u32_f32_e32 v1, v1
	s_delay_alu instid0(VALU_DEP_1) | instskip(NEXT) | instid1(VALU_DEP_1)
	v_readfirstlane_b32 s2, v1
	s_mul_i32 s3, s3, s2
	s_delay_alu instid0(SALU_CYCLE_1) | instskip(NEXT) | instid1(SALU_CYCLE_1)
	s_mul_hi_u32 s3, s2, s3
	s_add_i32 s2, s2, s3
	s_delay_alu instid0(SALU_CYCLE_1) | instskip(NEXT) | instid1(SALU_CYCLE_1)
	s_mul_hi_u32 s2, s44, s2
	s_mul_i32 s3, s2, s22
	s_add_i32 s12, s2, 1
	s_sub_i32 s3, s44, s3
	s_delay_alu instid0(SALU_CYCLE_1)
	s_sub_i32 s13, s3, s22
	s_cmp_ge_u32 s3, s22
	s_cselect_b32 s2, s12, s2
	s_cselect_b32 s3, s13, s3
	s_add_i32 s12, s2, 1
	s_cmp_ge_u32 s3, s22
	s_cselect_b32 s56, s12, s2
.LBB125_9:
	s_load_b128 s[24:27], s[0:1], 0x378
	v_cmp_lt_u64_e64 s2, s[56:57], s[20:21]
	s_delay_alu instid0(VALU_DEP_1)
	s_and_b32 vcc_lo, exec_lo, s2
	s_cbranch_vccnz .LBB125_11
; %bb.10:
	v_cvt_f32_u32_e32 v1, s20
	s_sub_i32 s3, 0, s20
	s_delay_alu instid0(VALU_DEP_1) | instskip(SKIP_2) | instid1(VALU_DEP_1)
	v_rcp_iflag_f32_e32 v1, v1
	s_waitcnt_depctr 0xfff
	v_mul_f32_e32 v1, 0x4f7ffffe, v1
	v_cvt_u32_f32_e32 v1, v1
	s_delay_alu instid0(VALU_DEP_1) | instskip(NEXT) | instid1(VALU_DEP_1)
	v_readfirstlane_b32 s2, v1
	s_mul_i32 s3, s3, s2
	s_delay_alu instid0(SALU_CYCLE_1) | instskip(NEXT) | instid1(SALU_CYCLE_1)
	s_mul_hi_u32 s3, s2, s3
	s_add_i32 s2, s2, s3
	s_delay_alu instid0(SALU_CYCLE_1) | instskip(NEXT) | instid1(SALU_CYCLE_1)
	s_mul_hi_u32 s2, s56, s2
	s_mul_i32 s3, s2, s20
	s_add_i32 s12, s2, 1
	s_sub_i32 s3, s56, s3
	s_delay_alu instid0(SALU_CYCLE_1)
	s_sub_i32 s13, s3, s20
	s_cmp_ge_u32 s3, s20
	s_cselect_b32 s2, s12, s2
	s_cselect_b32 s3, s13, s3
	s_add_i32 s12, s2, 1
	s_cmp_ge_u32 s3, s20
	s_cselect_b32 s54, s12, s2
.LBB125_11:
	s_waitcnt lgkmcnt(0)
	v_cmp_lt_u64_e64 s2, s[44:45], s[26:27]
	s_mov_b64 s[58:59], 0
	s_mov_b64 s[60:61], 0
	s_delay_alu instid0(VALU_DEP_1)
	s_and_b32 vcc_lo, exec_lo, s2
	s_cbranch_vccnz .LBB125_13
; %bb.12:
	v_cvt_f32_u32_e32 v1, s26
	s_sub_i32 s3, 0, s26
	s_mov_b32 s61, 0
	s_delay_alu instid0(VALU_DEP_1) | instskip(SKIP_2) | instid1(VALU_DEP_1)
	v_rcp_iflag_f32_e32 v1, v1
	s_waitcnt_depctr 0xfff
	v_mul_f32_e32 v1, 0x4f7ffffe, v1
	v_cvt_u32_f32_e32 v1, v1
	s_delay_alu instid0(VALU_DEP_1) | instskip(NEXT) | instid1(VALU_DEP_1)
	v_readfirstlane_b32 s2, v1
	s_mul_i32 s3, s3, s2
	s_delay_alu instid0(SALU_CYCLE_1) | instskip(NEXT) | instid1(SALU_CYCLE_1)
	s_mul_hi_u32 s3, s2, s3
	s_add_i32 s2, s2, s3
	s_delay_alu instid0(SALU_CYCLE_1) | instskip(NEXT) | instid1(SALU_CYCLE_1)
	s_mul_hi_u32 s2, s44, s2
	s_mul_i32 s3, s2, s26
	s_add_i32 s12, s2, 1
	s_sub_i32 s3, s44, s3
	s_delay_alu instid0(SALU_CYCLE_1)
	s_sub_i32 s13, s3, s26
	s_cmp_ge_u32 s3, s26
	s_cselect_b32 s2, s12, s2
	s_cselect_b32 s3, s13, s3
	s_add_i32 s12, s2, 1
	s_cmp_ge_u32 s3, s26
	s_cselect_b32 s60, s12, s2
.LBB125_13:
	s_clause 0x5
	s_load_b64 s[62:63], s[0:1], 0xe0
	s_load_b128 s[36:39], s[0:1], 0xd0
	s_load_b64 s[66:67], s[0:1], 0x2a0
	s_load_b128 s[40:43], s[0:1], 0x290
	;; [unrolled: 2-line block ×3, first 2 shown]
	v_cmp_lt_u64_e64 s2, s[60:61], s[24:25]
	s_delay_alu instid0(VALU_DEP_1)
	s_and_b32 vcc_lo, exec_lo, s2
	s_cbranch_vccnz .LBB125_15
; %bb.14:
	v_cvt_f32_u32_e32 v1, s24
	s_sub_i32 s3, 0, s24
	s_delay_alu instid0(VALU_DEP_1) | instskip(SKIP_2) | instid1(VALU_DEP_1)
	v_rcp_iflag_f32_e32 v1, v1
	s_waitcnt_depctr 0xfff
	v_mul_f32_e32 v1, 0x4f7ffffe, v1
	v_cvt_u32_f32_e32 v1, v1
	s_delay_alu instid0(VALU_DEP_1) | instskip(NEXT) | instid1(VALU_DEP_1)
	v_readfirstlane_b32 s2, v1
	s_mul_i32 s3, s3, s2
	s_delay_alu instid0(SALU_CYCLE_1) | instskip(NEXT) | instid1(SALU_CYCLE_1)
	s_mul_hi_u32 s3, s2, s3
	s_add_i32 s2, s2, s3
	s_delay_alu instid0(SALU_CYCLE_1) | instskip(NEXT) | instid1(SALU_CYCLE_1)
	s_mul_hi_u32 s2, s60, s2
	s_mul_i32 s3, s2, s24
	s_add_i32 s12, s2, 1
	s_sub_i32 s3, s60, s3
	s_delay_alu instid0(SALU_CYCLE_1)
	s_sub_i32 s13, s3, s24
	s_cmp_ge_u32 s3, s24
	s_cselect_b32 s2, s12, s2
	s_cselect_b32 s3, s13, s3
	s_add_i32 s12, s2, 1
	s_cmp_ge_u32 s3, s24
	s_cselect_b32 s58, s12, s2
.LBB125_15:
	s_clause 0x1
	s_load_b128 s[12:15], s[0:1], 0x518
	s_load_b64 s[64:65], s[0:1], 0x0
	v_mov_b32_e32 v1, 0
	s_mov_b32 s51, 0
	s_waitcnt lgkmcnt(0)
	s_add_u32 s2, s12, s44
	s_addc_u32 s3, s13, 0
	global_load_u8 v4, v1, s[2:3]
	v_cmp_ne_u32_e64 s2, 0, v0
	v_cmp_eq_u32_e64 s3, 0, v0
	s_delay_alu instid0(VALU_DEP_1)
	s_and_saveexec_b32 s45, s3
	s_cbranch_execz .LBB125_31
; %bb.16:
	s_load_b64 s[12:13], s[0:1], 0x528
	s_lshl_b64 s[68:69], s[50:51], 2
	s_mov_b32 s47, 0
	s_add_u32 s16, s14, s68
	s_addc_u32 s17, s15, s69
	s_mov_b32 s50, 0
	s_waitcnt lgkmcnt(0)
	s_add_u32 s18, s12, s68
	s_addc_u32 s19, s13, s69
	s_cmp_lt_u32 s35, 4
	s_cbranch_scc1 .LBB125_28
; %bb.17:
	s_mov_b32 s55, 0
.LBB125_18:                             ; =>This Inner Loop Header: Depth=1
	s_add_u32 s16, s14, s68
	s_addc_u32 s17, s15, s69
	s_add_u32 s70, s12, s68
	s_load_b128 s[16:19], s[16:17], 0x0
	s_addc_u32 s71, s13, s69
	s_cmp_ge_u32 s55, s72
	s_cbranch_scc0 .LBB125_25
; %bb.19:                               ;   in Loop: Header=BB125_18 Depth=1
	s_add_i32 s59, s55, 1
	s_delay_alu instid0(SALU_CYCLE_1)
	s_cmp_ge_u32 s59, s72
	s_cbranch_scc0 .LBB125_26
.LBB125_20:                             ;   in Loop: Header=BB125_18 Depth=1
	s_add_i32 s59, s59, 1
	s_delay_alu instid0(SALU_CYCLE_1)
	s_cmp_ge_u32 s59, s72
	s_cbranch_scc0 .LBB125_27
.LBB125_21:                             ;   in Loop: Header=BB125_18 Depth=1
	s_add_i32 s59, s59, 1
	s_delay_alu instid0(SALU_CYCLE_1)
	s_cmp_ge_u32 s59, s72
	s_cbranch_scc1 .LBB125_23
.LBB125_22:                             ;   in Loop: Header=BB125_18 Depth=1
	s_load_b32 s70, s[70:71], 0xc
	s_waitcnt lgkmcnt(0)
	s_add_i32 s51, s51, s19
	s_add_i32 s47, s70, s47
.LBB125_23:                             ;   in Loop: Header=BB125_18 Depth=1
	s_waitcnt lgkmcnt(0)
	s_add_i32 s16, s16, s50
	s_delay_alu instid0(SALU_CYCLE_1) | instskip(NEXT) | instid1(SALU_CYCLE_1)
	s_add_i32 s16, s16, s17
	s_add_i32 s16, s16, s18
	s_delay_alu instid0(SALU_CYCLE_1)
	s_add_i32 s50, s16, s19
	s_add_u32 s14, s14, 16
	s_addc_u32 s15, s15, 0
	s_add_u32 s12, s12, 16
	s_addc_u32 s13, s13, 0
	s_add_i32 s70, s59, 4
	s_add_u32 s18, s12, s68
	s_addc_u32 s19, s13, s69
	s_add_u32 s16, s14, s68
	s_addc_u32 s17, s15, s69
	s_add_i32 s59, s59, 1
	s_cmp_ge_u32 s70, s35
	s_cbranch_scc1 .LBB125_29
; %bb.24:                               ;   in Loop: Header=BB125_18 Depth=1
	s_mov_b32 s55, s59
	s_branch .LBB125_18
.LBB125_25:                             ;   in Loop: Header=BB125_18 Depth=1
	s_load_b32 s59, s[70:71], 0x0
	s_waitcnt lgkmcnt(0)
	s_add_i32 s51, s16, s51
	s_add_i32 s47, s59, s47
	;; [unrolled: 1-line block ×3, first 2 shown]
	s_delay_alu instid0(SALU_CYCLE_1)
	s_cmp_ge_u32 s59, s72
	s_cbranch_scc1 .LBB125_20
.LBB125_26:                             ;   in Loop: Header=BB125_18 Depth=1
	s_load_b32 s73, s[70:71], 0x4
	s_waitcnt lgkmcnt(0)
	s_add_i32 s51, s51, s17
	s_add_i32 s47, s73, s47
	;; [unrolled: 1-line block ×3, first 2 shown]
	s_delay_alu instid0(SALU_CYCLE_1)
	s_cmp_ge_u32 s59, s72
	s_cbranch_scc1 .LBB125_21
.LBB125_27:                             ;   in Loop: Header=BB125_18 Depth=1
	s_load_b32 s73, s[70:71], 0x8
	s_waitcnt lgkmcnt(0)
	s_add_i32 s51, s51, s18
	s_add_i32 s47, s73, s47
	;; [unrolled: 1-line block ×3, first 2 shown]
	s_delay_alu instid0(SALU_CYCLE_1)
	s_cmp_ge_u32 s59, s72
	s_cbranch_scc0 .LBB125_22
	s_branch .LBB125_23
.LBB125_28:
	s_mov_b32 s12, 0
	s_delay_alu instid0(SALU_CYCLE_1)
	s_cmp_ge_u32 s12, s35
	s_cbranch_scc0 .LBB125_52
	s_branch .LBB125_30
.LBB125_29:
	s_add_i32 s12, s55, 4
	s_delay_alu instid0(SALU_CYCLE_1)
	s_cmp_ge_u32 s12, s35
	s_cbranch_scc0 .LBB125_52
.LBB125_30:
	v_dual_mov_b32 v1, s47 :: v_dual_mov_b32 v2, s50
	v_mov_b32_e32 v3, s51
	v_mov_b32_e32 v5, 0
	ds_store_b96 v5, v[1:3] offset:1056
.LBB125_31:
	s_or_b32 exec_lo, exec_lo, s45
	s_clause 0x1
	s_load_b128 s[12:15], s[0:1], 0x1b8
	s_load_b128 s[16:19], s[0:1], 0x360
	s_cmp_eq_u32 s34, 0
	s_waitcnt vmcnt(0) lgkmcnt(0)
	s_barrier
	buffer_gl0_inv
	s_cbranch_scc1 .LBB125_54
; %bb.32:
	s_mul_i32 s27, s60, s27
	s_mul_hi_u32 s35, s60, s26
	s_mul_i32 s26, s60, s26
	s_add_i32 s35, s35, s27
	s_sub_u32 s26, s44, s26
	s_subb_u32 s35, 0, s35
	s_mul_i32 s27, s26, s53
	s_mul_hi_u32 s45, s26, s52
	s_mul_i32 s35, s35, s52
	s_add_i32 s27, s45, s27
	s_mul_i32 s21, s54, s21
	s_add_i32 s27, s27, s35
	s_mul_hi_u32 s35, s54, s20
	s_mul_i32 s20, s54, s20
	s_add_i32 s35, s35, s21
	s_sub_u32 s20, s56, s20
	s_subb_u32 s35, s57, s35
	s_mul_i32 s21, s20, s43
	s_mul_hi_u32 s43, s20, s42
	s_mul_i32 s35, s35, s42
	s_add_i32 s21, s43, s21
	s_mul_i32 s41, s54, s41
	s_mul_hi_u32 s43, s54, s40
	s_add_i32 s35, s21, s35
	s_mul_i32 s21, s56, s23
	s_mul_hi_u32 s23, s56, s22
	s_mul_i32 s22, s56, s22
	s_add_i32 s43, s43, s41
	s_add_i32 s23, s23, s21
	s_sub_u32 s21, s44, s22
	s_subb_u32 s23, 0, s23
	s_mul_i32 s22, s21, s67
	s_mul_hi_u32 s41, s21, s66
	s_mul_i32 s23, s23, s66
	s_add_i32 s22, s41, s22
	s_mul_i32 s9, s46, s9
	s_add_i32 s41, s22, s23
	s_mul_hi_u32 s22, s46, s8
	s_mul_i32 s8, s46, s8
	s_add_i32 s22, s22, s9
	s_sub_u32 s8, s48, s8
	s_mul_i32 s20, s20, s42
	s_mul_i32 s42, s21, s66
	s_mul_i32 s9, s8, s39
	s_mul_hi_u32 s21, s8, s38
	s_subb_u32 s22, s49, s22
	s_add_i32 s9, s21, s9
	s_mul_i32 s21, s46, s37
	s_mul_hi_u32 s23, s46, s36
	s_mul_i32 s22, s22, s38
	s_add_i32 s37, s23, s21
	s_mul_i32 s11, s48, s11
	s_mul_hi_u32 s21, s48, s10
	s_mul_i32 s10, s48, s10
	s_add_i32 s9, s9, s22
	s_add_i32 s21, s21, s11
	s_sub_u32 s10, s44, s10
	s_subb_u32 s21, 0, s21
	s_mul_i32 s11, s10, s63
	s_mul_hi_u32 s22, s10, s62
	s_mul_i32 s21, s21, s62
	s_add_i32 s11, s22, s11
	s_mul_hi_u32 s22, s58, s24
	s_add_i32 s11, s11, s21
	s_mul_i32 s21, s58, s25
	s_mul_i32 s23, s58, s24
	s_add_i32 s22, s22, s21
	s_sub_u32 s24, s60, s23
	s_subb_u32 s22, s61, s22
	s_mul_i32 s21, s24, s31
	s_mul_hi_u32 s23, s24, s30
	s_mul_i32 s22, s22, s30
	s_add_i32 s21, s23, s21
	s_mul_i32 s23, s58, s29
	s_mul_hi_u32 s25, s58, s28
	v_dual_mov_b32 v5, 0 :: v_dual_add_nc_u32 v10, -1, v0
	s_mul_i32 s36, s46, s36
	s_add_i32 s21, s21, s22
	s_add_i32 s23, s25, s23
	s_mul_i32 s8, s8, s38
	s_add_u32 s25, s64, s36
	s_mul_i32 s22, s58, s28
	s_addc_u32 s28, s65, s37
	s_mul_i32 s10, s10, s62
	s_add_u32 s8, s25, s8
	ds_load_b96 v[1:3], v5 offset:1056
	s_addc_u32 s9, s28, s9
	s_mul_i32 s40, s54, s40
	s_add_u32 s8, s8, s10
	s_addc_u32 s9, s9, s11
	s_add_u32 s10, s14, s40
	s_addc_u32 s11, s15, s43
	;; [unrolled: 2-line block ×4, first 2 shown]
	s_lshl_b64 s[14:15], s[22:23], 3
	s_mul_i32 s20, s24, s30
	s_add_u32 s18, s18, s14
	s_addc_u32 s19, s19, s15
	s_lshl_b64 s[14:15], s[20:21], 3
	s_mul_i32 s26, s26, s52
	s_add_u32 s18, s18, s14
	s_load_b32 s20, s[0:1], 0x1b0
	s_addc_u32 s19, s19, s15
	s_lshl_b64 s[14:15], s[26:27], 3
	v_lshrrev_b32_e32 v6, 5, v0
	s_add_u32 s18, s18, s14
	s_addc_u32 s19, s19, s15
	s_load_b64 s[14:15], s[0:1], 0x508
	s_waitcnt lgkmcnt(0)
	v_add_nc_u32_e32 v1, v1, v2
	v_add_lshl_u32 v8, v6, v0, 2
	v_lshlrev_b32_e32 v2, 3, v0
	v_lshrrev_b32_e32 v11, 2, v0
	v_lshrrev_b32_e32 v12, 5, v10
	v_mad_u64_u32 v[6:7], null, s72, s33, v[0:1]
	v_mbcnt_lo_u32_b32 v9, -1, 0
	v_cmp_gt_u32_e64 s0, 32, v0
	v_add_lshl_u32 v0, v11, v2, 2
	v_add_lshl_u32 v10, v12, v10, 2
	v_and_b32_e32 v11, 0xff, v4
	v_and_b32_e32 v12, 15, v9
	v_mov_b32_e32 v4, v6
	v_bfe_i32 v13, v9, 4, 1
	v_add_nc_u32_e32 v14, -1, v9
	s_bitcmp1_b32 s20, 0
                                        ; implicit-def: $vgpr15
	s_cselect_b32 s1, -1, 0
	s_branch .LBB125_35
.LBB125_33:                             ;   in Loop: Header=BB125_35 Depth=1
	s_or_b32 exec_lo, exec_lo, s20
	v_add_nc_u32_e32 v1, v2, v1
.LBB125_34:                             ;   in Loop: Header=BB125_35 Depth=1
	v_add_nc_u32_e32 v3, v16, v3
	v_add_nc_u32_e32 v4, 0x100, v4
	s_add_i32 s34, s34, -1
	s_delay_alu instid0(SALU_CYCLE_1)
	s_cmp_lg_u32 s34, 0
	s_cbranch_scc0 .LBB125_54
.LBB125_35:                             ; =>This Inner Loop Header: Depth=1
	v_mov_b32_e32 v2, v5
	v_mov_b32_e32 v6, v5
	s_mov_b32 s20, exec_lo
	v_cmpx_gt_u64_e64 s[4:5], v[4:5]
	s_cbranch_execz .LBB125_37
; %bb.36:                               ;   in Loop: Header=BB125_35 Depth=1
	v_mad_u64_u32 v[6:7], null, v4, s12, s[8:9]
	s_delay_alu instid0(VALU_DEP_1) | instskip(NEXT) | instid1(VALU_DEP_1)
	v_mov_b32_e32 v2, v7
	v_mad_u64_u32 v[15:16], null, v4, s13, v[2:3]
	s_delay_alu instid0(VALU_DEP_1)
	v_mov_b32_e32 v7, v15
	global_load_u8 v15, v[6:7], off
	s_waitcnt vmcnt(0)
	v_cmp_gt_u16_e32 vcc_lo, v15, v11
	v_cndmask_b32_e64 v2, 0, 1, vcc_lo
	v_cmp_lt_u16_e32 vcc_lo, v15, v11
	v_cndmask_b32_e64 v6, 0, 1, vcc_lo
	v_cmp_eq_u16_e32 vcc_lo, v15, v11
	s_delay_alu instid0(VALU_DEP_2) | instskip(SKIP_1) | instid1(VALU_DEP_2)
	v_cndmask_b32_e64 v2, v6, v2, s1
	v_cndmask_b32_e64 v6, 0, 1, vcc_lo
	v_and_b32_e32 v2, 1, v2
.LBB125_37:                             ;   in Loop: Header=BB125_35 Depth=1
	s_or_b32 exec_lo, exec_lo, s20
	ds_store_b32 v8, v2
	s_waitcnt lgkmcnt(0)
	s_waitcnt_vscnt null, 0x0
	s_barrier
	buffer_gl0_inv
	s_and_saveexec_b32 s20, s0
	s_cbranch_execz .LBB125_39
; %bb.38:                               ;   in Loop: Header=BB125_35 Depth=1
	ds_load_2addr_b32 v[16:17], v0 offset1:1
	ds_load_2addr_b32 v[18:19], v0 offset0:2 offset1:3
	ds_load_2addr_b32 v[20:21], v0 offset0:4 offset1:5
	;; [unrolled: 1-line block ×3, first 2 shown]
	v_cmp_ne_u32_e32 vcc_lo, 0, v12
	; wave barrier
	s_waitcnt lgkmcnt(3)
	v_add_nc_u32_e32 v7, v17, v16
	s_waitcnt lgkmcnt(2)
	s_delay_alu instid0(VALU_DEP_1) | instskip(SKIP_1) | instid1(VALU_DEP_1)
	v_add3_u32 v7, v7, v18, v19
	s_waitcnt lgkmcnt(1)
	v_add3_u32 v7, v7, v20, v21
	s_waitcnt lgkmcnt(0)
	s_delay_alu instid0(VALU_DEP_1) | instskip(NEXT) | instid1(VALU_DEP_1)
	v_add3_u32 v7, v7, v22, v23
	v_mov_b32_dpp v17, v7 row_shr:1 row_mask:0xf bank_mask:0xf
	s_delay_alu instid0(VALU_DEP_1) | instskip(SKIP_1) | instid1(VALU_DEP_2)
	v_cndmask_b32_e32 v17, 0, v17, vcc_lo
	v_cmp_lt_u32_e32 vcc_lo, 1, v12
	v_add_nc_u32_e32 v7, v17, v7
	s_delay_alu instid0(VALU_DEP_1) | instskip(NEXT) | instid1(VALU_DEP_1)
	v_mov_b32_dpp v17, v7 row_shr:2 row_mask:0xf bank_mask:0xf
	v_cndmask_b32_e32 v17, 0, v17, vcc_lo
	v_cmp_lt_u32_e32 vcc_lo, 3, v12
	s_delay_alu instid0(VALU_DEP_2) | instskip(NEXT) | instid1(VALU_DEP_1)
	v_add_nc_u32_e32 v7, v7, v17
	v_mov_b32_dpp v17, v7 row_shr:4 row_mask:0xf bank_mask:0xf
	s_delay_alu instid0(VALU_DEP_1) | instskip(SKIP_1) | instid1(VALU_DEP_2)
	v_cndmask_b32_e32 v17, 0, v17, vcc_lo
	v_cmp_lt_u32_e32 vcc_lo, 7, v12
	v_add_nc_u32_e32 v7, v7, v17
	s_delay_alu instid0(VALU_DEP_1) | instskip(NEXT) | instid1(VALU_DEP_1)
	v_mov_b32_dpp v17, v7 row_shr:8 row_mask:0xf bank_mask:0xf
	v_cndmask_b32_e32 v17, 0, v17, vcc_lo
	v_cmp_gt_i32_e32 vcc_lo, 0, v14
	s_delay_alu instid0(VALU_DEP_2)
	v_add_nc_u32_e32 v7, v7, v17
	v_cndmask_b32_e32 v18, v14, v9, vcc_lo
	ds_swizzle_b32 v17, v7 offset:swizzle(BROADCAST,32,15)
	v_lshlrev_b32_e32 v18, 2, v18
	s_waitcnt lgkmcnt(0)
	v_and_b32_e32 v17, v13, v17
	s_delay_alu instid0(VALU_DEP_1) | instskip(SKIP_3) | instid1(VALU_DEP_1)
	v_add_nc_u32_e32 v7, v7, v17
	ds_bpermute_b32 v7, v18, v7
	s_waitcnt lgkmcnt(0)
	v_add_nc_u32_e32 v7, v7, v16
	v_cndmask_b32_e64 v7, v7, v2, s3
	ds_store_b32 v0, v7
	; wave barrier
	ds_load_2addr_b32 v[16:17], v0 offset0:1 offset1:2
	ds_load_2addr_b32 v[18:19], v0 offset0:3 offset1:4
	;; [unrolled: 1-line block ×3, first 2 shown]
	ds_load_b32 v22, v0 offset:28
	s_waitcnt lgkmcnt(3)
	v_add_nc_u32_e32 v7, v16, v7
	s_delay_alu instid0(VALU_DEP_1) | instskip(SKIP_1) | instid1(VALU_DEP_1)
	v_add_nc_u32_e32 v16, v17, v7
	s_waitcnt lgkmcnt(2)
	v_add_nc_u32_e32 v17, v18, v16
	s_delay_alu instid0(VALU_DEP_1) | instskip(SKIP_1) | instid1(VALU_DEP_1)
	v_add_nc_u32_e32 v18, v19, v17
	;; [unrolled: 4-line block ×3, first 2 shown]
	s_waitcnt lgkmcnt(0)
	v_add_nc_u32_e32 v21, v22, v20
	ds_store_2addr_b32 v0, v7, v16 offset0:1 offset1:2
	ds_store_2addr_b32 v0, v17, v18 offset0:3 offset1:4
	;; [unrolled: 1-line block ×3, first 2 shown]
	ds_store_b32 v0, v21 offset:28
.LBB125_39:                             ;   in Loop: Header=BB125_35 Depth=1
	s_or_b32 exec_lo, exec_lo, s20
	v_mov_b32_e32 v7, 0
	s_waitcnt lgkmcnt(0)
	s_barrier
	buffer_gl0_inv
	s_and_saveexec_b32 s20, s2
	s_cbranch_execz .LBB125_41
; %bb.40:                               ;   in Loop: Header=BB125_35 Depth=1
	ds_load_b32 v7, v10
.LBB125_41:                             ;   in Loop: Header=BB125_35 Depth=1
	s_or_b32 exec_lo, exec_lo, s20
	ds_load_b32 v16, v5 offset:1048
	s_mov_b32 s20, exec_lo
	s_waitcnt lgkmcnt(0)
	s_barrier
	buffer_gl0_inv
	v_cmpx_ne_u32_e32 0, v2
	s_cbranch_execz .LBB125_43
; %bb.42:                               ;   in Loop: Header=BB125_35 Depth=1
	v_add_nc_u32_e32 v7, v7, v3
	s_delay_alu instid0(VALU_DEP_1) | instskip(NEXT) | instid1(VALU_DEP_1)
	v_mad_u64_u32 v[17:18], null, v7, s14, 0
	v_mov_b32_e32 v2, v18
	v_mad_u64_u32 v[19:20], null, v7, s16, s[10:11]
	s_delay_alu instid0(VALU_DEP_2) | instskip(NEXT) | instid1(VALU_DEP_2)
	v_mad_u64_u32 v[21:22], null, v7, s15, v[2:3]
	v_mov_b32_e32 v2, v20
	s_delay_alu instid0(VALU_DEP_2) | instskip(NEXT) | instid1(VALU_DEP_2)
	v_mov_b32_e32 v18, v21
	v_mad_u64_u32 v[20:21], null, v7, s17, v[2:3]
	s_delay_alu instid0(VALU_DEP_2) | instskip(NEXT) | instid1(VALU_DEP_1)
	v_lshlrev_b64 v[17:18], 3, v[17:18]
	v_add_co_u32 v17, vcc_lo, s18, v17
	s_delay_alu instid0(VALU_DEP_2)
	v_add_co_ci_u32_e32 v18, vcc_lo, s19, v18, vcc_lo
	global_store_b8 v[19:20], v15, off
	global_store_b64 v[17:18], v[4:5], off
.LBB125_43:                             ;   in Loop: Header=BB125_35 Depth=1
	s_or_b32 exec_lo, exec_lo, s20
	v_mov_b32_e32 v2, v5
	s_delay_alu instid0(VALU_DEP_1)
	v_cmp_le_u64_e32 vcc_lo, s[6:7], v[1:2]
	s_cbranch_vccnz .LBB125_34
; %bb.44:                               ;   in Loop: Header=BB125_35 Depth=1
	ds_store_b32 v8, v6
	s_waitcnt lgkmcnt(0)
	s_waitcnt_vscnt null, 0x0
	s_barrier
	buffer_gl0_inv
	s_and_saveexec_b32 s20, s0
	s_cbranch_execz .LBB125_46
; %bb.45:                               ;   in Loop: Header=BB125_35 Depth=1
	ds_load_2addr_b32 v[17:18], v0 offset1:1
	ds_load_2addr_b32 v[19:20], v0 offset0:2 offset1:3
	ds_load_2addr_b32 v[21:22], v0 offset0:4 offset1:5
	ds_load_2addr_b32 v[23:24], v0 offset0:6 offset1:7
	v_cmp_ne_u32_e32 vcc_lo, 0, v12
	; wave barrier
	s_waitcnt lgkmcnt(3)
	v_add_nc_u32_e32 v2, v18, v17
	s_waitcnt lgkmcnt(2)
	s_delay_alu instid0(VALU_DEP_1) | instskip(SKIP_1) | instid1(VALU_DEP_1)
	v_add3_u32 v2, v2, v19, v20
	s_waitcnt lgkmcnt(1)
	v_add3_u32 v2, v2, v21, v22
	s_waitcnt lgkmcnt(0)
	s_delay_alu instid0(VALU_DEP_1) | instskip(NEXT) | instid1(VALU_DEP_1)
	v_add3_u32 v2, v2, v23, v24
	v_mov_b32_dpp v7, v2 row_shr:1 row_mask:0xf bank_mask:0xf
	s_delay_alu instid0(VALU_DEP_1) | instskip(SKIP_1) | instid1(VALU_DEP_2)
	v_cndmask_b32_e32 v7, 0, v7, vcc_lo
	v_cmp_lt_u32_e32 vcc_lo, 1, v12
	v_add_nc_u32_e32 v2, v7, v2
	s_delay_alu instid0(VALU_DEP_1) | instskip(NEXT) | instid1(VALU_DEP_1)
	v_mov_b32_dpp v7, v2 row_shr:2 row_mask:0xf bank_mask:0xf
	v_cndmask_b32_e32 v7, 0, v7, vcc_lo
	v_cmp_lt_u32_e32 vcc_lo, 3, v12
	s_delay_alu instid0(VALU_DEP_2) | instskip(NEXT) | instid1(VALU_DEP_1)
	v_add_nc_u32_e32 v2, v2, v7
	v_mov_b32_dpp v7, v2 row_shr:4 row_mask:0xf bank_mask:0xf
	s_delay_alu instid0(VALU_DEP_1) | instskip(SKIP_1) | instid1(VALU_DEP_2)
	v_cndmask_b32_e32 v7, 0, v7, vcc_lo
	v_cmp_lt_u32_e32 vcc_lo, 7, v12
	v_add_nc_u32_e32 v2, v2, v7
	s_delay_alu instid0(VALU_DEP_1) | instskip(NEXT) | instid1(VALU_DEP_1)
	v_mov_b32_dpp v7, v2 row_shr:8 row_mask:0xf bank_mask:0xf
	v_cndmask_b32_e32 v7, 0, v7, vcc_lo
	v_cmp_gt_i32_e32 vcc_lo, 0, v14
	v_cndmask_b32_e32 v18, v14, v9, vcc_lo
	s_delay_alu instid0(VALU_DEP_1) | instskip(NEXT) | instid1(VALU_DEP_4)
	v_lshlrev_b32_e32 v18, 2, v18
	v_add_nc_u32_e32 v2, v2, v7
	ds_swizzle_b32 v7, v2 offset:swizzle(BROADCAST,32,15)
	s_waitcnt lgkmcnt(0)
	v_and_b32_e32 v7, v13, v7
	s_delay_alu instid0(VALU_DEP_1) | instskip(SKIP_3) | instid1(VALU_DEP_1)
	v_add_nc_u32_e32 v2, v2, v7
	ds_bpermute_b32 v2, v18, v2
	s_waitcnt lgkmcnt(0)
	v_add_nc_u32_e32 v2, v2, v17
	v_cndmask_b32_e64 v2, v2, v6, s3
	ds_store_b32 v0, v2
	; wave barrier
	ds_load_2addr_b32 v[17:18], v0 offset0:1 offset1:2
	ds_load_2addr_b32 v[19:20], v0 offset0:3 offset1:4
	;; [unrolled: 1-line block ×3, first 2 shown]
	ds_load_b32 v7, v0 offset:28
	s_waitcnt lgkmcnt(3)
	v_add_nc_u32_e32 v2, v17, v2
	s_delay_alu instid0(VALU_DEP_1) | instskip(SKIP_1) | instid1(VALU_DEP_1)
	v_add_nc_u32_e32 v17, v18, v2
	s_waitcnt lgkmcnt(2)
	v_add_nc_u32_e32 v18, v19, v17
	s_delay_alu instid0(VALU_DEP_1) | instskip(SKIP_1) | instid1(VALU_DEP_1)
	v_add_nc_u32_e32 v19, v20, v18
	;; [unrolled: 4-line block ×3, first 2 shown]
	s_waitcnt lgkmcnt(0)
	v_add_nc_u32_e32 v7, v7, v21
	ds_store_2addr_b32 v0, v2, v17 offset0:1 offset1:2
	ds_store_2addr_b32 v0, v18, v19 offset0:3 offset1:4
	;; [unrolled: 1-line block ×3, first 2 shown]
	ds_store_b32 v0, v7 offset:28
.LBB125_46:                             ;   in Loop: Header=BB125_35 Depth=1
	s_or_b32 exec_lo, exec_lo, s20
	v_mov_b32_e32 v7, 0
	s_waitcnt lgkmcnt(0)
	s_barrier
	buffer_gl0_inv
	s_and_saveexec_b32 s20, s2
	s_cbranch_execz .LBB125_48
; %bb.47:                               ;   in Loop: Header=BB125_35 Depth=1
	ds_load_b32 v7, v10
.LBB125_48:                             ;   in Loop: Header=BB125_35 Depth=1
	s_or_b32 exec_lo, exec_lo, s20
	ds_load_b32 v2, v5 offset:1048
	s_mov_b32 s20, exec_lo
	s_waitcnt lgkmcnt(0)
	s_barrier
	buffer_gl0_inv
	v_cmpx_ne_u32_e32 0, v6
	s_cbranch_execz .LBB125_33
; %bb.49:                               ;   in Loop: Header=BB125_35 Depth=1
	v_dual_mov_b32 v7, v5 :: v_dual_add_nc_u32 v6, v7, v1
	s_delay_alu instid0(VALU_DEP_1)
	v_cmp_gt_u64_e32 vcc_lo, s[6:7], v[6:7]
	s_and_b32 exec_lo, exec_lo, vcc_lo
	s_cbranch_execz .LBB125_33
; %bb.50:                               ;   in Loop: Header=BB125_35 Depth=1
	v_mad_u64_u32 v[17:18], null, v6, s14, 0
	v_mad_u64_u32 v[19:20], null, v6, s16, s[10:11]
	s_delay_alu instid0(VALU_DEP_2) | instskip(NEXT) | instid1(VALU_DEP_1)
	v_mov_b32_e32 v7, v18
	v_mad_u64_u32 v[21:22], null, v6, s15, v[7:8]
	s_delay_alu instid0(VALU_DEP_1) | instskip(NEXT) | instid1(VALU_DEP_1)
	v_dual_mov_b32 v7, v20 :: v_dual_mov_b32 v18, v21
	v_mad_u64_u32 v[20:21], null, v6, s17, v[7:8]
	s_delay_alu instid0(VALU_DEP_2) | instskip(NEXT) | instid1(VALU_DEP_1)
	v_lshlrev_b64 v[6:7], 3, v[17:18]
	v_add_co_u32 v6, vcc_lo, s18, v6
	s_delay_alu instid0(VALU_DEP_2)
	v_add_co_ci_u32_e32 v7, vcc_lo, s19, v7, vcc_lo
	global_store_b8 v[19:20], v15, off
	global_store_b64 v[6:7], v[4:5], off
	s_branch .LBB125_33
	.p2align	6
.LBB125_51:                             ;   in Loop: Header=BB125_52 Depth=1
	s_add_u32 s16, s16, 4
	s_addc_u32 s17, s17, 0
	s_waitcnt lgkmcnt(0)
	s_add_i32 s50, s13, s50
	s_add_u32 s18, s18, 4
	s_addc_u32 s19, s19, 0
	s_add_i32 s12, s12, 1
	s_delay_alu instid0(SALU_CYCLE_1)
	s_cmp_lt_u32 s12, s35
	s_cbranch_scc0 .LBB125_30
.LBB125_52:                             ; =>This Inner Loop Header: Depth=1
	s_load_b32 s13, s[16:17], 0x0
	s_cmp_ge_u32 s12, s72
	s_cbranch_scc1 .LBB125_51
; %bb.53:                               ;   in Loop: Header=BB125_52 Depth=1
	s_load_b32 s14, s[18:19], 0x0
	s_waitcnt lgkmcnt(0)
	s_add_i32 s51, s13, s51
	s_add_i32 s47, s14, s47
	s_branch .LBB125_51
.LBB125_54:
	s_nop 0
	s_sendmsg sendmsg(MSG_DEALLOC_VGPRS)
	s_endpgm
	.section	.rodata,"a",@progbits
	.p2align	6, 0x0
	.amdhsa_kernel _ZN2at6native6mbtopk10gatherTopKIhmLi3EEEvNS_4cuda6detail10TensorInfoIKT_T0_EES8_S8_bjS8_NS5_IS6_S8_EES8_NS5_IlS8_EES8_jjPS6_PjSD_j
		.amdhsa_group_segment_fixed_size 1068
		.amdhsa_private_segment_fixed_size 0
		.amdhsa_kernarg_size 1592
		.amdhsa_user_sgpr_count 13
		.amdhsa_user_sgpr_dispatch_ptr 0
		.amdhsa_user_sgpr_queue_ptr 0
		.amdhsa_user_sgpr_kernarg_segment_ptr 1
		.amdhsa_user_sgpr_dispatch_id 0
		.amdhsa_user_sgpr_private_segment_size 0
		.amdhsa_wavefront_size32 1
		.amdhsa_uses_dynamic_stack 0
		.amdhsa_enable_private_segment 0
		.amdhsa_system_sgpr_workgroup_id_x 1
		.amdhsa_system_sgpr_workgroup_id_y 1
		.amdhsa_system_sgpr_workgroup_id_z 1
		.amdhsa_system_sgpr_workgroup_info 0
		.amdhsa_system_vgpr_workitem_id 0
		.amdhsa_next_free_vgpr 25
		.amdhsa_next_free_sgpr 74
		.amdhsa_reserve_vcc 1
		.amdhsa_float_round_mode_32 0
		.amdhsa_float_round_mode_16_64 0
		.amdhsa_float_denorm_mode_32 3
		.amdhsa_float_denorm_mode_16_64 3
		.amdhsa_dx10_clamp 1
		.amdhsa_ieee_mode 1
		.amdhsa_fp16_overflow 0
		.amdhsa_workgroup_processor_mode 1
		.amdhsa_memory_ordered 1
		.amdhsa_forward_progress 0
		.amdhsa_shared_vgpr_count 0
		.amdhsa_exception_fp_ieee_invalid_op 0
		.amdhsa_exception_fp_denorm_src 0
		.amdhsa_exception_fp_ieee_div_zero 0
		.amdhsa_exception_fp_ieee_overflow 0
		.amdhsa_exception_fp_ieee_underflow 0
		.amdhsa_exception_fp_ieee_inexact 0
		.amdhsa_exception_int_div_zero 0
	.end_amdhsa_kernel
	.section	.text._ZN2at6native6mbtopk10gatherTopKIhmLi3EEEvNS_4cuda6detail10TensorInfoIKT_T0_EES8_S8_bjS8_NS5_IS6_S8_EES8_NS5_IlS8_EES8_jjPS6_PjSD_j,"axG",@progbits,_ZN2at6native6mbtopk10gatherTopKIhmLi3EEEvNS_4cuda6detail10TensorInfoIKT_T0_EES8_S8_bjS8_NS5_IS6_S8_EES8_NS5_IlS8_EES8_jjPS6_PjSD_j,comdat
.Lfunc_end125:
	.size	_ZN2at6native6mbtopk10gatherTopKIhmLi3EEEvNS_4cuda6detail10TensorInfoIKT_T0_EES8_S8_bjS8_NS5_IS6_S8_EES8_NS5_IlS8_EES8_jjPS6_PjSD_j, .Lfunc_end125-_ZN2at6native6mbtopk10gatherTopKIhmLi3EEEvNS_4cuda6detail10TensorInfoIKT_T0_EES8_S8_bjS8_NS5_IS6_S8_EES8_NS5_IlS8_EES8_jjPS6_PjSD_j
                                        ; -- End function
	.section	.AMDGPU.csdata,"",@progbits
; Kernel info:
; codeLenInByte = 3760
; NumSgprs: 76
; NumVgprs: 25
; ScratchSize: 0
; MemoryBound: 0
; FloatMode: 240
; IeeeMode: 1
; LDSByteSize: 1068 bytes/workgroup (compile time only)
; SGPRBlocks: 9
; VGPRBlocks: 3
; NumSGPRsForWavesPerEU: 76
; NumVGPRsForWavesPerEU: 25
; Occupancy: 16
; WaveLimiterHint : 1
; COMPUTE_PGM_RSRC2:SCRATCH_EN: 0
; COMPUTE_PGM_RSRC2:USER_SGPR: 13
; COMPUTE_PGM_RSRC2:TRAP_HANDLER: 0
; COMPUTE_PGM_RSRC2:TGID_X_EN: 1
; COMPUTE_PGM_RSRC2:TGID_Y_EN: 1
; COMPUTE_PGM_RSRC2:TGID_Z_EN: 1
; COMPUTE_PGM_RSRC2:TIDIG_COMP_CNT: 0
	.section	.text._ZN2at6native6sbtopk10gatherTopKIhmLi3ELb0EEEvNS_4cuda6detail10TensorInfoIKT_T0_EES8_S8_bS8_S8_NS5_IS6_S8_EES8_NS5_IlS8_EES8_PS6_,"axG",@progbits,_ZN2at6native6sbtopk10gatherTopKIhmLi3ELb0EEEvNS_4cuda6detail10TensorInfoIKT_T0_EES8_S8_bS8_S8_NS5_IS6_S8_EES8_NS5_IlS8_EES8_PS6_,comdat
	.protected	_ZN2at6native6sbtopk10gatherTopKIhmLi3ELb0EEEvNS_4cuda6detail10TensorInfoIKT_T0_EES8_S8_bS8_S8_NS5_IS6_S8_EES8_NS5_IlS8_EES8_PS6_ ; -- Begin function _ZN2at6native6sbtopk10gatherTopKIhmLi3ELb0EEEvNS_4cuda6detail10TensorInfoIKT_T0_EES8_S8_bS8_S8_NS5_IS6_S8_EES8_NS5_IlS8_EES8_PS6_
	.globl	_ZN2at6native6sbtopk10gatherTopKIhmLi3ELb0EEEvNS_4cuda6detail10TensorInfoIKT_T0_EES8_S8_bS8_S8_NS5_IS6_S8_EES8_NS5_IlS8_EES8_PS6_
	.p2align	8
	.type	_ZN2at6native6sbtopk10gatherTopKIhmLi3ELb0EEEvNS_4cuda6detail10TensorInfoIKT_T0_EES8_S8_bS8_S8_NS5_IS6_S8_EES8_NS5_IlS8_EES8_PS6_,@function
_ZN2at6native6sbtopk10gatherTopKIhmLi3ELb0EEEvNS_4cuda6detail10TensorInfoIKT_T0_EES8_S8_bS8_S8_NS5_IS6_S8_EES8_NS5_IlS8_EES8_PS6_: ; @_ZN2at6native6sbtopk10gatherTopKIhmLi3ELb0EEEvNS_4cuda6detail10TensorInfoIKT_T0_EES8_S8_bS8_S8_NS5_IS6_S8_EES8_NS5_IlS8_EES8_PS6_
; %bb.0:
	s_clause 0x1
	s_load_b64 s[22:23], s[0:1], 0x520
	s_load_b128 s[28:31], s[0:1], 0x1b8
	s_add_u32 s20, s0, 0x520
	s_addc_u32 s21, s1, 0
	s_mov_b32 s35, 0
	s_waitcnt lgkmcnt(0)
	s_mul_i32 s2, s23, s15
	s_delay_alu instid0(SALU_CYCLE_1) | instskip(NEXT) | instid1(SALU_CYCLE_1)
	s_add_i32 s2, s2, s14
	s_mul_i32 s2, s2, s22
	s_delay_alu instid0(SALU_CYCLE_1) | instskip(NEXT) | instid1(SALU_CYCLE_1)
	s_add_i32 s34, s2, s13
	v_cmp_ge_u64_e64 s2, s[34:35], s[28:29]
	s_delay_alu instid0(VALU_DEP_1)
	s_and_b32 vcc_lo, exec_lo, s2
	s_cbranch_vccnz .LBB126_531
; %bb.1:
	s_load_b128 s[8:11], s[0:1], 0x10
	s_mov_b64 s[2:3], 0
	s_mov_b64 s[6:7], 0
	s_waitcnt lgkmcnt(0)
	v_cmp_lt_u64_e64 s4, s[34:35], s[10:11]
	s_delay_alu instid0(VALU_DEP_1)
	s_and_b32 vcc_lo, exec_lo, s4
	s_cbranch_vccnz .LBB126_3
; %bb.2:
	v_cvt_f32_u32_e32 v1, s10
	s_sub_i32 s4, 0, s10
	s_mov_b32 s7, 0
	s_delay_alu instid0(VALU_DEP_1) | instskip(SKIP_2) | instid1(VALU_DEP_1)
	v_rcp_iflag_f32_e32 v1, v1
	s_waitcnt_depctr 0xfff
	v_mul_f32_e32 v1, 0x4f7ffffe, v1
	v_cvt_u32_f32_e32 v1, v1
	s_delay_alu instid0(VALU_DEP_1) | instskip(NEXT) | instid1(VALU_DEP_1)
	v_readfirstlane_b32 s3, v1
	s_mul_i32 s4, s4, s3
	s_delay_alu instid0(SALU_CYCLE_1) | instskip(NEXT) | instid1(SALU_CYCLE_1)
	s_mul_hi_u32 s4, s3, s4
	s_add_i32 s3, s3, s4
	s_delay_alu instid0(SALU_CYCLE_1) | instskip(NEXT) | instid1(SALU_CYCLE_1)
	s_mul_hi_u32 s3, s34, s3
	s_mul_i32 s4, s3, s10
	s_add_i32 s5, s3, 1
	s_sub_i32 s4, s34, s4
	s_delay_alu instid0(SALU_CYCLE_1)
	s_sub_i32 s6, s4, s10
	s_cmp_ge_u32 s4, s10
	s_cselect_b32 s3, s5, s3
	s_cselect_b32 s4, s6, s4
	s_add_i32 s5, s3, 1
	s_cmp_ge_u32 s4, s10
	s_cselect_b32 s6, s5, s3
.LBB126_3:
	s_load_b128 s[40:43], s[0:1], 0x1d8
	v_cmp_lt_u64_e64 s3, s[6:7], s[8:9]
	s_delay_alu instid0(VALU_DEP_1)
	s_and_b32 vcc_lo, exec_lo, s3
	s_cbranch_vccnz .LBB126_5
; %bb.4:
	v_cvt_f32_u32_e32 v1, s8
	s_sub_i32 s3, 0, s8
	s_delay_alu instid0(VALU_DEP_1) | instskip(SKIP_2) | instid1(VALU_DEP_1)
	v_rcp_iflag_f32_e32 v1, v1
	s_waitcnt_depctr 0xfff
	v_mul_f32_e32 v1, 0x4f7ffffe, v1
	v_cvt_u32_f32_e32 v1, v1
	s_delay_alu instid0(VALU_DEP_1) | instskip(NEXT) | instid1(VALU_DEP_1)
	v_readfirstlane_b32 s2, v1
	s_mul_i32 s3, s3, s2
	s_delay_alu instid0(SALU_CYCLE_1) | instskip(NEXT) | instid1(SALU_CYCLE_1)
	s_mul_hi_u32 s3, s2, s3
	s_add_i32 s2, s2, s3
	s_delay_alu instid0(SALU_CYCLE_1) | instskip(NEXT) | instid1(SALU_CYCLE_1)
	s_mul_hi_u32 s2, s6, s2
	s_mul_i32 s3, s2, s8
	s_add_i32 s4, s2, 1
	s_sub_i32 s3, s6, s3
	s_delay_alu instid0(SALU_CYCLE_1)
	s_sub_i32 s5, s3, s8
	s_cmp_ge_u32 s3, s8
	s_cselect_b32 s2, s4, s2
	s_cselect_b32 s3, s5, s3
	s_add_i32 s4, s2, 1
	s_cmp_ge_u32 s3, s8
	s_cselect_b32 s2, s4, s2
.LBB126_5:
	s_waitcnt lgkmcnt(0)
	v_cmp_lt_u64_e64 s3, s[34:35], s[42:43]
	s_mov_b64 s[56:57], 0
	s_mov_b64 s[58:59], 0
	s_delay_alu instid0(VALU_DEP_1)
	s_and_b32 vcc_lo, exec_lo, s3
	s_cbranch_vccnz .LBB126_7
; %bb.6:
	v_cvt_f32_u32_e32 v1, s42
	s_sub_i32 s4, 0, s42
	s_mov_b32 s59, 0
	s_delay_alu instid0(VALU_DEP_1) | instskip(SKIP_2) | instid1(VALU_DEP_1)
	v_rcp_iflag_f32_e32 v1, v1
	s_waitcnt_depctr 0xfff
	v_mul_f32_e32 v1, 0x4f7ffffe, v1
	v_cvt_u32_f32_e32 v1, v1
	s_delay_alu instid0(VALU_DEP_1) | instskip(NEXT) | instid1(VALU_DEP_1)
	v_readfirstlane_b32 s3, v1
	s_mul_i32 s4, s4, s3
	s_delay_alu instid0(SALU_CYCLE_1) | instskip(NEXT) | instid1(SALU_CYCLE_1)
	s_mul_hi_u32 s4, s3, s4
	s_add_i32 s3, s3, s4
	s_delay_alu instid0(SALU_CYCLE_1) | instskip(NEXT) | instid1(SALU_CYCLE_1)
	s_mul_hi_u32 s3, s34, s3
	s_mul_i32 s4, s3, s42
	s_add_i32 s5, s3, 1
	s_sub_i32 s4, s34, s4
	s_delay_alu instid0(SALU_CYCLE_1)
	s_sub_i32 s12, s4, s42
	s_cmp_ge_u32 s4, s42
	s_cselect_b32 s3, s5, s3
	s_cselect_b32 s4, s12, s4
	s_add_i32 s5, s3, 1
	s_cmp_ge_u32 s4, s42
	s_cselect_b32 s58, s5, s3
.LBB126_7:
	s_load_b128 s[44:47], s[0:1], 0x380
	v_cmp_lt_u64_e64 s3, s[58:59], s[40:41]
	s_delay_alu instid0(VALU_DEP_1)
	s_and_b32 vcc_lo, exec_lo, s3
	s_cbranch_vccnz .LBB126_9
; %bb.8:
	v_cvt_f32_u32_e32 v1, s40
	s_sub_i32 s4, 0, s40
	s_delay_alu instid0(VALU_DEP_1) | instskip(SKIP_2) | instid1(VALU_DEP_1)
	v_rcp_iflag_f32_e32 v1, v1
	s_waitcnt_depctr 0xfff
	v_mul_f32_e32 v1, 0x4f7ffffe, v1
	v_cvt_u32_f32_e32 v1, v1
	s_delay_alu instid0(VALU_DEP_1) | instskip(NEXT) | instid1(VALU_DEP_1)
	v_readfirstlane_b32 s3, v1
	s_mul_i32 s4, s4, s3
	s_delay_alu instid0(SALU_CYCLE_1) | instskip(NEXT) | instid1(SALU_CYCLE_1)
	s_mul_hi_u32 s4, s3, s4
	s_add_i32 s3, s3, s4
	s_delay_alu instid0(SALU_CYCLE_1) | instskip(NEXT) | instid1(SALU_CYCLE_1)
	s_mul_hi_u32 s3, s58, s3
	s_mul_i32 s4, s3, s40
	s_add_i32 s5, s3, 1
	s_sub_i32 s4, s58, s4
	s_delay_alu instid0(SALU_CYCLE_1)
	s_sub_i32 s12, s4, s40
	s_cmp_ge_u32 s4, s40
	s_cselect_b32 s3, s5, s3
	s_cselect_b32 s4, s12, s4
	s_add_i32 s5, s3, 1
	s_cmp_ge_u32 s4, s40
	s_cselect_b32 s56, s5, s3
.LBB126_9:
	s_clause 0x1
	s_load_b64 s[14:15], s[0:1], 0xe0
	s_load_b128 s[16:19], s[0:1], 0xd0
	s_waitcnt lgkmcnt(0)
	v_cmp_lt_u64_e64 s3, s[34:35], s[46:47]
	s_mov_b64 s[62:63], 0
	s_mov_b64 s[64:65], 0
	s_delay_alu instid0(VALU_DEP_1)
	s_and_b32 vcc_lo, exec_lo, s3
	s_cbranch_vccnz .LBB126_11
; %bb.10:
	v_cvt_f32_u32_e32 v1, s46
	s_sub_i32 s4, 0, s46
	s_mov_b32 s65, 0
	s_delay_alu instid0(VALU_DEP_1) | instskip(SKIP_2) | instid1(VALU_DEP_1)
	v_rcp_iflag_f32_e32 v1, v1
	s_waitcnt_depctr 0xfff
	v_mul_f32_e32 v1, 0x4f7ffffe, v1
	v_cvt_u32_f32_e32 v1, v1
	s_delay_alu instid0(VALU_DEP_1) | instskip(NEXT) | instid1(VALU_DEP_1)
	v_readfirstlane_b32 s3, v1
	s_mul_i32 s4, s4, s3
	s_delay_alu instid0(SALU_CYCLE_1) | instskip(NEXT) | instid1(SALU_CYCLE_1)
	s_mul_hi_u32 s4, s3, s4
	s_add_i32 s3, s3, s4
	s_delay_alu instid0(SALU_CYCLE_1) | instskip(NEXT) | instid1(SALU_CYCLE_1)
	s_mul_hi_u32 s3, s34, s3
	s_mul_i32 s4, s3, s46
	s_add_i32 s5, s3, 1
	s_sub_i32 s4, s34, s4
	s_delay_alu instid0(SALU_CYCLE_1)
	s_sub_i32 s12, s4, s46
	s_cmp_ge_u32 s4, s46
	s_cselect_b32 s3, s5, s3
	s_cselect_b32 s4, s12, s4
	s_add_i32 s5, s3, 1
	s_cmp_ge_u32 s4, s46
	s_cselect_b32 s64, s5, s3
.LBB126_11:
	s_load_b64 s[24:25], s[0:1], 0x0
	v_cmp_lt_u64_e64 s3, s[64:65], s[44:45]
	s_delay_alu instid0(VALU_DEP_1)
	s_and_b32 vcc_lo, exec_lo, s3
	s_cbranch_vccnz .LBB126_13
; %bb.12:
	v_cvt_f32_u32_e32 v1, s44
	s_sub_i32 s4, 0, s44
	s_delay_alu instid0(VALU_DEP_1) | instskip(SKIP_2) | instid1(VALU_DEP_1)
	v_rcp_iflag_f32_e32 v1, v1
	s_waitcnt_depctr 0xfff
	v_mul_f32_e32 v1, 0x4f7ffffe, v1
	v_cvt_u32_f32_e32 v1, v1
	s_delay_alu instid0(VALU_DEP_1) | instskip(NEXT) | instid1(VALU_DEP_1)
	v_readfirstlane_b32 s3, v1
	s_mul_i32 s4, s4, s3
	s_delay_alu instid0(SALU_CYCLE_1) | instskip(NEXT) | instid1(SALU_CYCLE_1)
	s_mul_hi_u32 s4, s3, s4
	s_add_i32 s3, s3, s4
	s_delay_alu instid0(SALU_CYCLE_1) | instskip(NEXT) | instid1(SALU_CYCLE_1)
	s_mul_hi_u32 s3, s64, s3
	s_mul_i32 s4, s3, s44
	s_add_i32 s5, s3, 1
	s_sub_i32 s4, s64, s4
	s_delay_alu instid0(SALU_CYCLE_1)
	s_sub_i32 s12, s4, s44
	s_cmp_ge_u32 s4, s44
	s_cselect_b32 s3, s5, s3
	s_cselect_b32 s4, s12, s4
	s_add_i32 s5, s3, 1
	s_cmp_ge_u32 s4, s44
	s_cselect_b32 s62, s5, s3
.LBB126_13:
	s_clause 0x1
	s_load_b64 s[4:5], s[0:1], 0x370
	s_load_b128 s[36:39], s[0:1], 0x1a0
                                        ; implicit-def: $vgpr33 : SGPR spill to VGPR lane
	s_mov_b32 s73, 0
	s_waitcnt lgkmcnt(0)
	v_writelane_b32 v33, s4, 0
	v_writelane_b32 v33, s5, 1
	v_cmp_eq_u32_e64 s5, 0, v0
	s_delay_alu instid0(VALU_DEP_1)
	s_and_saveexec_b32 s3, s5
	s_cbranch_execz .LBB126_15
; %bb.14:
	v_dual_mov_b32 v1, 0 :: v_dual_mov_b32 v4, s37
	s_delay_alu instid0(VALU_DEP_1)
	v_dual_mov_b32 v3, s36 :: v_dual_mov_b32 v2, v1
	ds_store_b32 v1, v1 offset:5144
	ds_store_b128 v1, v[1:4] offset:5120
.LBB126_15:
	s_or_b32 exec_lo, exec_lo, s3
	s_mul_i32 s3, s2, s9
	s_mul_hi_u32 s4, s2, s8
	s_mul_i32 s8, s2, s8
	s_add_i32 s4, s4, s3
	s_sub_u32 s3, s6, s8
	s_subb_u32 s4, s7, s4
	s_mul_i32 s8, s3, s19
	s_mul_hi_u32 s9, s3, s18
	s_mul_i32 s4, s4, s18
	s_add_i32 s7, s9, s8
	s_mul_i32 s8, s2, s17
	s_mul_hi_u32 s9, s2, s16
	s_add_i32 s7, s7, s4
	s_add_i32 s9, s9, s8
	s_mul_i32 s4, s6, s11
	s_mul_hi_u32 s8, s6, s10
	s_mul_i32 s6, s6, s10
	s_add_i32 s8, s8, s4
	s_sub_u32 s4, s34, s6
	s_subb_u32 s8, 0, s8
	s_mul_i32 s6, s4, s15
	s_mul_hi_u32 s11, s4, s14
	s_mul_i32 s8, s8, s14
	s_add_i32 s6, s11, s6
	s_mul_i32 s2, s2, s16
	s_add_i32 s6, s6, s8
	s_load_b32 s10, s[0:1], 0x1b0
	s_mul_i32 s3, s3, s18
	s_add_u32 s2, s24, s2
	s_addc_u32 s8, s25, s9
	s_add_u32 s2, s2, s3
	s_addc_u32 s3, s8, s7
	s_waitcnt lgkmcnt(0)
	s_barrier
	buffer_gl0_inv
	s_load_b32 s7, s[20:21], 0xc
	s_mul_i32 s4, s4, s14
	v_mbcnt_lo_u32_b32 v23, -1, 0
	s_add_u32 s28, s2, s4
	s_addc_u32 s29, s3, s6
	v_cmp_gt_u32_e32 vcc_lo, 32, v0
	v_mad_u64_u32 v[10:11], null, v0, s30, s[28:29]
	v_cmp_gt_i32_e64 s4, 4, v23
	v_lshlrev_b32_e32 v14, 2, v0
	v_cmp_lt_u64_e64 s63, 0xc00, s[36:37]
	s_bitcmp1_b32 s10, 0
	v_mov_b32_e32 v16, s38
	s_cselect_b32 s3, -1, 0
	v_mov_b32_e32 v1, v11
	s_xor_b32 s35, s3, -1
	s_and_b32 s57, vcc_lo, s4
	v_cmp_eq_u32_e64 s2, 0, v23
	v_cmp_gt_u32_e64 s6, 2, v0
	v_mad_u64_u32 v[2:3], null, v0, s31, v[1:2]
	s_waitcnt lgkmcnt(0)
	s_and_b32 s33, s7, 0xffff
	s_bfe_u32 s8, s7, 0xb0005
	s_add_u32 s86, s33, -1
	s_addc_u32 s87, 0, -1
	v_lshrrev_b32_e32 v3, 3, v0
	v_mov_b32_e32 v13, 0
	s_add_u32 s88, s86, s36
	s_addc_u32 s27, s87, s37
	s_cmp_lt_u32 s13, s22
	v_and_b32_e32 v24, 0x7c, v3
	s_cselect_b32 s9, 12, 18
	v_mov_b32_e32 v1, v13
	v_dual_mov_b32 v11, v2 :: v_dual_mov_b32 v28, 0
	v_lshlrev_b64 v[2:3], v23, -1
	s_add_u32 s74, s20, s9
	v_cmp_gt_u16_e64 s89, s7, 31
	s_addc_u32 s75, s21, 0
	s_add_i32 s7, s8, -1
	s_bfe_u32 s90, s33, 0x30005
	s_cmp_gt_u32 s7, 6
	v_cmp_gt_u64_e64 s4, s[36:37], v[0:1]
	v_dual_mov_b32 v15, v13 :: v_dual_mov_b32 v26, 0
	v_not_b32_e32 v22, v2
	s_cselect_b32 s91, -1, 0
	s_and_b32 s92, s8, 0x7f8
	v_lshl_or_b32 v25, v23, 3, 0xc00
	v_mov_b32_e32 v17, s39
	v_mov_b32_e32 v27, 0
	s_cmp_lg_u32 s90, 0
	s_mov_b32 s93, 6
	s_cselect_b32 s95, -1, 0
	s_mov_b32 s94, 0
	s_mov_b32 s97, 0
                                        ; implicit-def: $sgpr96
                                        ; implicit-def: $sgpr100
                                        ; implicit-def: $sgpr99
                                        ; implicit-def: $sgpr101
                                        ; implicit-def: $sgpr98
                                        ; implicit-def: $sgpr102
                                        ; implicit-def: $sgpr104
                                        ; implicit-def: $sgpr103
                                        ; implicit-def: $vcc_hi
                                        ; implicit-def: $sgpr68
	s_branch .LBB126_18
.LBB126_16:                             ;   in Loop: Header=BB126_18 Depth=1
	s_or_b32 exec_lo, exec_lo, s10
	v_dual_mov_b32 v26, v9 :: v_dual_mov_b32 v27, v8
	v_dual_mov_b32 v17, v3 :: v_dual_mov_b32 v16, v2
	v_mov_b32_e32 v28, v18
	s_and_not1_b32 s10, s68, exec_lo
	s_and_b32 s9, s9, exec_lo
	s_and_not1_b32 vcc_hi, vcc_hi, exec_lo
	s_or_b32 s68, s10, s9
	s_and_not1_b32 s103, s103, exec_lo
	s_and_not1_b32 s104, s104, exec_lo
	;; [unrolled: 1-line block ×3, first 2 shown]
	s_or_not1_b32 s8, s8, exec_lo
.LBB126_17:                             ;   in Loop: Header=BB126_18 Depth=1
	s_or_b32 exec_lo, exec_lo, s7
	s_delay_alu instid0(SALU_CYCLE_1) | instskip(NEXT) | instid1(SALU_CYCLE_1)
	s_and_b32 s7, exec_lo, s8
	s_or_b32 s94, s7, s94
	s_and_not1_b32 s7, s98, exec_lo
	s_and_b32 s8, s68, exec_lo
	s_and_not1_b32 s9, s101, exec_lo
	s_or_b32 s98, s7, s8
	s_and_b32 s7, vcc_hi, exec_lo
	s_and_not1_b32 s8, s99, exec_lo
	s_and_b32 s10, s103, exec_lo
	s_or_b32 s101, s9, s7
	s_or_b32 s99, s8, s10
	s_and_not1_b32 s7, s100, exec_lo
	s_and_b32 s8, s104, exec_lo
	s_and_not1_b32 s9, s96, exec_lo
	s_and_b32 s10, s102, exec_lo
	s_or_b32 s100, s7, s8
	s_or_b32 s96, s9, s10
	s_and_not1_b32 exec_lo, exec_lo, s94
	s_cbranch_execz .LBB126_471
.LBB126_18:                             ; =>This Loop Header: Depth=1
                                        ;     Child Loop BB126_23 Depth 2
                                        ;     Child Loop BB126_41 Depth 2
	;; [unrolled: 1-line block ×24, first 2 shown]
	ds_load_b128 v[2:5], v13 offset:5120
	s_waitcnt lgkmcnt(0)
	v_readfirstlane_b32 s77, v3
	v_readfirstlane_b32 s76, v2
	s_delay_alu instid0(VALU_DEP_1)
	s_cmp_lg_u64 s[76:77], 0
	s_cbranch_scc1 .LBB126_48
; %bb.19:                               ;   in Loop: Header=BB126_18 Depth=1
	s_and_b32 vcc_lo, exec_lo, s63
	s_cbranch_vccz .LBB126_31
; %bb.20:                               ;   in Loop: Header=BB126_18 Depth=1
	v_cmp_gt_u64_e32 vcc_lo, 0xc01, v[4:5]
	s_mov_b32 s9, 0
	s_mov_b32 s7, 0
	s_cbranch_vccz .LBB126_32
; %bb.21:                               ;   in Loop: Header=BB126_18 Depth=1
	global_load_u16 v2, v13, s[74:75]
	global_load_u8 v5, v[10:11], off
	s_mov_b32 s10, 0
	s_waitcnt vmcnt(1)
	v_dual_mov_b32 v3, v1 :: v_dual_and_b32 v4, 0xffff, v2
	v_mov_b32_e32 v2, v0
	s_branch .LBB126_23
.LBB126_22:                             ;   in Loop: Header=BB126_23 Depth=2
	s_or_b32 exec_lo, exec_lo, s8
	v_mov_b32_e32 v5, v6
	s_and_not1_b32 exec_lo, exec_lo, s10
	s_cbranch_execz .LBB126_33
.LBB126_23:                             ;   Parent Loop BB126_18 Depth=1
                                        ; =>  This Inner Loop Header: Depth=2
	s_delay_alu instid0(VALU_DEP_1) | instskip(NEXT) | instid1(VALU_DEP_3)
	v_add_co_u32 v2, vcc_lo, v2, v4
	v_add_co_ci_u32_e32 v3, vcc_lo, 0, v3, vcc_lo
	s_waitcnt lgkmcnt(0)
	v_dual_mov_b32 v7, 0 :: v_dual_mov_b32 v6, 0
	s_mov_b32 s8, exec_lo
	s_delay_alu instid0(VALU_DEP_2)
	v_cmp_le_u64_e32 vcc_lo, s[36:37], v[2:3]
	v_cmpx_gt_u64_e64 s[36:37], v[2:3]
	s_cbranch_execz .LBB126_25
; %bb.24:                               ;   in Loop: Header=BB126_23 Depth=2
	v_mad_u64_u32 v[8:9], null, v2, s30, s[28:29]
	v_mul_lo_u32 v6, v2, s31
	v_mul_lo_u32 v12, v3, s30
	s_delay_alu instid0(VALU_DEP_1)
	v_add3_u32 v9, v12, v9, v6
	global_load_u8 v6, v[8:9], off
.LBB126_25:                             ;   in Loop: Header=BB126_23 Depth=2
	s_or_b32 exec_lo, exec_lo, s8
	s_waitcnt vmcnt(0)
	v_and_b32_e32 v8, v5, v26
	s_delay_alu instid0(VALU_DEP_1) | instskip(NEXT) | instid1(VALU_DEP_1)
	v_and_b32_e32 v8, 0xff, v8
	v_cmp_eq_u32_e64 s7, v8, v27
	s_delay_alu instid0(VALU_DEP_1) | instskip(SKIP_1) | instid1(SALU_CYCLE_1)
	s_cmp_lg_u32 s7, 0
	s_cselect_b32 s8, -1, 0
	s_and_b32 s8, s2, s8
	s_delay_alu instid0(SALU_CYCLE_1)
	s_and_saveexec_b32 s11, s8
	s_cbranch_execz .LBB126_29
; %bb.26:                               ;   in Loop: Header=BB126_23 Depth=2
	s_mov_b32 s14, exec_lo
	s_bcnt1_i32_b32 s12, s7
	v_mbcnt_lo_u32_b32 v7, s14, 0
	s_mov_b32 s13, exec_lo
                                        ; implicit-def: $vgpr8
	s_delay_alu instid0(VALU_DEP_1)
	v_cmpx_eq_u32_e32 0, v7
	s_cbranch_execz .LBB126_28
; %bb.27:                               ;   in Loop: Header=BB126_23 Depth=2
	s_bcnt1_i32_b32 s8, s14
	s_delay_alu instid0(SALU_CYCLE_1) | instskip(NEXT) | instid1(SALU_CYCLE_1)
	s_mul_i32 s8, s12, s8
	v_mov_b32_e32 v8, s8
	ds_add_rtn_u32 v8, v13, v8 offset:5144
.LBB126_28:                             ;   in Loop: Header=BB126_23 Depth=2
	s_or_b32 exec_lo, exec_lo, s13
	s_waitcnt lgkmcnt(0)
	v_readfirstlane_b32 s8, v8
	s_delay_alu instid0(VALU_DEP_1)
	v_mad_u32_u24 v7, s12, v7, s8
.LBB126_29:                             ;   in Loop: Header=BB126_23 Depth=2
	s_or_b32 exec_lo, exec_lo, s11
	ds_bpermute_b32 v7, v13, v7
	s_and_b32 s8, exec_lo, vcc_lo
	s_delay_alu instid0(SALU_CYCLE_1)
	s_or_b32 s10, s8, s10
	s_and_saveexec_b32 s8, s7
	s_cbranch_execz .LBB126_22
; %bb.30:                               ;   in Loop: Header=BB126_23 Depth=2
	v_and_b32_e32 v8, s7, v22
	s_waitcnt lgkmcnt(0)
	s_delay_alu instid0(VALU_DEP_1)
	v_bcnt_u32_b32 v7, v8, v7
	ds_store_b8 v7, v5
	s_branch .LBB126_22
.LBB126_31:                             ;   in Loop: Header=BB126_18 Depth=1
	s_mov_b32 s7, 0
                                        ; implicit-def: $sgpr76_sgpr77
	s_cbranch_execnz .LBB126_36
	s_branch .LBB126_46
.LBB126_32:                             ;   in Loop: Header=BB126_18 Depth=1
	s_mov_b64 s[76:77], 0
	s_and_b32 vcc_lo, exec_lo, s9
	s_cbranch_vccnz .LBB126_36
	s_branch .LBB126_46
.LBB126_33:                             ;   in Loop: Header=BB126_18 Depth=1
	s_or_b32 exec_lo, exec_lo, s10
	s_waitcnt lgkmcnt(0)
	s_barrier
	buffer_gl0_inv
	s_and_saveexec_b32 s7, s5
	s_cbranch_execz .LBB126_35
; %bb.34:                               ;   in Loop: Header=BB126_18 Depth=1
	ds_load_b32 v2, v13 offset:5144
	s_waitcnt lgkmcnt(0)
	v_ashrrev_i32_e32 v3, 31, v2
	ds_store_b64 v13, v[2:3] offset:5120
.LBB126_35:                             ;   in Loop: Header=BB126_18 Depth=1
	s_or_b32 exec_lo, exec_lo, s7
	s_waitcnt lgkmcnt(0)
	s_mov_b32 s7, -1
	s_barrier
	s_mov_b64 s[76:77], 0
	s_and_b32 vcc_lo, exec_lo, s9
	s_cbranch_vccz .LBB126_46
.LBB126_36:                             ;   in Loop: Header=BB126_18 Depth=1
	v_mov_b32_e32 v4, 0
	s_and_saveexec_b32 s7, s4
	s_cbranch_execz .LBB126_38
; %bb.37:                               ;   in Loop: Header=BB126_18 Depth=1
	global_load_u8 v4, v[10:11], off
.LBB126_38:                             ;   in Loop: Header=BB126_18 Depth=1
	s_or_b32 exec_lo, exec_lo, s7
	s_and_saveexec_b32 s8, s4
	s_cbranch_execz .LBB126_43
; %bb.39:                               ;   in Loop: Header=BB126_18 Depth=1
	global_load_u16 v2, v13, s[74:75]
	v_mov_b32_e32 v5, v0
	s_mov_b32 s9, 0
	s_waitcnt vmcnt(0)
	v_dual_mov_b32 v3, v1 :: v_dual_and_b32 v6, 0xffff, v2
	v_mov_b32_e32 v2, v0
	s_set_inst_prefetch_distance 0x1
	s_branch .LBB126_41
	.p2align	6
.LBB126_40:                             ;   in Loop: Header=BB126_41 Depth=2
	s_or_b32 exec_lo, exec_lo, s10
	ds_store_b8 v5, v4
	s_waitcnt vmcnt(0)
	v_dual_mov_b32 v4, v7 :: v_dual_add_nc_u32 v5, v5, v6
	s_and_b32 s7, exec_lo, vcc_lo
	s_delay_alu instid0(SALU_CYCLE_1) | instskip(NEXT) | instid1(SALU_CYCLE_1)
	s_or_b32 s9, s7, s9
	s_and_not1_b32 exec_lo, exec_lo, s9
	s_cbranch_execz .LBB126_43
.LBB126_41:                             ;   Parent Loop BB126_18 Depth=1
                                        ; =>  This Inner Loop Header: Depth=2
	s_delay_alu instid0(VALU_DEP_1) | instskip(SKIP_3) | instid1(VALU_DEP_2)
	v_add_co_u32 v2, vcc_lo, v2, v6
	v_add_co_ci_u32_e32 v3, vcc_lo, 0, v3, vcc_lo
	v_mov_b32_e32 v7, 0
	s_mov_b32 s10, exec_lo
	v_cmp_le_u64_e32 vcc_lo, s[36:37], v[2:3]
	v_cmpx_gt_u64_e64 s[36:37], v[2:3]
	s_cbranch_execz .LBB126_40
; %bb.42:                               ;   in Loop: Header=BB126_41 Depth=2
	v_mad_u64_u32 v[7:8], null, v2, s30, s[28:29]
	v_mul_lo_u32 v9, v2, s31
	v_mul_lo_u32 v12, v3, s30
	s_delay_alu instid0(VALU_DEP_1)
	v_add3_u32 v8, v12, v8, v9
	global_load_u8 v7, v[7:8], off
	s_branch .LBB126_40
.LBB126_43:                             ;   in Loop: Header=BB126_18 Depth=1
	s_set_inst_prefetch_distance 0x2
	s_or_b32 exec_lo, exec_lo, s8
	s_waitcnt vmcnt(0) lgkmcnt(0)
	s_barrier
	buffer_gl0_inv
	s_and_saveexec_b32 s7, s5
	s_cbranch_execz .LBB126_45
; %bb.44:                               ;   in Loop: Header=BB126_18 Depth=1
	v_dual_mov_b32 v2, s36 :: v_dual_mov_b32 v3, s37
	ds_store_b64 v13, v[2:3] offset:5120
.LBB126_45:                             ;   in Loop: Header=BB126_18 Depth=1
	s_or_b32 exec_lo, exec_lo, s7
	s_mov_b32 s7, -1
	s_waitcnt lgkmcnt(0)
	s_barrier
                                        ; implicit-def: $sgpr76_sgpr77
.LBB126_46:                             ;   in Loop: Header=BB126_18 Depth=1
	s_and_b32 vcc_lo, exec_lo, s7
	s_cbranch_vccz .LBB126_48
; %bb.47:                               ;   in Loop: Header=BB126_18 Depth=1
	buffer_gl0_inv
	ds_load_b64 v[2:3], v13 offset:5120
	s_waitcnt lgkmcnt(0)
	v_readfirstlane_b32 s76, v2
.LBB126_48:                             ;   in Loop: Header=BB126_18 Depth=1
	s_delay_alu instid0(VALU_DEP_1)
	s_cmp_lt_i32 s76, 1
	s_cbranch_scc0 .LBB126_63
; %bb.49:                               ;   in Loop: Header=BB126_18 Depth=1
	global_load_u16 v29, v13, s[74:75]
	s_mov_b32 s8, s73
	s_mov_b32 s9, s37
	s_waitcnt vmcnt(0)
	v_readfirstlane_b32 s7, v29
	s_delay_alu instid0(VALU_DEP_1) | instskip(NEXT) | instid1(SALU_CYCLE_1)
	s_and_b32 s7, 0xffff, s7
	s_lshl_b32 s25, s7, 2
	s_cmp_lg_u64 s[8:9], 0
	s_cbranch_scc0 .LBB126_83
; %bb.50:                               ;   in Loop: Header=BB126_18 Depth=1
	v_cvt_f32_u32_e32 v2, s25
	s_sub_u32 s9, 0, s25
	s_subb_u32 s10, 0, 0
	s_delay_alu instid0(VALU_DEP_1) | instskip(NEXT) | instid1(VALU_DEP_1)
	v_fmac_f32_e64 v2, 0, 0x4f800000
	v_rcp_f32_e32 v2, v2
	s_waitcnt_depctr 0xfff
	v_mul_f32_e32 v2, 0x5f7ffffc, v2
	s_delay_alu instid0(VALU_DEP_1) | instskip(NEXT) | instid1(VALU_DEP_1)
	v_mul_f32_e32 v3, 0x2f800000, v2
	v_trunc_f32_e32 v3, v3
	s_delay_alu instid0(VALU_DEP_1) | instskip(SKIP_1) | instid1(VALU_DEP_2)
	v_fmac_f32_e32 v2, 0xcf800000, v3
	v_cvt_u32_f32_e32 v3, v3
	v_cvt_u32_f32_e32 v2, v2
	s_delay_alu instid0(VALU_DEP_2) | instskip(NEXT) | instid1(VALU_DEP_2)
	v_readfirstlane_b32 s7, v3
	v_readfirstlane_b32 s8, v2
	s_delay_alu instid0(VALU_DEP_2) | instskip(NEXT) | instid1(VALU_DEP_1)
	s_mul_i32 s11, s9, s7
	s_mul_hi_u32 s13, s9, s8
	s_mul_i32 s12, s10, s8
	s_add_i32 s11, s13, s11
	s_mul_i32 s14, s9, s8
	s_add_i32 s11, s11, s12
	s_mul_hi_u32 s13, s8, s14
	s_mul_hi_u32 s15, s7, s14
	s_mul_i32 s12, s7, s14
	s_mul_hi_u32 s14, s8, s11
	s_mul_i32 s8, s8, s11
	s_mul_hi_u32 s16, s7, s11
	s_add_u32 s8, s13, s8
	s_addc_u32 s13, 0, s14
	s_add_u32 s8, s8, s12
	s_mul_i32 s11, s7, s11
	s_addc_u32 s8, s13, s15
	s_addc_u32 s12, s16, 0
	s_add_u32 s8, s8, s11
	s_addc_u32 s11, 0, s12
	v_add_co_u32 v2, s8, v2, s8
	s_delay_alu instid0(VALU_DEP_1) | instskip(SKIP_1) | instid1(VALU_DEP_1)
	s_cmp_lg_u32 s8, 0
	s_addc_u32 s7, s7, s11
	v_readfirstlane_b32 s8, v2
	s_mul_i32 s11, s9, s7
	s_delay_alu instid0(VALU_DEP_1)
	s_mul_hi_u32 s12, s9, s8
	s_mul_i32 s10, s10, s8
	s_add_i32 s11, s12, s11
	s_mul_i32 s9, s9, s8
	s_add_i32 s11, s11, s10
	s_mul_hi_u32 s12, s7, s9
	s_mul_i32 s13, s7, s9
	s_mul_hi_u32 s9, s8, s9
	s_mul_hi_u32 s14, s8, s11
	s_mul_i32 s8, s8, s11
	s_mul_hi_u32 s10, s7, s11
	s_add_u32 s8, s9, s8
	s_addc_u32 s9, 0, s14
	s_add_u32 s8, s8, s13
	s_mul_i32 s11, s7, s11
	s_addc_u32 s8, s9, s12
	s_addc_u32 s9, s10, 0
	s_add_u32 s8, s8, s11
	s_addc_u32 s9, 0, s9
	v_add_co_u32 v2, s8, v2, s8
	s_delay_alu instid0(VALU_DEP_1) | instskip(SKIP_1) | instid1(VALU_DEP_1)
	s_cmp_lg_u32 s8, 0
	s_addc_u32 s7, s7, s9
	v_readfirstlane_b32 s8, v2
	s_mul_i32 s10, s36, s7
	s_mul_hi_u32 s9, s36, s7
	s_mul_hi_u32 s11, s37, s7
	s_mul_i32 s7, s37, s7
	s_mul_hi_u32 s12, s36, s8
	s_mul_hi_u32 s13, s37, s8
	s_mul_i32 s8, s37, s8
	s_add_u32 s10, s12, s10
	s_addc_u32 s9, 0, s9
	s_add_u32 s8, s10, s8
	s_addc_u32 s8, s9, s13
	s_addc_u32 s9, s11, 0
	s_add_u32 s7, s8, s7
	s_addc_u32 s8, 0, s9
	s_mul_hi_u32 s9, s25, s7
	s_mul_i32 s7, s25, s7
	s_mul_i32 s8, s25, s8
	v_sub_co_u32 v2, s7, s36, s7
	s_add_i32 s9, s9, s8
	s_cmp_lg_u32 s7, 0
	s_delay_alu instid0(VALU_DEP_1) | instskip(SKIP_2) | instid1(VALU_DEP_1)
	v_sub_co_u32 v3, s7, v2, s25
	s_subb_u32 s8, s37, s9
	s_cmp_lg_u32 s7, 0
	v_cmp_le_u32_e32 vcc_lo, s25, v3
	v_sub_co_u32 v4, s7, v3, s25
	s_subb_u32 s9, s8, 0
	s_cmp_lg_u32 s7, 0
	v_cndmask_b32_e64 v5, 0, -1, vcc_lo
	s_subb_u32 s7, s9, 0
	s_cmp_eq_u32 s9, 0
	v_mov_b32_e32 v7, s7
	s_cselect_b32 vcc_lo, -1, 0
	s_cmp_eq_u32 s8, 0
	v_cndmask_b32_e32 v5, -1, v5, vcc_lo
	v_cmp_le_u32_e32 vcc_lo, s25, v2
	s_cselect_b32 s7, -1, 0
	v_cndmask_b32_e64 v6, 0, -1, vcc_lo
	s_delay_alu instid0(VALU_DEP_3) | instskip(NEXT) | instid1(VALU_DEP_2)
	v_cmp_ne_u32_e32 vcc_lo, 0, v5
	v_cndmask_b32_e64 v5, -1, v6, s7
	v_cndmask_b32_e32 v6, s9, v7, vcc_lo
	v_cndmask_b32_e32 v4, v3, v4, vcc_lo
	s_delay_alu instid0(VALU_DEP_3) | instskip(NEXT) | instid1(VALU_DEP_3)
	v_cmp_ne_u32_e32 vcc_lo, 0, v5
	v_cndmask_b32_e32 v3, s8, v6, vcc_lo
	s_delay_alu instid0(VALU_DEP_3)
	v_cndmask_b32_e32 v2, v2, v4, vcc_lo
	s_cbranch_execnz .LBB126_52
.LBB126_51:                             ;   in Loop: Header=BB126_18 Depth=1
	v_cvt_f32_u32_e32 v2, s25
	s_sub_i32 s7, 0, s25
	s_delay_alu instid0(VALU_DEP_1) | instskip(SKIP_2) | instid1(VALU_DEP_1)
	v_rcp_iflag_f32_e32 v2, v2
	s_waitcnt_depctr 0xfff
	v_mul_f32_e32 v2, 0x4f7ffffe, v2
	v_cvt_u32_f32_e32 v2, v2
	s_delay_alu instid0(VALU_DEP_1) | instskip(NEXT) | instid1(VALU_DEP_1)
	v_mul_lo_u32 v3, s7, v2
	v_mul_hi_u32 v3, v2, v3
	s_delay_alu instid0(VALU_DEP_1) | instskip(NEXT) | instid1(VALU_DEP_1)
	v_add_nc_u32_e32 v2, v2, v3
	v_mul_hi_u32 v2, s36, v2
	s_delay_alu instid0(VALU_DEP_1) | instskip(NEXT) | instid1(VALU_DEP_1)
	v_mul_lo_u32 v2, v2, s25
	v_sub_nc_u32_e32 v2, s36, v2
	s_delay_alu instid0(VALU_DEP_1) | instskip(SKIP_1) | instid1(VALU_DEP_2)
	v_subrev_nc_u32_e32 v3, s25, v2
	v_cmp_le_u32_e32 vcc_lo, s25, v2
	v_cndmask_b32_e32 v2, v2, v3, vcc_lo
	s_delay_alu instid0(VALU_DEP_1) | instskip(SKIP_1) | instid1(VALU_DEP_2)
	v_subrev_nc_u32_e32 v3, s25, v2
	v_cmp_le_u32_e32 vcc_lo, s25, v2
	v_cndmask_b32_e32 v12, v2, v3, vcc_lo
	s_delay_alu instid0(VALU_DEP_1)
	v_dual_mov_b32 v2, v12 :: v_dual_mov_b32 v3, v13
.LBB126_52:                             ;   in Loop: Header=BB126_18 Depth=1
	s_delay_alu instid0(VALU_DEP_1) | instskip(NEXT) | instid1(VALU_DEP_2)
	v_sub_co_u32 v18, vcc_lo, s36, v2
	v_sub_co_ci_u32_e32 v19, vcc_lo, s37, v3, vcc_lo
	v_mov_b32_e32 v2, 0
	v_mov_b32_e32 v3, 0
	s_mov_b64 s[78:79], 0
	s_mov_b32 s26, exec_lo
	s_delay_alu instid0(VALU_DEP_1)
	v_dual_mov_b32 v5, v3 :: v_dual_mov_b32 v4, v2
	v_dual_mov_b32 v7, v3 :: v_dual_mov_b32 v6, v2
	;; [unrolled: 1-line block ×3, first 2 shown]
	v_cmpx_gt_u64_e64 v[18:19], v[14:15]
	s_cbranch_execz .LBB126_56
; %bb.53:                               ;   in Loop: Header=BB126_18 Depth=1
	v_dual_mov_b32 v21, v15 :: v_dual_mov_b32 v20, v14
	s_and_b32 s61, s93, 0xfe
	s_mov_b32 s60, 0
	s_mov_b64 s[80:81], 0
	s_mov_b64 s[82:83], 0
	;; [unrolled: 1-line block ×3, first 2 shown]
.LBB126_54:                             ;   Parent Loop BB126_18 Depth=1
                                        ; =>  This Inner Loop Header: Depth=2
	v_mad_u64_u32 v[2:3], null, v20, s30, s[28:29]
	v_mul_lo_u32 v4, v20, s31
	v_mul_lo_u32 v5, v21, s30
	s_delay_alu instid0(VALU_DEP_1) | instskip(NEXT) | instid1(VALU_DEP_4)
	v_add3_u32 v3, v5, v3, v4
	v_add_co_u32 v4, vcc_lo, v2, s30
	s_delay_alu instid0(VALU_DEP_2)
	v_add_co_ci_u32_e32 v5, vcc_lo, s31, v3, vcc_lo
	s_clause 0x1
	global_load_u8 v6, v[2:3], off
	global_load_u8 v7, v[4:5], off
	v_add_co_u32 v2, vcc_lo, v4, s30
	v_add_co_ci_u32_e32 v3, vcc_lo, s31, v5, vcc_lo
	s_delay_alu instid0(VALU_DEP_2)
	v_add_co_u32 v4, vcc_lo, v2, s30
	global_load_u8 v2, v[2:3], off
	v_add_co_ci_u32_e32 v5, vcc_lo, s31, v3, vcc_lo
	v_add_co_u32 v20, vcc_lo, v20, s25
	v_add_co_ci_u32_e32 v21, vcc_lo, 0, v21, vcc_lo
	global_load_u8 v3, v[4:5], off
	v_cmp_ge_u64_e32 vcc_lo, v[20:21], v[18:19]
	s_waitcnt vmcnt(3)
	v_and_b32_e32 v4, v26, v6
	v_bfe_u32 v5, v6, s61, 2
	s_waitcnt vmcnt(2)
	v_bfe_u32 v6, v7, s61, 2
	s_delay_alu instid0(VALU_DEP_3) | instskip(SKIP_2) | instid1(VALU_DEP_4)
	v_cmp_eq_u32_e64 s7, v4, v27
	v_and_b32_e32 v4, v26, v7
	v_cmp_eq_u32_e64 s8, 0, v5
	v_cmp_eq_u32_e64 s13, 0, v6
	;; [unrolled: 1-line block ×5, first 2 shown]
	s_waitcnt vmcnt(1)
	v_and_b32_e32 v4, v26, v2
	v_bfe_u32 v2, v2, s61, 2
	s_and_b32 s16, s7, s8
	v_cmp_eq_u32_e64 s11, 3, v5
	v_cndmask_b32_e64 v5, 0, 1, s16
	v_cmp_eq_u32_e64 s16, v4, v27
	s_waitcnt vmcnt(0)
	v_and_b32_e32 v4, v26, v3
	v_bfe_u32 v3, v3, s61, 2
	v_cmp_eq_u32_e64 s17, 0, v2
	s_and_b32 s21, s12, s13
	v_cmp_eq_u32_e64 s13, 1, v2
	v_cmp_eq_u32_e64 s18, 2, v2
	;; [unrolled: 1-line block ×3, first 2 shown]
	v_cmp_ne_u32_e64 s20, 0, v5
	v_cndmask_b32_e64 v2, 0, 1, s21
	v_cmp_eq_u32_e64 s21, v4, v27
	v_cmp_eq_u32_e64 s22, 0, v3
	s_and_b32 s69, s16, s17
	s_bcnt1_i32_b32 s70, s20
	v_cmp_ne_u32_e64 s20, 0, v2
	v_cndmask_b32_e64 v2, 0, 1, s69
	s_and_b32 s22, s21, s22
	v_cmp_eq_u32_e64 s17, 1, v3
	v_cmp_eq_u32_e64 s23, 2, v3
	;; [unrolled: 1-line block ×3, first 2 shown]
	v_cndmask_b32_e64 v3, 0, 1, s22
	s_bcnt1_i32_b32 s22, s20
	v_cmp_ne_u32_e64 s20, 0, v2
	s_add_i32 s69, s22, s70
	v_cmp_eq_u32_e64 s8, 1, v6
	v_cmp_ne_u32_e64 s22, 0, v3
	v_cmp_eq_u32_e64 s14, 2, v6
	s_bcnt1_i32_b32 s20, s20
	v_cmp_eq_u32_e64 s15, 3, v6
	s_add_i32 s20, s69, s20
	s_bcnt1_i32_b32 s22, s22
	s_delay_alu instid0(SALU_CYCLE_1) | instskip(NEXT) | instid1(SALU_CYCLE_1)
	s_add_i32 s20, s20, s22
	s_add_u32 s84, s84, s20
	s_addc_u32 s85, s85, 0
	s_and_b32 s9, s7, s9
	s_and_b32 s8, s12, s8
	;; [unrolled: 1-line block ×3, first 2 shown]
	v_cndmask_b32_e64 v2, 0, 1, s9
	v_cndmask_b32_e64 v3, 0, 1, s8
	s_and_b32 s17, s21, s17
	v_cndmask_b32_e64 v4, 0, 1, s13
	v_cndmask_b32_e64 v5, 0, 1, s17
	v_cmp_ne_u32_e64 s8, 0, v2
	v_cmp_ne_u32_e64 s9, 0, v3
	s_delay_alu instid0(VALU_DEP_4) | instskip(NEXT) | instid1(VALU_DEP_4)
	v_cmp_ne_u32_e64 s13, 0, v4
	v_cmp_ne_u32_e64 s17, 0, v5
	s_delay_alu instid0(VALU_DEP_4) | instskip(NEXT) | instid1(VALU_DEP_3)
	s_bcnt1_i32_b32 s8, s8
	s_bcnt1_i32_b32 s9, s9
	s_delay_alu instid0(VALU_DEP_2) | instskip(SKIP_3) | instid1(SALU_CYCLE_1)
	s_bcnt1_i32_b32 s13, s13
	s_add_i32 s8, s9, s8
	s_bcnt1_i32_b32 s17, s17
	s_add_i32 s8, s8, s13
	s_add_i32 s8, s8, s17
	s_delay_alu instid0(SALU_CYCLE_1)
	s_add_u32 s82, s82, s8
	s_addc_u32 s83, s83, 0
	s_and_b32 s8, s7, s10
	s_and_b32 s9, s12, s14
	;; [unrolled: 1-line block ×3, first 2 shown]
	v_cndmask_b32_e64 v2, 0, 1, s8
	v_cndmask_b32_e64 v3, 0, 1, s9
	s_and_b32 s13, s21, s23
	v_cndmask_b32_e64 v4, 0, 1, s10
	v_cndmask_b32_e64 v5, 0, 1, s13
	v_cmp_ne_u32_e64 s8, 0, v2
	v_cmp_ne_u32_e64 s9, 0, v3
	s_delay_alu instid0(VALU_DEP_4) | instskip(NEXT) | instid1(VALU_DEP_4)
	v_cmp_ne_u32_e64 s10, 0, v4
	v_cmp_ne_u32_e64 s13, 0, v5
	s_delay_alu instid0(VALU_DEP_4) | instskip(NEXT) | instid1(VALU_DEP_3)
	s_bcnt1_i32_b32 s8, s8
	s_bcnt1_i32_b32 s9, s9
	s_delay_alu instid0(VALU_DEP_2) | instskip(SKIP_3) | instid1(SALU_CYCLE_1)
	s_bcnt1_i32_b32 s10, s10
	s_add_i32 s8, s9, s8
	s_bcnt1_i32_b32 s13, s13
	s_add_i32 s8, s8, s10
	s_add_i32 s8, s8, s13
	s_delay_alu instid0(SALU_CYCLE_1)
	s_add_u32 s80, s80, s8
	s_addc_u32 s81, s81, 0
	s_and_b32 s7, s7, s11
	s_and_b32 s8, s12, s15
	;; [unrolled: 1-line block ×3, first 2 shown]
	v_cndmask_b32_e64 v2, 0, 1, s7
	v_cndmask_b32_e64 v3, 0, 1, s8
	s_and_b32 s10, s21, s24
	v_cndmask_b32_e64 v4, 0, 1, s9
	v_cndmask_b32_e64 v5, 0, 1, s10
	v_cmp_ne_u32_e64 s7, 0, v2
	v_cmp_ne_u32_e64 s8, 0, v3
	v_mov_b32_e32 v2, s84
	v_cmp_ne_u32_e64 s9, 0, v4
	v_cmp_ne_u32_e64 s10, 0, v5
	s_bcnt1_i32_b32 s7, s7
	s_bcnt1_i32_b32 s8, s8
	v_mov_b32_e32 v4, s82
	s_bcnt1_i32_b32 s9, s9
	s_add_i32 s7, s8, s7
	s_bcnt1_i32_b32 s8, s10
	s_add_i32 s7, s7, s9
	v_mov_b32_e32 v6, s80
	s_add_i32 s7, s7, s8
	v_mov_b32_e32 v3, s85
	s_add_u32 s78, s78, s7
	s_addc_u32 s79, s79, 0
	s_delay_alu instid0(SALU_CYCLE_1) | instskip(SKIP_3) | instid1(SALU_CYCLE_1)
	v_dual_mov_b32 v8, s78 :: v_dual_mov_b32 v9, s79
	v_mov_b32_e32 v5, s83
	v_mov_b32_e32 v7, s81
	s_or_b32 s60, vcc_lo, s60
	s_and_not1_b32 exec_lo, exec_lo, s60
	s_cbranch_execnz .LBB126_54
; %bb.55:                               ;   in Loop: Header=BB126_18 Depth=1
	s_or_b32 exec_lo, exec_lo, s60
.LBB126_56:                             ;   in Loop: Header=BB126_18 Depth=1
	s_delay_alu instid0(SALU_CYCLE_1) | instskip(SKIP_3) | instid1(VALU_DEP_2)
	s_or_b32 exec_lo, exec_lo, s26
	v_add_co_u32 v18, vcc_lo, v18, v0
	v_add_co_ci_u32_e32 v19, vcc_lo, 0, v19, vcc_lo
	v_dual_mov_b32 v21, 0 :: v_dual_and_b32 v12, 0xffff, v29
	v_cmp_gt_u64_e32 vcc_lo, s[36:37], v[18:19]
	s_and_saveexec_b32 s7, vcc_lo
	s_cbranch_execz .LBB126_58
; %bb.57:                               ;   in Loop: Header=BB126_18 Depth=1
	v_mad_u64_u32 v[20:21], null, v18, s30, s[28:29]
	v_mul_lo_u32 v29, v18, s31
	v_mul_lo_u32 v30, v19, s30
	s_delay_alu instid0(VALU_DEP_1)
	v_add3_u32 v21, v30, v21, v29
	global_load_u8 v21, v[20:21], off
.LBB126_58:                             ;   in Loop: Header=BB126_18 Depth=1
	s_or_b32 exec_lo, exec_lo, s7
	s_and_saveexec_b32 s10, vcc_lo
	s_cbranch_execz .LBB126_65
; %bb.59:                               ;   in Loop: Header=BB126_18 Depth=1
	s_and_b32 s12, s93, 0xfe
	s_mov_b32 s11, 0
	s_branch .LBB126_61
.LBB126_60:                             ;   in Loop: Header=BB126_61 Depth=2
	s_or_b32 exec_lo, exec_lo, s8
	s_waitcnt vmcnt(0)
	v_and_b32_e32 v21, 0xff, v21
	s_and_b32 s9, exec_lo, vcc_lo
	s_delay_alu instid0(SALU_CYCLE_1) | instskip(NEXT) | instid1(VALU_DEP_1)
	s_or_b32 s11, s9, s11
	v_and_b32_e32 v29, v26, v21
	v_bfe_u32 v21, v21, s12, 2
	s_delay_alu instid0(VALU_DEP_2) | instskip(NEXT) | instid1(VALU_DEP_2)
	v_cmp_eq_u32_e64 s7, v29, v27
	v_cmp_eq_u32_e64 s8, 0, v21
	v_cmp_eq_u32_e32 vcc_lo, 1, v21
	v_cmp_eq_u32_e64 s9, 2, v21
	s_delay_alu instid0(VALU_DEP_3) | instskip(NEXT) | instid1(SALU_CYCLE_1)
	s_and_b32 s8, s7, s8
	v_cndmask_b32_e64 v29, 0, 1, s8
	s_and_b32 s8, s7, vcc_lo
	v_cmp_eq_u32_e32 vcc_lo, 3, v21
	v_cndmask_b32_e64 v30, 0, 1, s8
	s_and_b32 s8, s7, s9
	s_delay_alu instid0(SALU_CYCLE_1) | instskip(SKIP_1) | instid1(VALU_DEP_3)
	v_cndmask_b32_e64 v21, 0, 1, s8
	v_cmp_ne_u32_e64 s8, 0, v29
	v_cmp_ne_u32_e64 s9, 0, v30
	s_and_b32 s7, s7, vcc_lo
	s_delay_alu instid0(SALU_CYCLE_1) | instskip(NEXT) | instid1(VALU_DEP_3)
	v_cndmask_b32_e64 v29, 0, 1, s7
	s_bcnt1_i32_b32 s7, s8
	v_cmp_ne_u32_e32 vcc_lo, 0, v21
	v_add_co_u32 v2, s7, v2, s7
	s_bcnt1_i32_b32 s8, s9
	v_add_co_ci_u32_e64 v3, s7, 0, v3, s7
	v_add_co_u32 v4, s7, v4, s8
	s_delay_alu instid0(VALU_DEP_1) | instskip(SKIP_3) | instid1(VALU_DEP_1)
	v_add_co_ci_u32_e64 v5, s7, 0, v5, s7
	s_bcnt1_i32_b32 s7, vcc_lo
	v_cmp_ne_u32_e32 vcc_lo, 0, v29
	v_add_co_u32 v6, s7, v6, s7
	v_add_co_ci_u32_e64 v7, s7, 0, v7, s7
	s_bcnt1_i32_b32 s7, vcc_lo
	v_mov_b32_e32 v21, v20
	v_add_co_u32 v8, vcc_lo, v8, s7
	v_add_co_ci_u32_e32 v9, vcc_lo, 0, v9, vcc_lo
	s_and_not1_b32 exec_lo, exec_lo, s11
	s_cbranch_execz .LBB126_64
.LBB126_61:                             ;   Parent Loop BB126_18 Depth=1
                                        ; =>  This Inner Loop Header: Depth=2
	v_add_co_u32 v18, vcc_lo, v18, v12
	v_add_co_ci_u32_e32 v19, vcc_lo, 0, v19, vcc_lo
	v_mov_b32_e32 v20, 0
	s_mov_b32 s8, exec_lo
	s_delay_alu instid0(VALU_DEP_2)
	v_cmp_le_u64_e32 vcc_lo, s[36:37], v[18:19]
	v_cmpx_gt_u64_e64 s[36:37], v[18:19]
	s_cbranch_execz .LBB126_60
; %bb.62:                               ;   in Loop: Header=BB126_61 Depth=2
	v_mad_u64_u32 v[29:30], null, v18, s30, s[28:29]
	v_mul_lo_u32 v20, v18, s31
	v_mul_lo_u32 v31, v19, s30
	s_delay_alu instid0(VALU_DEP_1)
	v_add3_u32 v30, v31, v30, v20
	global_load_u8 v20, v[29:30], off
	s_branch .LBB126_60
.LBB126_63:                             ;   in Loop: Header=BB126_18 Depth=1
                                        ; implicit-def: $vgpr8_vgpr9
                                        ; implicit-def: $vgpr4_vgpr5
	s_cbranch_execnz .LBB126_66
	s_branch .LBB126_75
.LBB126_64:                             ;   in Loop: Header=BB126_18 Depth=1
	s_or_b32 exec_lo, exec_lo, s11
.LBB126_65:                             ;   in Loop: Header=BB126_18 Depth=1
	s_delay_alu instid0(SALU_CYCLE_1)
	s_or_b32 exec_lo, exec_lo, s10
	s_branch .LBB126_75
.LBB126_66:                             ;   in Loop: Header=BB126_18 Depth=1
	global_load_u16 v12, v13, s[74:75]
	s_mov_b64 s[78:79], 0
	s_mov_b32 s61, exec_lo
	s_waitcnt vmcnt(0)
	v_readfirstlane_b32 s7, v12
	s_delay_alu instid0(VALU_DEP_1) | instskip(NEXT) | instid1(SALU_CYCLE_1)
	s_and_b32 s7, 0xffff, s7
	s_lshl_b32 s60, s7, 2
	s_delay_alu instid0(SALU_CYCLE_1) | instskip(SKIP_1) | instid1(VALU_DEP_1)
	v_cvt_f32_u32_e32 v2, s60
	s_sub_i32 s8, 0, s60
	v_rcp_iflag_f32_e32 v2, v2
	s_waitcnt_depctr 0xfff
	v_mul_f32_e32 v2, 0x4f7ffffe, v2
	s_delay_alu instid0(VALU_DEP_1) | instskip(NEXT) | instid1(VALU_DEP_1)
	v_cvt_u32_f32_e32 v2, v2
	v_readfirstlane_b32 s7, v2
	v_mov_b32_e32 v2, 0
	v_mov_b32_e32 v3, 0
	s_delay_alu instid0(VALU_DEP_3) | instskip(NEXT) | instid1(VALU_DEP_1)
	s_mul_i32 s8, s8, s7
	v_dual_mov_b32 v5, v3 :: v_dual_mov_b32 v4, v2
	s_mul_hi_u32 s8, s7, s8
	v_dual_mov_b32 v7, v3 :: v_dual_mov_b32 v6, v2
	s_add_i32 s7, s7, s8
	v_dual_mov_b32 v9, v3 :: v_dual_mov_b32 v8, v2
	s_mul_hi_u32 s7, s76, s7
	s_delay_alu instid0(SALU_CYCLE_1) | instskip(NEXT) | instid1(SALU_CYCLE_1)
	s_mul_i32 s7, s7, s60
	s_sub_i32 s7, s76, s7
	s_delay_alu instid0(SALU_CYCLE_1) | instskip(SKIP_2) | instid1(SALU_CYCLE_1)
	s_sub_i32 s8, s7, s60
	s_cmp_ge_u32 s7, s60
	s_cselect_b32 s7, s8, s7
	s_sub_i32 s8, s7, s60
	s_cmp_ge_u32 s7, s60
	s_cselect_b32 s7, s8, s7
	s_delay_alu instid0(SALU_CYCLE_1) | instskip(NEXT) | instid1(SALU_CYCLE_1)
	s_sub_i32 s72, s76, s7
	v_cmpx_gt_u32_e64 s72, v14
	s_cbranch_execz .LBB126_70
; %bb.67:                               ;   in Loop: Header=BB126_18 Depth=1
	v_dual_mov_b32 v20, v14 :: v_dual_mov_b32 v19, v15
	v_mov_b32_e32 v18, v14
	s_and_b32 s70, s93, 0xfe
	s_mov_b32 s69, 0
	s_mov_b64 s[80:81], 0
	s_mov_b64 s[82:83], 0
	;; [unrolled: 1-line block ×3, first 2 shown]
.LBB126_68:                             ;   Parent Loop BB126_18 Depth=1
                                        ; =>  This Inner Loop Header: Depth=2
	ds_load_b32 v2, v20
	v_add_co_u32 v18, vcc_lo, v18, s60
	v_add_co_ci_u32_e32 v19, vcc_lo, 0, v19, vcc_lo
	s_delay_alu instid0(VALU_DEP_1)
	v_cmp_le_u64_e32 vcc_lo, s[72:73], v[18:19]
	s_waitcnt lgkmcnt(0)
	v_and_b32_e32 v3, 0xff, v2
	v_bfe_u32 v4, v2, 8, 8
	v_bfe_u32 v5, v2, 16, 8
	v_lshrrev_b32_e32 v2, 24, v2
	s_delay_alu instid0(VALU_DEP_4) | instskip(NEXT) | instid1(VALU_DEP_4)
	v_and_b32_e32 v6, v26, v3
	v_and_b32_e32 v7, v26, v4
	v_bfe_u32 v3, v3, s70, 2
	v_bfe_u32 v4, v4, s70, 2
	v_and_b32_e32 v8, v26, v5
	v_bfe_u32 v5, v5, s70, 2
	v_and_b32_e32 v9, v26, v2
	v_bfe_u32 v2, v2, s70, 2
	v_cmp_eq_u32_e64 s7, v6, v27
	v_cmp_eq_u32_e64 s8, v7, v27
	;; [unrolled: 1-line block ×8, first 2 shown]
	s_and_b32 s11, s7, s11
	s_and_b32 s12, s8, s12
	v_cmp_eq_u32_e64 s15, 1, v3
	v_cmp_eq_u32_e64 s18, 1, v2
	;; [unrolled: 1-line block ×6, first 2 shown]
	s_and_b32 s13, s9, s13
	v_cndmask_b32_e64 v2, 0, 1, s11
	v_cndmask_b32_e64 v3, 0, 1, s12
	v_cmp_eq_u32_e64 s16, 1, v4
	v_cmp_eq_u32_e64 s20, 2, v4
	;; [unrolled: 1-line block ×3, first 2 shown]
	s_and_b32 s14, s10, s14
	v_cndmask_b32_e64 v4, 0, 1, s13
	v_cmp_eq_u32_e64 s17, 1, v5
	v_cmp_eq_u32_e64 s21, 2, v5
	;; [unrolled: 1-line block ×3, first 2 shown]
	v_cndmask_b32_e64 v5, 0, 1, s14
	v_cmp_ne_u32_e64 s11, 0, v2
	v_cmp_ne_u32_e64 s12, 0, v3
	;; [unrolled: 1-line block ×3, first 2 shown]
	s_delay_alu instid0(VALU_DEP_4) | instskip(NEXT) | instid1(VALU_DEP_4)
	v_cmp_ne_u32_e64 s14, 0, v5
	s_bcnt1_i32_b32 s11, s11
	s_delay_alu instid0(VALU_DEP_3) | instskip(NEXT) | instid1(VALU_DEP_2)
	s_bcnt1_i32_b32 s12, s12
	s_bcnt1_i32_b32 s13, s13
	s_add_i32 s11, s12, s11
	s_bcnt1_i32_b32 s14, s14
	s_add_i32 s11, s11, s13
	s_delay_alu instid0(SALU_CYCLE_1) | instskip(NEXT) | instid1(SALU_CYCLE_1)
	s_add_i32 s11, s11, s14
	s_add_u32 s84, s84, s11
	s_addc_u32 s85, s85, 0
	s_and_b32 s11, s7, s15
	s_and_b32 s12, s8, s16
	;; [unrolled: 1-line block ×3, first 2 shown]
	v_cndmask_b32_e64 v2, 0, 1, s11
	v_cndmask_b32_e64 v3, 0, 1, s12
	s_and_b32 s14, s10, s18
	v_cndmask_b32_e64 v4, 0, 1, s13
	v_cndmask_b32_e64 v5, 0, 1, s14
	v_cmp_ne_u32_e64 s11, 0, v2
	v_cmp_ne_u32_e64 s12, 0, v3
	v_add_nc_u32_e32 v20, s60, v20
	v_cmp_ne_u32_e64 s13, 0, v4
	v_cmp_ne_u32_e64 s14, 0, v5
	s_bcnt1_i32_b32 s11, s11
	s_bcnt1_i32_b32 s12, s12
	s_delay_alu instid0(VALU_DEP_2) | instskip(SKIP_3) | instid1(SALU_CYCLE_1)
	s_bcnt1_i32_b32 s13, s13
	s_add_i32 s11, s12, s11
	s_bcnt1_i32_b32 s14, s14
	s_add_i32 s11, s11, s13
	s_add_i32 s11, s11, s14
	s_delay_alu instid0(SALU_CYCLE_1)
	s_add_u32 s82, s82, s11
	s_addc_u32 s83, s83, 0
	s_and_b32 s11, s7, s19
	s_and_b32 s12, s8, s20
	;; [unrolled: 1-line block ×3, first 2 shown]
	v_cndmask_b32_e64 v2, 0, 1, s11
	v_cndmask_b32_e64 v3, 0, 1, s12
	s_and_b32 s14, s10, s22
	v_cndmask_b32_e64 v4, 0, 1, s13
	v_cndmask_b32_e64 v5, 0, 1, s14
	v_cmp_ne_u32_e64 s11, 0, v2
	v_cmp_ne_u32_e64 s12, 0, v3
	s_delay_alu instid0(VALU_DEP_4) | instskip(NEXT) | instid1(VALU_DEP_4)
	v_cmp_ne_u32_e64 s13, 0, v4
	v_cmp_ne_u32_e64 s14, 0, v5
	s_delay_alu instid0(VALU_DEP_4) | instskip(NEXT) | instid1(VALU_DEP_3)
	s_bcnt1_i32_b32 s11, s11
	s_bcnt1_i32_b32 s12, s12
	s_delay_alu instid0(VALU_DEP_2) | instskip(SKIP_3) | instid1(SALU_CYCLE_1)
	s_bcnt1_i32_b32 s13, s13
	s_add_i32 s11, s12, s11
	s_bcnt1_i32_b32 s14, s14
	s_add_i32 s11, s11, s13
	s_add_i32 s11, s11, s14
	s_delay_alu instid0(SALU_CYCLE_1)
	s_add_u32 s80, s80, s11
	s_addc_u32 s81, s81, 0
	s_and_b32 s7, s7, s23
	s_and_b32 s8, s8, s24
	;; [unrolled: 1-line block ×3, first 2 shown]
	v_cndmask_b32_e64 v2, 0, 1, s7
	v_cndmask_b32_e64 v3, 0, 1, s8
	s_and_b32 s10, s10, s26
	v_cndmask_b32_e64 v4, 0, 1, s9
	v_cndmask_b32_e64 v5, 0, 1, s10
	v_cmp_ne_u32_e64 s7, 0, v2
	v_cmp_ne_u32_e64 s8, 0, v3
	v_dual_mov_b32 v2, s84 :: v_dual_mov_b32 v3, s85
	v_cmp_ne_u32_e64 s9, 0, v4
	v_cmp_ne_u32_e64 s10, 0, v5
	s_bcnt1_i32_b32 s7, s7
	s_bcnt1_i32_b32 s8, s8
	v_mov_b32_e32 v4, s82
	s_bcnt1_i32_b32 s9, s9
	s_add_i32 s7, s8, s7
	s_bcnt1_i32_b32 s8, s10
	s_add_i32 s7, s7, s9
	v_mov_b32_e32 v6, s80
	s_add_i32 s7, s7, s8
	v_mov_b32_e32 v5, s83
	s_add_u32 s78, s78, s7
	s_addc_u32 s79, s79, 0
	v_dual_mov_b32 v7, s81 :: v_dual_mov_b32 v8, s78
	v_mov_b32_e32 v9, s79
	s_or_b32 s69, vcc_lo, s69
	s_delay_alu instid0(SALU_CYCLE_1)
	s_and_not1_b32 exec_lo, exec_lo, s69
	s_cbranch_execnz .LBB126_68
; %bb.69:                               ;   in Loop: Header=BB126_18 Depth=1
	s_or_b32 exec_lo, exec_lo, s69
.LBB126_70:                             ;   in Loop: Header=BB126_18 Depth=1
	s_delay_alu instid0(SALU_CYCLE_1) | instskip(SKIP_3) | instid1(VALU_DEP_1)
	s_or_b32 exec_lo, exec_lo, s61
	v_and_b32_e32 v20, 0xffff, v12
	v_add_nc_u32_e32 v12, s72, v0
	s_mov_b32 s14, exec_lo
	v_cmpx_gt_u32_e64 s76, v12
	s_cbranch_execz .LBB126_74
; %bb.71:                               ;   in Loop: Header=BB126_18 Depth=1
	v_dual_mov_b32 v19, v13 :: v_dual_mov_b32 v18, v12
	s_mov_b32 s13, 0
	s_and_b32 s12, s76, 0x7fffffff
	s_and_b32 s16, s93, 0xfe
	s_mov_b32 s15, s13
.LBB126_72:                             ;   Parent Loop BB126_18 Depth=1
                                        ; =>  This Inner Loop Header: Depth=2
	ds_load_u8 v21, v12
	v_add_co_u32 v18, vcc_lo, v18, v20
	v_add_co_ci_u32_e32 v19, vcc_lo, 0, v19, vcc_lo
	v_add_nc_u32_e32 v12, v12, v20
	s_delay_alu instid0(VALU_DEP_2) | instskip(SKIP_3) | instid1(VALU_DEP_2)
	v_cmp_le_u64_e32 vcc_lo, s[12:13], v[18:19]
	s_waitcnt lgkmcnt(0)
	v_and_b32_e32 v29, v26, v21
	v_bfe_u32 v21, v21, s16, 2
	v_cmp_eq_u32_e64 s7, v29, v27
	s_delay_alu instid0(VALU_DEP_2) | instskip(SKIP_3) | instid1(VALU_DEP_4)
	v_cmp_eq_u32_e64 s8, 0, v21
	v_cmp_eq_u32_e64 s9, 1, v21
	;; [unrolled: 1-line block ×4, first 2 shown]
	s_and_b32 s8, s7, s8
	s_delay_alu instid0(SALU_CYCLE_1) | instskip(SKIP_1) | instid1(SALU_CYCLE_1)
	v_cndmask_b32_e64 v21, 0, 1, s8
	s_and_b32 s8, s7, s9
	v_cndmask_b32_e64 v29, 0, 1, s8
	s_and_b32 s8, s7, s10
	s_and_b32 s7, s7, s11
	v_cndmask_b32_e64 v30, 0, 1, s8
	v_cndmask_b32_e64 v31, 0, 1, s7
	v_cmp_ne_u32_e64 s7, 0, v21
	v_cmp_ne_u32_e64 s8, 0, v29
	s_delay_alu instid0(VALU_DEP_4) | instskip(NEXT) | instid1(VALU_DEP_4)
	v_cmp_ne_u32_e64 s9, 0, v30
	v_cmp_ne_u32_e64 s10, 0, v31
	s_delay_alu instid0(VALU_DEP_4) | instskip(NEXT) | instid1(VALU_DEP_3)
	s_bcnt1_i32_b32 s7, s7
	s_bcnt1_i32_b32 s8, s8
	v_add_co_u32 v2, s7, v2, s7
	s_delay_alu instid0(VALU_DEP_1)
	v_add_co_ci_u32_e64 v3, s7, 0, v3, s7
	v_add_co_u32 v4, s7, v4, s8
	s_bcnt1_i32_b32 s9, s9
	v_add_co_ci_u32_e64 v5, s7, 0, v5, s7
	v_add_co_u32 v6, s7, v6, s9
	s_bcnt1_i32_b32 s10, s10
	v_add_co_ci_u32_e64 v7, s7, 0, v7, s7
	v_add_co_u32 v8, s7, v8, s10
	s_delay_alu instid0(VALU_DEP_1) | instskip(SKIP_1) | instid1(SALU_CYCLE_1)
	v_add_co_ci_u32_e64 v9, s7, 0, v9, s7
	s_or_b32 s15, vcc_lo, s15
	s_and_not1_b32 exec_lo, exec_lo, s15
	s_cbranch_execnz .LBB126_72
; %bb.73:                               ;   in Loop: Header=BB126_18 Depth=1
	s_or_b32 exec_lo, exec_lo, s15
.LBB126_74:                             ;   in Loop: Header=BB126_18 Depth=1
	s_delay_alu instid0(SALU_CYCLE_1)
	s_or_b32 exec_lo, exec_lo, s14
.LBB126_75:                             ;   in Loop: Header=BB126_18 Depth=1
	s_lshl_b32 s7, s97, 7
	s_and_saveexec_b32 s8, s2
	s_cbranch_execz .LBB126_77
; %bb.76:                               ;   in Loop: Header=BB126_18 Depth=1
	v_or_b32_e32 v12, s7, v24
	s_delay_alu instid0(VALU_DEP_1)
	v_lshlrev_b32_e32 v12, 3, v12
	ds_store_b128 v12, v[2:5] offset:3072
	ds_store_b128 v12, v[6:9] offset:3088
.LBB126_77:                             ;   in Loop: Header=BB126_18 Depth=1
	s_or_b32 exec_lo, exec_lo, s8
	s_waitcnt vmcnt(0) lgkmcnt(0)
	s_barrier
	buffer_gl0_inv
	s_and_saveexec_b32 s8, s57
	s_cbranch_execz .LBB126_88
; %bb.78:                               ;   in Loop: Header=BB126_18 Depth=1
	v_mov_b32_e32 v2, 0
	v_mov_b32_e32 v3, 0
	s_and_not1_b32 vcc_lo, exec_lo, s89
	s_cbranch_vccnz .LBB126_87
; %bb.79:                               ;   in Loop: Header=BB126_18 Depth=1
	v_mov_b32_e32 v2, 0
	v_mov_b32_e32 v3, 0
	s_and_not1_b32 vcc_lo, exec_lo, s91
	s_cbranch_vccnz .LBB126_84
; %bb.80:                               ;   in Loop: Header=BB126_18 Depth=1
	v_lshl_add_u32 v4, s97, 10, v25
	s_mov_b32 s9, 0
	s_set_inst_prefetch_distance 0x1
	.p2align	6
.LBB126_81:                             ;   Parent Loop BB126_18 Depth=1
                                        ; =>  This Inner Loop Header: Depth=2
	ds_load_2addr_b64 v[5:8], v4 offset1:4
	ds_load_2addr_b64 v[18:21], v4 offset0:8 offset1:12
	ds_load_2addr_b64 v[29:32], v4 offset0:16 offset1:20
	s_add_i32 s9, s9, 8
	s_delay_alu instid0(SALU_CYCLE_1) | instskip(SKIP_3) | instid1(VALU_DEP_2)
	s_cmp_eq_u32 s92, s9
	s_waitcnt lgkmcnt(2)
	v_add_co_u32 v2, vcc_lo, v5, v2
	v_add_co_ci_u32_e32 v3, vcc_lo, v6, v3, vcc_lo
	v_add_co_u32 v2, vcc_lo, v7, v2
	s_delay_alu instid0(VALU_DEP_2)
	v_add_co_ci_u32_e32 v3, vcc_lo, v8, v3, vcc_lo
	ds_load_2addr_b64 v[5:8], v4 offset0:24 offset1:28
	s_waitcnt lgkmcnt(2)
	v_add_co_u32 v2, vcc_lo, v18, v2
	v_add_co_ci_u32_e32 v3, vcc_lo, v19, v3, vcc_lo
	v_add_nc_u32_e32 v4, 0x100, v4
	s_delay_alu instid0(VALU_DEP_3) | instskip(NEXT) | instid1(VALU_DEP_3)
	v_add_co_u32 v2, vcc_lo, v20, v2
	v_add_co_ci_u32_e32 v3, vcc_lo, v21, v3, vcc_lo
	s_waitcnt lgkmcnt(1)
	s_delay_alu instid0(VALU_DEP_2) | instskip(NEXT) | instid1(VALU_DEP_2)
	v_add_co_u32 v2, vcc_lo, v29, v2
	v_add_co_ci_u32_e32 v3, vcc_lo, v30, v3, vcc_lo
	s_delay_alu instid0(VALU_DEP_2) | instskip(NEXT) | instid1(VALU_DEP_2)
	v_add_co_u32 v2, vcc_lo, v31, v2
	v_add_co_ci_u32_e32 v3, vcc_lo, v32, v3, vcc_lo
	s_waitcnt lgkmcnt(0)
	s_delay_alu instid0(VALU_DEP_2) | instskip(NEXT) | instid1(VALU_DEP_2)
	v_add_co_u32 v2, vcc_lo, v5, v2
	v_add_co_ci_u32_e32 v3, vcc_lo, v6, v3, vcc_lo
	s_delay_alu instid0(VALU_DEP_2) | instskip(NEXT) | instid1(VALU_DEP_2)
	v_add_co_u32 v2, vcc_lo, v7, v2
	v_add_co_ci_u32_e32 v3, vcc_lo, v8, v3, vcc_lo
	s_cbranch_scc0 .LBB126_81
; %bb.82:                               ;   in Loop: Header=BB126_18 Depth=1
	s_set_inst_prefetch_distance 0x2
	s_mov_b32 s9, s92
	s_and_not1_b32 vcc_lo, exec_lo, s95
	s_cbranch_vccz .LBB126_85
	s_branch .LBB126_87
.LBB126_83:                             ;   in Loop: Header=BB126_18 Depth=1
                                        ; implicit-def: $vgpr2_vgpr3
	s_branch .LBB126_51
.LBB126_84:                             ;   in Loop: Header=BB126_18 Depth=1
	s_mov_b32 s9, 0
	s_and_not1_b32 vcc_lo, exec_lo, s95
	s_cbranch_vccnz .LBB126_87
.LBB126_85:                             ;   in Loop: Header=BB126_18 Depth=1
	s_lshl_b32 s10, s97, 10
	s_lshl_b32 s9, s9, 5
	s_delay_alu instid0(SALU_CYCLE_1)
	v_add3_u32 v4, s10, s9, v25
	s_mov_b32 s9, s90
.LBB126_86:                             ;   Parent Loop BB126_18 Depth=1
                                        ; =>  This Inner Loop Header: Depth=2
	ds_load_b64 v[5:6], v4
	v_add_nc_u32_e32 v4, 32, v4
	s_add_i32 s9, s9, -1
	s_delay_alu instid0(SALU_CYCLE_1)
	s_cmp_lg_u32 s9, 0
	s_waitcnt lgkmcnt(0)
	v_add_co_u32 v2, vcc_lo, v5, v2
	v_add_co_ci_u32_e32 v3, vcc_lo, v6, v3, vcc_lo
	s_cbranch_scc1 .LBB126_86
.LBB126_87:                             ;   in Loop: Header=BB126_18 Depth=1
	v_add_lshl_u32 v4, s7, v23, 3
	ds_store_b64 v4, v[2:3] offset:3072
.LBB126_88:                             ;   in Loop: Header=BB126_18 Depth=1
	s_or_b32 exec_lo, exec_lo, s8
	s_lshl_b32 s7, s7, 3
	s_waitcnt lgkmcnt(0)
	v_mov_b32_e32 v6, s7
	s_barrier
	buffer_gl0_inv
	s_and_b32 s22, s93, 0xfe
	v_cmp_eq_u64_e64 s7, 1, v[16:17]
	ds_load_b128 v[2:5], v6 offset:3072
	ds_load_b128 v[6:9], v6 offset:3088
	s_lshl_b32 s20, 3, s22
	s_and_not1_b32 vcc_lo, exec_lo, s35
	s_not_b32 s21, s20
	s_waitcnt lgkmcnt(1)
	v_readfirstlane_b32 s11, v3
	v_readfirstlane_b32 s10, v2
	;; [unrolled: 1-line block ×4, first 2 shown]
	s_waitcnt lgkmcnt(0)
	v_readfirstlane_b32 s15, v7
	v_readfirstlane_b32 s14, v6
	;; [unrolled: 1-line block ×4, first 2 shown]
	s_cbranch_vccnz .LBB126_103
; %bb.89:                               ;   in Loop: Header=BB126_18 Depth=1
	s_cmp_eq_u64 s[10:11], 1
	v_dual_mov_b32 v8, v27 :: v_dual_mov_b32 v9, v26
	v_mov_b32_e32 v18, v28
	s_cselect_b32 s8, -1, 0
                                        ; implicit-def: $sgpr23
                                        ; implicit-def: $sgpr72
                                        ; implicit-def: $sgpr69
	s_delay_alu instid0(SALU_CYCLE_1)
	s_and_b32 s70, s8, s7
	s_mov_b32 s8, -1
	s_and_saveexec_b32 s24, s70
	s_cbranch_execz .LBB126_121
; %bb.90:                               ;   in Loop: Header=BB126_18 Depth=1
	ds_load_b64 v[2:3], v13 offset:5120
	s_waitcnt lgkmcnt(0)
	s_barrier
	buffer_gl0_inv
	v_readfirstlane_b32 s18, v2
	v_readfirstlane_b32 s19, v3
	s_and_saveexec_b32 s8, s6
	s_cbranch_execz .LBB126_92
; %bb.91:                               ;   in Loop: Header=BB126_18 Depth=1
	ds_store_b8 v0, v13 offset:3072
.LBB126_92:                             ;   in Loop: Header=BB126_18 Depth=1
	s_or_b32 exec_lo, exec_lo, s8
	v_and_b32_e32 v8, s21, v27
	v_or_b32_e32 v9, s20, v26
	s_cmp_eq_u64 s[18:19], 0
	s_waitcnt lgkmcnt(0)
	s_barrier
	buffer_gl0_inv
	s_cbranch_scc1 .LBB126_105
; %bb.93:                               ;   in Loop: Header=BB126_18 Depth=1
	s_add_u32 s23, s86, s18
	s_addc_u32 s9, s87, s19
	s_mov_b32 s8, s73
	s_delay_alu instid0(SALU_CYCLE_1)
	s_cmp_lg_u64 s[8:9], 0
	s_cbranch_scc0 .LBB126_147
; %bb.94:                               ;   in Loop: Header=BB126_18 Depth=1
	v_cvt_f32_u32_e32 v2, s33
	s_sub_u32 s26, 0, s33
	s_subb_u32 s48, 0, 0
	s_delay_alu instid0(VALU_DEP_1) | instskip(NEXT) | instid1(VALU_DEP_1)
	v_fmac_f32_e64 v2, 0, 0x4f800000
	v_rcp_f32_e32 v2, v2
	s_waitcnt_depctr 0xfff
	v_mul_f32_e32 v2, 0x5f7ffffc, v2
	s_delay_alu instid0(VALU_DEP_1) | instskip(NEXT) | instid1(VALU_DEP_1)
	v_mul_f32_e32 v3, 0x2f800000, v2
	v_trunc_f32_e32 v3, v3
	s_delay_alu instid0(VALU_DEP_1) | instskip(SKIP_1) | instid1(VALU_DEP_2)
	v_fmac_f32_e32 v2, 0xcf800000, v3
	v_cvt_u32_f32_e32 v3, v3
	v_cvt_u32_f32_e32 v2, v2
	s_delay_alu instid0(VALU_DEP_2) | instskip(NEXT) | instid1(VALU_DEP_2)
	v_readfirstlane_b32 s8, v3
	v_readfirstlane_b32 s25, v2
	s_delay_alu instid0(VALU_DEP_2) | instskip(NEXT) | instid1(VALU_DEP_1)
	s_mul_i32 s49, s26, s8
	s_mul_hi_u32 s51, s26, s25
	s_mul_i32 s50, s48, s25
	s_add_i32 s49, s51, s49
	s_mul_i32 s52, s26, s25
	s_add_i32 s49, s49, s50
	s_mul_hi_u32 s51, s25, s52
	s_mul_hi_u32 s53, s8, s52
	s_mul_i32 s50, s8, s52
	s_mul_hi_u32 s52, s25, s49
	s_mul_i32 s25, s25, s49
	s_mul_hi_u32 s54, s8, s49
	s_add_u32 s25, s51, s25
	s_addc_u32 s51, 0, s52
	s_add_u32 s25, s25, s50
	s_mul_i32 s49, s8, s49
	s_addc_u32 s25, s51, s53
	s_addc_u32 s50, s54, 0
	s_add_u32 s25, s25, s49
	s_addc_u32 s49, 0, s50
	v_add_co_u32 v2, s25, v2, s25
	s_delay_alu instid0(VALU_DEP_1) | instskip(SKIP_1) | instid1(VALU_DEP_1)
	s_cmp_lg_u32 s25, 0
	s_addc_u32 s8, s8, s49
	v_readfirstlane_b32 s25, v2
	s_mul_i32 s49, s26, s8
	s_delay_alu instid0(VALU_DEP_1)
	s_mul_hi_u32 s50, s26, s25
	s_mul_i32 s48, s48, s25
	s_add_i32 s49, s50, s49
	s_mul_i32 s26, s26, s25
	s_add_i32 s49, s49, s48
	s_mul_hi_u32 s50, s8, s26
	s_mul_i32 s51, s8, s26
	s_mul_hi_u32 s26, s25, s26
	s_mul_hi_u32 s52, s25, s49
	s_mul_i32 s25, s25, s49
	s_mul_hi_u32 s48, s8, s49
	s_add_u32 s25, s26, s25
	s_addc_u32 s26, 0, s52
	s_add_u32 s25, s25, s51
	s_mul_i32 s49, s8, s49
	s_addc_u32 s25, s26, s50
	s_addc_u32 s26, s48, 0
	s_add_u32 s25, s25, s49
	s_addc_u32 s26, 0, s26
	v_add_co_u32 v2, s25, v2, s25
	s_delay_alu instid0(VALU_DEP_1) | instskip(SKIP_1) | instid1(VALU_DEP_1)
	s_cmp_lg_u32 s25, 0
	s_addc_u32 s8, s8, s26
	v_readfirstlane_b32 s25, v2
	s_mul_i32 s48, s23, s8
	s_mul_hi_u32 s26, s23, s8
	s_mul_hi_u32 s49, s9, s8
	s_mul_i32 s8, s9, s8
	s_mul_hi_u32 s50, s23, s25
	s_mul_hi_u32 s51, s9, s25
	s_mul_i32 s25, s9, s25
	s_add_u32 s48, s50, s48
	s_addc_u32 s26, 0, s26
	s_add_u32 s25, s48, s25
	s_addc_u32 s25, s26, s51
	s_addc_u32 s26, s49, 0
	s_add_u32 s8, s25, s8
	s_addc_u32 s25, 0, s26
	s_mul_hi_u32 s26, s33, s8
	s_mul_i32 s8, s33, s8
	s_mul_i32 s25, s33, s25
	v_sub_co_u32 v2, s8, s23, s8
	s_add_i32 s26, s26, s25
	s_cmp_lg_u32 s8, 0
	s_delay_alu instid0(VALU_DEP_1) | instskip(SKIP_2) | instid1(VALU_DEP_1)
	v_sub_co_u32 v3, s8, v2, s33
	s_subb_u32 s25, s9, s26
	s_cmp_lg_u32 s8, 0
	v_cmp_le_u32_e32 vcc_lo, s33, v3
	v_sub_co_u32 v4, s8, v3, s33
	s_subb_u32 s26, s25, 0
	s_cmp_lg_u32 s8, 0
	v_cndmask_b32_e64 v5, 0, -1, vcc_lo
	s_subb_u32 s8, s26, 0
	s_cmp_eq_u32 s26, 0
	v_mov_b32_e32 v7, s8
	s_cselect_b32 vcc_lo, -1, 0
	s_cmp_eq_u32 s25, 0
	v_cndmask_b32_e32 v5, -1, v5, vcc_lo
	v_cmp_le_u32_e32 vcc_lo, s33, v2
	s_cselect_b32 s8, -1, 0
	v_cndmask_b32_e64 v6, 0, -1, vcc_lo
	s_delay_alu instid0(VALU_DEP_3) | instskip(NEXT) | instid1(VALU_DEP_2)
	v_cmp_ne_u32_e32 vcc_lo, 0, v5
	v_cndmask_b32_e64 v5, -1, v6, s8
	v_cndmask_b32_e32 v6, s26, v7, vcc_lo
	v_cndmask_b32_e32 v4, v3, v4, vcc_lo
	s_delay_alu instid0(VALU_DEP_3) | instskip(NEXT) | instid1(VALU_DEP_3)
	v_cmp_ne_u32_e32 vcc_lo, 0, v5
	v_cndmask_b32_e32 v3, s25, v6, vcc_lo
	s_delay_alu instid0(VALU_DEP_3)
	v_cndmask_b32_e32 v2, v2, v4, vcc_lo
	s_cbranch_execnz .LBB126_96
.LBB126_95:                             ;   in Loop: Header=BB126_18 Depth=1
	v_cvt_f32_u32_e32 v2, s33
	s_sub_i32 s8, 0, s33
	s_delay_alu instid0(VALU_DEP_1) | instskip(SKIP_2) | instid1(VALU_DEP_1)
	v_rcp_iflag_f32_e32 v2, v2
	s_waitcnt_depctr 0xfff
	v_mul_f32_e32 v2, 0x4f7ffffe, v2
	v_cvt_u32_f32_e32 v2, v2
	s_delay_alu instid0(VALU_DEP_1) | instskip(NEXT) | instid1(VALU_DEP_1)
	v_mul_lo_u32 v3, s8, v2
	v_mul_hi_u32 v3, v2, v3
	s_delay_alu instid0(VALU_DEP_1) | instskip(NEXT) | instid1(VALU_DEP_1)
	v_add_nc_u32_e32 v2, v2, v3
	v_mul_hi_u32 v2, s23, v2
	s_delay_alu instid0(VALU_DEP_1) | instskip(NEXT) | instid1(VALU_DEP_1)
	v_mul_lo_u32 v2, v2, s33
	v_sub_nc_u32_e32 v2, s23, v2
	s_delay_alu instid0(VALU_DEP_1) | instskip(SKIP_1) | instid1(VALU_DEP_2)
	v_subrev_nc_u32_e32 v3, s33, v2
	v_cmp_le_u32_e32 vcc_lo, s33, v2
	v_cndmask_b32_e32 v2, v2, v3, vcc_lo
	s_delay_alu instid0(VALU_DEP_1) | instskip(SKIP_1) | instid1(VALU_DEP_2)
	v_subrev_nc_u32_e32 v3, s33, v2
	v_cmp_le_u32_e32 vcc_lo, s33, v2
	v_cndmask_b32_e32 v12, v2, v3, vcc_lo
	s_delay_alu instid0(VALU_DEP_1)
	v_dual_mov_b32 v2, v12 :: v_dual_mov_b32 v3, v13
.LBB126_96:                             ;   in Loop: Header=BB126_18 Depth=1
	s_delay_alu instid0(VALU_DEP_1) | instskip(NEXT) | instid1(VALU_DEP_2)
	v_sub_co_u32 v2, vcc_lo, s23, v2
	v_sub_co_ci_u32_e32 v3, vcc_lo, s9, v3, vcc_lo
	s_mov_b32 s8, 0
	s_mov_b32 s9, exec_lo
                                        ; implicit-def: $vgpr18
	s_delay_alu instid0(VALU_DEP_1)
	v_cmpx_gt_u64_e64 v[2:3], v[0:1]
	s_cbranch_execz .LBB126_107
; %bb.97:                               ;   in Loop: Header=BB126_18 Depth=1
	v_dual_mov_b32 v6, v0 :: v_dual_mov_b32 v5, v1
	v_mov_b32_e32 v4, v0
	s_mov_b32 s23, 0
                                        ; implicit-def: $sgpr25
	s_set_inst_prefetch_distance 0x1
	s_branch .LBB126_99
	.p2align	6
.LBB126_98:                             ;   in Loop: Header=BB126_99 Depth=2
	s_or_b32 exec_lo, exec_lo, s8
	s_waitcnt lgkmcnt(0)
	s_barrier
	buffer_gl0_inv
	ds_load_u16 v7, v13 offset:3072
	v_add_co_u32 v4, vcc_lo, v4, s33
	v_add_co_ci_u32_e32 v5, vcc_lo, 0, v5, vcc_lo
	v_add_nc_u32_e32 v6, s33, v6
	s_waitcnt lgkmcnt(0)
	s_barrier
	s_delay_alu instid0(VALU_DEP_2) | instskip(SKIP_2) | instid1(VALU_DEP_1)
	v_cmp_ge_u64_e32 vcc_lo, v[4:5], v[2:3]
	buffer_gl0_inv
	v_and_b32_e32 v12, 0xff, v7
	v_cmp_ne_u16_e64 s8, 0, v12
	s_delay_alu instid0(VALU_DEP_1) | instskip(NEXT) | instid1(SALU_CYCLE_1)
	s_or_b32 s26, vcc_lo, s8
	s_and_b32 s26, exec_lo, s26
	s_delay_alu instid0(SALU_CYCLE_1) | instskip(SKIP_2) | instid1(SALU_CYCLE_1)
	s_or_b32 s23, s26, s23
	s_and_not1_b32 s25, s25, exec_lo
	s_and_b32 s8, s8, exec_lo
	s_or_b32 s25, s25, s8
	s_and_not1_b32 exec_lo, exec_lo, s23
	s_cbranch_execz .LBB126_106
.LBB126_99:                             ;   Parent Loop BB126_18 Depth=1
                                        ; =>  This Inner Loop Header: Depth=2
	s_delay_alu instid0(VALU_DEP_1)
	v_cmp_gt_u64_e32 vcc_lo, s[18:19], v[4:5]
	v_mov_b32_e32 v7, 0
	s_and_saveexec_b32 s8, vcc_lo
	s_cbranch_execz .LBB126_101
; %bb.100:                              ;   in Loop: Header=BB126_99 Depth=2
	ds_load_u8 v7, v6
.LBB126_101:                            ;   in Loop: Header=BB126_99 Depth=2
	s_or_b32 exec_lo, exec_lo, s8
	s_waitcnt lgkmcnt(0)
	v_and_b32_e32 v12, v7, v9
	s_delay_alu instid0(VALU_DEP_1) | instskip(NEXT) | instid1(VALU_DEP_1)
	v_and_b32_e32 v12, 0xff, v12
	v_cmp_eq_u32_e64 s8, v12, v8
	s_delay_alu instid0(VALU_DEP_1) | instskip(NEXT) | instid1(SALU_CYCLE_1)
	s_and_b32 s26, vcc_lo, s8
	s_and_saveexec_b32 s8, s26
	s_cbranch_execz .LBB126_98
; %bb.102:                              ;   in Loop: Header=BB126_99 Depth=2
	v_lshlrev_b16 v7, 8, v7
	s_delay_alu instid0(VALU_DEP_1)
	v_or_b32_e32 v7, 1, v7
	ds_store_b16 v13, v7 offset:3072
	s_branch .LBB126_98
.LBB126_103:                            ;   in Loop: Header=BB126_18 Depth=1
	s_mov_b32 s25, 0
	s_mov_b32 s24, 0
                                        ; implicit-def: $sgpr69
                                        ; implicit-def: $sgpr72
                                        ; implicit-def: $sgpr23
                                        ; implicit-def: $vgpr6
                                        ; implicit-def: $vgpr2_vgpr3
                                        ; implicit-def: $vgpr8
                                        ; implicit-def: $vgpr9
                                        ; implicit-def: $vgpr18
	s_cbranch_execnz .LBB126_279
.LBB126_104:                            ;   in Loop: Header=BB126_18 Depth=1
	s_mov_b32 s18, s23
	s_mov_b32 s19, s23
	s_and_saveexec_b32 s7, s25
	s_cbranch_execnz .LBB126_467
	s_branch .LBB126_468
.LBB126_105:                            ;   in Loop: Header=BB126_18 Depth=1
	s_mov_b32 s23, -1
	s_mov_b32 s8, 0
                                        ; implicit-def: $sgpr69
                                        ; implicit-def: $vgpr18
	s_mov_b32 s72, s23
	s_cbranch_execnz .LBB126_108
	s_branch .LBB126_120
.LBB126_106:                            ;   in Loop: Header=BB126_18 Depth=1
	s_set_inst_prefetch_distance 0x2
	s_or_b32 exec_lo, exec_lo, s23
	v_lshrrev_b16 v18, 8, v7
	s_and_b32 s8, s25, exec_lo
.LBB126_107:                            ;   in Loop: Header=BB126_18 Depth=1
	s_or_b32 exec_lo, exec_lo, s9
	s_mov_b32 s69, -1
	s_mov_b32 s23, 0
	s_delay_alu instid0(SALU_CYCLE_1)
	s_mov_b32 s72, s23
	s_branch .LBB126_120
.LBB126_108:                            ;   in Loop: Header=BB126_18 Depth=1
	s_mov_b32 s26, s73
	s_delay_alu instid0(SALU_CYCLE_1)
	s_cmp_lg_u64 s[26:27], 0
	s_cbranch_scc0 .LBB126_148
; %bb.109:                              ;   in Loop: Header=BB126_18 Depth=1
	v_cvt_f32_u32_e32 v2, s33
	s_sub_u32 s18, 0, s33
	s_subb_u32 s19, 0, 0
	s_delay_alu instid0(VALU_DEP_1) | instskip(NEXT) | instid1(VALU_DEP_1)
	v_fmac_f32_e64 v2, 0, 0x4f800000
	v_rcp_f32_e32 v2, v2
	s_waitcnt_depctr 0xfff
	v_mul_f32_e32 v2, 0x5f7ffffc, v2
	s_delay_alu instid0(VALU_DEP_1) | instskip(NEXT) | instid1(VALU_DEP_1)
	v_mul_f32_e32 v3, 0x2f800000, v2
	v_trunc_f32_e32 v3, v3
	s_delay_alu instid0(VALU_DEP_1) | instskip(SKIP_1) | instid1(VALU_DEP_2)
	v_fmac_f32_e32 v2, 0xcf800000, v3
	v_cvt_u32_f32_e32 v3, v3
	v_cvt_u32_f32_e32 v2, v2
	s_delay_alu instid0(VALU_DEP_2) | instskip(NEXT) | instid1(VALU_DEP_2)
	v_readfirstlane_b32 s8, v3
	v_readfirstlane_b32 s9, v2
	s_delay_alu instid0(VALU_DEP_2) | instskip(NEXT) | instid1(VALU_DEP_1)
	s_mul_i32 s23, s18, s8
	s_mul_hi_u32 s26, s18, s9
	s_mul_i32 s25, s19, s9
	s_add_i32 s23, s26, s23
	s_mul_i32 s48, s18, s9
	s_add_i32 s23, s23, s25
	s_mul_hi_u32 s26, s9, s48
	s_mul_hi_u32 s49, s8, s48
	s_mul_i32 s25, s8, s48
	s_mul_hi_u32 s48, s9, s23
	s_mul_i32 s9, s9, s23
	s_mul_hi_u32 s50, s8, s23
	s_add_u32 s9, s26, s9
	s_addc_u32 s26, 0, s48
	s_add_u32 s9, s9, s25
	s_mul_i32 s23, s8, s23
	s_addc_u32 s9, s26, s49
	s_addc_u32 s25, s50, 0
	s_add_u32 s9, s9, s23
	s_addc_u32 s23, 0, s25
	v_add_co_u32 v2, s9, v2, s9
	s_delay_alu instid0(VALU_DEP_1) | instskip(SKIP_1) | instid1(VALU_DEP_1)
	s_cmp_lg_u32 s9, 0
	s_addc_u32 s8, s8, s23
	v_readfirstlane_b32 s9, v2
	s_mul_i32 s23, s18, s8
	s_delay_alu instid0(VALU_DEP_1)
	s_mul_hi_u32 s25, s18, s9
	s_mul_i32 s19, s19, s9
	s_add_i32 s23, s25, s23
	s_mul_i32 s18, s18, s9
	s_add_i32 s23, s23, s19
	s_mul_hi_u32 s25, s8, s18
	s_mul_i32 s26, s8, s18
	s_mul_hi_u32 s18, s9, s18
	s_mul_hi_u32 s48, s9, s23
	s_mul_i32 s9, s9, s23
	s_mul_hi_u32 s19, s8, s23
	s_add_u32 s9, s18, s9
	s_addc_u32 s18, 0, s48
	s_add_u32 s9, s9, s26
	s_mul_i32 s23, s8, s23
	s_addc_u32 s9, s18, s25
	s_addc_u32 s18, s19, 0
	s_add_u32 s9, s9, s23
	s_addc_u32 s18, 0, s18
	v_add_co_u32 v2, s9, v2, s9
	s_delay_alu instid0(VALU_DEP_1) | instskip(SKIP_1) | instid1(VALU_DEP_1)
	s_cmp_lg_u32 s9, 0
	s_addc_u32 s8, s8, s18
	v_readfirstlane_b32 s9, v2
	s_mul_i32 s19, s88, s8
	s_mul_hi_u32 s18, s88, s8
	s_mul_hi_u32 s23, s27, s8
	s_mul_i32 s8, s27, s8
	s_mul_hi_u32 s25, s88, s9
	s_mul_hi_u32 s26, s27, s9
	s_mul_i32 s9, s27, s9
	s_add_u32 s19, s25, s19
	s_addc_u32 s18, 0, s18
	s_add_u32 s9, s19, s9
	s_addc_u32 s9, s18, s26
	s_addc_u32 s18, s23, 0
	s_add_u32 s8, s9, s8
	s_addc_u32 s9, 0, s18
	s_mul_hi_u32 s18, s33, s8
	s_mul_i32 s8, s33, s8
	s_mul_i32 s9, s33, s9
	v_sub_co_u32 v2, s8, s88, s8
	s_add_i32 s18, s18, s9
	s_cmp_lg_u32 s8, 0
	s_delay_alu instid0(VALU_DEP_1) | instskip(SKIP_2) | instid1(VALU_DEP_1)
	v_sub_co_u32 v3, s8, v2, s33
	s_subb_u32 s9, s27, s18
	s_cmp_lg_u32 s8, 0
	v_cmp_le_u32_e32 vcc_lo, s33, v3
	v_sub_co_u32 v4, s8, v3, s33
	s_subb_u32 s18, s9, 0
	s_cmp_lg_u32 s8, 0
	v_cndmask_b32_e64 v5, 0, -1, vcc_lo
	s_subb_u32 s8, s18, 0
	s_cmp_eq_u32 s18, 0
	v_mov_b32_e32 v7, s8
	s_cselect_b32 vcc_lo, -1, 0
	s_cmp_eq_u32 s9, 0
	v_cndmask_b32_e32 v5, -1, v5, vcc_lo
	v_cmp_le_u32_e32 vcc_lo, s33, v2
	s_cselect_b32 s8, -1, 0
	v_cndmask_b32_e64 v6, 0, -1, vcc_lo
	s_delay_alu instid0(VALU_DEP_3) | instskip(NEXT) | instid1(VALU_DEP_2)
	v_cmp_ne_u32_e32 vcc_lo, 0, v5
	v_cndmask_b32_e64 v5, -1, v6, s8
	v_cndmask_b32_e32 v6, s18, v7, vcc_lo
	v_cndmask_b32_e32 v4, v3, v4, vcc_lo
	s_delay_alu instid0(VALU_DEP_3) | instskip(NEXT) | instid1(VALU_DEP_3)
	v_cmp_ne_u32_e32 vcc_lo, 0, v5
	v_cndmask_b32_e32 v3, s9, v6, vcc_lo
	s_delay_alu instid0(VALU_DEP_3)
	v_cndmask_b32_e32 v2, v2, v4, vcc_lo
	s_cbranch_execnz .LBB126_111
.LBB126_110:                            ;   in Loop: Header=BB126_18 Depth=1
	v_cvt_f32_u32_e32 v2, s33
	s_sub_i32 s8, 0, s33
	s_delay_alu instid0(VALU_DEP_1) | instskip(SKIP_2) | instid1(VALU_DEP_1)
	v_rcp_iflag_f32_e32 v2, v2
	s_waitcnt_depctr 0xfff
	v_mul_f32_e32 v2, 0x4f7ffffe, v2
	v_cvt_u32_f32_e32 v2, v2
	s_delay_alu instid0(VALU_DEP_1) | instskip(NEXT) | instid1(VALU_DEP_1)
	v_mul_lo_u32 v3, s8, v2
	v_mul_hi_u32 v3, v2, v3
	s_delay_alu instid0(VALU_DEP_1) | instskip(NEXT) | instid1(VALU_DEP_1)
	v_add_nc_u32_e32 v2, v2, v3
	v_mul_hi_u32 v2, s88, v2
	s_delay_alu instid0(VALU_DEP_1) | instskip(NEXT) | instid1(VALU_DEP_1)
	v_mul_lo_u32 v2, v2, s33
	v_sub_nc_u32_e32 v2, s88, v2
	s_delay_alu instid0(VALU_DEP_1) | instskip(SKIP_1) | instid1(VALU_DEP_2)
	v_subrev_nc_u32_e32 v3, s33, v2
	v_cmp_le_u32_e32 vcc_lo, s33, v2
	v_cndmask_b32_e32 v2, v2, v3, vcc_lo
	s_delay_alu instid0(VALU_DEP_1) | instskip(SKIP_1) | instid1(VALU_DEP_2)
	v_subrev_nc_u32_e32 v3, s33, v2
	v_cmp_le_u32_e32 vcc_lo, s33, v2
	v_cndmask_b32_e32 v12, v2, v3, vcc_lo
	s_delay_alu instid0(VALU_DEP_1)
	v_dual_mov_b32 v2, v12 :: v_dual_mov_b32 v3, v13
.LBB126_111:                            ;   in Loop: Header=BB126_18 Depth=1
	s_delay_alu instid0(VALU_DEP_1) | instskip(NEXT) | instid1(VALU_DEP_2)
	v_sub_co_u32 v2, vcc_lo, s88, v2
	v_sub_co_ci_u32_e32 v3, vcc_lo, s27, v3, vcc_lo
	s_mov_b32 s8, 0
	s_mov_b32 s9, exec_lo
                                        ; implicit-def: $vgpr18
	s_delay_alu instid0(VALU_DEP_1)
	v_cmpx_gt_u64_e64 v[2:3], v[0:1]
	s_cbranch_execz .LBB126_119
; %bb.112:                              ;   in Loop: Header=BB126_18 Depth=1
	v_dual_mov_b32 v5, v1 :: v_dual_mov_b32 v4, v0
	s_mov_b32 s18, 0
                                        ; implicit-def: $sgpr19
	s_branch .LBB126_114
.LBB126_113:                            ;   in Loop: Header=BB126_114 Depth=2
	s_or_b32 exec_lo, exec_lo, s8
	s_waitcnt lgkmcnt(0)
	s_barrier
	buffer_gl0_inv
	ds_load_u16 v6, v13 offset:3072
	v_add_co_u32 v4, vcc_lo, v4, s33
	v_add_co_ci_u32_e32 v5, vcc_lo, 0, v5, vcc_lo
	s_waitcnt lgkmcnt(0)
	s_barrier
	buffer_gl0_inv
	v_cmp_ge_u64_e32 vcc_lo, v[4:5], v[2:3]
	v_and_b32_e32 v7, 0xff, v6
	s_delay_alu instid0(VALU_DEP_1) | instskip(NEXT) | instid1(VALU_DEP_1)
	v_cmp_ne_u16_e64 s8, 0, v7
	s_or_b32 s23, vcc_lo, s8
	s_delay_alu instid0(SALU_CYCLE_1) | instskip(NEXT) | instid1(SALU_CYCLE_1)
	s_and_b32 s23, exec_lo, s23
	s_or_b32 s18, s23, s18
	s_and_not1_b32 s19, s19, exec_lo
	s_and_b32 s8, s8, exec_lo
	s_delay_alu instid0(SALU_CYCLE_1)
	s_or_b32 s19, s19, s8
	s_and_not1_b32 exec_lo, exec_lo, s18
	s_cbranch_execz .LBB126_118
.LBB126_114:                            ;   Parent Loop BB126_18 Depth=1
                                        ; =>  This Inner Loop Header: Depth=2
	s_delay_alu instid0(VALU_DEP_1)
	v_cmp_gt_u64_e32 vcc_lo, s[36:37], v[4:5]
	v_mov_b32_e32 v6, 0
	s_and_saveexec_b32 s8, vcc_lo
	s_cbranch_execz .LBB126_116
; %bb.115:                              ;   in Loop: Header=BB126_114 Depth=2
	v_mad_u64_u32 v[6:7], null, v4, s30, s[28:29]
	v_mul_lo_u32 v12, v4, s31
	v_mul_lo_u32 v18, v5, s30
	s_delay_alu instid0(VALU_DEP_1)
	v_add3_u32 v7, v18, v7, v12
	global_load_u8 v6, v[6:7], off
.LBB126_116:                            ;   in Loop: Header=BB126_114 Depth=2
	s_or_b32 exec_lo, exec_lo, s8
	s_waitcnt vmcnt(0)
	v_and_b32_e32 v7, v6, v9
	s_delay_alu instid0(VALU_DEP_1) | instskip(NEXT) | instid1(VALU_DEP_1)
	v_and_b32_e32 v7, 0xff, v7
	v_cmp_eq_u32_e64 s8, v7, v8
	s_delay_alu instid0(VALU_DEP_1) | instskip(NEXT) | instid1(SALU_CYCLE_1)
	s_and_b32 s23, vcc_lo, s8
	s_and_saveexec_b32 s8, s23
	s_cbranch_execz .LBB126_113
; %bb.117:                              ;   in Loop: Header=BB126_114 Depth=2
	v_lshlrev_b16 v6, 8, v6
	s_delay_alu instid0(VALU_DEP_1)
	v_or_b32_e32 v6, 1, v6
	ds_store_b16 v13, v6 offset:3072
	s_branch .LBB126_113
.LBB126_118:                            ;   in Loop: Header=BB126_18 Depth=1
	s_or_b32 exec_lo, exec_lo, s18
	v_lshrrev_b16 v18, 8, v6
	s_and_b32 s8, s19, exec_lo
.LBB126_119:                            ;   in Loop: Header=BB126_18 Depth=1
	s_or_b32 exec_lo, exec_lo, s9
	s_mov_b32 s72, -1
	s_mov_b32 s23, 0
	s_mov_b32 s69, 0
.LBB126_120:                            ;   in Loop: Header=BB126_18 Depth=1
	s_or_not1_b32 s8, s8, exec_lo
.LBB126_121:                            ;   in Loop: Header=BB126_18 Depth=1
	s_or_b32 exec_lo, exec_lo, s24
	s_mov_b32 s76, 0
	s_mov_b32 s25, 0
	;; [unrolled: 1-line block ×3, first 2 shown]
                                        ; implicit-def: $vgpr6
                                        ; implicit-def: $vgpr2_vgpr3
	s_and_saveexec_b32 s77, s8
	s_cbranch_execz .LBB126_278
; %bb.122:                              ;   in Loop: Header=BB126_18 Depth=1
	v_mov_b32_e32 v2, 1
	v_dual_mov_b32 v3, 0 :: v_dual_mov_b32 v6, 1
	s_xor_b32 s9, s70, -1
	s_delay_alu instid0(SALU_CYCLE_1)
	s_and_saveexec_b32 s8, s9
	s_cbranch_execz .LBB126_132
; %bb.123:                              ;   in Loop: Header=BB126_18 Depth=1
	s_mov_b32 s18, exec_lo
                                        ; implicit-def: $sgpr19
                                        ; implicit-def: $sgpr9
	v_cmpx_ge_u64_e64 s[10:11], v[16:17]
	s_xor_b32 s18, exec_lo, s18
	s_cbranch_execz .LBB126_129
; %bb.124:                              ;   in Loop: Header=BB126_18 Depth=1
	ds_load_b64 v[2:3], v13 offset:5120
	s_waitcnt lgkmcnt(0)
	v_cmp_ne_u64_e32 vcc_lo, 0, v[2:3]
	s_cbranch_vccnz .LBB126_128
; %bb.125:                              ;   in Loop: Header=BB126_18 Depth=1
	s_and_saveexec_b32 s9, s5
	s_cbranch_execz .LBB126_127
; %bb.126:                              ;   in Loop: Header=BB126_18 Depth=1
	v_dual_mov_b32 v2, s10 :: v_dual_mov_b32 v3, s11
	ds_store_b64 v13, v[2:3] offset:5128
.LBB126_127:                            ;   in Loop: Header=BB126_18 Depth=1
	s_or_b32 exec_lo, exec_lo, s9
	s_waitcnt lgkmcnt(0)
	s_barrier
	buffer_gl0_inv
.LBB126_128:                            ;   in Loop: Header=BB126_18 Depth=1
	v_and_b32_e32 v8, s21, v8
	v_or_b32_e32 v9, s20, v9
	s_mov_b32 s9, 0
	s_mov_b32 s19, 8
.LBB126_129:                            ;   in Loop: Header=BB126_18 Depth=1
	s_or_saveexec_b32 s18, s18
	v_mov_b32_e32 v2, v16
	v_dual_mov_b32 v6, s19 :: v_dual_mov_b32 v3, v17
	s_xor_b32 exec_lo, exec_lo, s18
; %bb.130:                              ;   in Loop: Header=BB126_18 Depth=1
	v_sub_co_u32 v2, vcc_lo, v16, s10
	v_subrev_co_ci_u32_e32 v3, vcc_lo, s11, v17, vcc_lo
	v_mov_b32_e32 v6, 0
	s_or_b32 s9, s9, exec_lo
; %bb.131:                              ;   in Loop: Header=BB126_18 Depth=1
	s_or_b32 exec_lo, exec_lo, s18
	s_delay_alu instid0(SALU_CYCLE_1)
	s_and_b32 s24, s9, exec_lo
.LBB126_132:                            ;   in Loop: Header=BB126_18 Depth=1
	s_or_b32 exec_lo, exec_lo, s8
	s_mov_b32 s25, -1
                                        ; implicit-def: $sgpr9
                                        ; implicit-def: $sgpr18
                                        ; implicit-def: $sgpr19
	s_and_saveexec_b32 s8, s24
	s_delay_alu instid0(SALU_CYCLE_1)
	s_xor_b32 s24, exec_lo, s8
	s_cbranch_execz .LBB126_275
; %bb.133:                              ;   in Loop: Header=BB126_18 Depth=1
	v_cmp_eq_u64_e32 vcc_lo, 1, v[2:3]
	s_cmp_eq_u64 s[12:13], 1
                                        ; implicit-def: $sgpr25
                                        ; implicit-def: $sgpr79
                                        ; implicit-def: $sgpr78
	s_cselect_b32 s8, -1, 0
	s_delay_alu instid0(SALU_CYCLE_1)
	s_and_b32 s70, s8, vcc_lo
	s_mov_b32 s8, -1
	s_and_saveexec_b32 s60, s70
	s_cbranch_execz .LBB126_165
; %bb.134:                              ;   in Loop: Header=BB126_18 Depth=1
	ds_load_b64 v[4:5], v13 offset:5120
	s_waitcnt lgkmcnt(0)
	s_barrier
	buffer_gl0_inv
	v_readfirstlane_b32 s18, v4
	v_readfirstlane_b32 s19, v5
	s_and_saveexec_b32 s8, s6
	s_cbranch_execz .LBB126_136
; %bb.135:                              ;   in Loop: Header=BB126_18 Depth=1
	ds_store_b8 v0, v13 offset:3072
.LBB126_136:                            ;   in Loop: Header=BB126_18 Depth=1
	s_or_b32 exec_lo, exec_lo, s8
	s_lshl_b32 s8, 1, s22
	v_or_b32_e32 v9, s20, v9
	v_and_or_b32 v8, v8, s21, s8
	s_cmp_eq_u64 s[18:19], 0
	s_waitcnt lgkmcnt(0)
	s_barrier
	buffer_gl0_inv
	s_cbranch_scc1 .LBB126_149
; %bb.137:                              ;   in Loop: Header=BB126_18 Depth=1
	s_add_u32 s25, s86, s18
	s_addc_u32 s9, s87, s19
	s_mov_b32 s8, s73
	s_delay_alu instid0(SALU_CYCLE_1)
	s_cmp_lg_u64 s[8:9], 0
	s_cbranch_scc0 .LBB126_191
; %bb.138:                              ;   in Loop: Header=BB126_18 Depth=1
	v_cvt_f32_u32_e32 v4, s33
	s_sub_u32 s61, 0, s33
	s_subb_u32 s71, 0, 0
	s_delay_alu instid0(VALU_DEP_1) | instskip(NEXT) | instid1(VALU_DEP_1)
	v_fmac_f32_e64 v4, 0, 0x4f800000
	v_rcp_f32_e32 v4, v4
	s_waitcnt_depctr 0xfff
	v_mul_f32_e32 v4, 0x5f7ffffc, v4
	s_delay_alu instid0(VALU_DEP_1) | instskip(NEXT) | instid1(VALU_DEP_1)
	v_mul_f32_e32 v5, 0x2f800000, v4
	v_trunc_f32_e32 v5, v5
	s_delay_alu instid0(VALU_DEP_1) | instskip(SKIP_1) | instid1(VALU_DEP_2)
	v_fmac_f32_e32 v4, 0xcf800000, v5
	v_cvt_u32_f32_e32 v5, v5
	v_cvt_u32_f32_e32 v4, v4
	s_delay_alu instid0(VALU_DEP_2) | instskip(NEXT) | instid1(VALU_DEP_2)
	v_readfirstlane_b32 s8, v5
	v_readfirstlane_b32 s26, v4
	s_delay_alu instid0(VALU_DEP_2) | instskip(NEXT) | instid1(VALU_DEP_1)
	s_mul_i32 s78, s61, s8
	s_mul_hi_u32 s80, s61, s26
	s_mul_i32 s79, s71, s26
	s_add_i32 s78, s80, s78
	s_mul_i32 s81, s61, s26
	s_add_i32 s78, s78, s79
	s_mul_hi_u32 s80, s26, s81
	s_mul_hi_u32 s82, s8, s81
	s_mul_i32 s79, s8, s81
	s_mul_hi_u32 s81, s26, s78
	s_mul_i32 s26, s26, s78
	s_mul_hi_u32 s83, s8, s78
	s_add_u32 s26, s80, s26
	s_addc_u32 s80, 0, s81
	s_add_u32 s26, s26, s79
	s_mul_i32 s78, s8, s78
	s_addc_u32 s26, s80, s82
	s_addc_u32 s79, s83, 0
	s_add_u32 s26, s26, s78
	s_addc_u32 s78, 0, s79
	v_add_co_u32 v4, s26, v4, s26
	s_delay_alu instid0(VALU_DEP_1) | instskip(SKIP_1) | instid1(VALU_DEP_1)
	s_cmp_lg_u32 s26, 0
	s_addc_u32 s8, s8, s78
	v_readfirstlane_b32 s26, v4
	s_mul_i32 s78, s61, s8
	s_delay_alu instid0(VALU_DEP_1)
	s_mul_hi_u32 s79, s61, s26
	s_mul_i32 s71, s71, s26
	s_add_i32 s78, s79, s78
	s_mul_i32 s61, s61, s26
	s_add_i32 s78, s78, s71
	s_mul_hi_u32 s79, s8, s61
	s_mul_i32 s80, s8, s61
	s_mul_hi_u32 s61, s26, s61
	s_mul_hi_u32 s81, s26, s78
	s_mul_i32 s26, s26, s78
	s_mul_hi_u32 s71, s8, s78
	s_add_u32 s26, s61, s26
	s_addc_u32 s61, 0, s81
	s_add_u32 s26, s26, s80
	s_mul_i32 s78, s8, s78
	s_addc_u32 s26, s61, s79
	s_addc_u32 s61, s71, 0
	s_add_u32 s26, s26, s78
	s_addc_u32 s61, 0, s61
	v_add_co_u32 v4, s26, v4, s26
	s_delay_alu instid0(VALU_DEP_1) | instskip(SKIP_1) | instid1(VALU_DEP_1)
	s_cmp_lg_u32 s26, 0
	s_addc_u32 s8, s8, s61
	v_readfirstlane_b32 s26, v4
	s_mul_i32 s71, s25, s8
	s_mul_hi_u32 s61, s25, s8
	s_mul_hi_u32 s78, s9, s8
	s_mul_i32 s8, s9, s8
	s_mul_hi_u32 s79, s25, s26
	s_mul_hi_u32 s80, s9, s26
	s_mul_i32 s26, s9, s26
	s_add_u32 s71, s79, s71
	s_addc_u32 s61, 0, s61
	s_add_u32 s26, s71, s26
	s_addc_u32 s26, s61, s80
	s_addc_u32 s61, s78, 0
	s_add_u32 s8, s26, s8
	s_addc_u32 s26, 0, s61
	s_mul_hi_u32 s61, s33, s8
	s_mul_i32 s8, s33, s8
	s_mul_i32 s26, s33, s26
	v_sub_co_u32 v4, s8, s25, s8
	s_add_i32 s61, s61, s26
	s_cmp_lg_u32 s8, 0
	s_delay_alu instid0(VALU_DEP_1) | instskip(SKIP_3) | instid1(VALU_DEP_2)
	v_sub_co_u32 v5, s8, v4, s33
	s_subb_u32 s26, s9, s61
	s_cmp_lg_u32 s8, 0
	v_cmp_le_u32_e32 vcc_lo, s33, v4
	v_cmp_le_u32_e64 s8, s33, v5
	v_sub_co_u32 v6, s61, v5, s33
	s_subb_u32 s71, s26, 0
	s_cmp_lg_u32 s61, 0
	s_delay_alu instid0(VALU_DEP_2)
	v_cndmask_b32_e64 v7, 0, -1, s8
	s_subb_u32 s61, s71, 0
	s_cmp_eq_u32 s71, 0
	v_mov_b32_e32 v18, s61
	v_cndmask_b32_e64 v12, 0, -1, vcc_lo
	s_cselect_b32 vcc_lo, -1, 0
	s_cmp_eq_u32 s26, 0
	v_cndmask_b32_e32 v7, -1, v7, vcc_lo
	s_cselect_b32 vcc_lo, -1, 0
	v_cndmask_b32_e32 v12, -1, v12, vcc_lo
	s_delay_alu instid0(VALU_DEP_2) | instskip(NEXT) | instid1(VALU_DEP_2)
	v_cmp_ne_u32_e32 vcc_lo, 0, v7
	v_cmp_ne_u32_e64 s8, 0, v12
	v_cndmask_b32_e32 v7, s71, v18, vcc_lo
	v_cndmask_b32_e32 v6, v5, v6, vcc_lo
	s_delay_alu instid0(VALU_DEP_2) | instskip(NEXT) | instid1(VALU_DEP_2)
	v_cndmask_b32_e64 v5, s26, v7, s8
	v_cndmask_b32_e64 v4, v4, v6, s8
	s_cbranch_execnz .LBB126_140
.LBB126_139:                            ;   in Loop: Header=BB126_18 Depth=1
	v_cvt_f32_u32_e32 v4, s33
	s_sub_i32 s8, 0, s33
	s_delay_alu instid0(VALU_DEP_1) | instskip(SKIP_2) | instid1(VALU_DEP_1)
	v_rcp_iflag_f32_e32 v4, v4
	s_waitcnt_depctr 0xfff
	v_mul_f32_e32 v4, 0x4f7ffffe, v4
	v_cvt_u32_f32_e32 v4, v4
	s_delay_alu instid0(VALU_DEP_1) | instskip(NEXT) | instid1(VALU_DEP_1)
	v_mul_lo_u32 v5, s8, v4
	v_mul_hi_u32 v5, v4, v5
	s_delay_alu instid0(VALU_DEP_1) | instskip(NEXT) | instid1(VALU_DEP_1)
	v_add_nc_u32_e32 v4, v4, v5
	v_mul_hi_u32 v4, s25, v4
	s_delay_alu instid0(VALU_DEP_1) | instskip(NEXT) | instid1(VALU_DEP_1)
	v_mul_lo_u32 v4, v4, s33
	v_sub_nc_u32_e32 v4, s25, v4
	s_delay_alu instid0(VALU_DEP_1) | instskip(SKIP_1) | instid1(VALU_DEP_2)
	v_subrev_nc_u32_e32 v5, s33, v4
	v_cmp_le_u32_e32 vcc_lo, s33, v4
	v_cndmask_b32_e32 v4, v4, v5, vcc_lo
	s_delay_alu instid0(VALU_DEP_1) | instskip(SKIP_1) | instid1(VALU_DEP_2)
	v_subrev_nc_u32_e32 v5, s33, v4
	v_cmp_le_u32_e32 vcc_lo, s33, v4
	v_cndmask_b32_e32 v12, v4, v5, vcc_lo
	s_delay_alu instid0(VALU_DEP_1)
	v_dual_mov_b32 v4, v12 :: v_dual_mov_b32 v5, v13
.LBB126_140:                            ;   in Loop: Header=BB126_18 Depth=1
	s_delay_alu instid0(VALU_DEP_1) | instskip(NEXT) | instid1(VALU_DEP_2)
	v_sub_co_u32 v4, vcc_lo, s25, v4
	v_sub_co_ci_u32_e32 v5, vcc_lo, s9, v5, vcc_lo
	s_mov_b32 s8, 0
	s_mov_b32 s9, exec_lo
                                        ; implicit-def: $vgpr18
	s_delay_alu instid0(VALU_DEP_1)
	v_cmpx_gt_u64_e64 v[4:5], v[0:1]
	s_cbranch_execz .LBB126_151
; %bb.141:                              ;   in Loop: Header=BB126_18 Depth=1
	v_dual_mov_b32 v12, v0 :: v_dual_mov_b32 v7, v1
	v_mov_b32_e32 v6, v0
	s_mov_b32 s25, 0
                                        ; implicit-def: $sgpr26
	s_set_inst_prefetch_distance 0x1
	s_branch .LBB126_143
	.p2align	6
.LBB126_142:                            ;   in Loop: Header=BB126_143 Depth=2
	s_or_b32 exec_lo, exec_lo, s8
	s_waitcnt lgkmcnt(0)
	s_barrier
	buffer_gl0_inv
	ds_load_u16 v18, v13 offset:3072
	v_add_co_u32 v6, vcc_lo, v6, s33
	v_add_co_ci_u32_e32 v7, vcc_lo, 0, v7, vcc_lo
	v_add_nc_u32_e32 v12, s33, v12
	s_waitcnt lgkmcnt(0)
	s_barrier
	s_delay_alu instid0(VALU_DEP_2) | instskip(SKIP_2) | instid1(VALU_DEP_1)
	v_cmp_ge_u64_e32 vcc_lo, v[6:7], v[4:5]
	buffer_gl0_inv
	v_and_b32_e32 v19, 0xff, v18
	v_cmp_ne_u16_e64 s8, 0, v19
	s_delay_alu instid0(VALU_DEP_1) | instskip(NEXT) | instid1(SALU_CYCLE_1)
	s_or_b32 s61, vcc_lo, s8
	s_and_b32 s61, exec_lo, s61
	s_delay_alu instid0(SALU_CYCLE_1) | instskip(SKIP_2) | instid1(SALU_CYCLE_1)
	s_or_b32 s25, s61, s25
	s_and_not1_b32 s26, s26, exec_lo
	s_and_b32 s8, s8, exec_lo
	s_or_b32 s26, s26, s8
	s_and_not1_b32 exec_lo, exec_lo, s25
	s_cbranch_execz .LBB126_150
.LBB126_143:                            ;   Parent Loop BB126_18 Depth=1
                                        ; =>  This Inner Loop Header: Depth=2
	s_delay_alu instid0(VALU_DEP_1)
	v_cmp_gt_u64_e32 vcc_lo, s[18:19], v[6:7]
	v_mov_b32_e32 v18, 0
	s_and_saveexec_b32 s8, vcc_lo
	s_cbranch_execz .LBB126_145
; %bb.144:                              ;   in Loop: Header=BB126_143 Depth=2
	ds_load_u8 v18, v12
.LBB126_145:                            ;   in Loop: Header=BB126_143 Depth=2
	s_or_b32 exec_lo, exec_lo, s8
	s_waitcnt lgkmcnt(0)
	v_and_b32_e32 v19, v18, v9
	s_delay_alu instid0(VALU_DEP_1) | instskip(NEXT) | instid1(VALU_DEP_1)
	v_and_b32_e32 v19, 0xff, v19
	v_cmp_eq_u32_e64 s8, v19, v8
	s_delay_alu instid0(VALU_DEP_1) | instskip(NEXT) | instid1(SALU_CYCLE_1)
	s_and_b32 s61, vcc_lo, s8
	s_and_saveexec_b32 s8, s61
	s_cbranch_execz .LBB126_142
; %bb.146:                              ;   in Loop: Header=BB126_143 Depth=2
	v_lshlrev_b16 v18, 8, v18
	s_delay_alu instid0(VALU_DEP_1)
	v_or_b32_e32 v18, 1, v18
	ds_store_b16 v13, v18 offset:3072
	s_branch .LBB126_142
.LBB126_147:                            ;   in Loop: Header=BB126_18 Depth=1
                                        ; implicit-def: $vgpr2_vgpr3
	s_branch .LBB126_95
.LBB126_148:                            ;   in Loop: Header=BB126_18 Depth=1
                                        ; implicit-def: $vgpr2_vgpr3
	s_branch .LBB126_110
.LBB126_149:                            ;   in Loop: Header=BB126_18 Depth=1
	s_mov_b32 s25, -1
	s_mov_b32 s8, 0
                                        ; implicit-def: $sgpr78
                                        ; implicit-def: $vgpr18
	s_mov_b32 s79, s25
	s_cbranch_execnz .LBB126_152
	s_branch .LBB126_164
.LBB126_150:                            ;   in Loop: Header=BB126_18 Depth=1
	s_set_inst_prefetch_distance 0x2
	s_or_b32 exec_lo, exec_lo, s25
	v_lshrrev_b16 v18, 8, v18
	s_and_b32 s8, s26, exec_lo
.LBB126_151:                            ;   in Loop: Header=BB126_18 Depth=1
	s_or_b32 exec_lo, exec_lo, s9
	s_mov_b32 s78, -1
	s_mov_b32 s25, 0
	s_delay_alu instid0(SALU_CYCLE_1)
	s_mov_b32 s79, s25
	s_branch .LBB126_164
.LBB126_152:                            ;   in Loop: Header=BB126_18 Depth=1
	s_mov_b32 s26, s73
	s_delay_alu instid0(SALU_CYCLE_1)
	s_cmp_lg_u64 s[26:27], 0
	s_cbranch_scc0 .LBB126_192
; %bb.153:                              ;   in Loop: Header=BB126_18 Depth=1
	v_cvt_f32_u32_e32 v4, s33
	s_sub_u32 s18, 0, s33
	s_subb_u32 s19, 0, 0
	s_delay_alu instid0(VALU_DEP_1) | instskip(NEXT) | instid1(VALU_DEP_1)
	v_fmac_f32_e64 v4, 0, 0x4f800000
	v_rcp_f32_e32 v4, v4
	s_waitcnt_depctr 0xfff
	v_mul_f32_e32 v4, 0x5f7ffffc, v4
	s_delay_alu instid0(VALU_DEP_1) | instskip(NEXT) | instid1(VALU_DEP_1)
	v_mul_f32_e32 v5, 0x2f800000, v4
	v_trunc_f32_e32 v5, v5
	s_delay_alu instid0(VALU_DEP_1) | instskip(SKIP_1) | instid1(VALU_DEP_2)
	v_fmac_f32_e32 v4, 0xcf800000, v5
	v_cvt_u32_f32_e32 v5, v5
	v_cvt_u32_f32_e32 v4, v4
	s_delay_alu instid0(VALU_DEP_2) | instskip(NEXT) | instid1(VALU_DEP_2)
	v_readfirstlane_b32 s8, v5
	v_readfirstlane_b32 s9, v4
	s_delay_alu instid0(VALU_DEP_2) | instskip(NEXT) | instid1(VALU_DEP_1)
	s_mul_i32 s25, s18, s8
	s_mul_hi_u32 s61, s18, s9
	s_mul_i32 s26, s19, s9
	s_add_i32 s25, s61, s25
	s_mul_i32 s71, s18, s9
	s_add_i32 s25, s25, s26
	s_mul_hi_u32 s61, s9, s71
	s_mul_hi_u32 s78, s8, s71
	s_mul_i32 s26, s8, s71
	s_mul_hi_u32 s71, s9, s25
	s_mul_i32 s9, s9, s25
	s_mul_hi_u32 s79, s8, s25
	s_add_u32 s9, s61, s9
	s_addc_u32 s61, 0, s71
	s_add_u32 s9, s9, s26
	s_mul_i32 s25, s8, s25
	s_addc_u32 s9, s61, s78
	s_addc_u32 s26, s79, 0
	s_add_u32 s9, s9, s25
	s_addc_u32 s25, 0, s26
	v_add_co_u32 v4, s9, v4, s9
	s_delay_alu instid0(VALU_DEP_1) | instskip(SKIP_1) | instid1(VALU_DEP_1)
	s_cmp_lg_u32 s9, 0
	s_addc_u32 s8, s8, s25
	v_readfirstlane_b32 s9, v4
	s_mul_i32 s25, s18, s8
	s_delay_alu instid0(VALU_DEP_1)
	s_mul_hi_u32 s26, s18, s9
	s_mul_i32 s19, s19, s9
	s_add_i32 s25, s26, s25
	s_mul_i32 s18, s18, s9
	s_add_i32 s25, s25, s19
	s_mul_hi_u32 s26, s8, s18
	s_mul_i32 s61, s8, s18
	s_mul_hi_u32 s18, s9, s18
	s_mul_hi_u32 s71, s9, s25
	s_mul_i32 s9, s9, s25
	s_mul_hi_u32 s19, s8, s25
	s_add_u32 s9, s18, s9
	s_addc_u32 s18, 0, s71
	s_add_u32 s9, s9, s61
	s_mul_i32 s25, s8, s25
	s_addc_u32 s9, s18, s26
	s_addc_u32 s18, s19, 0
	s_add_u32 s9, s9, s25
	s_addc_u32 s18, 0, s18
	v_add_co_u32 v4, s9, v4, s9
	s_delay_alu instid0(VALU_DEP_1) | instskip(SKIP_1) | instid1(VALU_DEP_1)
	s_cmp_lg_u32 s9, 0
	s_addc_u32 s8, s8, s18
	v_readfirstlane_b32 s9, v4
	s_mul_i32 s19, s88, s8
	s_mul_hi_u32 s18, s88, s8
	s_mul_hi_u32 s25, s27, s8
	s_mul_i32 s8, s27, s8
	s_mul_hi_u32 s26, s88, s9
	s_mul_hi_u32 s61, s27, s9
	s_mul_i32 s9, s27, s9
	s_add_u32 s19, s26, s19
	s_addc_u32 s18, 0, s18
	s_add_u32 s9, s19, s9
	s_addc_u32 s9, s18, s61
	s_addc_u32 s18, s25, 0
	s_add_u32 s8, s9, s8
	s_addc_u32 s9, 0, s18
	s_mul_hi_u32 s18, s33, s8
	s_mul_i32 s8, s33, s8
	s_mul_i32 s9, s33, s9
	v_sub_co_u32 v4, s8, s88, s8
	s_add_i32 s18, s18, s9
	s_cmp_lg_u32 s8, 0
	s_delay_alu instid0(VALU_DEP_1) | instskip(SKIP_2) | instid1(VALU_DEP_1)
	v_sub_co_u32 v5, s8, v4, s33
	s_subb_u32 s9, s27, s18
	s_cmp_lg_u32 s8, 0
	v_cmp_le_u32_e32 vcc_lo, s33, v5
	v_sub_co_u32 v6, s8, v5, s33
	s_subb_u32 s18, s9, 0
	s_cmp_lg_u32 s8, 0
	v_cndmask_b32_e64 v7, 0, -1, vcc_lo
	s_subb_u32 s8, s18, 0
	s_cmp_eq_u32 s18, 0
	v_mov_b32_e32 v18, s8
	s_cselect_b32 vcc_lo, -1, 0
	s_cmp_eq_u32 s9, 0
	v_cndmask_b32_e32 v7, -1, v7, vcc_lo
	v_cmp_le_u32_e32 vcc_lo, s33, v4
	s_cselect_b32 s8, -1, 0
	v_cndmask_b32_e64 v12, 0, -1, vcc_lo
	s_delay_alu instid0(VALU_DEP_3) | instskip(NEXT) | instid1(VALU_DEP_2)
	v_cmp_ne_u32_e32 vcc_lo, 0, v7
	v_cndmask_b32_e64 v7, -1, v12, s8
	v_cndmask_b32_e32 v12, s18, v18, vcc_lo
	v_cndmask_b32_e32 v6, v5, v6, vcc_lo
	s_delay_alu instid0(VALU_DEP_3) | instskip(NEXT) | instid1(VALU_DEP_3)
	v_cmp_ne_u32_e32 vcc_lo, 0, v7
	v_cndmask_b32_e32 v5, s9, v12, vcc_lo
	s_delay_alu instid0(VALU_DEP_3)
	v_cndmask_b32_e32 v4, v4, v6, vcc_lo
	s_cbranch_execnz .LBB126_155
.LBB126_154:                            ;   in Loop: Header=BB126_18 Depth=1
	v_cvt_f32_u32_e32 v4, s33
	s_sub_i32 s8, 0, s33
	s_delay_alu instid0(VALU_DEP_1) | instskip(SKIP_2) | instid1(VALU_DEP_1)
	v_rcp_iflag_f32_e32 v4, v4
	s_waitcnt_depctr 0xfff
	v_mul_f32_e32 v4, 0x4f7ffffe, v4
	v_cvt_u32_f32_e32 v4, v4
	s_delay_alu instid0(VALU_DEP_1) | instskip(NEXT) | instid1(VALU_DEP_1)
	v_mul_lo_u32 v5, s8, v4
	v_mul_hi_u32 v5, v4, v5
	s_delay_alu instid0(VALU_DEP_1) | instskip(NEXT) | instid1(VALU_DEP_1)
	v_add_nc_u32_e32 v4, v4, v5
	v_mul_hi_u32 v4, s88, v4
	s_delay_alu instid0(VALU_DEP_1) | instskip(NEXT) | instid1(VALU_DEP_1)
	v_mul_lo_u32 v4, v4, s33
	v_sub_nc_u32_e32 v4, s88, v4
	s_delay_alu instid0(VALU_DEP_1) | instskip(SKIP_1) | instid1(VALU_DEP_2)
	v_subrev_nc_u32_e32 v5, s33, v4
	v_cmp_le_u32_e32 vcc_lo, s33, v4
	v_cndmask_b32_e32 v4, v4, v5, vcc_lo
	s_delay_alu instid0(VALU_DEP_1) | instskip(SKIP_1) | instid1(VALU_DEP_2)
	v_subrev_nc_u32_e32 v5, s33, v4
	v_cmp_le_u32_e32 vcc_lo, s33, v4
	v_cndmask_b32_e32 v12, v4, v5, vcc_lo
	s_delay_alu instid0(VALU_DEP_1)
	v_dual_mov_b32 v4, v12 :: v_dual_mov_b32 v5, v13
.LBB126_155:                            ;   in Loop: Header=BB126_18 Depth=1
	s_delay_alu instid0(VALU_DEP_1) | instskip(NEXT) | instid1(VALU_DEP_2)
	v_sub_co_u32 v4, vcc_lo, s88, v4
	v_sub_co_ci_u32_e32 v5, vcc_lo, s27, v5, vcc_lo
	s_mov_b32 s8, 0
	s_mov_b32 s9, exec_lo
                                        ; implicit-def: $vgpr18
	s_delay_alu instid0(VALU_DEP_1)
	v_cmpx_gt_u64_e64 v[4:5], v[0:1]
	s_cbranch_execz .LBB126_163
; %bb.156:                              ;   in Loop: Header=BB126_18 Depth=1
	v_dual_mov_b32 v7, v1 :: v_dual_mov_b32 v6, v0
	s_mov_b32 s18, 0
                                        ; implicit-def: $sgpr19
	s_branch .LBB126_158
.LBB126_157:                            ;   in Loop: Header=BB126_158 Depth=2
	s_or_b32 exec_lo, exec_lo, s8
	s_waitcnt lgkmcnt(0)
	s_barrier
	buffer_gl0_inv
	ds_load_u16 v12, v13 offset:3072
	v_add_co_u32 v6, vcc_lo, v6, s33
	v_add_co_ci_u32_e32 v7, vcc_lo, 0, v7, vcc_lo
	s_waitcnt lgkmcnt(0)
	s_barrier
	buffer_gl0_inv
	v_cmp_ge_u64_e32 vcc_lo, v[6:7], v[4:5]
	v_and_b32_e32 v18, 0xff, v12
	s_delay_alu instid0(VALU_DEP_1) | instskip(NEXT) | instid1(VALU_DEP_1)
	v_cmp_ne_u16_e64 s8, 0, v18
	s_or_b32 s25, vcc_lo, s8
	s_delay_alu instid0(SALU_CYCLE_1) | instskip(NEXT) | instid1(SALU_CYCLE_1)
	s_and_b32 s25, exec_lo, s25
	s_or_b32 s18, s25, s18
	s_and_not1_b32 s19, s19, exec_lo
	s_and_b32 s8, s8, exec_lo
	s_delay_alu instid0(SALU_CYCLE_1)
	s_or_b32 s19, s19, s8
	s_and_not1_b32 exec_lo, exec_lo, s18
	s_cbranch_execz .LBB126_162
.LBB126_158:                            ;   Parent Loop BB126_18 Depth=1
                                        ; =>  This Inner Loop Header: Depth=2
	s_delay_alu instid0(VALU_DEP_1)
	v_cmp_gt_u64_e32 vcc_lo, s[36:37], v[6:7]
	v_mov_b32_e32 v12, 0
	s_and_saveexec_b32 s8, vcc_lo
	s_cbranch_execz .LBB126_160
; %bb.159:                              ;   in Loop: Header=BB126_158 Depth=2
	v_mad_u64_u32 v[18:19], null, v6, s30, s[28:29]
	v_mul_lo_u32 v12, v6, s31
	v_mul_lo_u32 v20, v7, s30
	s_delay_alu instid0(VALU_DEP_1)
	v_add3_u32 v19, v20, v19, v12
	global_load_u8 v12, v[18:19], off
.LBB126_160:                            ;   in Loop: Header=BB126_158 Depth=2
	s_or_b32 exec_lo, exec_lo, s8
	s_waitcnt vmcnt(0)
	v_and_b32_e32 v18, v12, v9
	s_delay_alu instid0(VALU_DEP_1) | instskip(NEXT) | instid1(VALU_DEP_1)
	v_and_b32_e32 v18, 0xff, v18
	v_cmp_eq_u32_e64 s8, v18, v8
	s_delay_alu instid0(VALU_DEP_1) | instskip(NEXT) | instid1(SALU_CYCLE_1)
	s_and_b32 s25, vcc_lo, s8
	s_and_saveexec_b32 s8, s25
	s_cbranch_execz .LBB126_157
; %bb.161:                              ;   in Loop: Header=BB126_158 Depth=2
	v_lshlrev_b16 v12, 8, v12
	s_delay_alu instid0(VALU_DEP_1)
	v_or_b32_e32 v12, 1, v12
	ds_store_b16 v13, v12 offset:3072
	s_branch .LBB126_157
.LBB126_162:                            ;   in Loop: Header=BB126_18 Depth=1
	s_or_b32 exec_lo, exec_lo, s18
	v_lshrrev_b16 v18, 8, v12
	s_and_b32 s8, s19, exec_lo
.LBB126_163:                            ;   in Loop: Header=BB126_18 Depth=1
	s_or_b32 exec_lo, exec_lo, s9
	s_mov_b32 s79, -1
	s_mov_b32 s25, 0
	s_mov_b32 s78, 0
.LBB126_164:                            ;   in Loop: Header=BB126_18 Depth=1
	s_or_not1_b32 s8, s8, exec_lo
.LBB126_165:                            ;   in Loop: Header=BB126_18 Depth=1
	s_or_b32 exec_lo, exec_lo, s60
	s_mov_b32 s26, 0
                                        ; implicit-def: $vgpr6
	s_and_saveexec_b32 s80, s8
	s_cbranch_execz .LBB126_274
; %bb.166:                              ;   in Loop: Header=BB126_18 Depth=1
	v_mov_b32_e32 v4, 1
	v_dual_mov_b32 v5, 0 :: v_dual_mov_b32 v6, 1
	s_xor_b32 s9, s70, -1
	s_delay_alu instid0(SALU_CYCLE_1)
	s_and_saveexec_b32 s8, s9
	s_cbranch_execz .LBB126_176
; %bb.167:                              ;   in Loop: Header=BB126_18 Depth=1
	s_mov_b32 s18, exec_lo
                                        ; implicit-def: $sgpr19
                                        ; implicit-def: $sgpr9
	v_cmpx_ge_u64_e64 s[12:13], v[2:3]
	s_xor_b32 s18, exec_lo, s18
	s_cbranch_execz .LBB126_173
; %bb.168:                              ;   in Loop: Header=BB126_18 Depth=1
	ds_load_b64 v[4:5], v13 offset:5120
	s_waitcnt lgkmcnt(0)
	v_cmp_ne_u64_e32 vcc_lo, 0, v[4:5]
	s_cbranch_vccnz .LBB126_172
; %bb.169:                              ;   in Loop: Header=BB126_18 Depth=1
	s_and_saveexec_b32 s9, s5
	s_cbranch_execz .LBB126_171
; %bb.170:                              ;   in Loop: Header=BB126_18 Depth=1
	v_dual_mov_b32 v4, s12 :: v_dual_mov_b32 v5, s13
	ds_store_b64 v13, v[4:5] offset:5128
.LBB126_171:                            ;   in Loop: Header=BB126_18 Depth=1
	s_or_b32 exec_lo, exec_lo, s9
	s_waitcnt lgkmcnt(0)
	s_barrier
	buffer_gl0_inv
.LBB126_172:                            ;   in Loop: Header=BB126_18 Depth=1
	s_lshl_b32 s9, 1, s22
	v_or_b32_e32 v9, s20, v9
	v_and_or_b32 v8, v8, s21, s9
	s_mov_b32 s9, 0
	s_mov_b32 s19, 8
.LBB126_173:                            ;   in Loop: Header=BB126_18 Depth=1
	s_or_saveexec_b32 s18, s18
	v_mov_b32_e32 v6, s19
	s_xor_b32 exec_lo, exec_lo, s18
; %bb.174:                              ;   in Loop: Header=BB126_18 Depth=1
	v_sub_co_u32 v2, vcc_lo, v2, s12
	v_subrev_co_ci_u32_e32 v3, vcc_lo, s13, v3, vcc_lo
	v_mov_b32_e32 v6, 0
	s_or_b32 s9, s9, exec_lo
; %bb.175:                              ;   in Loop: Header=BB126_18 Depth=1
	s_or_b32 exec_lo, exec_lo, s18
	s_delay_alu instid0(VALU_DEP_2)
	v_dual_mov_b32 v5, v3 :: v_dual_mov_b32 v4, v2
	s_and_b32 s26, s9, exec_lo
.LBB126_176:                            ;   in Loop: Header=BB126_18 Depth=1
	s_or_b32 exec_lo, exec_lo, s8
	s_mov_b32 s8, -1
                                        ; implicit-def: $sgpr9
                                        ; implicit-def: $sgpr18
                                        ; implicit-def: $sgpr19
	s_and_saveexec_b32 s81, s26
	s_cbranch_execz .LBB126_273
; %bb.177:                              ;   in Loop: Header=BB126_18 Depth=1
	v_cmp_eq_u64_e32 vcc_lo, 1, v[4:5]
	s_cmp_eq_u64 s[14:15], 1
                                        ; implicit-def: $sgpr82
                                        ; implicit-def: $sgpr84
                                        ; implicit-def: $sgpr83
	s_cselect_b32 s8, -1, 0
	s_delay_alu instid0(SALU_CYCLE_1)
	s_and_b32 s70, s8, vcc_lo
	s_mov_b32 s8, -1
	s_and_saveexec_b32 s71, s70
	s_cbranch_execz .LBB126_209
; %bb.178:                              ;   in Loop: Header=BB126_18 Depth=1
	ds_load_b64 v[2:3], v13 offset:5120
	s_waitcnt lgkmcnt(0)
	s_barrier
	buffer_gl0_inv
	v_readfirstlane_b32 s18, v2
	v_readfirstlane_b32 s19, v3
	s_and_saveexec_b32 s8, s6
	s_cbranch_execz .LBB126_180
; %bb.179:                              ;   in Loop: Header=BB126_18 Depth=1
	ds_store_b8 v0, v13 offset:3072
.LBB126_180:                            ;   in Loop: Header=BB126_18 Depth=1
	s_or_b32 exec_lo, exec_lo, s8
	s_lshl_b32 s8, 2, s22
	v_or_b32_e32 v9, s20, v9
	v_and_or_b32 v8, v8, s21, s8
	s_cmp_eq_u64 s[18:19], 0
	s_waitcnt lgkmcnt(0)
	s_barrier
	buffer_gl0_inv
	s_cbranch_scc1 .LBB126_193
; %bb.181:                              ;   in Loop: Header=BB126_18 Depth=1
	s_add_u32 s26, s86, s18
	s_addc_u32 s9, s87, s19
	s_mov_b32 s8, s73
	s_delay_alu instid0(SALU_CYCLE_1)
	s_cmp_lg_u64 s[8:9], 0
	s_cbranch_scc0 .LBB126_227
; %bb.182:                              ;   in Loop: Header=BB126_18 Depth=1
	v_cvt_f32_u32_e32 v2, s33
	s_sub_u32 s61, 0, s33
	s_subb_u32 s82, 0, 0
	s_delay_alu instid0(VALU_DEP_1) | instskip(NEXT) | instid1(VALU_DEP_1)
	v_fmac_f32_e64 v2, 0, 0x4f800000
	v_rcp_f32_e32 v2, v2
	s_waitcnt_depctr 0xfff
	v_mul_f32_e32 v2, 0x5f7ffffc, v2
	s_delay_alu instid0(VALU_DEP_1) | instskip(NEXT) | instid1(VALU_DEP_1)
	v_mul_f32_e32 v3, 0x2f800000, v2
	v_trunc_f32_e32 v3, v3
	s_delay_alu instid0(VALU_DEP_1) | instskip(SKIP_1) | instid1(VALU_DEP_2)
	v_fmac_f32_e32 v2, 0xcf800000, v3
	v_cvt_u32_f32_e32 v3, v3
	v_cvt_u32_f32_e32 v2, v2
	s_delay_alu instid0(VALU_DEP_2) | instskip(NEXT) | instid1(VALU_DEP_2)
	v_readfirstlane_b32 s8, v3
	v_readfirstlane_b32 s60, v2
	s_delay_alu instid0(VALU_DEP_2) | instskip(NEXT) | instid1(VALU_DEP_1)
	s_mul_i32 s83, s61, s8
	s_mul_hi_u32 s85, s61, s60
	s_mul_i32 s84, s82, s60
	s_add_i32 s83, s85, s83
	s_mul_i32 vcc_lo, s61, s60
	s_add_i32 s83, s83, s84
	s_mul_hi_u32 s85, s60, vcc_lo
	s_mul_hi_u32 s84, s60, s83
	s_mul_i32 s60, s60, s83
	s_mul_i32 s67, s8, vcc_lo
	s_add_u32 s60, s85, s60
	s_mul_hi_u32 s66, s8, vcc_lo
	s_addc_u32 s84, 0, s84
	s_mul_hi_u32 vcc_lo, s8, s83
	s_add_u32 s60, s60, s67
	s_mul_i32 s83, s8, s83
	s_addc_u32 s60, s84, s66
	s_addc_u32 s66, vcc_lo, 0
	s_add_u32 s60, s60, s83
	s_addc_u32 s66, 0, s66
	v_add_co_u32 v2, s60, v2, s60
	s_delay_alu instid0(VALU_DEP_1) | instskip(SKIP_1) | instid1(VALU_DEP_1)
	s_cmp_lg_u32 s60, 0
	s_addc_u32 s8, s8, s66
	v_readfirstlane_b32 s60, v2
	s_mul_i32 s66, s61, s8
	s_delay_alu instid0(VALU_DEP_1)
	s_mul_hi_u32 s67, s61, s60
	s_mul_i32 s82, s82, s60
	s_add_i32 s66, s67, s66
	s_mul_i32 s61, s61, s60
	s_add_i32 s66, s66, s82
	s_mul_hi_u32 s67, s8, s61
	s_mul_i32 s83, s8, s61
	s_mul_hi_u32 s61, s60, s61
	s_mul_hi_u32 s84, s60, s66
	s_mul_i32 s60, s60, s66
	s_mul_hi_u32 s82, s8, s66
	s_add_u32 s60, s61, s60
	s_addc_u32 s61, 0, s84
	s_add_u32 s60, s60, s83
	s_mul_i32 s66, s8, s66
	s_addc_u32 s60, s61, s67
	s_addc_u32 s61, s82, 0
	s_add_u32 s60, s60, s66
	s_addc_u32 s61, 0, s61
	v_add_co_u32 v2, s60, v2, s60
	s_delay_alu instid0(VALU_DEP_1) | instskip(SKIP_1) | instid1(VALU_DEP_1)
	s_cmp_lg_u32 s60, 0
	s_addc_u32 s8, s8, s61
	v_readfirstlane_b32 s60, v2
	s_mul_i32 s66, s26, s8
	s_mul_hi_u32 s61, s26, s8
	s_mul_hi_u32 s67, s9, s8
	s_mul_i32 s8, s9, s8
	s_mul_hi_u32 s82, s26, s60
	s_mul_hi_u32 s83, s9, s60
	s_mul_i32 s60, s9, s60
	s_add_u32 s66, s82, s66
	s_addc_u32 s61, 0, s61
	s_add_u32 s60, s66, s60
	s_addc_u32 s60, s61, s83
	s_addc_u32 s61, s67, 0
	s_add_u32 s8, s60, s8
	s_addc_u32 s60, 0, s61
	s_mul_hi_u32 s61, s33, s8
	s_mul_i32 s8, s33, s8
	s_mul_i32 s60, s33, s60
	v_sub_co_u32 v2, s8, s26, s8
	s_add_i32 s61, s61, s60
	s_cmp_lg_u32 s8, 0
	s_delay_alu instid0(VALU_DEP_1) | instskip(SKIP_3) | instid1(VALU_DEP_2)
	v_sub_co_u32 v3, s8, v2, s33
	s_subb_u32 s60, s9, s61
	s_cmp_lg_u32 s8, 0
	v_cmp_le_u32_e32 vcc_lo, s33, v2
	v_cmp_le_u32_e64 s8, s33, v3
	v_sub_co_u32 v6, s61, v3, s33
	s_subb_u32 s66, s60, 0
	s_cmp_lg_u32 s61, 0
	s_delay_alu instid0(VALU_DEP_2)
	v_cndmask_b32_e64 v7, 0, -1, s8
	s_subb_u32 s61, s66, 0
	s_cmp_eq_u32 s66, 0
	v_mov_b32_e32 v18, s61
	v_cndmask_b32_e64 v12, 0, -1, vcc_lo
	s_cselect_b32 vcc_lo, -1, 0
	s_cmp_eq_u32 s60, 0
	v_cndmask_b32_e32 v7, -1, v7, vcc_lo
	s_cselect_b32 vcc_lo, -1, 0
	v_cndmask_b32_e32 v12, -1, v12, vcc_lo
	s_delay_alu instid0(VALU_DEP_2) | instskip(NEXT) | instid1(VALU_DEP_2)
	v_cmp_ne_u32_e32 vcc_lo, 0, v7
	v_cmp_ne_u32_e64 s8, 0, v12
	v_cndmask_b32_e32 v7, s66, v18, vcc_lo
	v_cndmask_b32_e32 v6, v3, v6, vcc_lo
	s_delay_alu instid0(VALU_DEP_2) | instskip(NEXT) | instid1(VALU_DEP_2)
	v_cndmask_b32_e64 v3, s60, v7, s8
	v_cndmask_b32_e64 v2, v2, v6, s8
	s_cbranch_execnz .LBB126_184
.LBB126_183:                            ;   in Loop: Header=BB126_18 Depth=1
	v_cvt_f32_u32_e32 v2, s33
	s_sub_i32 s8, 0, s33
	s_delay_alu instid0(VALU_DEP_1) | instskip(SKIP_2) | instid1(VALU_DEP_1)
	v_rcp_iflag_f32_e32 v2, v2
	s_waitcnt_depctr 0xfff
	v_mul_f32_e32 v2, 0x4f7ffffe, v2
	v_cvt_u32_f32_e32 v2, v2
	s_delay_alu instid0(VALU_DEP_1) | instskip(NEXT) | instid1(VALU_DEP_1)
	v_mul_lo_u32 v3, s8, v2
	v_mul_hi_u32 v3, v2, v3
	s_delay_alu instid0(VALU_DEP_1) | instskip(NEXT) | instid1(VALU_DEP_1)
	v_add_nc_u32_e32 v2, v2, v3
	v_mul_hi_u32 v2, s26, v2
	s_delay_alu instid0(VALU_DEP_1) | instskip(NEXT) | instid1(VALU_DEP_1)
	v_mul_lo_u32 v2, v2, s33
	v_sub_nc_u32_e32 v2, s26, v2
	s_delay_alu instid0(VALU_DEP_1) | instskip(SKIP_1) | instid1(VALU_DEP_2)
	v_subrev_nc_u32_e32 v3, s33, v2
	v_cmp_le_u32_e32 vcc_lo, s33, v2
	v_cndmask_b32_e32 v2, v2, v3, vcc_lo
	s_delay_alu instid0(VALU_DEP_1) | instskip(SKIP_1) | instid1(VALU_DEP_2)
	v_subrev_nc_u32_e32 v3, s33, v2
	v_cmp_le_u32_e32 vcc_lo, s33, v2
	v_cndmask_b32_e32 v12, v2, v3, vcc_lo
	s_delay_alu instid0(VALU_DEP_1)
	v_dual_mov_b32 v2, v12 :: v_dual_mov_b32 v3, v13
.LBB126_184:                            ;   in Loop: Header=BB126_18 Depth=1
	s_delay_alu instid0(VALU_DEP_1) | instskip(NEXT) | instid1(VALU_DEP_2)
	v_sub_co_u32 v2, vcc_lo, s26, v2
	v_sub_co_ci_u32_e32 v3, vcc_lo, s9, v3, vcc_lo
	s_mov_b32 s8, 0
	s_mov_b32 s9, exec_lo
                                        ; implicit-def: $vgpr18
	s_delay_alu instid0(VALU_DEP_1)
	v_cmpx_gt_u64_e64 v[2:3], v[0:1]
	s_cbranch_execz .LBB126_195
; %bb.185:                              ;   in Loop: Header=BB126_18 Depth=1
	v_dual_mov_b32 v12, v0 :: v_dual_mov_b32 v7, v1
	v_mov_b32_e32 v6, v0
	s_mov_b32 s26, 0
                                        ; implicit-def: $sgpr60
	s_set_inst_prefetch_distance 0x1
	s_branch .LBB126_187
	.p2align	6
.LBB126_186:                            ;   in Loop: Header=BB126_187 Depth=2
	s_or_b32 exec_lo, exec_lo, s8
	s_waitcnt lgkmcnt(0)
	s_barrier
	buffer_gl0_inv
	ds_load_u16 v18, v13 offset:3072
	v_add_co_u32 v6, vcc_lo, v6, s33
	v_add_co_ci_u32_e32 v7, vcc_lo, 0, v7, vcc_lo
	v_add_nc_u32_e32 v12, s33, v12
	s_waitcnt lgkmcnt(0)
	s_barrier
	s_delay_alu instid0(VALU_DEP_2) | instskip(SKIP_2) | instid1(VALU_DEP_1)
	v_cmp_ge_u64_e32 vcc_lo, v[6:7], v[2:3]
	buffer_gl0_inv
	v_and_b32_e32 v19, 0xff, v18
	v_cmp_ne_u16_e64 s8, 0, v19
	s_delay_alu instid0(VALU_DEP_1) | instskip(NEXT) | instid1(SALU_CYCLE_1)
	s_or_b32 s61, vcc_lo, s8
	s_and_b32 s61, exec_lo, s61
	s_delay_alu instid0(SALU_CYCLE_1) | instskip(SKIP_2) | instid1(SALU_CYCLE_1)
	s_or_b32 s26, s61, s26
	s_and_not1_b32 s60, s60, exec_lo
	s_and_b32 s8, s8, exec_lo
	s_or_b32 s60, s60, s8
	s_and_not1_b32 exec_lo, exec_lo, s26
	s_cbranch_execz .LBB126_194
.LBB126_187:                            ;   Parent Loop BB126_18 Depth=1
                                        ; =>  This Inner Loop Header: Depth=2
	s_delay_alu instid0(VALU_DEP_1)
	v_cmp_gt_u64_e32 vcc_lo, s[18:19], v[6:7]
	v_mov_b32_e32 v18, 0
	s_and_saveexec_b32 s8, vcc_lo
	s_cbranch_execz .LBB126_189
; %bb.188:                              ;   in Loop: Header=BB126_187 Depth=2
	ds_load_u8 v18, v12
.LBB126_189:                            ;   in Loop: Header=BB126_187 Depth=2
	s_or_b32 exec_lo, exec_lo, s8
	s_waitcnt lgkmcnt(0)
	v_and_b32_e32 v19, v18, v9
	s_delay_alu instid0(VALU_DEP_1) | instskip(NEXT) | instid1(VALU_DEP_1)
	v_and_b32_e32 v19, 0xff, v19
	v_cmp_eq_u32_e64 s8, v19, v8
	s_delay_alu instid0(VALU_DEP_1) | instskip(NEXT) | instid1(SALU_CYCLE_1)
	s_and_b32 s61, vcc_lo, s8
	s_and_saveexec_b32 s8, s61
	s_cbranch_execz .LBB126_186
; %bb.190:                              ;   in Loop: Header=BB126_187 Depth=2
	v_lshlrev_b16 v18, 8, v18
	s_delay_alu instid0(VALU_DEP_1)
	v_or_b32_e32 v18, 1, v18
	ds_store_b16 v13, v18 offset:3072
	s_branch .LBB126_186
.LBB126_191:                            ;   in Loop: Header=BB126_18 Depth=1
                                        ; implicit-def: $vgpr4_vgpr5
	s_branch .LBB126_139
.LBB126_192:                            ;   in Loop: Header=BB126_18 Depth=1
                                        ; implicit-def: $vgpr4_vgpr5
	s_branch .LBB126_154
.LBB126_193:                            ;   in Loop: Header=BB126_18 Depth=1
	s_mov_b32 s82, -1
	s_mov_b32 s8, 0
                                        ; implicit-def: $sgpr83
                                        ; implicit-def: $vgpr18
	s_mov_b32 s84, s82
	s_cbranch_execnz .LBB126_196
	s_branch .LBB126_208
.LBB126_194:                            ;   in Loop: Header=BB126_18 Depth=1
	s_set_inst_prefetch_distance 0x2
	s_or_b32 exec_lo, exec_lo, s26
	v_lshrrev_b16 v18, 8, v18
	s_and_b32 s8, s60, exec_lo
.LBB126_195:                            ;   in Loop: Header=BB126_18 Depth=1
	s_or_b32 exec_lo, exec_lo, s9
	s_mov_b32 s83, -1
	s_mov_b32 s82, 0
	s_delay_alu instid0(SALU_CYCLE_1)
	s_mov_b32 s84, s82
	s_branch .LBB126_208
.LBB126_196:                            ;   in Loop: Header=BB126_18 Depth=1
	s_mov_b32 s26, s73
	s_delay_alu instid0(SALU_CYCLE_1)
	s_cmp_lg_u64 s[26:27], 0
	s_cbranch_scc0 .LBB126_228
; %bb.197:                              ;   in Loop: Header=BB126_18 Depth=1
	v_cvt_f32_u32_e32 v2, s33
	s_sub_u32 s18, 0, s33
	s_subb_u32 s19, 0, 0
	s_delay_alu instid0(VALU_DEP_1) | instskip(NEXT) | instid1(VALU_DEP_1)
	v_fmac_f32_e64 v2, 0, 0x4f800000
	v_rcp_f32_e32 v2, v2
	s_waitcnt_depctr 0xfff
	v_mul_f32_e32 v2, 0x5f7ffffc, v2
	s_delay_alu instid0(VALU_DEP_1) | instskip(NEXT) | instid1(VALU_DEP_1)
	v_mul_f32_e32 v3, 0x2f800000, v2
	v_trunc_f32_e32 v3, v3
	s_delay_alu instid0(VALU_DEP_1) | instskip(SKIP_1) | instid1(VALU_DEP_2)
	v_fmac_f32_e32 v2, 0xcf800000, v3
	v_cvt_u32_f32_e32 v3, v3
	v_cvt_u32_f32_e32 v2, v2
	s_delay_alu instid0(VALU_DEP_2) | instskip(NEXT) | instid1(VALU_DEP_2)
	v_readfirstlane_b32 s8, v3
	v_readfirstlane_b32 s9, v2
	s_delay_alu instid0(VALU_DEP_2) | instskip(NEXT) | instid1(VALU_DEP_1)
	s_mul_i32 s26, s18, s8
	s_mul_hi_u32 s61, s18, s9
	s_mul_i32 s60, s19, s9
	s_add_i32 s26, s61, s26
	s_mul_i32 s66, s18, s9
	s_add_i32 s26, s26, s60
	s_mul_hi_u32 s61, s9, s66
	s_mul_hi_u32 s67, s8, s66
	s_mul_i32 s60, s8, s66
	s_mul_hi_u32 s66, s9, s26
	s_mul_i32 s9, s9, s26
	s_mul_hi_u32 s82, s8, s26
	s_add_u32 s9, s61, s9
	s_addc_u32 s61, 0, s66
	s_add_u32 s9, s9, s60
	s_mul_i32 s26, s8, s26
	s_addc_u32 s9, s61, s67
	s_addc_u32 s60, s82, 0
	s_add_u32 s9, s9, s26
	s_addc_u32 s26, 0, s60
	v_add_co_u32 v2, s9, v2, s9
	s_delay_alu instid0(VALU_DEP_1) | instskip(SKIP_1) | instid1(VALU_DEP_1)
	s_cmp_lg_u32 s9, 0
	s_addc_u32 s8, s8, s26
	v_readfirstlane_b32 s9, v2
	s_mul_i32 s26, s18, s8
	s_delay_alu instid0(VALU_DEP_1)
	s_mul_hi_u32 s60, s18, s9
	s_mul_i32 s19, s19, s9
	s_add_i32 s26, s60, s26
	s_mul_i32 s18, s18, s9
	s_add_i32 s26, s26, s19
	s_mul_hi_u32 s60, s8, s18
	s_mul_i32 s61, s8, s18
	s_mul_hi_u32 s18, s9, s18
	s_mul_hi_u32 s66, s9, s26
	s_mul_i32 s9, s9, s26
	s_mul_hi_u32 s19, s8, s26
	s_add_u32 s9, s18, s9
	s_addc_u32 s18, 0, s66
	s_add_u32 s9, s9, s61
	s_mul_i32 s26, s8, s26
	s_addc_u32 s9, s18, s60
	s_addc_u32 s18, s19, 0
	s_add_u32 s9, s9, s26
	s_addc_u32 s18, 0, s18
	v_add_co_u32 v2, s9, v2, s9
	s_delay_alu instid0(VALU_DEP_1) | instskip(SKIP_1) | instid1(VALU_DEP_1)
	s_cmp_lg_u32 s9, 0
	s_addc_u32 s8, s8, s18
	v_readfirstlane_b32 s9, v2
	s_mul_i32 s19, s88, s8
	s_mul_hi_u32 s18, s88, s8
	s_mul_hi_u32 s26, s27, s8
	s_mul_i32 s8, s27, s8
	s_mul_hi_u32 s60, s88, s9
	s_mul_hi_u32 s61, s27, s9
	s_mul_i32 s9, s27, s9
	s_add_u32 s19, s60, s19
	s_addc_u32 s18, 0, s18
	s_add_u32 s9, s19, s9
	s_addc_u32 s9, s18, s61
	s_addc_u32 s18, s26, 0
	s_add_u32 s8, s9, s8
	s_addc_u32 s9, 0, s18
	s_mul_hi_u32 s18, s33, s8
	s_mul_i32 s8, s33, s8
	s_mul_i32 s9, s33, s9
	v_sub_co_u32 v2, s8, s88, s8
	s_add_i32 s18, s18, s9
	s_cmp_lg_u32 s8, 0
	s_delay_alu instid0(VALU_DEP_1) | instskip(SKIP_3) | instid1(VALU_DEP_2)
	v_sub_co_u32 v3, s8, v2, s33
	s_subb_u32 s9, s27, s18
	s_cmp_lg_u32 s8, 0
	v_cmp_le_u32_e32 vcc_lo, s33, v2
	v_cmp_le_u32_e64 s8, s33, v3
	v_sub_co_u32 v6, s18, v3, s33
	s_subb_u32 s19, s9, 0
	s_cmp_lg_u32 s18, 0
	s_delay_alu instid0(VALU_DEP_2)
	v_cndmask_b32_e64 v7, 0, -1, s8
	s_subb_u32 s18, s19, 0
	s_cmp_eq_u32 s19, 0
	v_mov_b32_e32 v18, s18
	v_cndmask_b32_e64 v12, 0, -1, vcc_lo
	s_cselect_b32 vcc_lo, -1, 0
	s_cmp_eq_u32 s9, 0
	v_cndmask_b32_e32 v7, -1, v7, vcc_lo
	s_cselect_b32 vcc_lo, -1, 0
	v_cndmask_b32_e32 v12, -1, v12, vcc_lo
	s_delay_alu instid0(VALU_DEP_2) | instskip(NEXT) | instid1(VALU_DEP_2)
	v_cmp_ne_u32_e32 vcc_lo, 0, v7
	v_cmp_ne_u32_e64 s8, 0, v12
	v_cndmask_b32_e32 v7, s19, v18, vcc_lo
	v_cndmask_b32_e32 v6, v3, v6, vcc_lo
	s_delay_alu instid0(VALU_DEP_2) | instskip(NEXT) | instid1(VALU_DEP_2)
	v_cndmask_b32_e64 v3, s9, v7, s8
	v_cndmask_b32_e64 v2, v2, v6, s8
	s_cbranch_execnz .LBB126_199
.LBB126_198:                            ;   in Loop: Header=BB126_18 Depth=1
	v_cvt_f32_u32_e32 v2, s33
	s_sub_i32 s8, 0, s33
	s_delay_alu instid0(VALU_DEP_1) | instskip(SKIP_2) | instid1(VALU_DEP_1)
	v_rcp_iflag_f32_e32 v2, v2
	s_waitcnt_depctr 0xfff
	v_mul_f32_e32 v2, 0x4f7ffffe, v2
	v_cvt_u32_f32_e32 v2, v2
	s_delay_alu instid0(VALU_DEP_1) | instskip(NEXT) | instid1(VALU_DEP_1)
	v_mul_lo_u32 v3, s8, v2
	v_mul_hi_u32 v3, v2, v3
	s_delay_alu instid0(VALU_DEP_1) | instskip(NEXT) | instid1(VALU_DEP_1)
	v_add_nc_u32_e32 v2, v2, v3
	v_mul_hi_u32 v2, s88, v2
	s_delay_alu instid0(VALU_DEP_1) | instskip(NEXT) | instid1(VALU_DEP_1)
	v_mul_lo_u32 v2, v2, s33
	v_sub_nc_u32_e32 v2, s88, v2
	s_delay_alu instid0(VALU_DEP_1) | instskip(SKIP_1) | instid1(VALU_DEP_2)
	v_subrev_nc_u32_e32 v3, s33, v2
	v_cmp_le_u32_e32 vcc_lo, s33, v2
	v_cndmask_b32_e32 v2, v2, v3, vcc_lo
	s_delay_alu instid0(VALU_DEP_1) | instskip(SKIP_1) | instid1(VALU_DEP_2)
	v_subrev_nc_u32_e32 v3, s33, v2
	v_cmp_le_u32_e32 vcc_lo, s33, v2
	v_cndmask_b32_e32 v12, v2, v3, vcc_lo
	s_delay_alu instid0(VALU_DEP_1)
	v_dual_mov_b32 v2, v12 :: v_dual_mov_b32 v3, v13
.LBB126_199:                            ;   in Loop: Header=BB126_18 Depth=1
	s_delay_alu instid0(VALU_DEP_1) | instskip(NEXT) | instid1(VALU_DEP_2)
	v_sub_co_u32 v2, vcc_lo, s88, v2
	v_sub_co_ci_u32_e32 v3, vcc_lo, s27, v3, vcc_lo
	s_mov_b32 s8, 0
	s_mov_b32 s9, exec_lo
                                        ; implicit-def: $vgpr18
	s_delay_alu instid0(VALU_DEP_1)
	v_cmpx_gt_u64_e64 v[2:3], v[0:1]
	s_cbranch_execz .LBB126_207
; %bb.200:                              ;   in Loop: Header=BB126_18 Depth=1
	v_dual_mov_b32 v7, v1 :: v_dual_mov_b32 v6, v0
	s_mov_b32 s18, 0
                                        ; implicit-def: $sgpr19
	s_branch .LBB126_202
.LBB126_201:                            ;   in Loop: Header=BB126_202 Depth=2
	s_or_b32 exec_lo, exec_lo, s8
	s_waitcnt lgkmcnt(0)
	s_barrier
	buffer_gl0_inv
	ds_load_u16 v12, v13 offset:3072
	v_add_co_u32 v6, vcc_lo, v6, s33
	v_add_co_ci_u32_e32 v7, vcc_lo, 0, v7, vcc_lo
	s_waitcnt lgkmcnt(0)
	s_barrier
	buffer_gl0_inv
	v_cmp_ge_u64_e32 vcc_lo, v[6:7], v[2:3]
	v_and_b32_e32 v18, 0xff, v12
	s_delay_alu instid0(VALU_DEP_1) | instskip(NEXT) | instid1(VALU_DEP_1)
	v_cmp_ne_u16_e64 s8, 0, v18
	s_or_b32 s26, vcc_lo, s8
	s_delay_alu instid0(SALU_CYCLE_1) | instskip(NEXT) | instid1(SALU_CYCLE_1)
	s_and_b32 s26, exec_lo, s26
	s_or_b32 s18, s26, s18
	s_and_not1_b32 s19, s19, exec_lo
	s_and_b32 s8, s8, exec_lo
	s_delay_alu instid0(SALU_CYCLE_1)
	s_or_b32 s19, s19, s8
	s_and_not1_b32 exec_lo, exec_lo, s18
	s_cbranch_execz .LBB126_206
.LBB126_202:                            ;   Parent Loop BB126_18 Depth=1
                                        ; =>  This Inner Loop Header: Depth=2
	s_delay_alu instid0(VALU_DEP_1)
	v_cmp_gt_u64_e32 vcc_lo, s[36:37], v[6:7]
	v_mov_b32_e32 v12, 0
	s_and_saveexec_b32 s8, vcc_lo
	s_cbranch_execz .LBB126_204
; %bb.203:                              ;   in Loop: Header=BB126_202 Depth=2
	v_mad_u64_u32 v[18:19], null, v6, s30, s[28:29]
	v_mul_lo_u32 v12, v6, s31
	v_mul_lo_u32 v20, v7, s30
	s_delay_alu instid0(VALU_DEP_1)
	v_add3_u32 v19, v20, v19, v12
	global_load_u8 v12, v[18:19], off
.LBB126_204:                            ;   in Loop: Header=BB126_202 Depth=2
	s_or_b32 exec_lo, exec_lo, s8
	s_waitcnt vmcnt(0)
	v_and_b32_e32 v18, v12, v9
	s_delay_alu instid0(VALU_DEP_1) | instskip(NEXT) | instid1(VALU_DEP_1)
	v_and_b32_e32 v18, 0xff, v18
	v_cmp_eq_u32_e64 s8, v18, v8
	s_delay_alu instid0(VALU_DEP_1) | instskip(NEXT) | instid1(SALU_CYCLE_1)
	s_and_b32 s26, vcc_lo, s8
	s_and_saveexec_b32 s8, s26
	s_cbranch_execz .LBB126_201
; %bb.205:                              ;   in Loop: Header=BB126_202 Depth=2
	v_lshlrev_b16 v12, 8, v12
	s_delay_alu instid0(VALU_DEP_1)
	v_or_b32_e32 v12, 1, v12
	ds_store_b16 v13, v12 offset:3072
	s_branch .LBB126_201
.LBB126_206:                            ;   in Loop: Header=BB126_18 Depth=1
	s_or_b32 exec_lo, exec_lo, s18
	v_lshrrev_b16 v18, 8, v12
	s_and_b32 s8, s19, exec_lo
.LBB126_207:                            ;   in Loop: Header=BB126_18 Depth=1
	s_or_b32 exec_lo, exec_lo, s9
	s_mov_b32 s84, -1
	s_mov_b32 s82, 0
	s_mov_b32 s83, 0
.LBB126_208:                            ;   in Loop: Header=BB126_18 Depth=1
	s_or_not1_b32 s8, s8, exec_lo
.LBB126_209:                            ;   in Loop: Header=BB126_18 Depth=1
	s_or_b32 exec_lo, exec_lo, s71
	s_mov_b32 s26, 0
                                        ; implicit-def: $vgpr6
	s_and_saveexec_b32 s85, s8
	s_cbranch_execz .LBB126_272
; %bb.210:                              ;   in Loop: Header=BB126_18 Depth=1
	v_mov_b32_e32 v2, 1
	v_dual_mov_b32 v3, 0 :: v_dual_mov_b32 v6, 1
	s_xor_b32 s9, s70, -1
	s_delay_alu instid0(SALU_CYCLE_1)
	s_and_saveexec_b32 s8, s9
	s_cbranch_execz .LBB126_220
; %bb.211:                              ;   in Loop: Header=BB126_18 Depth=1
	s_mov_b32 s18, exec_lo
                                        ; implicit-def: $sgpr19
                                        ; implicit-def: $sgpr9
	v_cmpx_ge_u64_e64 s[14:15], v[4:5]
	s_xor_b32 s18, exec_lo, s18
	s_cbranch_execz .LBB126_217
; %bb.212:                              ;   in Loop: Header=BB126_18 Depth=1
	ds_load_b64 v[2:3], v13 offset:5120
	s_waitcnt lgkmcnt(0)
	v_cmp_ne_u64_e32 vcc_lo, 0, v[2:3]
	s_cbranch_vccnz .LBB126_216
; %bb.213:                              ;   in Loop: Header=BB126_18 Depth=1
	s_and_saveexec_b32 s9, s5
	s_cbranch_execz .LBB126_215
; %bb.214:                              ;   in Loop: Header=BB126_18 Depth=1
	v_dual_mov_b32 v2, s14 :: v_dual_mov_b32 v3, s15
	ds_store_b64 v13, v[2:3] offset:5128
.LBB126_215:                            ;   in Loop: Header=BB126_18 Depth=1
	s_or_b32 exec_lo, exec_lo, s9
	s_waitcnt lgkmcnt(0)
	s_barrier
	buffer_gl0_inv
.LBB126_216:                            ;   in Loop: Header=BB126_18 Depth=1
	s_lshl_b32 s9, 2, s22
	v_or_b32_e32 v9, s20, v9
	v_and_or_b32 v8, v8, s21, s9
	s_mov_b32 s9, 0
	s_mov_b32 s19, 8
.LBB126_217:                            ;   in Loop: Header=BB126_18 Depth=1
	s_or_saveexec_b32 s18, s18
	v_mov_b32_e32 v6, s19
	s_xor_b32 exec_lo, exec_lo, s18
; %bb.218:                              ;   in Loop: Header=BB126_18 Depth=1
	v_sub_co_u32 v4, vcc_lo, v4, s14
	v_subrev_co_ci_u32_e32 v5, vcc_lo, s15, v5, vcc_lo
	v_mov_b32_e32 v6, 0
	s_or_b32 s9, s9, exec_lo
; %bb.219:                              ;   in Loop: Header=BB126_18 Depth=1
	s_or_b32 exec_lo, exec_lo, s18
	s_delay_alu instid0(VALU_DEP_2)
	v_dual_mov_b32 v2, v4 :: v_dual_mov_b32 v3, v5
	s_and_b32 s26, s9, exec_lo
.LBB126_220:                            ;   in Loop: Header=BB126_18 Depth=1
	s_or_b32 exec_lo, exec_lo, s8
	s_mov_b32 s19, -1
                                        ; implicit-def: $sgpr8
                                        ; implicit-def: $sgpr18
                                        ; implicit-def: $sgpr9
	s_and_saveexec_b32 s70, s26
	s_cbranch_execz .LBB126_271
; %bb.221:                              ;   in Loop: Header=BB126_18 Depth=1
	v_cmp_eq_u64_e32 vcc_lo, 1, v[2:3]
	s_cmp_eq_u64 s[16:17], 1
	s_mov_b32 s26, -1
	s_cselect_b32 s8, -1, 0
                                        ; implicit-def: $sgpr18
                                        ; implicit-def: $sgpr9
	s_delay_alu instid0(SALU_CYCLE_1) | instskip(NEXT) | instid1(SALU_CYCLE_1)
	s_and_b32 s71, s8, vcc_lo
                                        ; implicit-def: $sgpr8
	s_and_saveexec_b32 s60, s71
	s_cbranch_execz .LBB126_258
; %bb.222:                              ;   in Loop: Header=BB126_18 Depth=1
	ds_load_b64 v[4:5], v13 offset:5120
	s_waitcnt lgkmcnt(0)
	s_barrier
	buffer_gl0_inv
	v_readfirstlane_b32 s18, v4
	v_readfirstlane_b32 s19, v5
	s_and_saveexec_b32 s8, s6
	s_cbranch_execz .LBB126_224
; %bb.223:                              ;   in Loop: Header=BB126_18 Depth=1
	ds_store_b8 v0, v13 offset:3072
.LBB126_224:                            ;   in Loop: Header=BB126_18 Depth=1
	s_or_b32 exec_lo, exec_lo, s8
	v_or_b32_e32 v8, s20, v8
	v_or_b32_e32 v9, s20, v9
	s_cmp_eq_u64 s[18:19], 0
	s_waitcnt lgkmcnt(0)
	s_barrier
	buffer_gl0_inv
	s_cbranch_scc1 .LBB126_229
; %bb.225:                              ;   in Loop: Header=BB126_18 Depth=1
	s_add_u32 s26, s86, s18
	s_addc_u32 s9, s87, s19
	s_mov_b32 s8, s73
	s_delay_alu instid0(SALU_CYCLE_1)
	s_cmp_lg_u64 s[8:9], 0
	s_cbranch_scc0 .LBB126_230
; %bb.226:                              ;   in Loop: Header=BB126_18 Depth=1
	v_cvt_f32_u32_e32 v4, s33
	s_sub_u32 s66, 0, s33
	s_subb_u32 s67, 0, 0
	s_delay_alu instid0(VALU_DEP_1) | instskip(NEXT) | instid1(VALU_DEP_1)
	v_fmac_f32_e64 v4, 0, 0x4f800000
	v_rcp_f32_e32 v4, v4
	s_waitcnt_depctr 0xfff
	v_mul_f32_e32 v4, 0x5f7ffffc, v4
	s_delay_alu instid0(VALU_DEP_1) | instskip(NEXT) | instid1(VALU_DEP_1)
	v_mul_f32_e32 v5, 0x2f800000, v4
	v_trunc_f32_e32 v5, v5
	s_delay_alu instid0(VALU_DEP_1) | instskip(SKIP_1) | instid1(VALU_DEP_2)
	v_fmac_f32_e32 v4, 0xcf800000, v5
	v_cvt_u32_f32_e32 v5, v5
	v_cvt_u32_f32_e32 v4, v4
	s_delay_alu instid0(VALU_DEP_2) | instskip(NEXT) | instid1(VALU_DEP_2)
	v_readfirstlane_b32 s8, v5
	v_readfirstlane_b32 s61, v4
	s_delay_alu instid0(VALU_DEP_2) | instskip(NEXT) | instid1(VALU_DEP_1)
	s_mul_i32 vcc_lo, s66, s8
	s_mul_hi_u32 s49, s66, s61
	s_mul_i32 s48, s67, s61
	s_add_i32 s49, s49, vcc_lo
	s_mul_i32 s50, s66, s61
	s_add_i32 s49, s49, s48
	s_mul_hi_u32 s51, s61, s50
	s_mul_hi_u32 vcc_lo, s8, s50
	s_mul_i32 s48, s8, s50
	s_mul_hi_u32 s50, s61, s49
	s_mul_i32 s61, s61, s49
	s_mul_hi_u32 s52, s8, s49
	s_add_u32 s51, s51, s61
	s_addc_u32 s50, 0, s50
	s_add_u32 s48, s51, s48
	s_mul_i32 s49, s8, s49
	s_addc_u32 s48, s50, vcc_lo
	s_addc_u32 s50, s52, 0
	s_add_u32 s48, s48, s49
	s_addc_u32 s49, 0, s50
	v_add_co_u32 v4, s48, v4, s48
	s_delay_alu instid0(VALU_DEP_1) | instskip(SKIP_1) | instid1(VALU_DEP_1)
	s_cmp_lg_u32 s48, 0
	s_addc_u32 s8, s8, s49
	v_readfirstlane_b32 s48, v4
	s_mul_i32 s49, s66, s8
	s_delay_alu instid0(VALU_DEP_1)
	s_mul_hi_u32 s50, s66, s48
	s_mul_i32 s67, s67, s48
	s_add_i32 s49, s50, s49
	s_mul_i32 s66, s66, s48
	s_add_i32 s49, s49, s67
	s_mul_hi_u32 s52, s48, s66
	s_mul_hi_u32 s54, s48, s49
	s_mul_i32 s48, s48, s49
	s_mul_i32 s51, s8, s66
	s_add_u32 s48, s52, s48
	s_mul_hi_u32 s50, s8, s66
	s_addc_u32 s52, 0, s54
	s_mul_hi_u32 s53, s8, s49
	s_add_u32 s48, s48, s51
	s_mul_i32 s49, s8, s49
	s_addc_u32 s48, s52, s50
	s_addc_u32 s50, s53, 0
	s_add_u32 s48, s48, s49
	s_addc_u32 s49, 0, s50
	v_add_co_u32 v4, s48, v4, s48
	s_delay_alu instid0(VALU_DEP_1) | instskip(SKIP_1) | instid1(VALU_DEP_1)
	s_cmp_lg_u32 s48, 0
	s_addc_u32 s8, s8, s49
	v_readfirstlane_b32 s48, v4
	s_mul_i32 s50, s26, s8
	s_mul_hi_u32 s49, s26, s8
	s_mul_hi_u32 s51, s9, s8
	s_mul_i32 s8, s9, s8
	s_mul_hi_u32 s52, s26, s48
	s_mul_hi_u32 s53, s9, s48
	s_mul_i32 s48, s9, s48
	s_add_u32 s50, s52, s50
	s_addc_u32 s49, 0, s49
	s_add_u32 s48, s50, s48
	s_addc_u32 s48, s49, s53
	s_addc_u32 s49, s51, 0
	s_add_u32 s8, s48, s8
	s_addc_u32 s48, 0, s49
	s_mul_hi_u32 s49, s33, s8
	s_mul_i32 s8, s33, s8
	s_mul_i32 s48, s33, s48
	v_sub_co_u32 v4, s8, s26, s8
	s_add_i32 s49, s49, s48
	s_cmp_lg_u32 s8, 0
	s_delay_alu instid0(VALU_DEP_1) | instskip(SKIP_3) | instid1(VALU_DEP_2)
	v_sub_co_u32 v5, s8, v4, s33
	s_subb_u32 s48, s9, s49
	s_cmp_lg_u32 s8, 0
	v_cmp_le_u32_e32 vcc_lo, s33, v4
	v_cmp_le_u32_e64 s8, s33, v5
	v_sub_co_u32 v6, s49, v5, s33
	s_subb_u32 s50, s48, 0
	s_cmp_lg_u32 s49, 0
	s_delay_alu instid0(VALU_DEP_2)
	v_cndmask_b32_e64 v7, 0, -1, s8
	s_subb_u32 s49, s50, 0
	s_cmp_eq_u32 s50, 0
	v_mov_b32_e32 v18, s49
	v_cndmask_b32_e64 v12, 0, -1, vcc_lo
	s_cselect_b32 vcc_lo, -1, 0
	s_cmp_eq_u32 s48, 0
	v_cndmask_b32_e32 v7, -1, v7, vcc_lo
	s_cselect_b32 vcc_lo, -1, 0
	v_cndmask_b32_e32 v12, -1, v12, vcc_lo
	s_delay_alu instid0(VALU_DEP_2) | instskip(NEXT) | instid1(VALU_DEP_2)
	v_cmp_ne_u32_e32 vcc_lo, 0, v7
	v_cmp_ne_u32_e64 s8, 0, v12
	v_cndmask_b32_e32 v7, s50, v18, vcc_lo
	v_cndmask_b32_e32 v6, v5, v6, vcc_lo
	s_delay_alu instid0(VALU_DEP_2) | instskip(NEXT) | instid1(VALU_DEP_2)
	v_cndmask_b32_e64 v5, s48, v7, s8
	v_cndmask_b32_e64 v4, v4, v6, s8
	s_mov_b32 s8, 0
	s_branch .LBB126_231
.LBB126_227:                            ;   in Loop: Header=BB126_18 Depth=1
                                        ; implicit-def: $vgpr2_vgpr3
	s_branch .LBB126_183
.LBB126_228:                            ;   in Loop: Header=BB126_18 Depth=1
                                        ; implicit-def: $vgpr2_vgpr3
	s_branch .LBB126_198
.LBB126_229:                            ;   in Loop: Header=BB126_18 Depth=1
	s_mov_b32 s8, -1
	s_mov_b32 s26, 0
                                        ; implicit-def: $sgpr9
                                        ; implicit-def: $vgpr18
	s_branch .LBB126_242
.LBB126_230:                            ;   in Loop: Header=BB126_18 Depth=1
	s_mov_b32 s8, -1
                                        ; implicit-def: $vgpr4_vgpr5
.LBB126_231:                            ;   in Loop: Header=BB126_18 Depth=1
	s_delay_alu instid0(SALU_CYCLE_1)
	s_and_not1_b32 vcc_lo, exec_lo, s8
	s_cbranch_vccnz .LBB126_233
; %bb.232:                              ;   in Loop: Header=BB126_18 Depth=1
	v_cvt_f32_u32_e32 v4, s33
	s_sub_i32 s8, 0, s33
	s_delay_alu instid0(VALU_DEP_1) | instskip(SKIP_2) | instid1(VALU_DEP_1)
	v_rcp_iflag_f32_e32 v4, v4
	s_waitcnt_depctr 0xfff
	v_mul_f32_e32 v4, 0x4f7ffffe, v4
	v_cvt_u32_f32_e32 v4, v4
	s_delay_alu instid0(VALU_DEP_1) | instskip(NEXT) | instid1(VALU_DEP_1)
	v_mul_lo_u32 v5, s8, v4
	v_mul_hi_u32 v5, v4, v5
	s_delay_alu instid0(VALU_DEP_1) | instskip(NEXT) | instid1(VALU_DEP_1)
	v_add_nc_u32_e32 v4, v4, v5
	v_mul_hi_u32 v4, s26, v4
	s_delay_alu instid0(VALU_DEP_1) | instskip(NEXT) | instid1(VALU_DEP_1)
	v_mul_lo_u32 v4, v4, s33
	v_sub_nc_u32_e32 v4, s26, v4
	s_delay_alu instid0(VALU_DEP_1) | instskip(SKIP_1) | instid1(VALU_DEP_2)
	v_subrev_nc_u32_e32 v5, s33, v4
	v_cmp_le_u32_e32 vcc_lo, s33, v4
	v_cndmask_b32_e32 v4, v4, v5, vcc_lo
	s_delay_alu instid0(VALU_DEP_1) | instskip(SKIP_1) | instid1(VALU_DEP_2)
	v_subrev_nc_u32_e32 v5, s33, v4
	v_cmp_le_u32_e32 vcc_lo, s33, v4
	v_cndmask_b32_e32 v12, v4, v5, vcc_lo
	s_delay_alu instid0(VALU_DEP_1)
	v_dual_mov_b32 v4, v12 :: v_dual_mov_b32 v5, v13
.LBB126_233:                            ;   in Loop: Header=BB126_18 Depth=1
	s_delay_alu instid0(VALU_DEP_1) | instskip(NEXT) | instid1(VALU_DEP_2)
	v_sub_co_u32 v4, vcc_lo, s26, v4
	v_sub_co_ci_u32_e32 v5, vcc_lo, s9, v5, vcc_lo
	s_mov_b32 s26, 0
	s_mov_b32 s9, exec_lo
                                        ; implicit-def: $vgpr18
	s_delay_alu instid0(VALU_DEP_1)
	v_cmpx_gt_u64_e64 v[4:5], v[0:1]
	s_cbranch_execz .LBB126_241
; %bb.234:                              ;   in Loop: Header=BB126_18 Depth=1
	v_dual_mov_b32 v12, v0 :: v_dual_mov_b32 v7, v1
	v_mov_b32_e32 v6, v0
                                        ; implicit-def: $sgpr61
	s_set_inst_prefetch_distance 0x1
	s_branch .LBB126_236
	.p2align	6
.LBB126_235:                            ;   in Loop: Header=BB126_236 Depth=2
	s_or_b32 exec_lo, exec_lo, s8
	s_waitcnt lgkmcnt(0)
	s_barrier
	buffer_gl0_inv
	ds_load_u16 v18, v13 offset:3072
	v_add_co_u32 v6, vcc_lo, v6, s33
	v_add_co_ci_u32_e32 v7, vcc_lo, 0, v7, vcc_lo
	v_add_nc_u32_e32 v12, s33, v12
	s_waitcnt lgkmcnt(0)
	s_barrier
	s_delay_alu instid0(VALU_DEP_2) | instskip(SKIP_2) | instid1(VALU_DEP_1)
	v_cmp_ge_u64_e32 vcc_lo, v[6:7], v[4:5]
	buffer_gl0_inv
	v_and_b32_e32 v19, 0xff, v18
	v_cmp_ne_u16_e64 s8, 0, v19
	s_delay_alu instid0(VALU_DEP_1) | instskip(NEXT) | instid1(SALU_CYCLE_1)
	s_or_b32 s48, vcc_lo, s8
	s_and_b32 s48, exec_lo, s48
	s_delay_alu instid0(SALU_CYCLE_1) | instskip(SKIP_2) | instid1(SALU_CYCLE_1)
	s_or_b32 s26, s48, s26
	s_and_not1_b32 s48, s61, exec_lo
	s_and_b32 s8, s8, exec_lo
	s_or_b32 s61, s48, s8
	s_and_not1_b32 exec_lo, exec_lo, s26
	s_cbranch_execz .LBB126_240
.LBB126_236:                            ;   Parent Loop BB126_18 Depth=1
                                        ; =>  This Inner Loop Header: Depth=2
	s_delay_alu instid0(VALU_DEP_1)
	v_cmp_gt_u64_e32 vcc_lo, s[18:19], v[6:7]
	v_mov_b32_e32 v18, 0
	s_and_saveexec_b32 s8, vcc_lo
	s_cbranch_execz .LBB126_238
; %bb.237:                              ;   in Loop: Header=BB126_236 Depth=2
	ds_load_u8 v18, v12
.LBB126_238:                            ;   in Loop: Header=BB126_236 Depth=2
	s_or_b32 exec_lo, exec_lo, s8
	s_waitcnt lgkmcnt(0)
	v_and_b32_e32 v19, v18, v9
	s_delay_alu instid0(VALU_DEP_1) | instskip(NEXT) | instid1(VALU_DEP_1)
	v_and_b32_e32 v19, 0xff, v19
	v_cmp_eq_u32_e64 s8, v19, v8
	s_delay_alu instid0(VALU_DEP_1) | instskip(NEXT) | instid1(SALU_CYCLE_1)
	s_and_b32 s48, vcc_lo, s8
	s_and_saveexec_b32 s8, s48
	s_cbranch_execz .LBB126_235
; %bb.239:                              ;   in Loop: Header=BB126_236 Depth=2
	v_lshlrev_b16 v18, 8, v18
	s_delay_alu instid0(VALU_DEP_1)
	v_or_b32_e32 v18, 1, v18
	ds_store_b16 v13, v18 offset:3072
	s_branch .LBB126_235
.LBB126_240:                            ;   in Loop: Header=BB126_18 Depth=1
	s_set_inst_prefetch_distance 0x2
	s_or_b32 exec_lo, exec_lo, s26
	v_lshrrev_b16 v18, 8, v18
	s_and_b32 s26, s61, exec_lo
.LBB126_241:                            ;   in Loop: Header=BB126_18 Depth=1
	s_or_b32 exec_lo, exec_lo, s9
	s_mov_b32 s9, -1
	s_mov_b32 s8, 0
.LBB126_242:                            ;   in Loop: Header=BB126_18 Depth=1
	s_delay_alu instid0(SALU_CYCLE_1)
	s_and_b32 vcc_lo, exec_lo, s8
	s_mov_b32 s18, s8
	s_cbranch_vccz .LBB126_257
; %bb.243:                              ;   in Loop: Header=BB126_18 Depth=1
	s_mov_b32 s26, s73
	s_delay_alu instid0(SALU_CYCLE_1)
	s_cmp_lg_u64 s[26:27], 0
	s_cbranch_scc0 .LBB126_245
; %bb.244:                              ;   in Loop: Header=BB126_18 Depth=1
	v_cvt_f32_u32_e32 v4, s33
	s_sub_u32 s18, 0, s33
	s_subb_u32 s19, 0, 0
	s_delay_alu instid0(VALU_DEP_1) | instskip(NEXT) | instid1(VALU_DEP_1)
	v_fmac_f32_e64 v4, 0, 0x4f800000
	v_rcp_f32_e32 v4, v4
	s_waitcnt_depctr 0xfff
	v_mul_f32_e32 v4, 0x5f7ffffc, v4
	s_delay_alu instid0(VALU_DEP_1) | instskip(NEXT) | instid1(VALU_DEP_1)
	v_mul_f32_e32 v5, 0x2f800000, v4
	v_trunc_f32_e32 v5, v5
	s_delay_alu instid0(VALU_DEP_1) | instskip(SKIP_1) | instid1(VALU_DEP_2)
	v_fmac_f32_e32 v4, 0xcf800000, v5
	v_cvt_u32_f32_e32 v5, v5
	v_cvt_u32_f32_e32 v4, v4
	s_delay_alu instid0(VALU_DEP_2) | instskip(NEXT) | instid1(VALU_DEP_2)
	v_readfirstlane_b32 s8, v5
	v_readfirstlane_b32 s9, v4
	s_delay_alu instid0(VALU_DEP_2) | instskip(NEXT) | instid1(VALU_DEP_1)
	s_mul_i32 s26, s18, s8
	s_mul_hi_u32 s49, s18, s9
	s_mul_i32 s48, s19, s9
	s_add_i32 s26, s49, s26
	s_mul_i32 s50, s18, s9
	s_add_i32 s26, s26, s48
	s_mul_hi_u32 s49, s9, s50
	s_mul_hi_u32 s51, s8, s50
	s_mul_i32 s48, s8, s50
	s_mul_hi_u32 s50, s9, s26
	s_mul_i32 s9, s9, s26
	s_mul_hi_u32 s52, s8, s26
	s_add_u32 s9, s49, s9
	s_addc_u32 s49, 0, s50
	s_add_u32 s9, s9, s48
	s_mul_i32 s26, s8, s26
	s_addc_u32 s9, s49, s51
	s_addc_u32 s48, s52, 0
	s_add_u32 s9, s9, s26
	s_addc_u32 s26, 0, s48
	v_add_co_u32 v4, s9, v4, s9
	s_delay_alu instid0(VALU_DEP_1) | instskip(SKIP_1) | instid1(VALU_DEP_1)
	s_cmp_lg_u32 s9, 0
	s_addc_u32 s8, s8, s26
	v_readfirstlane_b32 s9, v4
	s_mul_i32 s26, s18, s8
	s_delay_alu instid0(VALU_DEP_1)
	s_mul_hi_u32 s48, s18, s9
	s_mul_i32 s19, s19, s9
	s_add_i32 s26, s48, s26
	s_mul_i32 s18, s18, s9
	s_add_i32 s26, s26, s19
	s_mul_hi_u32 s48, s8, s18
	s_mul_i32 s49, s8, s18
	s_mul_hi_u32 s18, s9, s18
	s_mul_hi_u32 s50, s9, s26
	s_mul_i32 s9, s9, s26
	s_mul_hi_u32 s19, s8, s26
	s_add_u32 s9, s18, s9
	s_addc_u32 s18, 0, s50
	s_add_u32 s9, s9, s49
	s_mul_i32 s26, s8, s26
	s_addc_u32 s9, s18, s48
	s_addc_u32 s18, s19, 0
	s_add_u32 s9, s9, s26
	s_addc_u32 s18, 0, s18
	v_add_co_u32 v4, s9, v4, s9
	s_delay_alu instid0(VALU_DEP_1) | instskip(SKIP_1) | instid1(VALU_DEP_1)
	s_cmp_lg_u32 s9, 0
	s_addc_u32 s8, s8, s18
	v_readfirstlane_b32 s9, v4
	s_mul_i32 s19, s88, s8
	s_mul_hi_u32 s18, s88, s8
	s_mul_hi_u32 s26, s27, s8
	s_mul_i32 s8, s27, s8
	s_mul_hi_u32 s48, s88, s9
	s_mul_hi_u32 s49, s27, s9
	s_mul_i32 s9, s27, s9
	s_add_u32 s19, s48, s19
	s_addc_u32 s18, 0, s18
	s_add_u32 s9, s19, s9
	s_addc_u32 s9, s18, s49
	s_addc_u32 s18, s26, 0
	s_add_u32 s8, s9, s8
	s_addc_u32 s9, 0, s18
	s_mul_hi_u32 s18, s33, s8
	s_mul_i32 s8, s33, s8
	s_mul_i32 s9, s33, s9
	v_sub_co_u32 v4, s8, s88, s8
	s_add_i32 s18, s18, s9
	s_cmp_lg_u32 s8, 0
	s_delay_alu instid0(VALU_DEP_1) | instskip(SKIP_3) | instid1(VALU_DEP_2)
	v_sub_co_u32 v5, s8, v4, s33
	s_subb_u32 s9, s27, s18
	s_cmp_lg_u32 s8, 0
	v_cmp_le_u32_e32 vcc_lo, s33, v4
	v_cmp_le_u32_e64 s8, s33, v5
	v_sub_co_u32 v6, s18, v5, s33
	s_subb_u32 s19, s9, 0
	s_cmp_lg_u32 s18, 0
	s_delay_alu instid0(VALU_DEP_2)
	v_cndmask_b32_e64 v7, 0, -1, s8
	s_subb_u32 s18, s19, 0
	s_cmp_eq_u32 s19, 0
	v_mov_b32_e32 v18, s18
	v_cndmask_b32_e64 v12, 0, -1, vcc_lo
	s_cselect_b32 vcc_lo, -1, 0
	s_cmp_eq_u32 s9, 0
	v_cndmask_b32_e32 v7, -1, v7, vcc_lo
	s_cselect_b32 vcc_lo, -1, 0
	v_cndmask_b32_e32 v12, -1, v12, vcc_lo
	s_delay_alu instid0(VALU_DEP_2) | instskip(NEXT) | instid1(VALU_DEP_2)
	v_cmp_ne_u32_e32 vcc_lo, 0, v7
	v_cmp_ne_u32_e64 s8, 0, v12
	v_cndmask_b32_e32 v7, s19, v18, vcc_lo
	v_cndmask_b32_e32 v6, v5, v6, vcc_lo
	s_delay_alu instid0(VALU_DEP_2) | instskip(NEXT) | instid1(VALU_DEP_2)
	v_cndmask_b32_e64 v5, s9, v7, s8
	v_cndmask_b32_e64 v4, v4, v6, s8
	s_mov_b32 s8, 0
	s_branch .LBB126_246
.LBB126_245:                            ;   in Loop: Header=BB126_18 Depth=1
	s_mov_b32 s8, -1
                                        ; implicit-def: $vgpr4_vgpr5
.LBB126_246:                            ;   in Loop: Header=BB126_18 Depth=1
	s_delay_alu instid0(SALU_CYCLE_1)
	s_and_not1_b32 vcc_lo, exec_lo, s8
	s_cbranch_vccnz .LBB126_248
; %bb.247:                              ;   in Loop: Header=BB126_18 Depth=1
	v_cvt_f32_u32_e32 v4, s33
	s_sub_i32 s8, 0, s33
	s_delay_alu instid0(VALU_DEP_1) | instskip(SKIP_2) | instid1(VALU_DEP_1)
	v_rcp_iflag_f32_e32 v4, v4
	s_waitcnt_depctr 0xfff
	v_mul_f32_e32 v4, 0x4f7ffffe, v4
	v_cvt_u32_f32_e32 v4, v4
	s_delay_alu instid0(VALU_DEP_1) | instskip(NEXT) | instid1(VALU_DEP_1)
	v_mul_lo_u32 v5, s8, v4
	v_mul_hi_u32 v5, v4, v5
	s_delay_alu instid0(VALU_DEP_1) | instskip(NEXT) | instid1(VALU_DEP_1)
	v_add_nc_u32_e32 v4, v4, v5
	v_mul_hi_u32 v4, s88, v4
	s_delay_alu instid0(VALU_DEP_1) | instskip(NEXT) | instid1(VALU_DEP_1)
	v_mul_lo_u32 v4, v4, s33
	v_sub_nc_u32_e32 v4, s88, v4
	s_delay_alu instid0(VALU_DEP_1) | instskip(SKIP_1) | instid1(VALU_DEP_2)
	v_subrev_nc_u32_e32 v5, s33, v4
	v_cmp_le_u32_e32 vcc_lo, s33, v4
	v_cndmask_b32_e32 v4, v4, v5, vcc_lo
	s_delay_alu instid0(VALU_DEP_1) | instskip(SKIP_1) | instid1(VALU_DEP_2)
	v_subrev_nc_u32_e32 v5, s33, v4
	v_cmp_le_u32_e32 vcc_lo, s33, v4
	v_cndmask_b32_e32 v12, v4, v5, vcc_lo
	s_delay_alu instid0(VALU_DEP_1)
	v_dual_mov_b32 v4, v12 :: v_dual_mov_b32 v5, v13
.LBB126_248:                            ;   in Loop: Header=BB126_18 Depth=1
	s_delay_alu instid0(VALU_DEP_1) | instskip(NEXT) | instid1(VALU_DEP_2)
	v_sub_co_u32 v4, vcc_lo, s88, v4
	v_sub_co_ci_u32_e32 v5, vcc_lo, s27, v5, vcc_lo
	s_mov_b32 s26, 0
	s_mov_b32 s9, exec_lo
                                        ; implicit-def: $vgpr18
	s_delay_alu instid0(VALU_DEP_1)
	v_cmpx_gt_u64_e64 v[4:5], v[0:1]
	s_cbranch_execz .LBB126_256
; %bb.249:                              ;   in Loop: Header=BB126_18 Depth=1
	v_dual_mov_b32 v7, v1 :: v_dual_mov_b32 v6, v0
	s_mov_b32 s18, 0
                                        ; implicit-def: $sgpr19
	s_branch .LBB126_251
.LBB126_250:                            ;   in Loop: Header=BB126_251 Depth=2
	s_or_b32 exec_lo, exec_lo, s8
	s_waitcnt lgkmcnt(0)
	s_barrier
	buffer_gl0_inv
	ds_load_u16 v12, v13 offset:3072
	v_add_co_u32 v6, vcc_lo, v6, s33
	v_add_co_ci_u32_e32 v7, vcc_lo, 0, v7, vcc_lo
	s_waitcnt lgkmcnt(0)
	s_barrier
	buffer_gl0_inv
	v_cmp_ge_u64_e32 vcc_lo, v[6:7], v[4:5]
	v_and_b32_e32 v18, 0xff, v12
	s_delay_alu instid0(VALU_DEP_1) | instskip(NEXT) | instid1(VALU_DEP_1)
	v_cmp_ne_u16_e64 s8, 0, v18
	s_or_b32 s26, vcc_lo, s8
	s_delay_alu instid0(SALU_CYCLE_1) | instskip(NEXT) | instid1(SALU_CYCLE_1)
	s_and_b32 s26, exec_lo, s26
	s_or_b32 s18, s26, s18
	s_and_not1_b32 s19, s19, exec_lo
	s_and_b32 s8, s8, exec_lo
	s_delay_alu instid0(SALU_CYCLE_1)
	s_or_b32 s19, s19, s8
	s_and_not1_b32 exec_lo, exec_lo, s18
	s_cbranch_execz .LBB126_255
.LBB126_251:                            ;   Parent Loop BB126_18 Depth=1
                                        ; =>  This Inner Loop Header: Depth=2
	s_delay_alu instid0(VALU_DEP_1)
	v_cmp_gt_u64_e32 vcc_lo, s[36:37], v[6:7]
	v_mov_b32_e32 v12, 0
	s_and_saveexec_b32 s8, vcc_lo
	s_cbranch_execz .LBB126_253
; %bb.252:                              ;   in Loop: Header=BB126_251 Depth=2
	v_mad_u64_u32 v[18:19], null, v6, s30, s[28:29]
	v_mul_lo_u32 v12, v6, s31
	v_mul_lo_u32 v20, v7, s30
	s_delay_alu instid0(VALU_DEP_1)
	v_add3_u32 v19, v20, v19, v12
	global_load_u8 v12, v[18:19], off
.LBB126_253:                            ;   in Loop: Header=BB126_251 Depth=2
	s_or_b32 exec_lo, exec_lo, s8
	s_waitcnt vmcnt(0)
	v_and_b32_e32 v18, v12, v9
	s_delay_alu instid0(VALU_DEP_1) | instskip(NEXT) | instid1(VALU_DEP_1)
	v_and_b32_e32 v18, 0xff, v18
	v_cmp_eq_u32_e64 s8, v18, v8
	s_delay_alu instid0(VALU_DEP_1) | instskip(NEXT) | instid1(SALU_CYCLE_1)
	s_and_b32 s26, vcc_lo, s8
	s_and_saveexec_b32 s8, s26
	s_cbranch_execz .LBB126_250
; %bb.254:                              ;   in Loop: Header=BB126_251 Depth=2
	v_lshlrev_b16 v12, 8, v12
	s_delay_alu instid0(VALU_DEP_1)
	v_or_b32_e32 v12, 1, v12
	ds_store_b16 v13, v12 offset:3072
	s_branch .LBB126_250
.LBB126_255:                            ;   in Loop: Header=BB126_18 Depth=1
	s_or_b32 exec_lo, exec_lo, s18
	v_lshrrev_b16 v18, 8, v12
	s_and_b32 s26, s19, exec_lo
.LBB126_256:                            ;   in Loop: Header=BB126_18 Depth=1
	s_or_b32 exec_lo, exec_lo, s9
	s_mov_b32 s18, -1
	s_mov_b32 s8, 0
	s_mov_b32 s9, 0
.LBB126_257:                            ;   in Loop: Header=BB126_18 Depth=1
	s_or_not1_b32 s26, s26, exec_lo
.LBB126_258:                            ;   in Loop: Header=BB126_18 Depth=1
	s_or_b32 exec_lo, exec_lo, s60
	s_mov_b32 s60, 0
                                        ; implicit-def: $vgpr6
                                        ; implicit-def: $vgpr4_vgpr5
	s_and_saveexec_b32 s19, s26
	s_cbranch_execz .LBB126_270
; %bb.259:                              ;   in Loop: Header=BB126_18 Depth=1
	v_mov_b32_e32 v4, 1
	v_dual_mov_b32 v5, 0 :: v_dual_mov_b32 v6, 1
	s_xor_b32 s48, s71, -1
	s_delay_alu instid0(SALU_CYCLE_1)
	s_and_saveexec_b32 s26, s48
	s_cbranch_execz .LBB126_269
; %bb.260:                              ;   in Loop: Header=BB126_18 Depth=1
                                        ; implicit-def: $sgpr61
	s_mov_b32 s48, exec_lo
	v_cmpx_ge_u64_e64 s[16:17], v[2:3]
	s_xor_b32 s60, exec_lo, s48
	s_cbranch_execz .LBB126_266
; %bb.261:                              ;   in Loop: Header=BB126_18 Depth=1
	ds_load_b64 v[4:5], v13 offset:5120
	s_waitcnt lgkmcnt(0)
	v_cmp_ne_u64_e32 vcc_lo, 0, v[4:5]
	s_cbranch_vccnz .LBB126_265
; %bb.262:                              ;   in Loop: Header=BB126_18 Depth=1
	s_and_saveexec_b32 s61, s5
	s_cbranch_execz .LBB126_264
; %bb.263:                              ;   in Loop: Header=BB126_18 Depth=1
	v_dual_mov_b32 v4, s16 :: v_dual_mov_b32 v5, s17
	ds_store_b64 v13, v[4:5] offset:5128
.LBB126_264:                            ;   in Loop: Header=BB126_18 Depth=1
	s_or_b32 exec_lo, exec_lo, s61
	s_waitcnt lgkmcnt(0)
	s_barrier
	buffer_gl0_inv
.LBB126_265:                            ;   in Loop: Header=BB126_18 Depth=1
	v_or_b32_e32 v8, s20, v8
	v_or_b32_e32 v9, s20, v9
	s_mov_b32 s61, 8
.LBB126_266:                            ;   in Loop: Header=BB126_18 Depth=1
	s_or_saveexec_b32 s60, s60
	v_mov_b32_e32 v6, s61
	s_xor_b32 exec_lo, exec_lo, s60
; %bb.267:                              ;   in Loop: Header=BB126_18 Depth=1
	v_sub_co_u32 v2, vcc_lo, v2, s16
	v_subrev_co_ci_u32_e32 v3, vcc_lo, s17, v3, vcc_lo
	v_mov_b32_e32 v6, 8
; %bb.268:                              ;   in Loop: Header=BB126_18 Depth=1
	s_or_b32 exec_lo, exec_lo, s60
	s_delay_alu instid0(VALU_DEP_2)
	v_dual_mov_b32 v5, v3 :: v_dual_mov_b32 v4, v2
.LBB126_269:                            ;   in Loop: Header=BB126_18 Depth=1
	s_or_b32 exec_lo, exec_lo, s26
	s_delay_alu instid0(SALU_CYCLE_1)
	s_mov_b32 s60, exec_lo
.LBB126_270:                            ;   in Loop: Header=BB126_18 Depth=1
	s_or_b32 exec_lo, exec_lo, s19
	s_delay_alu instid0(VALU_DEP_1)
	v_dual_mov_b32 v2, v4 :: v_dual_mov_b32 v3, v5
	s_or_not1_b32 s19, s60, exec_lo
.LBB126_271:                            ;   in Loop: Header=BB126_18 Depth=1
	s_or_b32 exec_lo, exec_lo, s70
	s_delay_alu instid0(SALU_CYCLE_1)
	s_and_not1_b32 s26, s82, exec_lo
	s_and_b32 s8, s8, exec_lo
	v_dual_mov_b32 v5, v3 :: v_dual_mov_b32 v4, v2
	s_or_b32 s82, s26, s8
	s_and_not1_b32 s8, s84, exec_lo
	s_and_b32 s18, s18, exec_lo
	s_and_not1_b32 s26, s83, exec_lo
	s_and_b32 s9, s9, exec_lo
	s_or_b32 s84, s8, s18
	s_or_b32 s83, s26, s9
	s_and_b32 s26, s19, exec_lo
.LBB126_272:                            ;   in Loop: Header=BB126_18 Depth=1
	s_or_b32 exec_lo, exec_lo, s85
	s_delay_alu instid0(SALU_CYCLE_1)
	s_and_b32 s19, s82, exec_lo
	s_and_b32 s18, s84, exec_lo
	;; [unrolled: 1-line block ×3, first 2 shown]
	s_or_not1_b32 s8, s26, exec_lo
.LBB126_273:                            ;   in Loop: Header=BB126_18 Depth=1
	s_or_b32 exec_lo, exec_lo, s81
	s_delay_alu instid0(SALU_CYCLE_1)
	s_and_not1_b32 s25, s25, exec_lo
	s_and_b32 s19, s19, exec_lo
	v_dual_mov_b32 v2, v4 :: v_dual_mov_b32 v3, v5
	s_or_b32 s25, s25, s19
	s_and_not1_b32 s19, s79, exec_lo
	s_and_b32 s18, s18, exec_lo
	s_and_not1_b32 s26, s78, exec_lo
	s_and_b32 s9, s9, exec_lo
	s_or_b32 s79, s19, s18
	s_or_b32 s78, s26, s9
	s_and_b32 s26, s8, exec_lo
.LBB126_274:                            ;   in Loop: Header=BB126_18 Depth=1
	s_or_b32 exec_lo, exec_lo, s80
	s_delay_alu instid0(SALU_CYCLE_1)
	s_and_b32 s19, s25, exec_lo
	s_and_b32 s18, s79, exec_lo
	;; [unrolled: 1-line block ×3, first 2 shown]
	s_or_not1_b32 s25, s26, exec_lo
.LBB126_275:                            ;   in Loop: Header=BB126_18 Depth=1
	s_or_b32 exec_lo, exec_lo, s24
	s_mov_b32 s8, 0
	s_mov_b32 s24, 0
	s_and_saveexec_b32 s26, s25
	s_delay_alu instid0(SALU_CYCLE_1)
	s_xor_b32 s25, exec_lo, s26
; %bb.276:                              ;   in Loop: Header=BB126_18 Depth=1
	v_cmp_ne_u32_e32 vcc_lo, 8, v6
	v_cmp_eq_u32_e64 s8, 8, v6
	s_and_not1_b32 s19, s19, exec_lo
	s_and_not1_b32 s18, s18, exec_lo
	;; [unrolled: 1-line block ×3, first 2 shown]
	s_and_b32 s24, vcc_lo, exec_lo
	s_and_b32 s8, s8, exec_lo
; %bb.277:                              ;   in Loop: Header=BB126_18 Depth=1
	s_or_b32 exec_lo, exec_lo, s25
	s_delay_alu instid0(SALU_CYCLE_1)
	s_and_not1_b32 s23, s23, exec_lo
	s_and_b32 s19, s19, exec_lo
	s_and_b32 s18, s18, exec_lo
	s_or_b32 s23, s23, s19
	s_and_not1_b32 s19, s72, exec_lo
	s_and_not1_b32 s25, s69, exec_lo
	s_and_b32 s9, s9, exec_lo
	s_or_b32 s72, s19, s18
	s_or_b32 s69, s25, s9
	s_and_b32 s24, s24, exec_lo
	s_and_b32 s25, s8, exec_lo
.LBB126_278:                            ;   in Loop: Header=BB126_18 Depth=1
	s_or_b32 exec_lo, exec_lo, s77
	s_delay_alu instid0(SALU_CYCLE_1)
	s_and_b32 vcc_lo, exec_lo, s76
	s_cbranch_vccz .LBB126_104
.LBB126_279:                            ;   in Loop: Header=BB126_18 Depth=1
	s_cmp_eq_u64 s[16:17], 1
                                        ; implicit-def: $sgpr18
                                        ; implicit-def: $sgpr19
                                        ; implicit-def: $sgpr23
	s_cselect_b32 s8, -1, 0
	s_delay_alu instid0(SALU_CYCLE_1)
	s_and_b32 s70, s8, s7
	s_mov_b32 s7, -1
	s_and_saveexec_b32 s60, s70
	s_cbranch_execz .LBB126_309
; %bb.280:                              ;   in Loop: Header=BB126_18 Depth=1
	ds_load_b64 v[2:3], v13 offset:5120
	s_waitcnt lgkmcnt(0)
	s_barrier
	buffer_gl0_inv
	v_readfirstlane_b32 s8, v2
	v_readfirstlane_b32 s9, v3
	s_and_saveexec_b32 s7, s6
	s_cbranch_execz .LBB126_282
; %bb.281:                              ;   in Loop: Header=BB126_18 Depth=1
	ds_store_b8 v0, v13 offset:3072
.LBB126_282:                            ;   in Loop: Header=BB126_18 Depth=1
	s_or_b32 exec_lo, exec_lo, s7
	v_or_b32_e32 v27, s20, v27
	v_or_b32_e32 v26, s20, v26
	s_cmp_eq_u64 s[8:9], 0
	s_waitcnt lgkmcnt(0)
	s_barrier
	buffer_gl0_inv
	s_cbranch_scc1 .LBB126_293
; %bb.283:                              ;   in Loop: Header=BB126_18 Depth=1
	s_add_u32 s23, s86, s8
	s_addc_u32 s19, s87, s9
	s_mov_b32 s18, s73
	s_delay_alu instid0(SALU_CYCLE_1)
	s_cmp_lg_u64 s[18:19], 0
	s_cbranch_scc0 .LBB126_335
; %bb.284:                              ;   in Loop: Header=BB126_18 Depth=1
	v_cvt_f32_u32_e32 v2, s33
	s_sub_u32 s26, 0, s33
	s_subb_u32 s61, 0, 0
	s_delay_alu instid0(VALU_DEP_1) | instskip(NEXT) | instid1(VALU_DEP_1)
	v_fmac_f32_e64 v2, 0, 0x4f800000
	v_rcp_f32_e32 v2, v2
	s_waitcnt_depctr 0xfff
	v_mul_f32_e32 v2, 0x5f7ffffc, v2
	s_delay_alu instid0(VALU_DEP_1) | instskip(NEXT) | instid1(VALU_DEP_1)
	v_mul_f32_e32 v3, 0x2f800000, v2
	v_trunc_f32_e32 v3, v3
	s_delay_alu instid0(VALU_DEP_1) | instskip(SKIP_1) | instid1(VALU_DEP_2)
	v_fmac_f32_e32 v2, 0xcf800000, v3
	v_cvt_u32_f32_e32 v3, v3
	v_cvt_u32_f32_e32 v2, v2
	s_delay_alu instid0(VALU_DEP_2) | instskip(NEXT) | instid1(VALU_DEP_2)
	v_readfirstlane_b32 s7, v3
	v_readfirstlane_b32 s18, v2
	s_delay_alu instid0(VALU_DEP_2) | instskip(NEXT) | instid1(VALU_DEP_1)
	s_mul_i32 s69, s26, s7
	s_mul_hi_u32 s72, s26, s18
	s_mul_i32 s71, s61, s18
	s_add_i32 s69, s72, s69
	s_mul_i32 s76, s26, s18
	s_add_i32 s69, s69, s71
	s_mul_hi_u32 s72, s18, s76
	s_mul_hi_u32 s77, s7, s76
	s_mul_i32 s71, s7, s76
	s_mul_hi_u32 s76, s18, s69
	s_mul_i32 s18, s18, s69
	s_mul_hi_u32 s78, s7, s69
	s_add_u32 s18, s72, s18
	s_addc_u32 s72, 0, s76
	s_add_u32 s18, s18, s71
	s_mul_i32 s69, s7, s69
	s_addc_u32 s18, s72, s77
	s_addc_u32 s71, s78, 0
	s_add_u32 s18, s18, s69
	s_addc_u32 s69, 0, s71
	v_add_co_u32 v2, s18, v2, s18
	s_delay_alu instid0(VALU_DEP_1) | instskip(SKIP_1) | instid1(VALU_DEP_1)
	s_cmp_lg_u32 s18, 0
	s_addc_u32 s7, s7, s69
	v_readfirstlane_b32 s18, v2
	s_mul_i32 s69, s26, s7
	s_delay_alu instid0(VALU_DEP_1)
	s_mul_hi_u32 s71, s26, s18
	s_mul_i32 s61, s61, s18
	s_add_i32 s69, s71, s69
	s_mul_i32 s26, s26, s18
	s_add_i32 s69, s69, s61
	s_mul_hi_u32 s71, s7, s26
	s_mul_i32 s72, s7, s26
	s_mul_hi_u32 s26, s18, s26
	s_mul_hi_u32 s76, s18, s69
	s_mul_i32 s18, s18, s69
	s_mul_hi_u32 s61, s7, s69
	s_add_u32 s18, s26, s18
	s_addc_u32 s26, 0, s76
	s_add_u32 s18, s18, s72
	s_mul_i32 s69, s7, s69
	s_addc_u32 s18, s26, s71
	s_addc_u32 s26, s61, 0
	s_add_u32 s18, s18, s69
	s_addc_u32 s26, 0, s26
	v_add_co_u32 v2, s18, v2, s18
	s_delay_alu instid0(VALU_DEP_1) | instskip(SKIP_1) | instid1(VALU_DEP_1)
	s_cmp_lg_u32 s18, 0
	s_addc_u32 s7, s7, s26
	v_readfirstlane_b32 s18, v2
	s_mul_i32 s61, s23, s7
	s_mul_hi_u32 s26, s23, s7
	s_mul_hi_u32 s69, s19, s7
	s_mul_i32 s7, s19, s7
	s_mul_hi_u32 s71, s23, s18
	s_mul_hi_u32 s72, s19, s18
	s_mul_i32 s18, s19, s18
	s_add_u32 s61, s71, s61
	s_addc_u32 s26, 0, s26
	s_add_u32 s18, s61, s18
	s_addc_u32 s18, s26, s72
	s_addc_u32 s26, s69, 0
	s_add_u32 s7, s18, s7
	s_addc_u32 s18, 0, s26
	s_mul_hi_u32 s26, s33, s7
	s_mul_i32 s7, s33, s7
	s_mul_i32 s18, s33, s18
	v_sub_co_u32 v2, s7, s23, s7
	s_add_i32 s26, s26, s18
	s_cmp_lg_u32 s7, 0
	s_delay_alu instid0(VALU_DEP_1) | instskip(SKIP_2) | instid1(VALU_DEP_1)
	v_sub_co_u32 v3, s7, v2, s33
	s_subb_u32 s18, s19, s26
	s_cmp_lg_u32 s7, 0
	v_cmp_le_u32_e32 vcc_lo, s33, v3
	v_sub_co_u32 v4, s7, v3, s33
	s_subb_u32 s26, s18, 0
	s_cmp_lg_u32 s7, 0
	v_cndmask_b32_e64 v5, 0, -1, vcc_lo
	s_subb_u32 s7, s26, 0
	s_cmp_eq_u32 s26, 0
	v_mov_b32_e32 v7, s7
	s_cselect_b32 vcc_lo, -1, 0
	s_cmp_eq_u32 s18, 0
	v_cndmask_b32_e32 v5, -1, v5, vcc_lo
	v_cmp_le_u32_e32 vcc_lo, s33, v2
	s_cselect_b32 s7, -1, 0
	v_cndmask_b32_e64 v6, 0, -1, vcc_lo
	s_delay_alu instid0(VALU_DEP_3) | instskip(NEXT) | instid1(VALU_DEP_2)
	v_cmp_ne_u32_e32 vcc_lo, 0, v5
	v_cndmask_b32_e64 v5, -1, v6, s7
	v_cndmask_b32_e32 v6, s26, v7, vcc_lo
	v_cndmask_b32_e32 v4, v3, v4, vcc_lo
	s_delay_alu instid0(VALU_DEP_3) | instskip(NEXT) | instid1(VALU_DEP_3)
	v_cmp_ne_u32_e32 vcc_lo, 0, v5
	v_cndmask_b32_e32 v3, s18, v6, vcc_lo
	s_delay_alu instid0(VALU_DEP_3)
	v_cndmask_b32_e32 v2, v2, v4, vcc_lo
	s_cbranch_execnz .LBB126_286
.LBB126_285:                            ;   in Loop: Header=BB126_18 Depth=1
	v_cvt_f32_u32_e32 v2, s33
	s_sub_i32 s7, 0, s33
	s_delay_alu instid0(VALU_DEP_1) | instskip(SKIP_2) | instid1(VALU_DEP_1)
	v_rcp_iflag_f32_e32 v2, v2
	s_waitcnt_depctr 0xfff
	v_mul_f32_e32 v2, 0x4f7ffffe, v2
	v_cvt_u32_f32_e32 v2, v2
	s_delay_alu instid0(VALU_DEP_1) | instskip(NEXT) | instid1(VALU_DEP_1)
	v_mul_lo_u32 v3, s7, v2
	v_mul_hi_u32 v3, v2, v3
	s_delay_alu instid0(VALU_DEP_1) | instskip(NEXT) | instid1(VALU_DEP_1)
	v_add_nc_u32_e32 v2, v2, v3
	v_mul_hi_u32 v2, s23, v2
	s_delay_alu instid0(VALU_DEP_1) | instskip(NEXT) | instid1(VALU_DEP_1)
	v_mul_lo_u32 v2, v2, s33
	v_sub_nc_u32_e32 v2, s23, v2
	s_delay_alu instid0(VALU_DEP_1) | instskip(SKIP_1) | instid1(VALU_DEP_2)
	v_subrev_nc_u32_e32 v3, s33, v2
	v_cmp_le_u32_e32 vcc_lo, s33, v2
	v_cndmask_b32_e32 v2, v2, v3, vcc_lo
	s_delay_alu instid0(VALU_DEP_1) | instskip(SKIP_1) | instid1(VALU_DEP_2)
	v_subrev_nc_u32_e32 v3, s33, v2
	v_cmp_le_u32_e32 vcc_lo, s33, v2
	v_cndmask_b32_e32 v12, v2, v3, vcc_lo
	s_delay_alu instid0(VALU_DEP_1)
	v_dual_mov_b32 v2, v12 :: v_dual_mov_b32 v3, v13
.LBB126_286:                            ;   in Loop: Header=BB126_18 Depth=1
	s_delay_alu instid0(VALU_DEP_1) | instskip(NEXT) | instid1(VALU_DEP_2)
	v_sub_co_u32 v2, vcc_lo, s23, v2
	v_sub_co_ci_u32_e32 v3, vcc_lo, s19, v3, vcc_lo
	s_mov_b32 s7, 0
	s_mov_b32 s18, exec_lo
                                        ; implicit-def: $vgpr28
	s_delay_alu instid0(VALU_DEP_1)
	v_cmpx_gt_u64_e64 v[2:3], v[0:1]
	s_cbranch_execz .LBB126_295
; %bb.287:                              ;   in Loop: Header=BB126_18 Depth=1
	v_dual_mov_b32 v6, v0 :: v_dual_mov_b32 v5, v1
	v_mov_b32_e32 v4, v0
	s_mov_b32 s19, 0
                                        ; implicit-def: $sgpr23
	s_set_inst_prefetch_distance 0x1
	s_branch .LBB126_289
	.p2align	6
.LBB126_288:                            ;   in Loop: Header=BB126_289 Depth=2
	s_or_b32 exec_lo, exec_lo, s7
	s_waitcnt lgkmcnt(0)
	s_barrier
	buffer_gl0_inv
	ds_load_u16 v7, v13 offset:3072
	v_add_co_u32 v4, vcc_lo, v4, s33
	v_add_co_ci_u32_e32 v5, vcc_lo, 0, v5, vcc_lo
	v_add_nc_u32_e32 v6, s33, v6
	s_waitcnt lgkmcnt(0)
	s_barrier
	s_delay_alu instid0(VALU_DEP_2) | instskip(SKIP_2) | instid1(VALU_DEP_1)
	v_cmp_ge_u64_e32 vcc_lo, v[4:5], v[2:3]
	buffer_gl0_inv
	v_and_b32_e32 v8, 0xff, v7
	v_cmp_ne_u16_e64 s7, 0, v8
	s_delay_alu instid0(VALU_DEP_1) | instskip(NEXT) | instid1(SALU_CYCLE_1)
	s_or_b32 s26, vcc_lo, s7
	s_and_b32 s26, exec_lo, s26
	s_delay_alu instid0(SALU_CYCLE_1) | instskip(SKIP_2) | instid1(SALU_CYCLE_1)
	s_or_b32 s19, s26, s19
	s_and_not1_b32 s23, s23, exec_lo
	s_and_b32 s7, s7, exec_lo
	s_or_b32 s23, s23, s7
	s_and_not1_b32 exec_lo, exec_lo, s19
	s_cbranch_execz .LBB126_294
.LBB126_289:                            ;   Parent Loop BB126_18 Depth=1
                                        ; =>  This Inner Loop Header: Depth=2
	s_delay_alu instid0(VALU_DEP_1)
	v_cmp_gt_u64_e32 vcc_lo, s[8:9], v[4:5]
	v_mov_b32_e32 v7, 0
	s_and_saveexec_b32 s7, vcc_lo
	s_cbranch_execz .LBB126_291
; %bb.290:                              ;   in Loop: Header=BB126_289 Depth=2
	ds_load_u8 v7, v6
.LBB126_291:                            ;   in Loop: Header=BB126_289 Depth=2
	s_or_b32 exec_lo, exec_lo, s7
	s_waitcnt lgkmcnt(0)
	v_and_b32_e32 v8, v7, v26
	s_delay_alu instid0(VALU_DEP_1) | instskip(NEXT) | instid1(VALU_DEP_1)
	v_and_b32_e32 v8, 0xff, v8
	v_cmp_eq_u32_e64 s7, v8, v27
	s_delay_alu instid0(VALU_DEP_1) | instskip(NEXT) | instid1(SALU_CYCLE_1)
	s_and_b32 s26, vcc_lo, s7
	s_and_saveexec_b32 s7, s26
	s_cbranch_execz .LBB126_288
; %bb.292:                              ;   in Loop: Header=BB126_289 Depth=2
	v_lshlrev_b16 v7, 8, v7
	s_delay_alu instid0(VALU_DEP_1)
	v_or_b32_e32 v7, 1, v7
	ds_store_b16 v13, v7 offset:3072
	s_branch .LBB126_288
.LBB126_293:                            ;   in Loop: Header=BB126_18 Depth=1
	s_mov_b32 s18, -1
	s_mov_b32 s7, 0
                                        ; implicit-def: $sgpr19
                                        ; implicit-def: $vgpr28
	s_mov_b32 s23, s18
	s_cbranch_execnz .LBB126_296
	s_branch .LBB126_308
.LBB126_294:                            ;   in Loop: Header=BB126_18 Depth=1
	s_set_inst_prefetch_distance 0x2
	s_or_b32 exec_lo, exec_lo, s19
	v_lshrrev_b16 v28, 8, v7
	s_and_b32 s7, s23, exec_lo
.LBB126_295:                            ;   in Loop: Header=BB126_18 Depth=1
	s_or_b32 exec_lo, exec_lo, s18
	s_mov_b32 s18, 0
	s_mov_b32 s19, -1
	s_mov_b32 s23, s18
	s_branch .LBB126_308
.LBB126_296:                            ;   in Loop: Header=BB126_18 Depth=1
	s_mov_b32 s26, s73
	s_delay_alu instid0(SALU_CYCLE_1)
	s_cmp_lg_u64 s[26:27], 0
	s_cbranch_scc0 .LBB126_336
; %bb.297:                              ;   in Loop: Header=BB126_18 Depth=1
	v_cvt_f32_u32_e32 v2, s33
	s_sub_u32 s9, 0, s33
	s_subb_u32 s18, 0, 0
	s_delay_alu instid0(VALU_DEP_1) | instskip(NEXT) | instid1(VALU_DEP_1)
	v_fmac_f32_e64 v2, 0, 0x4f800000
	v_rcp_f32_e32 v2, v2
	s_waitcnt_depctr 0xfff
	v_mul_f32_e32 v2, 0x5f7ffffc, v2
	s_delay_alu instid0(VALU_DEP_1) | instskip(NEXT) | instid1(VALU_DEP_1)
	v_mul_f32_e32 v3, 0x2f800000, v2
	v_trunc_f32_e32 v3, v3
	s_delay_alu instid0(VALU_DEP_1) | instskip(SKIP_1) | instid1(VALU_DEP_2)
	v_fmac_f32_e32 v2, 0xcf800000, v3
	v_cvt_u32_f32_e32 v3, v3
	v_cvt_u32_f32_e32 v2, v2
	s_delay_alu instid0(VALU_DEP_2) | instskip(NEXT) | instid1(VALU_DEP_2)
	v_readfirstlane_b32 s7, v3
	v_readfirstlane_b32 s8, v2
	s_delay_alu instid0(VALU_DEP_2) | instskip(NEXT) | instid1(VALU_DEP_1)
	s_mul_i32 s19, s9, s7
	s_mul_hi_u32 s26, s9, s8
	s_mul_i32 s23, s18, s8
	s_add_i32 s19, s26, s19
	s_mul_i32 s61, s9, s8
	s_add_i32 s19, s19, s23
	s_mul_hi_u32 s26, s8, s61
	s_mul_hi_u32 s69, s7, s61
	s_mul_i32 s23, s7, s61
	s_mul_hi_u32 s61, s8, s19
	s_mul_i32 s8, s8, s19
	s_mul_hi_u32 s71, s7, s19
	s_add_u32 s8, s26, s8
	s_addc_u32 s26, 0, s61
	s_add_u32 s8, s8, s23
	s_mul_i32 s19, s7, s19
	s_addc_u32 s8, s26, s69
	s_addc_u32 s23, s71, 0
	s_add_u32 s8, s8, s19
	s_addc_u32 s19, 0, s23
	v_add_co_u32 v2, s8, v2, s8
	s_delay_alu instid0(VALU_DEP_1) | instskip(SKIP_1) | instid1(VALU_DEP_1)
	s_cmp_lg_u32 s8, 0
	s_addc_u32 s7, s7, s19
	v_readfirstlane_b32 s8, v2
	s_mul_i32 s19, s9, s7
	s_delay_alu instid0(VALU_DEP_1)
	s_mul_hi_u32 s23, s9, s8
	s_mul_i32 s18, s18, s8
	s_add_i32 s19, s23, s19
	s_mul_i32 s9, s9, s8
	s_add_i32 s19, s19, s18
	s_mul_hi_u32 s23, s7, s9
	s_mul_i32 s26, s7, s9
	s_mul_hi_u32 s9, s8, s9
	s_mul_hi_u32 s61, s8, s19
	s_mul_i32 s8, s8, s19
	s_mul_hi_u32 s18, s7, s19
	s_add_u32 s8, s9, s8
	s_addc_u32 s9, 0, s61
	s_add_u32 s8, s8, s26
	s_mul_i32 s19, s7, s19
	s_addc_u32 s8, s9, s23
	s_addc_u32 s9, s18, 0
	s_add_u32 s8, s8, s19
	s_addc_u32 s9, 0, s9
	v_add_co_u32 v2, s8, v2, s8
	s_delay_alu instid0(VALU_DEP_1) | instskip(SKIP_1) | instid1(VALU_DEP_1)
	s_cmp_lg_u32 s8, 0
	s_addc_u32 s7, s7, s9
	v_readfirstlane_b32 s8, v2
	s_mul_i32 s18, s88, s7
	s_mul_hi_u32 s9, s88, s7
	s_mul_hi_u32 s19, s27, s7
	s_mul_i32 s7, s27, s7
	s_mul_hi_u32 s23, s88, s8
	s_mul_hi_u32 s26, s27, s8
	s_mul_i32 s8, s27, s8
	s_add_u32 s18, s23, s18
	s_addc_u32 s9, 0, s9
	s_add_u32 s8, s18, s8
	s_addc_u32 s8, s9, s26
	s_addc_u32 s9, s19, 0
	s_add_u32 s7, s8, s7
	s_addc_u32 s8, 0, s9
	s_mul_hi_u32 s9, s33, s7
	s_mul_i32 s7, s33, s7
	s_mul_i32 s8, s33, s8
	v_sub_co_u32 v2, s7, s88, s7
	s_add_i32 s9, s9, s8
	s_cmp_lg_u32 s7, 0
	s_delay_alu instid0(VALU_DEP_1) | instskip(SKIP_2) | instid1(VALU_DEP_1)
	v_sub_co_u32 v3, s7, v2, s33
	s_subb_u32 s8, s27, s9
	s_cmp_lg_u32 s7, 0
	v_cmp_le_u32_e32 vcc_lo, s33, v3
	v_sub_co_u32 v4, s7, v3, s33
	s_subb_u32 s9, s8, 0
	s_cmp_lg_u32 s7, 0
	v_cndmask_b32_e64 v5, 0, -1, vcc_lo
	s_subb_u32 s7, s9, 0
	s_cmp_eq_u32 s9, 0
	v_mov_b32_e32 v7, s7
	s_cselect_b32 vcc_lo, -1, 0
	s_cmp_eq_u32 s8, 0
	v_cndmask_b32_e32 v5, -1, v5, vcc_lo
	v_cmp_le_u32_e32 vcc_lo, s33, v2
	s_cselect_b32 s7, -1, 0
	v_cndmask_b32_e64 v6, 0, -1, vcc_lo
	s_delay_alu instid0(VALU_DEP_3) | instskip(NEXT) | instid1(VALU_DEP_2)
	v_cmp_ne_u32_e32 vcc_lo, 0, v5
	v_cndmask_b32_e64 v5, -1, v6, s7
	v_cndmask_b32_e32 v6, s9, v7, vcc_lo
	v_cndmask_b32_e32 v4, v3, v4, vcc_lo
	s_delay_alu instid0(VALU_DEP_3) | instskip(NEXT) | instid1(VALU_DEP_3)
	v_cmp_ne_u32_e32 vcc_lo, 0, v5
	v_cndmask_b32_e32 v3, s8, v6, vcc_lo
	s_delay_alu instid0(VALU_DEP_3)
	v_cndmask_b32_e32 v2, v2, v4, vcc_lo
	s_cbranch_execnz .LBB126_299
.LBB126_298:                            ;   in Loop: Header=BB126_18 Depth=1
	v_cvt_f32_u32_e32 v2, s33
	s_sub_i32 s7, 0, s33
	s_delay_alu instid0(VALU_DEP_1) | instskip(SKIP_2) | instid1(VALU_DEP_1)
	v_rcp_iflag_f32_e32 v2, v2
	s_waitcnt_depctr 0xfff
	v_mul_f32_e32 v2, 0x4f7ffffe, v2
	v_cvt_u32_f32_e32 v2, v2
	s_delay_alu instid0(VALU_DEP_1) | instskip(NEXT) | instid1(VALU_DEP_1)
	v_mul_lo_u32 v3, s7, v2
	v_mul_hi_u32 v3, v2, v3
	s_delay_alu instid0(VALU_DEP_1) | instskip(NEXT) | instid1(VALU_DEP_1)
	v_add_nc_u32_e32 v2, v2, v3
	v_mul_hi_u32 v2, s88, v2
	s_delay_alu instid0(VALU_DEP_1) | instskip(NEXT) | instid1(VALU_DEP_1)
	v_mul_lo_u32 v2, v2, s33
	v_sub_nc_u32_e32 v2, s88, v2
	s_delay_alu instid0(VALU_DEP_1) | instskip(SKIP_1) | instid1(VALU_DEP_2)
	v_subrev_nc_u32_e32 v3, s33, v2
	v_cmp_le_u32_e32 vcc_lo, s33, v2
	v_cndmask_b32_e32 v2, v2, v3, vcc_lo
	s_delay_alu instid0(VALU_DEP_1) | instskip(SKIP_1) | instid1(VALU_DEP_2)
	v_subrev_nc_u32_e32 v3, s33, v2
	v_cmp_le_u32_e32 vcc_lo, s33, v2
	v_cndmask_b32_e32 v12, v2, v3, vcc_lo
	s_delay_alu instid0(VALU_DEP_1)
	v_dual_mov_b32 v2, v12 :: v_dual_mov_b32 v3, v13
.LBB126_299:                            ;   in Loop: Header=BB126_18 Depth=1
	s_delay_alu instid0(VALU_DEP_1) | instskip(NEXT) | instid1(VALU_DEP_2)
	v_sub_co_u32 v2, vcc_lo, s88, v2
	v_sub_co_ci_u32_e32 v3, vcc_lo, s27, v3, vcc_lo
	s_mov_b32 s7, 0
	s_mov_b32 s8, exec_lo
                                        ; implicit-def: $vgpr28
	s_delay_alu instid0(VALU_DEP_1)
	v_cmpx_gt_u64_e64 v[2:3], v[0:1]
	s_cbranch_execz .LBB126_307
; %bb.300:                              ;   in Loop: Header=BB126_18 Depth=1
	v_dual_mov_b32 v5, v1 :: v_dual_mov_b32 v4, v0
	s_mov_b32 s9, 0
                                        ; implicit-def: $sgpr18
	s_branch .LBB126_302
.LBB126_301:                            ;   in Loop: Header=BB126_302 Depth=2
	s_or_b32 exec_lo, exec_lo, s7
	s_waitcnt lgkmcnt(0)
	s_barrier
	buffer_gl0_inv
	ds_load_u16 v6, v13 offset:3072
	v_add_co_u32 v4, vcc_lo, v4, s33
	v_add_co_ci_u32_e32 v5, vcc_lo, 0, v5, vcc_lo
	s_waitcnt lgkmcnt(0)
	s_barrier
	buffer_gl0_inv
	v_cmp_ge_u64_e32 vcc_lo, v[4:5], v[2:3]
	v_and_b32_e32 v7, 0xff, v6
	s_delay_alu instid0(VALU_DEP_1) | instskip(NEXT) | instid1(VALU_DEP_1)
	v_cmp_ne_u16_e64 s7, 0, v7
	s_or_b32 s19, vcc_lo, s7
	s_delay_alu instid0(SALU_CYCLE_1) | instskip(NEXT) | instid1(SALU_CYCLE_1)
	s_and_b32 s19, exec_lo, s19
	s_or_b32 s9, s19, s9
	s_and_not1_b32 s18, s18, exec_lo
	s_and_b32 s7, s7, exec_lo
	s_delay_alu instid0(SALU_CYCLE_1)
	s_or_b32 s18, s18, s7
	s_and_not1_b32 exec_lo, exec_lo, s9
	s_cbranch_execz .LBB126_306
.LBB126_302:                            ;   Parent Loop BB126_18 Depth=1
                                        ; =>  This Inner Loop Header: Depth=2
	s_delay_alu instid0(VALU_DEP_1)
	v_cmp_gt_u64_e32 vcc_lo, s[36:37], v[4:5]
	v_mov_b32_e32 v6, 0
	s_and_saveexec_b32 s7, vcc_lo
	s_cbranch_execz .LBB126_304
; %bb.303:                              ;   in Loop: Header=BB126_302 Depth=2
	v_mad_u64_u32 v[6:7], null, v4, s30, s[28:29]
	v_mul_lo_u32 v8, v4, s31
	v_mul_lo_u32 v9, v5, s30
	s_delay_alu instid0(VALU_DEP_1)
	v_add3_u32 v7, v9, v7, v8
	global_load_u8 v6, v[6:7], off
.LBB126_304:                            ;   in Loop: Header=BB126_302 Depth=2
	s_or_b32 exec_lo, exec_lo, s7
	s_waitcnt vmcnt(0)
	v_and_b32_e32 v7, v6, v26
	s_delay_alu instid0(VALU_DEP_1) | instskip(NEXT) | instid1(VALU_DEP_1)
	v_and_b32_e32 v7, 0xff, v7
	v_cmp_eq_u32_e64 s7, v7, v27
	s_delay_alu instid0(VALU_DEP_1) | instskip(NEXT) | instid1(SALU_CYCLE_1)
	s_and_b32 s19, vcc_lo, s7
	s_and_saveexec_b32 s7, s19
	s_cbranch_execz .LBB126_301
; %bb.305:                              ;   in Loop: Header=BB126_302 Depth=2
	v_lshlrev_b16 v6, 8, v6
	s_delay_alu instid0(VALU_DEP_1)
	v_or_b32_e32 v6, 1, v6
	ds_store_b16 v13, v6 offset:3072
	s_branch .LBB126_301
.LBB126_306:                            ;   in Loop: Header=BB126_18 Depth=1
	s_or_b32 exec_lo, exec_lo, s9
	v_lshrrev_b16 v28, 8, v6
	s_and_b32 s7, s18, exec_lo
.LBB126_307:                            ;   in Loop: Header=BB126_18 Depth=1
	s_or_b32 exec_lo, exec_lo, s8
	s_mov_b32 s19, 0
	s_mov_b32 s18, -1
	s_mov_b32 s23, 0
.LBB126_308:                            ;   in Loop: Header=BB126_18 Depth=1
	s_or_not1_b32 s7, s7, exec_lo
.LBB126_309:                            ;   in Loop: Header=BB126_18 Depth=1
	s_or_b32 exec_lo, exec_lo, s60
                                        ; implicit-def: $vgpr6
                                        ; implicit-def: $vgpr2_vgpr3
                                        ; implicit-def: $vgpr8
                                        ; implicit-def: $vgpr9
                                        ; implicit-def: $vgpr18
	s_and_saveexec_b32 s69, s7
	s_cbranch_execz .LBB126_466
; %bb.310:                              ;   in Loop: Header=BB126_18 Depth=1
	v_mov_b32_e32 v2, 1
	v_dual_mov_b32 v3, 0 :: v_dual_mov_b32 v6, 1
	s_xor_b32 s8, s70, -1
	s_mov_b32 s26, 0
	s_and_saveexec_b32 s7, s8
	s_cbranch_execz .LBB126_320
; %bb.311:                              ;   in Loop: Header=BB126_18 Depth=1
	s_mov_b32 s9, exec_lo
                                        ; implicit-def: $sgpr26
                                        ; implicit-def: $sgpr8
	v_cmpx_ge_u64_e64 s[16:17], v[16:17]
	s_xor_b32 s9, exec_lo, s9
	s_cbranch_execz .LBB126_317
; %bb.312:                              ;   in Loop: Header=BB126_18 Depth=1
	ds_load_b64 v[2:3], v13 offset:5120
	s_waitcnt lgkmcnt(0)
	v_cmp_ne_u64_e32 vcc_lo, 0, v[2:3]
	s_cbranch_vccnz .LBB126_316
; %bb.313:                              ;   in Loop: Header=BB126_18 Depth=1
	s_and_saveexec_b32 s8, s5
	s_cbranch_execz .LBB126_315
; %bb.314:                              ;   in Loop: Header=BB126_18 Depth=1
	v_dual_mov_b32 v2, s16 :: v_dual_mov_b32 v3, s17
	ds_store_b64 v13, v[2:3] offset:5128
.LBB126_315:                            ;   in Loop: Header=BB126_18 Depth=1
	s_or_b32 exec_lo, exec_lo, s8
	s_waitcnt lgkmcnt(0)
	s_barrier
	buffer_gl0_inv
.LBB126_316:                            ;   in Loop: Header=BB126_18 Depth=1
	v_or_b32_e32 v27, s20, v27
	v_or_b32_e32 v26, s20, v26
	s_mov_b32 s8, 0
	s_mov_b32 s26, 5
.LBB126_317:                            ;   in Loop: Header=BB126_18 Depth=1
	s_or_saveexec_b32 s9, s9
	v_mov_b32_e32 v6, s26
	s_xor_b32 exec_lo, exec_lo, s9
; %bb.318:                              ;   in Loop: Header=BB126_18 Depth=1
	v_sub_co_u32 v16, vcc_lo, v16, s16
	v_subrev_co_ci_u32_e32 v17, vcc_lo, s17, v17, vcc_lo
	v_mov_b32_e32 v6, 0
	s_or_b32 s8, s8, exec_lo
; %bb.319:                              ;   in Loop: Header=BB126_18 Depth=1
	s_or_b32 exec_lo, exec_lo, s9
	s_delay_alu instid0(VALU_DEP_2)
	v_dual_mov_b32 v2, v16 :: v_dual_mov_b32 v3, v17
	s_and_b32 s26, s8, exec_lo
.LBB126_320:                            ;   in Loop: Header=BB126_18 Depth=1
	s_or_b32 exec_lo, exec_lo, s7
	s_mov_b32 s17, -1
                                        ; implicit-def: $sgpr8
                                        ; implicit-def: $sgpr9
                                        ; implicit-def: $sgpr16
	s_and_saveexec_b32 s7, s26
	s_delay_alu instid0(SALU_CYCLE_1)
	s_xor_b32 s72, exec_lo, s7
	s_cbranch_execz .LBB126_463
; %bb.321:                              ;   in Loop: Header=BB126_18 Depth=1
	v_cmp_eq_u64_e32 vcc_lo, 1, v[2:3]
	s_cmp_eq_u64 s[14:15], 1
                                        ; implicit-def: $sgpr16
                                        ; implicit-def: $sgpr17
                                        ; implicit-def: $sgpr76
	s_cselect_b32 s7, -1, 0
	s_delay_alu instid0(SALU_CYCLE_1)
	s_and_b32 s70, s7, vcc_lo
	s_mov_b32 s7, -1
	s_and_saveexec_b32 s60, s70
	s_cbranch_execz .LBB126_353
; %bb.322:                              ;   in Loop: Header=BB126_18 Depth=1
	ds_load_b64 v[4:5], v13 offset:5120
	s_waitcnt lgkmcnt(0)
	s_barrier
	buffer_gl0_inv
	v_readfirstlane_b32 s8, v4
	v_readfirstlane_b32 s9, v5
	s_and_saveexec_b32 s7, s6
	s_cbranch_execz .LBB126_324
; %bb.323:                              ;   in Loop: Header=BB126_18 Depth=1
	ds_store_b8 v0, v13 offset:3072
.LBB126_324:                            ;   in Loop: Header=BB126_18 Depth=1
	s_or_b32 exec_lo, exec_lo, s7
	s_lshl_b32 s7, 2, s22
	v_or_b32_e32 v26, s20, v26
	v_and_or_b32 v27, v27, s21, s7
	s_cmp_eq_u64 s[8:9], 0
	s_waitcnt lgkmcnt(0)
	s_barrier
	buffer_gl0_inv
	s_cbranch_scc1 .LBB126_337
; %bb.325:                              ;   in Loop: Header=BB126_18 Depth=1
	s_add_u32 s26, s86, s8
	s_addc_u32 s17, s87, s9
	s_mov_b32 s16, s73
	s_delay_alu instid0(SALU_CYCLE_1)
	s_cmp_lg_u64 s[16:17], 0
	s_cbranch_scc0 .LBB126_379
; %bb.326:                              ;   in Loop: Header=BB126_18 Depth=1
	v_cvt_f32_u32_e32 v4, s33
	s_sub_u32 s61, 0, s33
	s_subb_u32 s71, 0, 0
	s_delay_alu instid0(VALU_DEP_1) | instskip(NEXT) | instid1(VALU_DEP_1)
	v_fmac_f32_e64 v4, 0, 0x4f800000
	v_rcp_f32_e32 v4, v4
	s_waitcnt_depctr 0xfff
	v_mul_f32_e32 v4, 0x5f7ffffc, v4
	s_delay_alu instid0(VALU_DEP_1) | instskip(NEXT) | instid1(VALU_DEP_1)
	v_mul_f32_e32 v5, 0x2f800000, v4
	v_trunc_f32_e32 v5, v5
	s_delay_alu instid0(VALU_DEP_1) | instskip(SKIP_1) | instid1(VALU_DEP_2)
	v_fmac_f32_e32 v4, 0xcf800000, v5
	v_cvt_u32_f32_e32 v5, v5
	v_cvt_u32_f32_e32 v4, v4
	s_delay_alu instid0(VALU_DEP_2) | instskip(NEXT) | instid1(VALU_DEP_2)
	v_readfirstlane_b32 s7, v5
	v_readfirstlane_b32 s16, v4
	s_delay_alu instid0(VALU_DEP_2) | instskip(NEXT) | instid1(VALU_DEP_1)
	s_mul_i32 s76, s61, s7
	s_mul_hi_u32 s78, s61, s16
	s_mul_i32 s77, s71, s16
	s_add_i32 s76, s78, s76
	s_mul_i32 s79, s61, s16
	s_add_i32 s76, s76, s77
	s_mul_hi_u32 s78, s16, s79
	s_mul_hi_u32 s80, s7, s79
	s_mul_i32 s77, s7, s79
	s_mul_hi_u32 s79, s16, s76
	s_mul_i32 s16, s16, s76
	s_mul_hi_u32 s81, s7, s76
	s_add_u32 s16, s78, s16
	s_addc_u32 s78, 0, s79
	s_add_u32 s16, s16, s77
	s_mul_i32 s76, s7, s76
	s_addc_u32 s16, s78, s80
	s_addc_u32 s77, s81, 0
	s_add_u32 s16, s16, s76
	s_addc_u32 s76, 0, s77
	v_add_co_u32 v4, s16, v4, s16
	s_delay_alu instid0(VALU_DEP_1) | instskip(SKIP_1) | instid1(VALU_DEP_1)
	s_cmp_lg_u32 s16, 0
	s_addc_u32 s7, s7, s76
	v_readfirstlane_b32 s16, v4
	s_mul_i32 s76, s61, s7
	s_delay_alu instid0(VALU_DEP_1)
	s_mul_hi_u32 s77, s61, s16
	s_mul_i32 s71, s71, s16
	s_add_i32 s76, s77, s76
	s_mul_i32 s61, s61, s16
	s_add_i32 s76, s76, s71
	s_mul_hi_u32 s77, s7, s61
	s_mul_i32 s78, s7, s61
	s_mul_hi_u32 s61, s16, s61
	s_mul_hi_u32 s79, s16, s76
	s_mul_i32 s16, s16, s76
	s_mul_hi_u32 s71, s7, s76
	s_add_u32 s16, s61, s16
	s_addc_u32 s61, 0, s79
	s_add_u32 s16, s16, s78
	s_mul_i32 s76, s7, s76
	s_addc_u32 s16, s61, s77
	s_addc_u32 s61, s71, 0
	s_add_u32 s16, s16, s76
	s_addc_u32 s61, 0, s61
	v_add_co_u32 v4, s16, v4, s16
	s_delay_alu instid0(VALU_DEP_1) | instskip(SKIP_1) | instid1(VALU_DEP_1)
	s_cmp_lg_u32 s16, 0
	s_addc_u32 s7, s7, s61
	v_readfirstlane_b32 s16, v4
	s_mul_i32 s71, s26, s7
	s_mul_hi_u32 s61, s26, s7
	s_mul_hi_u32 s76, s17, s7
	s_mul_i32 s7, s17, s7
	s_mul_hi_u32 s77, s26, s16
	s_mul_hi_u32 s78, s17, s16
	s_mul_i32 s16, s17, s16
	s_add_u32 s71, s77, s71
	s_addc_u32 s61, 0, s61
	s_add_u32 s16, s71, s16
	s_addc_u32 s16, s61, s78
	s_addc_u32 s61, s76, 0
	s_add_u32 s7, s16, s7
	s_addc_u32 s16, 0, s61
	s_mul_hi_u32 s61, s33, s7
	s_mul_i32 s7, s33, s7
	s_mul_i32 s16, s33, s16
	v_sub_co_u32 v4, s7, s26, s7
	s_add_i32 s61, s61, s16
	s_cmp_lg_u32 s7, 0
	s_delay_alu instid0(VALU_DEP_1) | instskip(SKIP_3) | instid1(VALU_DEP_2)
	v_sub_co_u32 v5, s7, v4, s33
	s_subb_u32 s16, s17, s61
	s_cmp_lg_u32 s7, 0
	v_cmp_le_u32_e32 vcc_lo, s33, v4
	v_cmp_le_u32_e64 s7, s33, v5
	v_sub_co_u32 v6, s61, v5, s33
	s_subb_u32 s71, s16, 0
	s_cmp_lg_u32 s61, 0
	s_delay_alu instid0(VALU_DEP_2)
	v_cndmask_b32_e64 v7, 0, -1, s7
	s_subb_u32 s61, s71, 0
	s_cmp_eq_u32 s71, 0
	v_mov_b32_e32 v9, s61
	v_cndmask_b32_e64 v8, 0, -1, vcc_lo
	s_cselect_b32 vcc_lo, -1, 0
	s_cmp_eq_u32 s16, 0
	v_cndmask_b32_e32 v7, -1, v7, vcc_lo
	s_cselect_b32 vcc_lo, -1, 0
	v_cndmask_b32_e32 v8, -1, v8, vcc_lo
	s_delay_alu instid0(VALU_DEP_2) | instskip(NEXT) | instid1(VALU_DEP_2)
	v_cmp_ne_u32_e32 vcc_lo, 0, v7
	v_cmp_ne_u32_e64 s7, 0, v8
	v_cndmask_b32_e32 v7, s71, v9, vcc_lo
	v_cndmask_b32_e32 v6, v5, v6, vcc_lo
	s_delay_alu instid0(VALU_DEP_2) | instskip(NEXT) | instid1(VALU_DEP_2)
	v_cndmask_b32_e64 v5, s16, v7, s7
	v_cndmask_b32_e64 v4, v4, v6, s7
	s_cbranch_execnz .LBB126_328
.LBB126_327:                            ;   in Loop: Header=BB126_18 Depth=1
	v_cvt_f32_u32_e32 v4, s33
	s_sub_i32 s7, 0, s33
	s_delay_alu instid0(VALU_DEP_1) | instskip(SKIP_2) | instid1(VALU_DEP_1)
	v_rcp_iflag_f32_e32 v4, v4
	s_waitcnt_depctr 0xfff
	v_mul_f32_e32 v4, 0x4f7ffffe, v4
	v_cvt_u32_f32_e32 v4, v4
	s_delay_alu instid0(VALU_DEP_1) | instskip(NEXT) | instid1(VALU_DEP_1)
	v_mul_lo_u32 v5, s7, v4
	v_mul_hi_u32 v5, v4, v5
	s_delay_alu instid0(VALU_DEP_1) | instskip(NEXT) | instid1(VALU_DEP_1)
	v_add_nc_u32_e32 v4, v4, v5
	v_mul_hi_u32 v4, s26, v4
	s_delay_alu instid0(VALU_DEP_1) | instskip(NEXT) | instid1(VALU_DEP_1)
	v_mul_lo_u32 v4, v4, s33
	v_sub_nc_u32_e32 v4, s26, v4
	s_delay_alu instid0(VALU_DEP_1) | instskip(SKIP_1) | instid1(VALU_DEP_2)
	v_subrev_nc_u32_e32 v5, s33, v4
	v_cmp_le_u32_e32 vcc_lo, s33, v4
	v_cndmask_b32_e32 v4, v4, v5, vcc_lo
	s_delay_alu instid0(VALU_DEP_1) | instskip(SKIP_1) | instid1(VALU_DEP_2)
	v_subrev_nc_u32_e32 v5, s33, v4
	v_cmp_le_u32_e32 vcc_lo, s33, v4
	v_cndmask_b32_e32 v12, v4, v5, vcc_lo
	s_delay_alu instid0(VALU_DEP_1)
	v_dual_mov_b32 v4, v12 :: v_dual_mov_b32 v5, v13
.LBB126_328:                            ;   in Loop: Header=BB126_18 Depth=1
	s_delay_alu instid0(VALU_DEP_1) | instskip(NEXT) | instid1(VALU_DEP_2)
	v_sub_co_u32 v4, vcc_lo, s26, v4
	v_sub_co_ci_u32_e32 v5, vcc_lo, s17, v5, vcc_lo
	s_mov_b32 s7, 0
	s_mov_b32 s16, exec_lo
                                        ; implicit-def: $vgpr28
	s_delay_alu instid0(VALU_DEP_1)
	v_cmpx_gt_u64_e64 v[4:5], v[0:1]
	s_cbranch_execz .LBB126_339
; %bb.329:                              ;   in Loop: Header=BB126_18 Depth=1
	v_dual_mov_b32 v8, v0 :: v_dual_mov_b32 v7, v1
	v_mov_b32_e32 v6, v0
	s_mov_b32 s17, 0
                                        ; implicit-def: $sgpr26
	s_set_inst_prefetch_distance 0x1
	s_branch .LBB126_331
	.p2align	6
.LBB126_330:                            ;   in Loop: Header=BB126_331 Depth=2
	s_or_b32 exec_lo, exec_lo, s7
	s_waitcnt lgkmcnt(0)
	s_barrier
	buffer_gl0_inv
	ds_load_u16 v9, v13 offset:3072
	v_add_co_u32 v6, vcc_lo, v6, s33
	v_add_co_ci_u32_e32 v7, vcc_lo, 0, v7, vcc_lo
	v_add_nc_u32_e32 v8, s33, v8
	s_waitcnt lgkmcnt(0)
	s_barrier
	s_delay_alu instid0(VALU_DEP_2) | instskip(SKIP_2) | instid1(VALU_DEP_1)
	v_cmp_ge_u64_e32 vcc_lo, v[6:7], v[4:5]
	buffer_gl0_inv
	v_and_b32_e32 v12, 0xff, v9
	v_cmp_ne_u16_e64 s7, 0, v12
	s_delay_alu instid0(VALU_DEP_1) | instskip(NEXT) | instid1(SALU_CYCLE_1)
	s_or_b32 s61, vcc_lo, s7
	s_and_b32 s61, exec_lo, s61
	s_delay_alu instid0(SALU_CYCLE_1) | instskip(SKIP_2) | instid1(SALU_CYCLE_1)
	s_or_b32 s17, s61, s17
	s_and_not1_b32 s26, s26, exec_lo
	s_and_b32 s7, s7, exec_lo
	s_or_b32 s26, s26, s7
	s_and_not1_b32 exec_lo, exec_lo, s17
	s_cbranch_execz .LBB126_338
.LBB126_331:                            ;   Parent Loop BB126_18 Depth=1
                                        ; =>  This Inner Loop Header: Depth=2
	s_delay_alu instid0(VALU_DEP_1)
	v_cmp_gt_u64_e32 vcc_lo, s[8:9], v[6:7]
	v_mov_b32_e32 v9, 0
	s_and_saveexec_b32 s7, vcc_lo
	s_cbranch_execz .LBB126_333
; %bb.332:                              ;   in Loop: Header=BB126_331 Depth=2
	ds_load_u8 v9, v8
.LBB126_333:                            ;   in Loop: Header=BB126_331 Depth=2
	s_or_b32 exec_lo, exec_lo, s7
	s_waitcnt lgkmcnt(0)
	v_and_b32_e32 v12, v9, v26
	s_delay_alu instid0(VALU_DEP_1) | instskip(NEXT) | instid1(VALU_DEP_1)
	v_and_b32_e32 v12, 0xff, v12
	v_cmp_eq_u32_e64 s7, v12, v27
	s_delay_alu instid0(VALU_DEP_1) | instskip(NEXT) | instid1(SALU_CYCLE_1)
	s_and_b32 s61, vcc_lo, s7
	s_and_saveexec_b32 s7, s61
	s_cbranch_execz .LBB126_330
; %bb.334:                              ;   in Loop: Header=BB126_331 Depth=2
	v_lshlrev_b16 v9, 8, v9
	s_delay_alu instid0(VALU_DEP_1)
	v_or_b32_e32 v9, 1, v9
	ds_store_b16 v13, v9 offset:3072
	s_branch .LBB126_330
.LBB126_335:                            ;   in Loop: Header=BB126_18 Depth=1
                                        ; implicit-def: $vgpr2_vgpr3
	s_branch .LBB126_285
.LBB126_336:                            ;   in Loop: Header=BB126_18 Depth=1
                                        ; implicit-def: $vgpr2_vgpr3
	s_branch .LBB126_298
.LBB126_337:                            ;   in Loop: Header=BB126_18 Depth=1
	s_mov_b32 s16, -1
	s_mov_b32 s7, 0
                                        ; implicit-def: $sgpr17
                                        ; implicit-def: $vgpr28
	s_mov_b32 s76, s16
	s_cbranch_execnz .LBB126_340
	s_branch .LBB126_352
.LBB126_338:                            ;   in Loop: Header=BB126_18 Depth=1
	s_set_inst_prefetch_distance 0x2
	s_or_b32 exec_lo, exec_lo, s17
	v_lshrrev_b16 v28, 8, v9
	s_and_b32 s7, s26, exec_lo
.LBB126_339:                            ;   in Loop: Header=BB126_18 Depth=1
	s_or_b32 exec_lo, exec_lo, s16
	s_mov_b32 s16, 0
	s_mov_b32 s17, -1
	s_mov_b32 s76, s16
	s_branch .LBB126_352
.LBB126_340:                            ;   in Loop: Header=BB126_18 Depth=1
	s_mov_b32 s26, s73
	s_delay_alu instid0(SALU_CYCLE_1)
	s_cmp_lg_u64 s[26:27], 0
	s_cbranch_scc0 .LBB126_380
; %bb.341:                              ;   in Loop: Header=BB126_18 Depth=1
	v_cvt_f32_u32_e32 v4, s33
	s_sub_u32 s9, 0, s33
	s_subb_u32 s16, 0, 0
	s_delay_alu instid0(VALU_DEP_1) | instskip(NEXT) | instid1(VALU_DEP_1)
	v_fmac_f32_e64 v4, 0, 0x4f800000
	v_rcp_f32_e32 v4, v4
	s_waitcnt_depctr 0xfff
	v_mul_f32_e32 v4, 0x5f7ffffc, v4
	s_delay_alu instid0(VALU_DEP_1) | instskip(NEXT) | instid1(VALU_DEP_1)
	v_mul_f32_e32 v5, 0x2f800000, v4
	v_trunc_f32_e32 v5, v5
	s_delay_alu instid0(VALU_DEP_1) | instskip(SKIP_1) | instid1(VALU_DEP_2)
	v_fmac_f32_e32 v4, 0xcf800000, v5
	v_cvt_u32_f32_e32 v5, v5
	v_cvt_u32_f32_e32 v4, v4
	s_delay_alu instid0(VALU_DEP_2) | instskip(NEXT) | instid1(VALU_DEP_2)
	v_readfirstlane_b32 s7, v5
	v_readfirstlane_b32 s8, v4
	s_delay_alu instid0(VALU_DEP_2) | instskip(NEXT) | instid1(VALU_DEP_1)
	s_mul_i32 s17, s9, s7
	s_mul_hi_u32 s61, s9, s8
	s_mul_i32 s26, s16, s8
	s_add_i32 s17, s61, s17
	s_mul_i32 s71, s9, s8
	s_add_i32 s17, s17, s26
	s_mul_hi_u32 s61, s8, s71
	s_mul_hi_u32 s76, s7, s71
	s_mul_i32 s26, s7, s71
	s_mul_hi_u32 s71, s8, s17
	s_mul_i32 s8, s8, s17
	s_mul_hi_u32 s77, s7, s17
	s_add_u32 s8, s61, s8
	s_addc_u32 s61, 0, s71
	s_add_u32 s8, s8, s26
	s_mul_i32 s17, s7, s17
	s_addc_u32 s8, s61, s76
	s_addc_u32 s26, s77, 0
	s_add_u32 s8, s8, s17
	s_addc_u32 s17, 0, s26
	v_add_co_u32 v4, s8, v4, s8
	s_delay_alu instid0(VALU_DEP_1) | instskip(SKIP_1) | instid1(VALU_DEP_1)
	s_cmp_lg_u32 s8, 0
	s_addc_u32 s7, s7, s17
	v_readfirstlane_b32 s8, v4
	s_mul_i32 s17, s9, s7
	s_delay_alu instid0(VALU_DEP_1)
	s_mul_hi_u32 s26, s9, s8
	s_mul_i32 s16, s16, s8
	s_add_i32 s17, s26, s17
	s_mul_i32 s9, s9, s8
	s_add_i32 s17, s17, s16
	s_mul_hi_u32 s26, s7, s9
	s_mul_i32 s61, s7, s9
	s_mul_hi_u32 s9, s8, s9
	s_mul_hi_u32 s71, s8, s17
	s_mul_i32 s8, s8, s17
	s_mul_hi_u32 s16, s7, s17
	s_add_u32 s8, s9, s8
	s_addc_u32 s9, 0, s71
	s_add_u32 s8, s8, s61
	s_mul_i32 s17, s7, s17
	s_addc_u32 s8, s9, s26
	s_addc_u32 s9, s16, 0
	s_add_u32 s8, s8, s17
	s_addc_u32 s9, 0, s9
	v_add_co_u32 v4, s8, v4, s8
	s_delay_alu instid0(VALU_DEP_1) | instskip(SKIP_1) | instid1(VALU_DEP_1)
	s_cmp_lg_u32 s8, 0
	s_addc_u32 s7, s7, s9
	v_readfirstlane_b32 s8, v4
	s_mul_i32 s16, s88, s7
	s_mul_hi_u32 s9, s88, s7
	s_mul_hi_u32 s17, s27, s7
	s_mul_i32 s7, s27, s7
	s_mul_hi_u32 s26, s88, s8
	s_mul_hi_u32 s61, s27, s8
	s_mul_i32 s8, s27, s8
	s_add_u32 s16, s26, s16
	s_addc_u32 s9, 0, s9
	s_add_u32 s8, s16, s8
	s_addc_u32 s8, s9, s61
	s_addc_u32 s9, s17, 0
	s_add_u32 s7, s8, s7
	s_addc_u32 s8, 0, s9
	s_mul_hi_u32 s9, s33, s7
	s_mul_i32 s7, s33, s7
	s_mul_i32 s8, s33, s8
	v_sub_co_u32 v4, s7, s88, s7
	s_add_i32 s9, s9, s8
	s_cmp_lg_u32 s7, 0
	s_delay_alu instid0(VALU_DEP_1) | instskip(SKIP_2) | instid1(VALU_DEP_1)
	v_sub_co_u32 v5, s7, v4, s33
	s_subb_u32 s8, s27, s9
	s_cmp_lg_u32 s7, 0
	v_cmp_le_u32_e32 vcc_lo, s33, v5
	v_sub_co_u32 v6, s7, v5, s33
	s_subb_u32 s9, s8, 0
	s_cmp_lg_u32 s7, 0
	v_cndmask_b32_e64 v7, 0, -1, vcc_lo
	s_subb_u32 s7, s9, 0
	s_cmp_eq_u32 s9, 0
	v_mov_b32_e32 v9, s7
	s_cselect_b32 vcc_lo, -1, 0
	s_cmp_eq_u32 s8, 0
	v_cndmask_b32_e32 v7, -1, v7, vcc_lo
	v_cmp_le_u32_e32 vcc_lo, s33, v4
	s_cselect_b32 s7, -1, 0
	v_cndmask_b32_e64 v8, 0, -1, vcc_lo
	s_delay_alu instid0(VALU_DEP_3) | instskip(NEXT) | instid1(VALU_DEP_2)
	v_cmp_ne_u32_e32 vcc_lo, 0, v7
	v_cndmask_b32_e64 v7, -1, v8, s7
	v_cndmask_b32_e32 v8, s9, v9, vcc_lo
	v_cndmask_b32_e32 v6, v5, v6, vcc_lo
	s_delay_alu instid0(VALU_DEP_3) | instskip(NEXT) | instid1(VALU_DEP_3)
	v_cmp_ne_u32_e32 vcc_lo, 0, v7
	v_cndmask_b32_e32 v5, s8, v8, vcc_lo
	s_delay_alu instid0(VALU_DEP_3)
	v_cndmask_b32_e32 v4, v4, v6, vcc_lo
	s_cbranch_execnz .LBB126_343
.LBB126_342:                            ;   in Loop: Header=BB126_18 Depth=1
	v_cvt_f32_u32_e32 v4, s33
	s_sub_i32 s7, 0, s33
	s_delay_alu instid0(VALU_DEP_1) | instskip(SKIP_2) | instid1(VALU_DEP_1)
	v_rcp_iflag_f32_e32 v4, v4
	s_waitcnt_depctr 0xfff
	v_mul_f32_e32 v4, 0x4f7ffffe, v4
	v_cvt_u32_f32_e32 v4, v4
	s_delay_alu instid0(VALU_DEP_1) | instskip(NEXT) | instid1(VALU_DEP_1)
	v_mul_lo_u32 v5, s7, v4
	v_mul_hi_u32 v5, v4, v5
	s_delay_alu instid0(VALU_DEP_1) | instskip(NEXT) | instid1(VALU_DEP_1)
	v_add_nc_u32_e32 v4, v4, v5
	v_mul_hi_u32 v4, s88, v4
	s_delay_alu instid0(VALU_DEP_1) | instskip(NEXT) | instid1(VALU_DEP_1)
	v_mul_lo_u32 v4, v4, s33
	v_sub_nc_u32_e32 v4, s88, v4
	s_delay_alu instid0(VALU_DEP_1) | instskip(SKIP_1) | instid1(VALU_DEP_2)
	v_subrev_nc_u32_e32 v5, s33, v4
	v_cmp_le_u32_e32 vcc_lo, s33, v4
	v_cndmask_b32_e32 v4, v4, v5, vcc_lo
	s_delay_alu instid0(VALU_DEP_1) | instskip(SKIP_1) | instid1(VALU_DEP_2)
	v_subrev_nc_u32_e32 v5, s33, v4
	v_cmp_le_u32_e32 vcc_lo, s33, v4
	v_cndmask_b32_e32 v12, v4, v5, vcc_lo
	s_delay_alu instid0(VALU_DEP_1)
	v_dual_mov_b32 v4, v12 :: v_dual_mov_b32 v5, v13
.LBB126_343:                            ;   in Loop: Header=BB126_18 Depth=1
	s_delay_alu instid0(VALU_DEP_1) | instskip(NEXT) | instid1(VALU_DEP_2)
	v_sub_co_u32 v4, vcc_lo, s88, v4
	v_sub_co_ci_u32_e32 v5, vcc_lo, s27, v5, vcc_lo
	s_mov_b32 s7, 0
	s_mov_b32 s8, exec_lo
                                        ; implicit-def: $vgpr28
	s_delay_alu instid0(VALU_DEP_1)
	v_cmpx_gt_u64_e64 v[4:5], v[0:1]
	s_cbranch_execz .LBB126_351
; %bb.344:                              ;   in Loop: Header=BB126_18 Depth=1
	v_dual_mov_b32 v7, v1 :: v_dual_mov_b32 v6, v0
	s_mov_b32 s9, 0
                                        ; implicit-def: $sgpr16
	s_branch .LBB126_346
.LBB126_345:                            ;   in Loop: Header=BB126_346 Depth=2
	s_or_b32 exec_lo, exec_lo, s7
	s_waitcnt lgkmcnt(0)
	s_barrier
	buffer_gl0_inv
	ds_load_u16 v8, v13 offset:3072
	v_add_co_u32 v6, vcc_lo, v6, s33
	v_add_co_ci_u32_e32 v7, vcc_lo, 0, v7, vcc_lo
	s_waitcnt lgkmcnt(0)
	s_barrier
	buffer_gl0_inv
	v_cmp_ge_u64_e32 vcc_lo, v[6:7], v[4:5]
	v_and_b32_e32 v9, 0xff, v8
	s_delay_alu instid0(VALU_DEP_1) | instskip(NEXT) | instid1(VALU_DEP_1)
	v_cmp_ne_u16_e64 s7, 0, v9
	s_or_b32 s17, vcc_lo, s7
	s_delay_alu instid0(SALU_CYCLE_1) | instskip(NEXT) | instid1(SALU_CYCLE_1)
	s_and_b32 s17, exec_lo, s17
	s_or_b32 s9, s17, s9
	s_and_not1_b32 s16, s16, exec_lo
	s_and_b32 s7, s7, exec_lo
	s_delay_alu instid0(SALU_CYCLE_1)
	s_or_b32 s16, s16, s7
	s_and_not1_b32 exec_lo, exec_lo, s9
	s_cbranch_execz .LBB126_350
.LBB126_346:                            ;   Parent Loop BB126_18 Depth=1
                                        ; =>  This Inner Loop Header: Depth=2
	s_delay_alu instid0(VALU_DEP_1)
	v_cmp_gt_u64_e32 vcc_lo, s[36:37], v[6:7]
	v_mov_b32_e32 v8, 0
	s_and_saveexec_b32 s7, vcc_lo
	s_cbranch_execz .LBB126_348
; %bb.347:                              ;   in Loop: Header=BB126_346 Depth=2
	v_mad_u64_u32 v[8:9], null, v6, s30, s[28:29]
	v_mul_lo_u32 v12, v6, s31
	v_mul_lo_u32 v16, v7, s30
	s_delay_alu instid0(VALU_DEP_1)
	v_add3_u32 v9, v16, v9, v12
	global_load_u8 v8, v[8:9], off
.LBB126_348:                            ;   in Loop: Header=BB126_346 Depth=2
	s_or_b32 exec_lo, exec_lo, s7
	s_waitcnt vmcnt(0)
	v_and_b32_e32 v9, v8, v26
	s_delay_alu instid0(VALU_DEP_1) | instskip(NEXT) | instid1(VALU_DEP_1)
	v_and_b32_e32 v9, 0xff, v9
	v_cmp_eq_u32_e64 s7, v9, v27
	s_delay_alu instid0(VALU_DEP_1) | instskip(NEXT) | instid1(SALU_CYCLE_1)
	s_and_b32 s17, vcc_lo, s7
	s_and_saveexec_b32 s7, s17
	s_cbranch_execz .LBB126_345
; %bb.349:                              ;   in Loop: Header=BB126_346 Depth=2
	v_lshlrev_b16 v8, 8, v8
	s_delay_alu instid0(VALU_DEP_1)
	v_or_b32_e32 v8, 1, v8
	ds_store_b16 v13, v8 offset:3072
	s_branch .LBB126_345
.LBB126_350:                            ;   in Loop: Header=BB126_18 Depth=1
	s_or_b32 exec_lo, exec_lo, s9
	v_lshrrev_b16 v28, 8, v8
	s_and_b32 s7, s16, exec_lo
.LBB126_351:                            ;   in Loop: Header=BB126_18 Depth=1
	s_or_b32 exec_lo, exec_lo, s8
	s_mov_b32 s17, 0
	s_mov_b32 s16, -1
	s_mov_b32 s76, 0
.LBB126_352:                            ;   in Loop: Header=BB126_18 Depth=1
	s_or_not1_b32 s7, s7, exec_lo
.LBB126_353:                            ;   in Loop: Header=BB126_18 Depth=1
	s_or_b32 exec_lo, exec_lo, s60
	s_mov_b32 s26, 0
                                        ; implicit-def: $vgpr6
	s_and_saveexec_b32 s77, s7
	s_cbranch_execz .LBB126_462
; %bb.354:                              ;   in Loop: Header=BB126_18 Depth=1
	v_mov_b32_e32 v4, 1
	v_dual_mov_b32 v5, 0 :: v_dual_mov_b32 v6, 1
	s_xor_b32 s8, s70, -1
	s_delay_alu instid0(SALU_CYCLE_1)
	s_and_saveexec_b32 s7, s8
	s_cbranch_execz .LBB126_364
; %bb.355:                              ;   in Loop: Header=BB126_18 Depth=1
	s_mov_b32 s9, exec_lo
                                        ; implicit-def: $sgpr26
                                        ; implicit-def: $sgpr8
	v_cmpx_ge_u64_e64 s[14:15], v[2:3]
	s_xor_b32 s9, exec_lo, s9
	s_cbranch_execz .LBB126_361
; %bb.356:                              ;   in Loop: Header=BB126_18 Depth=1
	ds_load_b64 v[4:5], v13 offset:5120
	s_waitcnt lgkmcnt(0)
	v_cmp_ne_u64_e32 vcc_lo, 0, v[4:5]
	s_cbranch_vccnz .LBB126_360
; %bb.357:                              ;   in Loop: Header=BB126_18 Depth=1
	s_and_saveexec_b32 s8, s5
	s_cbranch_execz .LBB126_359
; %bb.358:                              ;   in Loop: Header=BB126_18 Depth=1
	v_dual_mov_b32 v4, s14 :: v_dual_mov_b32 v5, s15
	ds_store_b64 v13, v[4:5] offset:5128
.LBB126_359:                            ;   in Loop: Header=BB126_18 Depth=1
	s_or_b32 exec_lo, exec_lo, s8
	s_waitcnt lgkmcnt(0)
	s_barrier
	buffer_gl0_inv
.LBB126_360:                            ;   in Loop: Header=BB126_18 Depth=1
	s_lshl_b32 s8, 2, s22
	v_or_b32_e32 v26, s20, v26
	v_and_or_b32 v27, v27, s21, s8
	s_mov_b32 s8, 0
	s_mov_b32 s26, 5
.LBB126_361:                            ;   in Loop: Header=BB126_18 Depth=1
	s_or_saveexec_b32 s9, s9
	v_mov_b32_e32 v6, s26
	s_xor_b32 exec_lo, exec_lo, s9
; %bb.362:                              ;   in Loop: Header=BB126_18 Depth=1
	v_sub_co_u32 v2, vcc_lo, v2, s14
	v_subrev_co_ci_u32_e32 v3, vcc_lo, s15, v3, vcc_lo
	v_mov_b32_e32 v6, 0
	s_or_b32 s8, s8, exec_lo
; %bb.363:                              ;   in Loop: Header=BB126_18 Depth=1
	s_or_b32 exec_lo, exec_lo, s9
	s_delay_alu instid0(VALU_DEP_2)
	v_dual_mov_b32 v5, v3 :: v_dual_mov_b32 v4, v2
	s_and_b32 s26, s8, exec_lo
.LBB126_364:                            ;   in Loop: Header=BB126_18 Depth=1
	s_or_b32 exec_lo, exec_lo, s7
	s_mov_b32 s7, -1
                                        ; implicit-def: $sgpr8
                                        ; implicit-def: $sgpr9
                                        ; implicit-def: $sgpr14
	s_and_saveexec_b32 s78, s26
	s_cbranch_execz .LBB126_461
; %bb.365:                              ;   in Loop: Header=BB126_18 Depth=1
	v_cmp_eq_u64_e32 vcc_lo, 1, v[4:5]
	s_cmp_eq_u64 s[12:13], 1
                                        ; implicit-def: $sgpr14
                                        ; implicit-def: $sgpr15
                                        ; implicit-def: $sgpr79
	s_cselect_b32 s7, -1, 0
	s_delay_alu instid0(SALU_CYCLE_1)
	s_and_b32 s70, s7, vcc_lo
	s_mov_b32 s7, -1
	s_and_saveexec_b32 s71, s70
	s_cbranch_execz .LBB126_397
; %bb.366:                              ;   in Loop: Header=BB126_18 Depth=1
	ds_load_b64 v[2:3], v13 offset:5120
	s_waitcnt lgkmcnt(0)
	s_barrier
	buffer_gl0_inv
	v_readfirstlane_b32 s8, v2
	v_readfirstlane_b32 s9, v3
	s_and_saveexec_b32 s7, s6
	s_cbranch_execz .LBB126_368
; %bb.367:                              ;   in Loop: Header=BB126_18 Depth=1
	ds_store_b8 v0, v13 offset:3072
.LBB126_368:                            ;   in Loop: Header=BB126_18 Depth=1
	s_or_b32 exec_lo, exec_lo, s7
	s_lshl_b32 s7, 1, s22
	v_or_b32_e32 v26, s20, v26
	v_and_or_b32 v27, v27, s21, s7
	s_cmp_eq_u64 s[8:9], 0
	s_waitcnt lgkmcnt(0)
	s_barrier
	buffer_gl0_inv
	s_cbranch_scc1 .LBB126_381
; %bb.369:                              ;   in Loop: Header=BB126_18 Depth=1
	s_add_u32 s26, s86, s8
	s_addc_u32 s15, s87, s9
	s_mov_b32 s14, s73
	s_delay_alu instid0(SALU_CYCLE_1)
	s_cmp_lg_u64 s[14:15], 0
	s_cbranch_scc0 .LBB126_415
; %bb.370:                              ;   in Loop: Header=BB126_18 Depth=1
	v_cvt_f32_u32_e32 v2, s33
	s_sub_u32 s60, 0, s33
	s_subb_u32 s61, 0, 0
	s_delay_alu instid0(VALU_DEP_1) | instskip(NEXT) | instid1(VALU_DEP_1)
	v_fmac_f32_e64 v2, 0, 0x4f800000
	v_rcp_f32_e32 v2, v2
	s_waitcnt_depctr 0xfff
	v_mul_f32_e32 v2, 0x5f7ffffc, v2
	s_delay_alu instid0(VALU_DEP_1) | instskip(NEXT) | instid1(VALU_DEP_1)
	v_mul_f32_e32 v3, 0x2f800000, v2
	v_trunc_f32_e32 v3, v3
	s_delay_alu instid0(VALU_DEP_1) | instskip(SKIP_1) | instid1(VALU_DEP_2)
	v_fmac_f32_e32 v2, 0xcf800000, v3
	v_cvt_u32_f32_e32 v3, v3
	v_cvt_u32_f32_e32 v2, v2
	s_delay_alu instid0(VALU_DEP_2) | instskip(NEXT) | instid1(VALU_DEP_2)
	v_readfirstlane_b32 s7, v3
	v_readfirstlane_b32 s14, v2
	s_delay_alu instid0(VALU_DEP_2) | instskip(NEXT) | instid1(VALU_DEP_1)
	s_mul_i32 s79, s60, s7
	s_mul_hi_u32 s81, s60, s14
	s_mul_i32 s80, s61, s14
	s_add_i32 s79, s81, s79
	s_mul_i32 s82, s60, s14
	s_add_i32 s79, s79, s80
	s_mul_hi_u32 s81, s14, s82
	s_mul_hi_u32 s83, s7, s82
	s_mul_i32 s80, s7, s82
	s_mul_hi_u32 s82, s14, s79
	s_mul_i32 s14, s14, s79
	s_mul_hi_u32 s84, s7, s79
	s_add_u32 s14, s81, s14
	s_addc_u32 s81, 0, s82
	s_add_u32 s14, s14, s80
	s_mul_i32 s79, s7, s79
	s_addc_u32 s14, s81, s83
	s_addc_u32 s80, s84, 0
	s_add_u32 s14, s14, s79
	s_addc_u32 s79, 0, s80
	v_add_co_u32 v2, s14, v2, s14
	s_delay_alu instid0(VALU_DEP_1) | instskip(SKIP_1) | instid1(VALU_DEP_1)
	s_cmp_lg_u32 s14, 0
	s_addc_u32 s7, s7, s79
	v_readfirstlane_b32 s14, v2
	s_mul_i32 s79, s60, s7
	s_delay_alu instid0(VALU_DEP_1)
	s_mul_hi_u32 s80, s60, s14
	s_mul_i32 s61, s61, s14
	s_add_i32 s79, s80, s79
	s_mul_i32 s60, s60, s14
	s_add_i32 s79, s79, s61
	s_mul_hi_u32 s80, s7, s60
	s_mul_i32 s81, s7, s60
	s_mul_hi_u32 s60, s14, s60
	s_mul_hi_u32 s82, s14, s79
	s_mul_i32 s14, s14, s79
	s_mul_hi_u32 s61, s7, s79
	s_add_u32 s14, s60, s14
	s_addc_u32 s60, 0, s82
	s_add_u32 s14, s14, s81
	s_mul_i32 s79, s7, s79
	s_addc_u32 s14, s60, s80
	s_addc_u32 s60, s61, 0
	s_add_u32 s14, s14, s79
	s_addc_u32 s60, 0, s60
	v_add_co_u32 v2, s14, v2, s14
	s_delay_alu instid0(VALU_DEP_1) | instskip(SKIP_1) | instid1(VALU_DEP_1)
	s_cmp_lg_u32 s14, 0
	s_addc_u32 s7, s7, s60
	v_readfirstlane_b32 s14, v2
	s_mul_i32 s61, s26, s7
	s_mul_hi_u32 s60, s26, s7
	s_mul_hi_u32 s79, s15, s7
	s_mul_i32 s7, s15, s7
	s_mul_hi_u32 s80, s26, s14
	s_mul_hi_u32 s81, s15, s14
	s_mul_i32 s14, s15, s14
	s_add_u32 s61, s80, s61
	s_addc_u32 s60, 0, s60
	s_add_u32 s14, s61, s14
	s_addc_u32 s14, s60, s81
	s_addc_u32 s60, s79, 0
	s_add_u32 s7, s14, s7
	s_addc_u32 s14, 0, s60
	s_mul_hi_u32 s60, s33, s7
	s_mul_i32 s7, s33, s7
	s_mul_i32 s14, s33, s14
	v_sub_co_u32 v2, s7, s26, s7
	s_add_i32 s60, s60, s14
	s_cmp_lg_u32 s7, 0
	s_delay_alu instid0(VALU_DEP_1) | instskip(SKIP_3) | instid1(VALU_DEP_2)
	v_sub_co_u32 v3, s7, v2, s33
	s_subb_u32 s14, s15, s60
	s_cmp_lg_u32 s7, 0
	v_cmp_le_u32_e32 vcc_lo, s33, v2
	v_cmp_le_u32_e64 s7, s33, v3
	v_sub_co_u32 v6, s60, v3, s33
	s_subb_u32 s61, s14, 0
	s_cmp_lg_u32 s60, 0
	s_delay_alu instid0(VALU_DEP_2)
	v_cndmask_b32_e64 v7, 0, -1, s7
	s_subb_u32 s60, s61, 0
	s_cmp_eq_u32 s61, 0
	v_mov_b32_e32 v9, s60
	v_cndmask_b32_e64 v8, 0, -1, vcc_lo
	s_cselect_b32 vcc_lo, -1, 0
	s_cmp_eq_u32 s14, 0
	v_cndmask_b32_e32 v7, -1, v7, vcc_lo
	s_cselect_b32 vcc_lo, -1, 0
	v_cndmask_b32_e32 v8, -1, v8, vcc_lo
	s_delay_alu instid0(VALU_DEP_2) | instskip(NEXT) | instid1(VALU_DEP_2)
	v_cmp_ne_u32_e32 vcc_lo, 0, v7
	v_cmp_ne_u32_e64 s7, 0, v8
	v_cndmask_b32_e32 v7, s61, v9, vcc_lo
	v_cndmask_b32_e32 v6, v3, v6, vcc_lo
	s_delay_alu instid0(VALU_DEP_2) | instskip(NEXT) | instid1(VALU_DEP_2)
	v_cndmask_b32_e64 v3, s14, v7, s7
	v_cndmask_b32_e64 v2, v2, v6, s7
	s_cbranch_execnz .LBB126_372
.LBB126_371:                            ;   in Loop: Header=BB126_18 Depth=1
	v_cvt_f32_u32_e32 v2, s33
	s_sub_i32 s7, 0, s33
	s_delay_alu instid0(VALU_DEP_1) | instskip(SKIP_2) | instid1(VALU_DEP_1)
	v_rcp_iflag_f32_e32 v2, v2
	s_waitcnt_depctr 0xfff
	v_mul_f32_e32 v2, 0x4f7ffffe, v2
	v_cvt_u32_f32_e32 v2, v2
	s_delay_alu instid0(VALU_DEP_1) | instskip(NEXT) | instid1(VALU_DEP_1)
	v_mul_lo_u32 v3, s7, v2
	v_mul_hi_u32 v3, v2, v3
	s_delay_alu instid0(VALU_DEP_1) | instskip(NEXT) | instid1(VALU_DEP_1)
	v_add_nc_u32_e32 v2, v2, v3
	v_mul_hi_u32 v2, s26, v2
	s_delay_alu instid0(VALU_DEP_1) | instskip(NEXT) | instid1(VALU_DEP_1)
	v_mul_lo_u32 v2, v2, s33
	v_sub_nc_u32_e32 v2, s26, v2
	s_delay_alu instid0(VALU_DEP_1) | instskip(SKIP_1) | instid1(VALU_DEP_2)
	v_subrev_nc_u32_e32 v3, s33, v2
	v_cmp_le_u32_e32 vcc_lo, s33, v2
	v_cndmask_b32_e32 v2, v2, v3, vcc_lo
	s_delay_alu instid0(VALU_DEP_1) | instskip(SKIP_1) | instid1(VALU_DEP_2)
	v_subrev_nc_u32_e32 v3, s33, v2
	v_cmp_le_u32_e32 vcc_lo, s33, v2
	v_cndmask_b32_e32 v12, v2, v3, vcc_lo
	s_delay_alu instid0(VALU_DEP_1)
	v_dual_mov_b32 v2, v12 :: v_dual_mov_b32 v3, v13
.LBB126_372:                            ;   in Loop: Header=BB126_18 Depth=1
	s_delay_alu instid0(VALU_DEP_1) | instskip(NEXT) | instid1(VALU_DEP_2)
	v_sub_co_u32 v2, vcc_lo, s26, v2
	v_sub_co_ci_u32_e32 v3, vcc_lo, s15, v3, vcc_lo
	s_mov_b32 s7, 0
	s_mov_b32 s14, exec_lo
                                        ; implicit-def: $vgpr28
	s_delay_alu instid0(VALU_DEP_1)
	v_cmpx_gt_u64_e64 v[2:3], v[0:1]
	s_cbranch_execz .LBB126_383
; %bb.373:                              ;   in Loop: Header=BB126_18 Depth=1
	v_dual_mov_b32 v8, v0 :: v_dual_mov_b32 v7, v1
	v_mov_b32_e32 v6, v0
	s_mov_b32 s15, 0
                                        ; implicit-def: $sgpr26
	s_set_inst_prefetch_distance 0x1
	s_branch .LBB126_375
	.p2align	6
.LBB126_374:                            ;   in Loop: Header=BB126_375 Depth=2
	s_or_b32 exec_lo, exec_lo, s7
	s_waitcnt lgkmcnt(0)
	s_barrier
	buffer_gl0_inv
	ds_load_u16 v9, v13 offset:3072
	v_add_co_u32 v6, vcc_lo, v6, s33
	v_add_co_ci_u32_e32 v7, vcc_lo, 0, v7, vcc_lo
	v_add_nc_u32_e32 v8, s33, v8
	s_waitcnt lgkmcnt(0)
	s_barrier
	s_delay_alu instid0(VALU_DEP_2) | instskip(SKIP_2) | instid1(VALU_DEP_1)
	v_cmp_ge_u64_e32 vcc_lo, v[6:7], v[2:3]
	buffer_gl0_inv
	v_and_b32_e32 v12, 0xff, v9
	v_cmp_ne_u16_e64 s7, 0, v12
	s_delay_alu instid0(VALU_DEP_1) | instskip(NEXT) | instid1(SALU_CYCLE_1)
	s_or_b32 s60, vcc_lo, s7
	s_and_b32 s60, exec_lo, s60
	s_delay_alu instid0(SALU_CYCLE_1) | instskip(SKIP_2) | instid1(SALU_CYCLE_1)
	s_or_b32 s15, s60, s15
	s_and_not1_b32 s26, s26, exec_lo
	s_and_b32 s7, s7, exec_lo
	s_or_b32 s26, s26, s7
	s_and_not1_b32 exec_lo, exec_lo, s15
	s_cbranch_execz .LBB126_382
.LBB126_375:                            ;   Parent Loop BB126_18 Depth=1
                                        ; =>  This Inner Loop Header: Depth=2
	s_delay_alu instid0(VALU_DEP_1)
	v_cmp_gt_u64_e32 vcc_lo, s[8:9], v[6:7]
	v_mov_b32_e32 v9, 0
	s_and_saveexec_b32 s7, vcc_lo
	s_cbranch_execz .LBB126_377
; %bb.376:                              ;   in Loop: Header=BB126_375 Depth=2
	ds_load_u8 v9, v8
.LBB126_377:                            ;   in Loop: Header=BB126_375 Depth=2
	s_or_b32 exec_lo, exec_lo, s7
	s_waitcnt lgkmcnt(0)
	v_and_b32_e32 v12, v9, v26
	s_delay_alu instid0(VALU_DEP_1) | instskip(NEXT) | instid1(VALU_DEP_1)
	v_and_b32_e32 v12, 0xff, v12
	v_cmp_eq_u32_e64 s7, v12, v27
	s_delay_alu instid0(VALU_DEP_1) | instskip(NEXT) | instid1(SALU_CYCLE_1)
	s_and_b32 s60, vcc_lo, s7
	s_and_saveexec_b32 s7, s60
	s_cbranch_execz .LBB126_374
; %bb.378:                              ;   in Loop: Header=BB126_375 Depth=2
	v_lshlrev_b16 v9, 8, v9
	s_delay_alu instid0(VALU_DEP_1)
	v_or_b32_e32 v9, 1, v9
	ds_store_b16 v13, v9 offset:3072
	s_branch .LBB126_374
.LBB126_379:                            ;   in Loop: Header=BB126_18 Depth=1
                                        ; implicit-def: $vgpr4_vgpr5
	s_branch .LBB126_327
.LBB126_380:                            ;   in Loop: Header=BB126_18 Depth=1
                                        ; implicit-def: $vgpr4_vgpr5
	s_branch .LBB126_342
.LBB126_381:                            ;   in Loop: Header=BB126_18 Depth=1
	s_mov_b32 s14, -1
	s_mov_b32 s7, 0
                                        ; implicit-def: $sgpr15
                                        ; implicit-def: $vgpr28
	s_mov_b32 s79, s14
	s_cbranch_execnz .LBB126_384
	s_branch .LBB126_396
.LBB126_382:                            ;   in Loop: Header=BB126_18 Depth=1
	s_set_inst_prefetch_distance 0x2
	s_or_b32 exec_lo, exec_lo, s15
	v_lshrrev_b16 v28, 8, v9
	s_and_b32 s7, s26, exec_lo
.LBB126_383:                            ;   in Loop: Header=BB126_18 Depth=1
	s_or_b32 exec_lo, exec_lo, s14
	s_mov_b32 s14, 0
	s_mov_b32 s15, -1
	s_mov_b32 s79, s14
	s_branch .LBB126_396
.LBB126_384:                            ;   in Loop: Header=BB126_18 Depth=1
	s_mov_b32 s26, s73
	s_delay_alu instid0(SALU_CYCLE_1)
	s_cmp_lg_u64 s[26:27], 0
	s_cbranch_scc0 .LBB126_416
; %bb.385:                              ;   in Loop: Header=BB126_18 Depth=1
	v_cvt_f32_u32_e32 v2, s33
	s_sub_u32 s9, 0, s33
	s_subb_u32 s14, 0, 0
	s_delay_alu instid0(VALU_DEP_1) | instskip(NEXT) | instid1(VALU_DEP_1)
	v_fmac_f32_e64 v2, 0, 0x4f800000
	v_rcp_f32_e32 v2, v2
	s_waitcnt_depctr 0xfff
	v_mul_f32_e32 v2, 0x5f7ffffc, v2
	s_delay_alu instid0(VALU_DEP_1) | instskip(NEXT) | instid1(VALU_DEP_1)
	v_mul_f32_e32 v3, 0x2f800000, v2
	v_trunc_f32_e32 v3, v3
	s_delay_alu instid0(VALU_DEP_1) | instskip(SKIP_1) | instid1(VALU_DEP_2)
	v_fmac_f32_e32 v2, 0xcf800000, v3
	v_cvt_u32_f32_e32 v3, v3
	v_cvt_u32_f32_e32 v2, v2
	s_delay_alu instid0(VALU_DEP_2) | instskip(NEXT) | instid1(VALU_DEP_2)
	v_readfirstlane_b32 s7, v3
	v_readfirstlane_b32 s8, v2
	s_delay_alu instid0(VALU_DEP_2) | instskip(NEXT) | instid1(VALU_DEP_1)
	s_mul_i32 s15, s9, s7
	s_mul_hi_u32 s60, s9, s8
	s_mul_i32 s26, s14, s8
	s_add_i32 s15, s60, s15
	s_mul_i32 s61, s9, s8
	s_add_i32 s15, s15, s26
	s_mul_hi_u32 s60, s8, s61
	s_mul_hi_u32 s79, s7, s61
	s_mul_i32 s26, s7, s61
	s_mul_hi_u32 s61, s8, s15
	s_mul_i32 s8, s8, s15
	s_mul_hi_u32 s80, s7, s15
	s_add_u32 s8, s60, s8
	s_addc_u32 s60, 0, s61
	s_add_u32 s8, s8, s26
	s_mul_i32 s15, s7, s15
	s_addc_u32 s8, s60, s79
	s_addc_u32 s26, s80, 0
	s_add_u32 s8, s8, s15
	s_addc_u32 s15, 0, s26
	v_add_co_u32 v2, s8, v2, s8
	s_delay_alu instid0(VALU_DEP_1) | instskip(SKIP_1) | instid1(VALU_DEP_1)
	s_cmp_lg_u32 s8, 0
	s_addc_u32 s7, s7, s15
	v_readfirstlane_b32 s8, v2
	s_mul_i32 s15, s9, s7
	s_delay_alu instid0(VALU_DEP_1)
	s_mul_hi_u32 s26, s9, s8
	s_mul_i32 s14, s14, s8
	s_add_i32 s15, s26, s15
	s_mul_i32 s9, s9, s8
	s_add_i32 s15, s15, s14
	s_mul_hi_u32 s26, s7, s9
	s_mul_i32 s60, s7, s9
	s_mul_hi_u32 s9, s8, s9
	s_mul_hi_u32 s61, s8, s15
	s_mul_i32 s8, s8, s15
	s_mul_hi_u32 s14, s7, s15
	s_add_u32 s8, s9, s8
	s_addc_u32 s9, 0, s61
	s_add_u32 s8, s8, s60
	s_mul_i32 s15, s7, s15
	s_addc_u32 s8, s9, s26
	s_addc_u32 s9, s14, 0
	s_add_u32 s8, s8, s15
	s_addc_u32 s9, 0, s9
	v_add_co_u32 v2, s8, v2, s8
	s_delay_alu instid0(VALU_DEP_1) | instskip(SKIP_1) | instid1(VALU_DEP_1)
	s_cmp_lg_u32 s8, 0
	s_addc_u32 s7, s7, s9
	v_readfirstlane_b32 s8, v2
	s_mul_i32 s14, s88, s7
	s_mul_hi_u32 s9, s88, s7
	s_mul_hi_u32 s15, s27, s7
	s_mul_i32 s7, s27, s7
	s_mul_hi_u32 s26, s88, s8
	s_mul_hi_u32 s60, s27, s8
	s_mul_i32 s8, s27, s8
	s_add_u32 s14, s26, s14
	s_addc_u32 s9, 0, s9
	s_add_u32 s8, s14, s8
	s_addc_u32 s8, s9, s60
	s_addc_u32 s9, s15, 0
	s_add_u32 s7, s8, s7
	s_addc_u32 s8, 0, s9
	s_mul_hi_u32 s9, s33, s7
	s_mul_i32 s7, s33, s7
	s_mul_i32 s8, s33, s8
	v_sub_co_u32 v2, s7, s88, s7
	s_add_i32 s9, s9, s8
	s_cmp_lg_u32 s7, 0
	s_delay_alu instid0(VALU_DEP_1) | instskip(SKIP_3) | instid1(VALU_DEP_2)
	v_sub_co_u32 v3, s7, v2, s33
	s_subb_u32 s8, s27, s9
	s_cmp_lg_u32 s7, 0
	v_cmp_le_u32_e32 vcc_lo, s33, v2
	v_cmp_le_u32_e64 s7, s33, v3
	v_sub_co_u32 v6, s9, v3, s33
	s_subb_u32 s14, s8, 0
	s_cmp_lg_u32 s9, 0
	s_delay_alu instid0(VALU_DEP_2)
	v_cndmask_b32_e64 v7, 0, -1, s7
	s_subb_u32 s9, s14, 0
	s_cmp_eq_u32 s14, 0
	v_mov_b32_e32 v9, s9
	v_cndmask_b32_e64 v8, 0, -1, vcc_lo
	s_cselect_b32 vcc_lo, -1, 0
	s_cmp_eq_u32 s8, 0
	v_cndmask_b32_e32 v7, -1, v7, vcc_lo
	s_cselect_b32 vcc_lo, -1, 0
	v_cndmask_b32_e32 v8, -1, v8, vcc_lo
	s_delay_alu instid0(VALU_DEP_2) | instskip(NEXT) | instid1(VALU_DEP_2)
	v_cmp_ne_u32_e32 vcc_lo, 0, v7
	v_cmp_ne_u32_e64 s7, 0, v8
	v_cndmask_b32_e32 v7, s14, v9, vcc_lo
	v_cndmask_b32_e32 v6, v3, v6, vcc_lo
	s_delay_alu instid0(VALU_DEP_2) | instskip(NEXT) | instid1(VALU_DEP_2)
	v_cndmask_b32_e64 v3, s8, v7, s7
	v_cndmask_b32_e64 v2, v2, v6, s7
	s_cbranch_execnz .LBB126_387
.LBB126_386:                            ;   in Loop: Header=BB126_18 Depth=1
	v_cvt_f32_u32_e32 v2, s33
	s_sub_i32 s7, 0, s33
	s_delay_alu instid0(VALU_DEP_1) | instskip(SKIP_2) | instid1(VALU_DEP_1)
	v_rcp_iflag_f32_e32 v2, v2
	s_waitcnt_depctr 0xfff
	v_mul_f32_e32 v2, 0x4f7ffffe, v2
	v_cvt_u32_f32_e32 v2, v2
	s_delay_alu instid0(VALU_DEP_1) | instskip(NEXT) | instid1(VALU_DEP_1)
	v_mul_lo_u32 v3, s7, v2
	v_mul_hi_u32 v3, v2, v3
	s_delay_alu instid0(VALU_DEP_1) | instskip(NEXT) | instid1(VALU_DEP_1)
	v_add_nc_u32_e32 v2, v2, v3
	v_mul_hi_u32 v2, s88, v2
	s_delay_alu instid0(VALU_DEP_1) | instskip(NEXT) | instid1(VALU_DEP_1)
	v_mul_lo_u32 v2, v2, s33
	v_sub_nc_u32_e32 v2, s88, v2
	s_delay_alu instid0(VALU_DEP_1) | instskip(SKIP_1) | instid1(VALU_DEP_2)
	v_subrev_nc_u32_e32 v3, s33, v2
	v_cmp_le_u32_e32 vcc_lo, s33, v2
	v_cndmask_b32_e32 v2, v2, v3, vcc_lo
	s_delay_alu instid0(VALU_DEP_1) | instskip(SKIP_1) | instid1(VALU_DEP_2)
	v_subrev_nc_u32_e32 v3, s33, v2
	v_cmp_le_u32_e32 vcc_lo, s33, v2
	v_cndmask_b32_e32 v12, v2, v3, vcc_lo
	s_delay_alu instid0(VALU_DEP_1)
	v_dual_mov_b32 v2, v12 :: v_dual_mov_b32 v3, v13
.LBB126_387:                            ;   in Loop: Header=BB126_18 Depth=1
	s_delay_alu instid0(VALU_DEP_1) | instskip(NEXT) | instid1(VALU_DEP_2)
	v_sub_co_u32 v2, vcc_lo, s88, v2
	v_sub_co_ci_u32_e32 v3, vcc_lo, s27, v3, vcc_lo
	s_mov_b32 s7, 0
	s_mov_b32 s8, exec_lo
                                        ; implicit-def: $vgpr28
	s_delay_alu instid0(VALU_DEP_1)
	v_cmpx_gt_u64_e64 v[2:3], v[0:1]
	s_cbranch_execz .LBB126_395
; %bb.388:                              ;   in Loop: Header=BB126_18 Depth=1
	v_dual_mov_b32 v7, v1 :: v_dual_mov_b32 v6, v0
	s_mov_b32 s9, 0
                                        ; implicit-def: $sgpr14
	s_branch .LBB126_390
.LBB126_389:                            ;   in Loop: Header=BB126_390 Depth=2
	s_or_b32 exec_lo, exec_lo, s7
	s_waitcnt lgkmcnt(0)
	s_barrier
	buffer_gl0_inv
	ds_load_u16 v8, v13 offset:3072
	v_add_co_u32 v6, vcc_lo, v6, s33
	v_add_co_ci_u32_e32 v7, vcc_lo, 0, v7, vcc_lo
	s_waitcnt lgkmcnt(0)
	s_barrier
	buffer_gl0_inv
	v_cmp_ge_u64_e32 vcc_lo, v[6:7], v[2:3]
	v_and_b32_e32 v9, 0xff, v8
	s_delay_alu instid0(VALU_DEP_1) | instskip(NEXT) | instid1(VALU_DEP_1)
	v_cmp_ne_u16_e64 s7, 0, v9
	s_or_b32 s15, vcc_lo, s7
	s_delay_alu instid0(SALU_CYCLE_1) | instskip(NEXT) | instid1(SALU_CYCLE_1)
	s_and_b32 s15, exec_lo, s15
	s_or_b32 s9, s15, s9
	s_and_not1_b32 s14, s14, exec_lo
	s_and_b32 s7, s7, exec_lo
	s_delay_alu instid0(SALU_CYCLE_1)
	s_or_b32 s14, s14, s7
	s_and_not1_b32 exec_lo, exec_lo, s9
	s_cbranch_execz .LBB126_394
.LBB126_390:                            ;   Parent Loop BB126_18 Depth=1
                                        ; =>  This Inner Loop Header: Depth=2
	s_delay_alu instid0(VALU_DEP_1)
	v_cmp_gt_u64_e32 vcc_lo, s[36:37], v[6:7]
	v_mov_b32_e32 v8, 0
	s_and_saveexec_b32 s7, vcc_lo
	s_cbranch_execz .LBB126_392
; %bb.391:                              ;   in Loop: Header=BB126_390 Depth=2
	v_mad_u64_u32 v[8:9], null, v6, s30, s[28:29]
	v_mul_lo_u32 v12, v6, s31
	v_mul_lo_u32 v16, v7, s30
	s_delay_alu instid0(VALU_DEP_1)
	v_add3_u32 v9, v16, v9, v12
	global_load_u8 v8, v[8:9], off
.LBB126_392:                            ;   in Loop: Header=BB126_390 Depth=2
	s_or_b32 exec_lo, exec_lo, s7
	s_waitcnt vmcnt(0)
	v_and_b32_e32 v9, v8, v26
	s_delay_alu instid0(VALU_DEP_1) | instskip(NEXT) | instid1(VALU_DEP_1)
	v_and_b32_e32 v9, 0xff, v9
	v_cmp_eq_u32_e64 s7, v9, v27
	s_delay_alu instid0(VALU_DEP_1) | instskip(NEXT) | instid1(SALU_CYCLE_1)
	s_and_b32 s15, vcc_lo, s7
	s_and_saveexec_b32 s7, s15
	s_cbranch_execz .LBB126_389
; %bb.393:                              ;   in Loop: Header=BB126_390 Depth=2
	v_lshlrev_b16 v8, 8, v8
	s_delay_alu instid0(VALU_DEP_1)
	v_or_b32_e32 v8, 1, v8
	ds_store_b16 v13, v8 offset:3072
	s_branch .LBB126_389
.LBB126_394:                            ;   in Loop: Header=BB126_18 Depth=1
	s_or_b32 exec_lo, exec_lo, s9
	v_lshrrev_b16 v28, 8, v8
	s_and_b32 s7, s14, exec_lo
.LBB126_395:                            ;   in Loop: Header=BB126_18 Depth=1
	s_or_b32 exec_lo, exec_lo, s8
	s_mov_b32 s15, 0
	s_mov_b32 s14, -1
	s_mov_b32 s79, 0
.LBB126_396:                            ;   in Loop: Header=BB126_18 Depth=1
	s_or_not1_b32 s7, s7, exec_lo
.LBB126_397:                            ;   in Loop: Header=BB126_18 Depth=1
	s_or_b32 exec_lo, exec_lo, s71
	s_mov_b32 s26, 0
                                        ; implicit-def: $vgpr6
	s_and_saveexec_b32 s80, s7
	s_cbranch_execz .LBB126_460
; %bb.398:                              ;   in Loop: Header=BB126_18 Depth=1
	v_mov_b32_e32 v2, 1
	v_dual_mov_b32 v3, 0 :: v_dual_mov_b32 v6, 1
	s_xor_b32 s8, s70, -1
	s_delay_alu instid0(SALU_CYCLE_1)
	s_and_saveexec_b32 s7, s8
	s_cbranch_execz .LBB126_408
; %bb.399:                              ;   in Loop: Header=BB126_18 Depth=1
	s_mov_b32 s9, exec_lo
                                        ; implicit-def: $sgpr26
                                        ; implicit-def: $sgpr8
	v_cmpx_ge_u64_e64 s[12:13], v[4:5]
	s_xor_b32 s9, exec_lo, s9
	s_cbranch_execz .LBB126_405
; %bb.400:                              ;   in Loop: Header=BB126_18 Depth=1
	ds_load_b64 v[2:3], v13 offset:5120
	s_waitcnt lgkmcnt(0)
	v_cmp_ne_u64_e32 vcc_lo, 0, v[2:3]
	s_cbranch_vccnz .LBB126_404
; %bb.401:                              ;   in Loop: Header=BB126_18 Depth=1
	s_and_saveexec_b32 s8, s5
	s_cbranch_execz .LBB126_403
; %bb.402:                              ;   in Loop: Header=BB126_18 Depth=1
	v_dual_mov_b32 v2, s12 :: v_dual_mov_b32 v3, s13
	ds_store_b64 v13, v[2:3] offset:5128
.LBB126_403:                            ;   in Loop: Header=BB126_18 Depth=1
	s_or_b32 exec_lo, exec_lo, s8
	s_waitcnt lgkmcnt(0)
	s_barrier
	buffer_gl0_inv
.LBB126_404:                            ;   in Loop: Header=BB126_18 Depth=1
	s_lshl_b32 s8, 1, s22
	v_or_b32_e32 v26, s20, v26
	v_and_or_b32 v27, v27, s21, s8
	s_mov_b32 s8, 0
	s_mov_b32 s26, 5
.LBB126_405:                            ;   in Loop: Header=BB126_18 Depth=1
	s_or_saveexec_b32 s9, s9
	v_mov_b32_e32 v6, s26
	s_xor_b32 exec_lo, exec_lo, s9
; %bb.406:                              ;   in Loop: Header=BB126_18 Depth=1
	v_sub_co_u32 v4, vcc_lo, v4, s12
	v_subrev_co_ci_u32_e32 v5, vcc_lo, s13, v5, vcc_lo
	v_mov_b32_e32 v6, 0
	s_or_b32 s8, s8, exec_lo
; %bb.407:                              ;   in Loop: Header=BB126_18 Depth=1
	s_or_b32 exec_lo, exec_lo, s9
	s_delay_alu instid0(VALU_DEP_2)
	v_dual_mov_b32 v2, v4 :: v_dual_mov_b32 v3, v5
	s_and_b32 s26, s8, exec_lo
.LBB126_408:                            ;   in Loop: Header=BB126_18 Depth=1
	s_or_b32 exec_lo, exec_lo, s7
	s_mov_b32 s12, -1
                                        ; implicit-def: $sgpr7
                                        ; implicit-def: $sgpr8
                                        ; implicit-def: $sgpr9
	s_and_saveexec_b32 s22, s26
	s_cbranch_execz .LBB126_459
; %bb.409:                              ;   in Loop: Header=BB126_18 Depth=1
	v_cmp_eq_u64_e32 vcc_lo, 1, v[2:3]
	s_cmp_eq_u64 s[10:11], 1
	s_mov_b32 s13, -1
	s_cselect_b32 s7, -1, 0
                                        ; implicit-def: $sgpr8
                                        ; implicit-def: $sgpr9
	s_delay_alu instid0(SALU_CYCLE_1) | instskip(NEXT) | instid1(SALU_CYCLE_1)
	s_and_b32 s70, s7, vcc_lo
                                        ; implicit-def: $sgpr7
	s_and_saveexec_b32 s71, s70
	s_cbranch_execz .LBB126_446
; %bb.410:                              ;   in Loop: Header=BB126_18 Depth=1
	ds_load_b64 v[4:5], v13 offset:5120
	s_waitcnt lgkmcnt(0)
	s_barrier
	buffer_gl0_inv
	v_readfirstlane_b32 s8, v4
	v_readfirstlane_b32 s9, v5
	s_and_saveexec_b32 s7, s6
	s_cbranch_execz .LBB126_412
; %bb.411:                              ;   in Loop: Header=BB126_18 Depth=1
	ds_store_b8 v0, v13 offset:3072
.LBB126_412:                            ;   in Loop: Header=BB126_18 Depth=1
	s_or_b32 exec_lo, exec_lo, s7
	v_and_b32_e32 v27, s21, v27
	v_or_b32_e32 v26, s20, v26
	s_cmp_eq_u64 s[8:9], 0
	s_waitcnt lgkmcnt(0)
	s_barrier
	buffer_gl0_inv
	s_cbranch_scc1 .LBB126_417
; %bb.413:                              ;   in Loop: Header=BB126_18 Depth=1
	s_add_u32 s26, s86, s8
	s_addc_u32 s13, s87, s9
	s_mov_b32 s12, s73
	s_delay_alu instid0(SALU_CYCLE_1)
	s_cmp_lg_u64 s[12:13], 0
	s_cbranch_scc0 .LBB126_418
; %bb.414:                              ;   in Loop: Header=BB126_18 Depth=1
	v_cvt_f32_u32_e32 v4, s33
	s_sub_u32 s60, 0, s33
	s_subb_u32 s61, 0, 0
	s_delay_alu instid0(VALU_DEP_1) | instskip(NEXT) | instid1(VALU_DEP_1)
	v_fmac_f32_e64 v4, 0, 0x4f800000
	v_rcp_f32_e32 v4, v4
	s_waitcnt_depctr 0xfff
	v_mul_f32_e32 v4, 0x5f7ffffc, v4
	s_delay_alu instid0(VALU_DEP_1) | instskip(NEXT) | instid1(VALU_DEP_1)
	v_mul_f32_e32 v5, 0x2f800000, v4
	v_trunc_f32_e32 v5, v5
	s_delay_alu instid0(VALU_DEP_1) | instskip(SKIP_1) | instid1(VALU_DEP_2)
	v_fmac_f32_e32 v4, 0xcf800000, v5
	v_cvt_u32_f32_e32 v5, v5
	v_cvt_u32_f32_e32 v4, v4
	s_delay_alu instid0(VALU_DEP_2) | instskip(NEXT) | instid1(VALU_DEP_2)
	v_readfirstlane_b32 s7, v5
	v_readfirstlane_b32 s12, v4
	s_delay_alu instid0(VALU_DEP_2) | instskip(NEXT) | instid1(VALU_DEP_1)
	s_mul_i32 s81, s60, s7
	s_mul_hi_u32 s83, s60, s12
	s_mul_i32 s82, s61, s12
	s_add_i32 s81, s83, s81
	s_mul_i32 s84, s60, s12
	s_add_i32 s81, s81, s82
	s_mul_hi_u32 s83, s12, s84
	s_mul_hi_u32 s85, s7, s84
	s_mul_i32 s82, s7, s84
	s_mul_hi_u32 s84, s12, s81
	s_mul_i32 s12, s12, s81
	s_mul_hi_u32 vcc_lo, s7, s81
	s_add_u32 s12, s83, s12
	s_addc_u32 s83, 0, s84
	s_add_u32 s12, s12, s82
	s_mul_i32 s81, s7, s81
	s_addc_u32 s12, s83, s85
	s_addc_u32 s82, vcc_lo, 0
	s_add_u32 s12, s12, s81
	s_addc_u32 s81, 0, s82
	v_add_co_u32 v4, s12, v4, s12
	s_delay_alu instid0(VALU_DEP_1) | instskip(SKIP_1) | instid1(VALU_DEP_1)
	s_cmp_lg_u32 s12, 0
	s_addc_u32 s7, s7, s81
	v_readfirstlane_b32 s12, v4
	s_mul_i32 s81, s60, s7
	s_delay_alu instid0(VALU_DEP_1)
	s_mul_hi_u32 s82, s60, s12
	s_mul_i32 s61, s61, s12
	s_add_i32 s81, s82, s81
	s_mul_i32 s60, s60, s12
	s_add_i32 s81, s81, s61
	s_mul_hi_u32 s82, s7, s60
	s_mul_i32 s83, s7, s60
	s_mul_hi_u32 s60, s12, s60
	s_mul_hi_u32 s84, s12, s81
	s_mul_i32 s12, s12, s81
	s_mul_hi_u32 s61, s7, s81
	s_add_u32 s12, s60, s12
	s_addc_u32 s60, 0, s84
	s_add_u32 s12, s12, s83
	s_mul_i32 s81, s7, s81
	s_addc_u32 s12, s60, s82
	s_addc_u32 s60, s61, 0
	s_add_u32 s12, s12, s81
	s_addc_u32 s60, 0, s60
	v_add_co_u32 v4, s12, v4, s12
	s_delay_alu instid0(VALU_DEP_1) | instskip(SKIP_1) | instid1(VALU_DEP_1)
	s_cmp_lg_u32 s12, 0
	s_addc_u32 s7, s7, s60
	v_readfirstlane_b32 s12, v4
	s_mul_i32 s61, s26, s7
	s_mul_hi_u32 s60, s26, s7
	s_mul_hi_u32 s81, s13, s7
	s_mul_i32 s7, s13, s7
	s_mul_hi_u32 s82, s26, s12
	s_mul_hi_u32 s83, s13, s12
	s_mul_i32 s12, s13, s12
	s_add_u32 s61, s82, s61
	s_addc_u32 s60, 0, s60
	s_add_u32 s12, s61, s12
	s_addc_u32 s12, s60, s83
	s_addc_u32 s60, s81, 0
	s_add_u32 s7, s12, s7
	s_addc_u32 s12, 0, s60
	s_mul_hi_u32 s60, s33, s7
	s_mul_i32 s7, s33, s7
	s_mul_i32 s12, s33, s12
	v_sub_co_u32 v4, s7, s26, s7
	s_add_i32 s60, s60, s12
	s_cmp_lg_u32 s7, 0
	s_delay_alu instid0(VALU_DEP_1) | instskip(SKIP_3) | instid1(VALU_DEP_2)
	v_sub_co_u32 v5, s7, v4, s33
	s_subb_u32 s12, s13, s60
	s_cmp_lg_u32 s7, 0
	v_cmp_le_u32_e32 vcc_lo, s33, v4
	v_cmp_le_u32_e64 s7, s33, v5
	v_sub_co_u32 v6, s60, v5, s33
	s_subb_u32 s61, s12, 0
	s_cmp_lg_u32 s60, 0
	s_delay_alu instid0(VALU_DEP_2)
	v_cndmask_b32_e64 v7, 0, -1, s7
	s_subb_u32 s60, s61, 0
	s_cmp_eq_u32 s61, 0
	v_mov_b32_e32 v9, s60
	v_cndmask_b32_e64 v8, 0, -1, vcc_lo
	s_cselect_b32 vcc_lo, -1, 0
	s_cmp_eq_u32 s12, 0
	v_cndmask_b32_e32 v7, -1, v7, vcc_lo
	s_cselect_b32 vcc_lo, -1, 0
	v_cndmask_b32_e32 v8, -1, v8, vcc_lo
	s_delay_alu instid0(VALU_DEP_2) | instskip(NEXT) | instid1(VALU_DEP_2)
	v_cmp_ne_u32_e32 vcc_lo, 0, v7
	v_cmp_ne_u32_e64 s7, 0, v8
	v_cndmask_b32_e32 v7, s61, v9, vcc_lo
	v_cndmask_b32_e32 v6, v5, v6, vcc_lo
	s_delay_alu instid0(VALU_DEP_2) | instskip(NEXT) | instid1(VALU_DEP_2)
	v_cndmask_b32_e64 v5, s12, v7, s7
	v_cndmask_b32_e64 v4, v4, v6, s7
	s_mov_b32 s7, 0
	s_branch .LBB126_419
.LBB126_415:                            ;   in Loop: Header=BB126_18 Depth=1
                                        ; implicit-def: $vgpr2_vgpr3
	s_branch .LBB126_371
.LBB126_416:                            ;   in Loop: Header=BB126_18 Depth=1
                                        ; implicit-def: $vgpr2_vgpr3
	s_branch .LBB126_386
.LBB126_417:                            ;   in Loop: Header=BB126_18 Depth=1
	s_mov_b32 s7, -1
	s_mov_b32 s12, 0
                                        ; implicit-def: $sgpr8
                                        ; implicit-def: $vgpr28
	s_branch .LBB126_430
.LBB126_418:                            ;   in Loop: Header=BB126_18 Depth=1
	s_mov_b32 s7, -1
                                        ; implicit-def: $vgpr4_vgpr5
.LBB126_419:                            ;   in Loop: Header=BB126_18 Depth=1
	s_delay_alu instid0(SALU_CYCLE_1)
	s_and_not1_b32 vcc_lo, exec_lo, s7
	s_cbranch_vccnz .LBB126_421
; %bb.420:                              ;   in Loop: Header=BB126_18 Depth=1
	v_cvt_f32_u32_e32 v4, s33
	s_sub_i32 s7, 0, s33
	s_delay_alu instid0(VALU_DEP_1) | instskip(SKIP_2) | instid1(VALU_DEP_1)
	v_rcp_iflag_f32_e32 v4, v4
	s_waitcnt_depctr 0xfff
	v_mul_f32_e32 v4, 0x4f7ffffe, v4
	v_cvt_u32_f32_e32 v4, v4
	s_delay_alu instid0(VALU_DEP_1) | instskip(NEXT) | instid1(VALU_DEP_1)
	v_mul_lo_u32 v5, s7, v4
	v_mul_hi_u32 v5, v4, v5
	s_delay_alu instid0(VALU_DEP_1) | instskip(NEXT) | instid1(VALU_DEP_1)
	v_add_nc_u32_e32 v4, v4, v5
	v_mul_hi_u32 v4, s26, v4
	s_delay_alu instid0(VALU_DEP_1) | instskip(NEXT) | instid1(VALU_DEP_1)
	v_mul_lo_u32 v4, v4, s33
	v_sub_nc_u32_e32 v4, s26, v4
	s_delay_alu instid0(VALU_DEP_1) | instskip(SKIP_1) | instid1(VALU_DEP_2)
	v_subrev_nc_u32_e32 v5, s33, v4
	v_cmp_le_u32_e32 vcc_lo, s33, v4
	v_cndmask_b32_e32 v4, v4, v5, vcc_lo
	s_delay_alu instid0(VALU_DEP_1) | instskip(SKIP_1) | instid1(VALU_DEP_2)
	v_subrev_nc_u32_e32 v5, s33, v4
	v_cmp_le_u32_e32 vcc_lo, s33, v4
	v_cndmask_b32_e32 v12, v4, v5, vcc_lo
	s_delay_alu instid0(VALU_DEP_1)
	v_dual_mov_b32 v4, v12 :: v_dual_mov_b32 v5, v13
.LBB126_421:                            ;   in Loop: Header=BB126_18 Depth=1
	s_delay_alu instid0(VALU_DEP_1) | instskip(NEXT) | instid1(VALU_DEP_2)
	v_sub_co_u32 v4, vcc_lo, s26, v4
	v_sub_co_ci_u32_e32 v5, vcc_lo, s13, v5, vcc_lo
	s_mov_b32 s12, 0
	s_mov_b32 s13, exec_lo
                                        ; implicit-def: $vgpr28
	s_delay_alu instid0(VALU_DEP_1)
	v_cmpx_gt_u64_e64 v[4:5], v[0:1]
	s_cbranch_execz .LBB126_429
; %bb.422:                              ;   in Loop: Header=BB126_18 Depth=1
	v_dual_mov_b32 v8, v0 :: v_dual_mov_b32 v7, v1
	v_mov_b32_e32 v6, v0
                                        ; implicit-def: $sgpr26
	s_set_inst_prefetch_distance 0x1
	s_branch .LBB126_424
	.p2align	6
.LBB126_423:                            ;   in Loop: Header=BB126_424 Depth=2
	s_or_b32 exec_lo, exec_lo, s7
	s_waitcnt lgkmcnt(0)
	s_barrier
	buffer_gl0_inv
	ds_load_u16 v9, v13 offset:3072
	v_add_co_u32 v6, vcc_lo, v6, s33
	v_add_co_ci_u32_e32 v7, vcc_lo, 0, v7, vcc_lo
	v_add_nc_u32_e32 v8, s33, v8
	s_waitcnt lgkmcnt(0)
	s_barrier
	s_delay_alu instid0(VALU_DEP_2) | instskip(SKIP_2) | instid1(VALU_DEP_1)
	v_cmp_ge_u64_e32 vcc_lo, v[6:7], v[4:5]
	buffer_gl0_inv
	v_and_b32_e32 v12, 0xff, v9
	v_cmp_ne_u16_e64 s7, 0, v12
	s_delay_alu instid0(VALU_DEP_1) | instskip(NEXT) | instid1(SALU_CYCLE_1)
	s_or_b32 s60, vcc_lo, s7
	s_and_b32 s60, exec_lo, s60
	s_delay_alu instid0(SALU_CYCLE_1) | instskip(SKIP_2) | instid1(SALU_CYCLE_1)
	s_or_b32 s12, s60, s12
	s_and_not1_b32 s26, s26, exec_lo
	s_and_b32 s7, s7, exec_lo
	s_or_b32 s26, s26, s7
	s_and_not1_b32 exec_lo, exec_lo, s12
	s_cbranch_execz .LBB126_428
.LBB126_424:                            ;   Parent Loop BB126_18 Depth=1
                                        ; =>  This Inner Loop Header: Depth=2
	s_delay_alu instid0(VALU_DEP_1)
	v_cmp_gt_u64_e32 vcc_lo, s[8:9], v[6:7]
	v_mov_b32_e32 v9, 0
	s_and_saveexec_b32 s7, vcc_lo
	s_cbranch_execz .LBB126_426
; %bb.425:                              ;   in Loop: Header=BB126_424 Depth=2
	ds_load_u8 v9, v8
.LBB126_426:                            ;   in Loop: Header=BB126_424 Depth=2
	s_or_b32 exec_lo, exec_lo, s7
	s_waitcnt lgkmcnt(0)
	v_and_b32_e32 v12, v9, v26
	s_delay_alu instid0(VALU_DEP_1) | instskip(NEXT) | instid1(VALU_DEP_1)
	v_and_b32_e32 v12, 0xff, v12
	v_cmp_eq_u32_e64 s7, v12, v27
	s_delay_alu instid0(VALU_DEP_1) | instskip(NEXT) | instid1(SALU_CYCLE_1)
	s_and_b32 s60, vcc_lo, s7
	s_and_saveexec_b32 s7, s60
	s_cbranch_execz .LBB126_423
; %bb.427:                              ;   in Loop: Header=BB126_424 Depth=2
	v_lshlrev_b16 v9, 8, v9
	s_delay_alu instid0(VALU_DEP_1)
	v_or_b32_e32 v9, 1, v9
	ds_store_b16 v13, v9 offset:3072
	s_branch .LBB126_423
.LBB126_428:                            ;   in Loop: Header=BB126_18 Depth=1
	s_set_inst_prefetch_distance 0x2
	s_or_b32 exec_lo, exec_lo, s12
	v_lshrrev_b16 v28, 8, v9
	s_and_b32 s12, s26, exec_lo
.LBB126_429:                            ;   in Loop: Header=BB126_18 Depth=1
	s_or_b32 exec_lo, exec_lo, s13
	s_mov_b32 s7, 0
	s_mov_b32 s8, -1
.LBB126_430:                            ;   in Loop: Header=BB126_18 Depth=1
	s_and_b32 vcc_lo, exec_lo, s7
	s_mov_b32 s9, s7
	s_cbranch_vccz .LBB126_445
; %bb.431:                              ;   in Loop: Header=BB126_18 Depth=1
	s_mov_b32 s26, s73
	s_delay_alu instid0(SALU_CYCLE_1)
	s_cmp_lg_u64 s[26:27], 0
	s_cbranch_scc0 .LBB126_433
; %bb.432:                              ;   in Loop: Header=BB126_18 Depth=1
	v_cvt_f32_u32_e32 v4, s33
	s_sub_u32 s9, 0, s33
	s_subb_u32 s12, 0, 0
	s_delay_alu instid0(VALU_DEP_1) | instskip(NEXT) | instid1(VALU_DEP_1)
	v_fmac_f32_e64 v4, 0, 0x4f800000
	v_rcp_f32_e32 v4, v4
	s_waitcnt_depctr 0xfff
	v_mul_f32_e32 v4, 0x5f7ffffc, v4
	s_delay_alu instid0(VALU_DEP_1) | instskip(NEXT) | instid1(VALU_DEP_1)
	v_mul_f32_e32 v5, 0x2f800000, v4
	v_trunc_f32_e32 v5, v5
	s_delay_alu instid0(VALU_DEP_1) | instskip(SKIP_1) | instid1(VALU_DEP_2)
	v_fmac_f32_e32 v4, 0xcf800000, v5
	v_cvt_u32_f32_e32 v5, v5
	v_cvt_u32_f32_e32 v4, v4
	s_delay_alu instid0(VALU_DEP_2) | instskip(NEXT) | instid1(VALU_DEP_2)
	v_readfirstlane_b32 s7, v5
	v_readfirstlane_b32 s8, v4
	s_delay_alu instid0(VALU_DEP_2) | instskip(NEXT) | instid1(VALU_DEP_1)
	s_mul_i32 s13, s9, s7
	s_mul_hi_u32 s60, s9, s8
	s_mul_i32 s26, s12, s8
	s_add_i32 s13, s60, s13
	s_mul_i32 s61, s9, s8
	s_add_i32 s13, s13, s26
	s_mul_hi_u32 s60, s8, s61
	s_mul_hi_u32 s81, s7, s61
	s_mul_i32 s26, s7, s61
	s_mul_hi_u32 s61, s8, s13
	s_mul_i32 s8, s8, s13
	s_mul_hi_u32 s82, s7, s13
	s_add_u32 s8, s60, s8
	s_addc_u32 s60, 0, s61
	s_add_u32 s8, s8, s26
	s_mul_i32 s13, s7, s13
	s_addc_u32 s8, s60, s81
	s_addc_u32 s26, s82, 0
	s_add_u32 s8, s8, s13
	s_addc_u32 s13, 0, s26
	v_add_co_u32 v4, s8, v4, s8
	s_delay_alu instid0(VALU_DEP_1) | instskip(SKIP_1) | instid1(VALU_DEP_1)
	s_cmp_lg_u32 s8, 0
	s_addc_u32 s7, s7, s13
	v_readfirstlane_b32 s8, v4
	s_mul_i32 s13, s9, s7
	s_delay_alu instid0(VALU_DEP_1)
	s_mul_hi_u32 s26, s9, s8
	s_mul_i32 s12, s12, s8
	s_add_i32 s13, s26, s13
	s_mul_i32 s9, s9, s8
	s_add_i32 s13, s13, s12
	s_mul_hi_u32 s26, s7, s9
	s_mul_i32 s60, s7, s9
	s_mul_hi_u32 s9, s8, s9
	s_mul_hi_u32 s61, s8, s13
	s_mul_i32 s8, s8, s13
	s_mul_hi_u32 s12, s7, s13
	s_add_u32 s8, s9, s8
	s_addc_u32 s9, 0, s61
	s_add_u32 s8, s8, s60
	s_mul_i32 s13, s7, s13
	s_addc_u32 s8, s9, s26
	s_addc_u32 s9, s12, 0
	s_add_u32 s8, s8, s13
	s_addc_u32 s9, 0, s9
	v_add_co_u32 v4, s8, v4, s8
	s_delay_alu instid0(VALU_DEP_1) | instskip(SKIP_1) | instid1(VALU_DEP_1)
	s_cmp_lg_u32 s8, 0
	s_addc_u32 s7, s7, s9
	v_readfirstlane_b32 s8, v4
	s_mul_i32 s12, s88, s7
	s_mul_hi_u32 s9, s88, s7
	s_mul_hi_u32 s13, s27, s7
	s_mul_i32 s7, s27, s7
	s_mul_hi_u32 s26, s88, s8
	s_mul_hi_u32 s60, s27, s8
	s_mul_i32 s8, s27, s8
	s_add_u32 s12, s26, s12
	s_addc_u32 s9, 0, s9
	s_add_u32 s8, s12, s8
	s_addc_u32 s8, s9, s60
	s_addc_u32 s9, s13, 0
	s_add_u32 s7, s8, s7
	s_addc_u32 s8, 0, s9
	s_mul_hi_u32 s9, s33, s7
	s_mul_i32 s7, s33, s7
	s_mul_i32 s8, s33, s8
	v_sub_co_u32 v4, s7, s88, s7
	s_add_i32 s9, s9, s8
	s_cmp_lg_u32 s7, 0
	s_delay_alu instid0(VALU_DEP_1) | instskip(SKIP_3) | instid1(VALU_DEP_2)
	v_sub_co_u32 v5, s7, v4, s33
	s_subb_u32 s8, s27, s9
	s_cmp_lg_u32 s7, 0
	v_cmp_le_u32_e32 vcc_lo, s33, v4
	v_cmp_le_u32_e64 s7, s33, v5
	v_sub_co_u32 v6, s9, v5, s33
	s_subb_u32 s12, s8, 0
	s_cmp_lg_u32 s9, 0
	s_delay_alu instid0(VALU_DEP_2)
	v_cndmask_b32_e64 v7, 0, -1, s7
	s_subb_u32 s9, s12, 0
	s_cmp_eq_u32 s12, 0
	v_mov_b32_e32 v9, s9
	v_cndmask_b32_e64 v8, 0, -1, vcc_lo
	s_cselect_b32 vcc_lo, -1, 0
	s_cmp_eq_u32 s8, 0
	v_cndmask_b32_e32 v7, -1, v7, vcc_lo
	s_cselect_b32 vcc_lo, -1, 0
	v_cndmask_b32_e32 v8, -1, v8, vcc_lo
	s_delay_alu instid0(VALU_DEP_2) | instskip(NEXT) | instid1(VALU_DEP_2)
	v_cmp_ne_u32_e32 vcc_lo, 0, v7
	v_cmp_ne_u32_e64 s7, 0, v8
	v_cndmask_b32_e32 v7, s12, v9, vcc_lo
	v_cndmask_b32_e32 v6, v5, v6, vcc_lo
	s_delay_alu instid0(VALU_DEP_2) | instskip(NEXT) | instid1(VALU_DEP_2)
	v_cndmask_b32_e64 v5, s8, v7, s7
	v_cndmask_b32_e64 v4, v4, v6, s7
	s_mov_b32 s7, 0
	s_branch .LBB126_434
.LBB126_433:                            ;   in Loop: Header=BB126_18 Depth=1
	s_mov_b32 s7, -1
                                        ; implicit-def: $vgpr4_vgpr5
.LBB126_434:                            ;   in Loop: Header=BB126_18 Depth=1
	s_delay_alu instid0(SALU_CYCLE_1)
	s_and_not1_b32 vcc_lo, exec_lo, s7
	s_cbranch_vccnz .LBB126_436
; %bb.435:                              ;   in Loop: Header=BB126_18 Depth=1
	v_cvt_f32_u32_e32 v4, s33
	s_sub_i32 s7, 0, s33
	s_delay_alu instid0(VALU_DEP_1) | instskip(SKIP_2) | instid1(VALU_DEP_1)
	v_rcp_iflag_f32_e32 v4, v4
	s_waitcnt_depctr 0xfff
	v_mul_f32_e32 v4, 0x4f7ffffe, v4
	v_cvt_u32_f32_e32 v4, v4
	s_delay_alu instid0(VALU_DEP_1) | instskip(NEXT) | instid1(VALU_DEP_1)
	v_mul_lo_u32 v5, s7, v4
	v_mul_hi_u32 v5, v4, v5
	s_delay_alu instid0(VALU_DEP_1) | instskip(NEXT) | instid1(VALU_DEP_1)
	v_add_nc_u32_e32 v4, v4, v5
	v_mul_hi_u32 v4, s88, v4
	s_delay_alu instid0(VALU_DEP_1) | instskip(NEXT) | instid1(VALU_DEP_1)
	v_mul_lo_u32 v4, v4, s33
	v_sub_nc_u32_e32 v4, s88, v4
	s_delay_alu instid0(VALU_DEP_1) | instskip(SKIP_1) | instid1(VALU_DEP_2)
	v_subrev_nc_u32_e32 v5, s33, v4
	v_cmp_le_u32_e32 vcc_lo, s33, v4
	v_cndmask_b32_e32 v4, v4, v5, vcc_lo
	s_delay_alu instid0(VALU_DEP_1) | instskip(SKIP_1) | instid1(VALU_DEP_2)
	v_subrev_nc_u32_e32 v5, s33, v4
	v_cmp_le_u32_e32 vcc_lo, s33, v4
	v_cndmask_b32_e32 v12, v4, v5, vcc_lo
	s_delay_alu instid0(VALU_DEP_1)
	v_dual_mov_b32 v4, v12 :: v_dual_mov_b32 v5, v13
.LBB126_436:                            ;   in Loop: Header=BB126_18 Depth=1
	s_delay_alu instid0(VALU_DEP_1) | instskip(NEXT) | instid1(VALU_DEP_2)
	v_sub_co_u32 v4, vcc_lo, s88, v4
	v_sub_co_ci_u32_e32 v5, vcc_lo, s27, v5, vcc_lo
	s_mov_b32 s12, 0
	s_mov_b32 s8, exec_lo
                                        ; implicit-def: $vgpr28
	s_delay_alu instid0(VALU_DEP_1)
	v_cmpx_gt_u64_e64 v[4:5], v[0:1]
	s_cbranch_execz .LBB126_444
; %bb.437:                              ;   in Loop: Header=BB126_18 Depth=1
	v_dual_mov_b32 v7, v1 :: v_dual_mov_b32 v6, v0
	s_mov_b32 s9, 0
                                        ; implicit-def: $sgpr12
	s_branch .LBB126_439
.LBB126_438:                            ;   in Loop: Header=BB126_439 Depth=2
	s_or_b32 exec_lo, exec_lo, s7
	s_waitcnt lgkmcnt(0)
	s_barrier
	buffer_gl0_inv
	ds_load_u16 v8, v13 offset:3072
	v_add_co_u32 v6, vcc_lo, v6, s33
	v_add_co_ci_u32_e32 v7, vcc_lo, 0, v7, vcc_lo
	s_waitcnt lgkmcnt(0)
	s_barrier
	buffer_gl0_inv
	v_cmp_ge_u64_e32 vcc_lo, v[6:7], v[4:5]
	v_and_b32_e32 v9, 0xff, v8
	s_delay_alu instid0(VALU_DEP_1) | instskip(NEXT) | instid1(VALU_DEP_1)
	v_cmp_ne_u16_e64 s7, 0, v9
	s_or_b32 s13, vcc_lo, s7
	s_delay_alu instid0(SALU_CYCLE_1) | instskip(NEXT) | instid1(SALU_CYCLE_1)
	s_and_b32 s13, exec_lo, s13
	s_or_b32 s9, s13, s9
	s_and_not1_b32 s12, s12, exec_lo
	s_and_b32 s7, s7, exec_lo
	s_delay_alu instid0(SALU_CYCLE_1)
	s_or_b32 s12, s12, s7
	s_and_not1_b32 exec_lo, exec_lo, s9
	s_cbranch_execz .LBB126_443
.LBB126_439:                            ;   Parent Loop BB126_18 Depth=1
                                        ; =>  This Inner Loop Header: Depth=2
	s_delay_alu instid0(VALU_DEP_1)
	v_cmp_gt_u64_e32 vcc_lo, s[36:37], v[6:7]
	v_mov_b32_e32 v8, 0
	s_and_saveexec_b32 s7, vcc_lo
	s_cbranch_execz .LBB126_441
; %bb.440:                              ;   in Loop: Header=BB126_439 Depth=2
	v_mad_u64_u32 v[8:9], null, v6, s30, s[28:29]
	v_mul_lo_u32 v12, v6, s31
	v_mul_lo_u32 v16, v7, s30
	s_delay_alu instid0(VALU_DEP_1)
	v_add3_u32 v9, v16, v9, v12
	global_load_u8 v8, v[8:9], off
.LBB126_441:                            ;   in Loop: Header=BB126_439 Depth=2
	s_or_b32 exec_lo, exec_lo, s7
	s_waitcnt vmcnt(0)
	v_and_b32_e32 v9, v8, v26
	s_delay_alu instid0(VALU_DEP_1) | instskip(NEXT) | instid1(VALU_DEP_1)
	v_and_b32_e32 v9, 0xff, v9
	v_cmp_eq_u32_e64 s7, v9, v27
	s_delay_alu instid0(VALU_DEP_1) | instskip(NEXT) | instid1(SALU_CYCLE_1)
	s_and_b32 s13, vcc_lo, s7
	s_and_saveexec_b32 s7, s13
	s_cbranch_execz .LBB126_438
; %bb.442:                              ;   in Loop: Header=BB126_439 Depth=2
	v_lshlrev_b16 v8, 8, v8
	s_delay_alu instid0(VALU_DEP_1)
	v_or_b32_e32 v8, 1, v8
	ds_store_b16 v13, v8 offset:3072
	s_branch .LBB126_438
.LBB126_443:                            ;   in Loop: Header=BB126_18 Depth=1
	s_or_b32 exec_lo, exec_lo, s9
	v_lshrrev_b16 v28, 8, v8
	s_and_b32 s12, s12, exec_lo
.LBB126_444:                            ;   in Loop: Header=BB126_18 Depth=1
	s_or_b32 exec_lo, exec_lo, s8
	s_mov_b32 s8, 0
	s_mov_b32 s7, -1
	s_mov_b32 s9, 0
.LBB126_445:                            ;   in Loop: Header=BB126_18 Depth=1
	s_or_not1_b32 s13, s12, exec_lo
.LBB126_446:                            ;   in Loop: Header=BB126_18 Depth=1
	s_or_b32 exec_lo, exec_lo, s71
	s_mov_b32 s26, 0
                                        ; implicit-def: $vgpr6
                                        ; implicit-def: $vgpr4_vgpr5
	s_and_saveexec_b32 s12, s13
	s_cbranch_execz .LBB126_458
; %bb.447:                              ;   in Loop: Header=BB126_18 Depth=1
	v_mov_b32_e32 v4, 1
	v_dual_mov_b32 v5, 0 :: v_dual_mov_b32 v6, 1
	s_xor_b32 s26, s70, -1
	s_delay_alu instid0(SALU_CYCLE_1)
	s_and_saveexec_b32 s13, s26
	s_cbranch_execz .LBB126_457
; %bb.448:                              ;   in Loop: Header=BB126_18 Depth=1
	s_mov_b32 s26, exec_lo
                                        ; implicit-def: $sgpr60
	v_cmpx_ge_u64_e64 s[10:11], v[2:3]
	s_xor_b32 s26, exec_lo, s26
	s_cbranch_execz .LBB126_454
; %bb.449:                              ;   in Loop: Header=BB126_18 Depth=1
	ds_load_b64 v[4:5], v13 offset:5120
	s_waitcnt lgkmcnt(0)
	v_cmp_ne_u64_e32 vcc_lo, 0, v[4:5]
	s_cbranch_vccnz .LBB126_453
; %bb.450:                              ;   in Loop: Header=BB126_18 Depth=1
	s_and_saveexec_b32 s60, s5
	s_cbranch_execz .LBB126_452
; %bb.451:                              ;   in Loop: Header=BB126_18 Depth=1
	v_dual_mov_b32 v4, s10 :: v_dual_mov_b32 v5, s11
	ds_store_b64 v13, v[4:5] offset:5128
.LBB126_452:                            ;   in Loop: Header=BB126_18 Depth=1
	s_or_b32 exec_lo, exec_lo, s60
	s_waitcnt lgkmcnt(0)
	s_barrier
	buffer_gl0_inv
.LBB126_453:                            ;   in Loop: Header=BB126_18 Depth=1
	v_and_b32_e32 v27, s21, v27
	v_or_b32_e32 v26, s20, v26
	s_mov_b32 s60, 5
.LBB126_454:                            ;   in Loop: Header=BB126_18 Depth=1
	s_or_saveexec_b32 s20, s26
	v_mov_b32_e32 v6, s60
	s_xor_b32 exec_lo, exec_lo, s20
; %bb.455:                              ;   in Loop: Header=BB126_18 Depth=1
	v_sub_co_u32 v2, vcc_lo, v2, s10
	v_subrev_co_ci_u32_e32 v3, vcc_lo, s11, v3, vcc_lo
	v_mov_b32_e32 v6, 5
; %bb.456:                              ;   in Loop: Header=BB126_18 Depth=1
	s_or_b32 exec_lo, exec_lo, s20
	s_delay_alu instid0(VALU_DEP_2)
	v_dual_mov_b32 v5, v3 :: v_dual_mov_b32 v4, v2
.LBB126_457:                            ;   in Loop: Header=BB126_18 Depth=1
	s_or_b32 exec_lo, exec_lo, s13
	s_delay_alu instid0(SALU_CYCLE_1)
	s_mov_b32 s26, exec_lo
.LBB126_458:                            ;   in Loop: Header=BB126_18 Depth=1
	s_or_b32 exec_lo, exec_lo, s12
	s_delay_alu instid0(VALU_DEP_1)
	v_dual_mov_b32 v2, v4 :: v_dual_mov_b32 v3, v5
	s_or_not1_b32 s12, s26, exec_lo
.LBB126_459:                            ;   in Loop: Header=BB126_18 Depth=1
	s_or_b32 exec_lo, exec_lo, s22
	s_delay_alu instid0(SALU_CYCLE_1)
	s_and_not1_b32 s10, s14, exec_lo
	s_and_b32 s7, s7, exec_lo
	s_and_b32 s8, s8, exec_lo
	s_or_b32 s14, s10, s7
	s_and_not1_b32 s7, s15, exec_lo
	s_and_not1_b32 s10, s79, exec_lo
	s_and_b32 s9, s9, exec_lo
	v_dual_mov_b32 v5, v3 :: v_dual_mov_b32 v4, v2
	s_or_b32 s15, s7, s8
	s_or_b32 s79, s10, s9
	s_and_b32 s26, s12, exec_lo
.LBB126_460:                            ;   in Loop: Header=BB126_18 Depth=1
	s_or_b32 exec_lo, exec_lo, s80
	s_delay_alu instid0(SALU_CYCLE_1)
	s_and_b32 s14, s14, exec_lo
	s_and_b32 s9, s15, exec_lo
	;; [unrolled: 1-line block ×3, first 2 shown]
	s_or_not1_b32 s7, s26, exec_lo
.LBB126_461:                            ;   in Loop: Header=BB126_18 Depth=1
	s_or_b32 exec_lo, exec_lo, s78
	s_delay_alu instid0(SALU_CYCLE_1)
	s_and_not1_b32 s10, s16, exec_lo
	s_and_b32 s11, s14, exec_lo
	s_and_b32 s9, s9, exec_lo
	s_or_b32 s16, s10, s11
	s_and_not1_b32 s10, s17, exec_lo
	s_and_not1_b32 s11, s76, exec_lo
	s_and_b32 s8, s8, exec_lo
	v_dual_mov_b32 v2, v4 :: v_dual_mov_b32 v3, v5
	s_or_b32 s17, s10, s9
	s_or_b32 s76, s11, s8
	s_and_b32 s26, s7, exec_lo
.LBB126_462:                            ;   in Loop: Header=BB126_18 Depth=1
	s_or_b32 exec_lo, exec_lo, s77
	s_delay_alu instid0(SALU_CYCLE_1)
	s_and_b32 s16, s16, exec_lo
	s_and_b32 s9, s17, exec_lo
	;; [unrolled: 1-line block ×3, first 2 shown]
	s_or_not1_b32 s17, s26, exec_lo
.LBB126_463:                            ;   in Loop: Header=BB126_18 Depth=1
	s_or_b32 exec_lo, exec_lo, s72
	s_mov_b32 s7, s25
	s_mov_b32 s10, s24
	s_and_saveexec_b32 s11, s17
; %bb.464:                              ;   in Loop: Header=BB126_18 Depth=1
	v_cmp_eq_u32_e32 vcc_lo, 5, v6
	v_cmp_ne_u32_e64 s7, 5, v6
	s_and_not1_b32 s10, s24, exec_lo
	s_and_not1_b32 s12, s25, exec_lo
	;; [unrolled: 1-line block ×3, first 2 shown]
	s_and_b32 s13, vcc_lo, exec_lo
	s_and_b32 s7, s7, exec_lo
	s_and_not1_b32 s9, s9, exec_lo
	s_and_not1_b32 s8, s8, exec_lo
	s_or_b32 s10, s10, s7
	s_or_b32 s7, s12, s13
; %bb.465:                              ;   in Loop: Header=BB126_18 Depth=1
	s_or_b32 exec_lo, exec_lo, s11
	s_delay_alu instid0(SALU_CYCLE_1)
	s_and_not1_b32 s11, s18, exec_lo
	s_and_b32 s12, s16, exec_lo
	s_and_b32 s9, s9, exec_lo
	s_or_b32 s18, s11, s12
	s_and_not1_b32 s11, s19, exec_lo
	s_and_not1_b32 s12, s23, exec_lo
	s_and_b32 s8, s8, exec_lo
	v_dual_mov_b32 v8, v27 :: v_dual_mov_b32 v9, v26
	v_mov_b32_e32 v18, v28
	s_or_b32 s19, s11, s9
	s_or_b32 s23, s12, s8
	s_and_not1_b32 s8, s24, exec_lo
	s_and_b32 s9, s10, exec_lo
	s_and_not1_b32 s10, s25, exec_lo
	s_and_b32 s7, s7, exec_lo
	s_or_b32 s24, s8, s9
	s_or_b32 s25, s10, s7
.LBB126_466:                            ;   in Loop: Header=BB126_18 Depth=1
	s_or_b32 exec_lo, exec_lo, s69
	s_mov_b32 s72, s23
	s_mov_b32 s69, s23
	s_and_saveexec_b32 s7, s25
.LBB126_467:                            ;   in Loop: Header=BB126_18 Depth=1
	v_mov_b32_e32 v6, 0
	s_and_not1_b32 s23, s23, exec_lo
	s_and_not1_b32 s18, s18, exec_lo
	;; [unrolled: 1-line block ×5, first 2 shown]
	s_or_b32 s24, s24, exec_lo
.LBB126_468:                            ;   in Loop: Header=BB126_18 Depth=1
	s_or_b32 exec_lo, exec_lo, s7
	s_delay_alu instid0(SALU_CYCLE_1)
	s_and_not1_b32 s7, s68, exec_lo
	s_and_b32 s9, s23, exec_lo
	s_and_not1_b32 s10, s103, exec_lo
	s_or_b32 s68, s7, s9
	s_and_not1_b32 s7, vcc_hi, exec_lo
	s_and_b32 s9, s18, exec_lo
	s_and_b32 s11, s19, exec_lo
	s_or_b32 vcc_hi, s7, s9
	s_or_b32 s103, s10, s11
	s_and_not1_b32 s7, s104, exec_lo
	s_and_b32 s9, s72, exec_lo
	s_and_not1_b32 s10, s102, exec_lo
	s_and_b32 s11, s69, exec_lo
	s_mov_b32 s8, -1
	s_or_b32 s104, s7, s9
	s_or_b32 s102, s10, s11
                                        ; implicit-def: $vgpr26
                                        ; implicit-def: $vgpr27
                                        ; implicit-def: $vgpr16_vgpr17
                                        ; implicit-def: $vgpr28
	s_and_saveexec_b32 s7, s24
	s_delay_alu instid0(SALU_CYCLE_1)
	s_xor_b32 s7, exec_lo, s7
	s_cbranch_execz .LBB126_17
; %bb.469:                              ;   in Loop: Header=BB126_18 Depth=1
	s_mov_b32 s9, -1
	s_mov_b32 s10, exec_lo
	v_cmpx_eq_u32_e32 0, v6
	s_cbranch_execz .LBB126_16
; %bb.470:                              ;   in Loop: Header=BB126_18 Depth=1
	s_xor_b32 s97, s97, 1
	s_add_i32 s11, s93, -2
	s_cmp_eq_u32 s93, 0
	s_mov_b32 s93, s11
	s_cselect_b32 s8, -1, 0
	s_xor_b32 s9, exec_lo, -1
	s_or_not1_b32 s8, s8, exec_lo
	s_branch .LBB126_16
.LBB126_471:
	s_or_b32 exec_lo, exec_lo, s94
	s_xor_b32 s7, s101, -1
	s_xor_b32 s9, s99, -1
	;; [unrolled: 1-line block ×5, first 2 shown]
	s_mov_b32 s8, 0
	s_and_saveexec_b32 s12, s11
	s_delay_alu instid0(SALU_CYCLE_1)
	s_xor_b32 s14, exec_lo, s12
	s_cbranch_execz .LBB126_528
; %bb.472:
	s_and_saveexec_b32 s11, s10
	s_delay_alu instid0(SALU_CYCLE_1)
	s_xor_b32 s15, exec_lo, s11
	s_cbranch_execz .LBB126_526
; %bb.473:
	;; [unrolled: 5-line block ×4, first 2 shown]
	s_and_saveexec_b32 s7, s6
	s_delay_alu instid0(SALU_CYCLE_1)
	s_xor_b32 s6, exec_lo, s7
; %bb.476:
	v_mov_b32_e32 v18, v8
; %bb.477:
	s_or_b32 exec_lo, exec_lo, s6
	s_and_saveexec_b32 s6, s5
	s_cbranch_execz .LBB126_479
; %bb.478:
	v_mov_b32_e32 v2, 0
	s_delay_alu instid0(VALU_DEP_1)
	v_mov_b32_e32 v3, v2
	ds_store_b64 v2, v[2:3] offset:5136
.LBB126_479:
	s_or_b32 exec_lo, exec_lo, s6
	v_mov_b32_e32 v15, 0
	s_waitcnt lgkmcnt(0)
	s_barrier
	buffer_gl0_inv
	s_and_saveexec_b32 s5, s4
	s_cbranch_execz .LBB126_481
; %bb.480:
	global_load_u8 v15, v[10:11], off
.LBB126_481:
	s_or_b32 exec_lo, exec_lo, s5
	s_clause 0x1
	s_load_b64 s[26:27], s[0:1], 0x450
	s_load_b128 s[48:51], s[0:1], 0x298
	s_add_u32 s5, s36, 31
	s_addc_u32 s7, s37, 0
	s_and_b32 s6, s5, 0xffffffe0
	s_mul_i32 s5, s64, s47
	s_mul_hi_u32 s8, s64, s46
	s_mul_i32 s9, s64, s46
	s_add_i32 s8, s8, s5
	s_sub_u32 s5, s34, s9
	s_subb_u32 s8, 0, s8
	s_load_b64 s[22:23], s[0:1], 0x2a8
	s_mul_i32 s13, s58, s42
	s_mul_i32 s21, s62, s44
	v_and_b32_e32 v14, 0xff, v18
	s_waitcnt lgkmcnt(0)
	s_mul_i32 s9, s5, s27
	s_mul_hi_u32 s10, s5, s26
	s_mul_i32 s8, s8, s26
	s_add_i32 s9, s10, s9
	s_mul_i32 s10, s56, s40
	s_add_i32 s19, s9, s8
	s_mul_i32 s8, s56, s41
	s_mul_hi_u32 s9, s56, s40
	s_mul_hi_u32 s12, s56, s48
	s_add_i32 s9, s9, s8
	s_sub_u32 s8, s58, s10
	s_subb_u32 s9, s59, s9
	s_mul_i32 s10, s8, s51
	s_mul_hi_u32 s11, s8, s50
	s_mul_i32 s9, s9, s50
	s_add_i32 s10, s11, s10
	s_mul_i32 s11, s56, s49
	s_add_i32 s10, s10, s9
	s_add_i32 s12, s12, s11
	s_mul_i32 s9, s58, s43
	s_mul_hi_u32 s11, s58, s42
	s_load_b128 s[40:43], s[0:1], 0x440
	s_add_i32 s11, s11, s9
	s_sub_u32 s9, s34, s13
	s_load_b64 s[34:35], s[0:1], 0x1c8
	s_mul_i32 s13, s9, s23
	s_mul_hi_u32 s18, s9, s22
	s_subb_u32 s11, 0, s11
	s_add_i32 s13, s18, s13
	s_mul_i32 s11, s11, s22
	s_mul_i32 s9, s9, s22
	s_add_i32 s20, s13, s11
	s_mul_i32 s11, s62, s45
	s_mul_hi_u32 s13, s62, s44
	s_mul_i32 s18, s56, s48
	s_add_i32 s13, s13, s11
	s_sub_u32 s24, s64, s21
	s_subb_u32 s13, s65, s13
	s_mul_i32 s8, s8, s50
	s_waitcnt lgkmcnt(0)
	s_mul_i32 s11, s24, s43
	s_mul_hi_u32 s21, s24, s42
	s_mul_i32 s13, s13, s42
	s_add_i32 s11, s21, s11
	s_mul_i32 s22, s62, s41
	s_mul_hi_u32 s23, s62, s40
	s_add_i32 s21, s11, s13
	s_add_i32 s23, s23, s22
	s_add_u32 s11, s34, s18
	s_addc_u32 s12, s35, s12
	s_add_u32 s8, s11, s8
	s_addc_u32 s18, s12, s10
	s_clause 0x1
	s_load_b64 s[10:11], s[0:1], 0x368
	s_load_b64 s[12:13], s[0:1], 0x510
	s_mul_i32 s22, s62, s40
	s_add_u32 s8, s8, s9
	s_addc_u32 s9, s18, s20
	s_lshl_b64 s[0:1], s[22:23], 3
	v_readlane_b32 s22, v33, 0
	v_readlane_b32 s23, v33, 1
	s_mul_i32 s20, s24, s42
	s_mul_i32 s18, s5, s26
	s_delay_alu instid0(VALU_DEP_2) | instskip(NEXT) | instid1(VALU_DEP_1)
	s_add_u32 s22, s22, s0
	s_addc_u32 s23, s23, s1
	s_lshl_b64 s[0:1], s[20:21], 3
	s_mov_b32 s20, exec_lo
	s_add_u32 s0, s22, s0
	s_addc_u32 s5, s23, s1
	s_lshl_b64 s[18:19], s[18:19], 3
	s_delay_alu instid0(SALU_CYCLE_1)
	s_add_u32 s1, s0, s18
	s_addc_u32 s5, s5, s19
	s_mov_b32 s0, -1
	s_mov_b32 s19, 0
	s_mov_b32 s18, 0
	v_cmpx_gt_u64_e64 s[6:7], v[0:1]
	s_cbranch_execz .LBB126_497
; %bb.482:
	v_mov_b32_e32 v9, v1
	v_dual_mov_b32 v3, 0 :: v_dual_mov_b32 v8, v0
                                        ; implicit-def: $sgpr21
                                        ; implicit-def: $vgpr6_vgpr7
	s_branch .LBB126_484
.LBB126_483:                            ;   in Loop: Header=BB126_484 Depth=1
	s_or_b32 exec_lo, exec_lo, s22
	s_xor_b32 s22, s24, -1
	s_and_b32 s0, exec_lo, s0
	v_mov_b32_e32 v15, v16
	s_or_b32 s18, s0, s18
	v_dual_mov_b32 v9, v5 :: v_dual_mov_b32 v8, v4
	s_and_not1_b32 s0, s21, exec_lo
	s_and_b32 s21, s22, exec_lo
	s_delay_alu instid0(SALU_CYCLE_1)
	s_or_b32 s21, s0, s21
	s_and_not1_b32 exec_lo, exec_lo, s18
	s_cbranch_execz .LBB126_496
.LBB126_484:                            ; =>This Inner Loop Header: Depth=1
	s_delay_alu instid0(VALU_DEP_1) | instskip(NEXT) | instid1(VALU_DEP_3)
	v_add_co_u32 v4, vcc_lo, v8, s33
	v_add_co_ci_u32_e32 v5, vcc_lo, 0, v9, vcc_lo
	v_mov_b32_e32 v16, 0
	s_mov_b32 s0, exec_lo
	s_delay_alu instid0(VALU_DEP_2)
	v_cmpx_gt_u64_e64 s[36:37], v[4:5]
	s_cbranch_execz .LBB126_486
; %bb.485:                              ;   in Loop: Header=BB126_484 Depth=1
	v_mad_u64_u32 v[12:13], null, v4, s30, s[28:29]
	v_mul_lo_u32 v2, v4, s31
	v_mul_lo_u32 v16, v5, s30
	s_delay_alu instid0(VALU_DEP_1)
	v_add3_u32 v13, v16, v13, v2
	global_load_u8 v16, v[12:13], off
.LBB126_486:                            ;   in Loop: Header=BB126_484 Depth=1
	s_or_b32 exec_lo, exec_lo, s0
	s_waitcnt vmcnt(0)
	v_and_b32_e32 v2, 0xff, v15
	s_delay_alu instid0(VALU_DEP_1) | instskip(SKIP_4) | instid1(VALU_DEP_2)
	v_cmp_gt_u16_e32 vcc_lo, v2, v14
	v_cndmask_b32_e64 v12, 0, 1, vcc_lo
	v_cmp_lt_u16_e32 vcc_lo, v2, v14
	v_cndmask_b32_e64 v2, 0, 1, vcc_lo
	v_cmp_gt_u64_e32 vcc_lo, s[36:37], v[8:9]
	v_cndmask_b32_e64 v2, v2, v12, s3
	s_delay_alu instid0(VALU_DEP_1) | instskip(NEXT) | instid1(VALU_DEP_1)
	v_and_b32_e32 v2, 1, v2
	v_cmp_eq_u32_e64 s0, 1, v2
	s_delay_alu instid0(VALU_DEP_1) | instskip(NEXT) | instid1(SALU_CYCLE_1)
	s_and_b32 s22, vcc_lo, s0
	v_cndmask_b32_e64 v2, 0, 1, s22
	s_delay_alu instid0(VALU_DEP_1) | instskip(SKIP_2) | instid1(SALU_CYCLE_1)
	v_cmp_ne_u32_e32 vcc_lo, 0, v2
	s_cmp_lg_u32 vcc_lo, 0
	s_cselect_b32 s0, -1, 0
	s_and_b32 s0, s2, s0
	s_delay_alu instid0(SALU_CYCLE_1)
	s_and_saveexec_b32 s23, s0
	s_cbranch_execz .LBB126_490
; %bb.487:                              ;   in Loop: Header=BB126_484 Depth=1
	s_mov_b32 s26, exec_lo
	s_bcnt1_i32_b32 s24, vcc_lo
	v_mbcnt_lo_u32_b32 v12, s26, 0
	s_mov_b32 s25, exec_lo
                                        ; implicit-def: $vgpr6_vgpr7
	s_delay_alu instid0(VALU_DEP_1)
	v_cmpx_eq_u32_e32 0, v12
	s_cbranch_execz .LBB126_489
; %bb.488:                              ;   in Loop: Header=BB126_484 Depth=1
	s_bcnt1_i32_b32 s0, s26
	s_delay_alu instid0(SALU_CYCLE_1) | instskip(NEXT) | instid1(SALU_CYCLE_1)
	s_mul_i32 s0, s24, s0
	v_mov_b32_e32 v2, s0
	s_waitcnt lgkmcnt(0)
	ds_add_rtn_u64 v[6:7], v3, v[2:3] offset:5136
.LBB126_489:                            ;   in Loop: Header=BB126_484 Depth=1
	s_or_b32 exec_lo, exec_lo, s25
	s_waitcnt lgkmcnt(0)
	v_readfirstlane_b32 s27, v7
	v_readfirstlane_b32 s26, v6
	s_delay_alu instid0(VALU_DEP_1)
	v_mad_u64_u32 v[6:7], null, s24, v12, s[26:27]
.LBB126_490:                            ;   in Loop: Header=BB126_484 Depth=1
	s_or_b32 exec_lo, exec_lo, s23
	s_waitcnt lgkmcnt(0)
	ds_bpermute_b32 v6, v3, v6
	ds_bpermute_b32 v7, v3, v7
	s_mov_b32 s0, -1
	s_mov_b32 s25, -1
                                        ; implicit-def: $sgpr24
	s_and_saveexec_b32 s23, s22
	s_cbranch_execz .LBB126_494
; %bb.491:                              ;   in Loop: Header=BB126_484 Depth=1
	v_and_b32_e32 v2, vcc_lo, v22
	s_mov_b32 s22, 0
	s_mov_b32 s24, exec_lo
	s_delay_alu instid0(VALU_DEP_1) | instskip(SKIP_1) | instid1(VALU_DEP_1)
	v_bcnt_u32_b32 v2, v2, 0
	s_waitcnt lgkmcnt(0)
	v_add_co_u32 v12, vcc_lo, v6, v2
	v_add_co_ci_u32_e32 v13, vcc_lo, 0, v7, vcc_lo
	s_delay_alu instid0(VALU_DEP_1)
	v_cmpx_gt_u64_e64 s[38:39], v[12:13]
	s_cbranch_execz .LBB126_493
; %bb.492:                              ;   in Loop: Header=BB126_484 Depth=1
	v_mul_lo_u32 v2, v13, s12
	v_mul_lo_u32 v17, v12, s13
	v_mad_u64_u32 v[19:20], null, v12, s12, 0
	v_mad_u64_u32 v[23:24], null, v12, s10, s[8:9]
	v_mul_lo_u32 v21, v12, s11
	s_mov_b32 s22, exec_lo
	s_delay_alu instid0(VALU_DEP_3) | instskip(SKIP_1) | instid1(VALU_DEP_2)
	v_add3_u32 v20, v20, v17, v2
	v_mul_lo_u32 v2, v13, s10
	v_lshlrev_b64 v[12:13], 3, v[19:20]
	s_delay_alu instid0(VALU_DEP_2) | instskip(NEXT) | instid1(VALU_DEP_2)
	v_add3_u32 v24, v2, v24, v21
	v_add_co_u32 v12, vcc_lo, s1, v12
	s_delay_alu instid0(VALU_DEP_3)
	v_add_co_ci_u32_e32 v13, vcc_lo, s5, v13, vcc_lo
	global_store_b8 v[23:24], v15, off
	global_store_b64 v[12:13], v[8:9], off
.LBB126_493:                            ;   in Loop: Header=BB126_484 Depth=1
	s_or_b32 exec_lo, exec_lo, s24
	s_mov_b32 s24, -1
	s_or_not1_b32 s25, s22, exec_lo
.LBB126_494:                            ;   in Loop: Header=BB126_484 Depth=1
	s_or_b32 exec_lo, exec_lo, s23
	s_and_saveexec_b32 s22, s25
	s_cbranch_execz .LBB126_483
; %bb.495:                              ;   in Loop: Header=BB126_484 Depth=1
	v_cmp_le_u64_e32 vcc_lo, s[6:7], v[4:5]
	s_and_not1_b32 s24, s24, exec_lo
	s_or_not1_b32 s0, vcc_lo, exec_lo
	s_branch .LBB126_483
.LBB126_496:
	s_or_b32 exec_lo, exec_lo, s18
	s_delay_alu instid0(SALU_CYCLE_1)
	s_mov_b32 s18, exec_lo
	s_or_not1_b32 s0, s21, exec_lo
.LBB126_497:
	s_or_b32 exec_lo, exec_lo, s20
	s_and_saveexec_b32 s3, s0
	s_cbranch_execz .LBB126_520
; %bb.498:
	v_dual_mov_b32 v3, 0 :: v_dual_mov_b32 v8, 0
	s_waitcnt vmcnt(0) lgkmcnt(0)
	s_waitcnt_vscnt null, 0x0
	s_barrier
	buffer_gl0_inv
	s_and_saveexec_b32 s0, s4
	s_cbranch_execz .LBB126_500
; %bb.499:
	global_load_u8 v8, v[10:11], off
.LBB126_500:
	s_or_b32 exec_lo, exec_lo, s0
	s_mov_b32 s19, 0
                                        ; implicit-def: $sgpr4
                                        ; implicit-def: $sgpr20
                                        ; implicit-def: $sgpr21
                                        ; implicit-def: $vgpr4_vgpr5
	s_branch .LBB126_503
.LBB126_501:                            ;   in Loop: Header=BB126_503 Depth=1
	s_or_b32 exec_lo, exec_lo, s24
	v_dual_mov_b32 v0, v6 :: v_dual_mov_b32 v1, v7
	s_and_not1_b32 s0, s21, exec_lo
	s_and_b32 s21, s26, exec_lo
	s_and_not1_b32 s20, s20, exec_lo
	s_and_b32 s23, s23, exec_lo
	s_or_b32 s21, s0, s21
	s_or_b32 s20, s20, s23
.LBB126_502:                            ;   in Loop: Header=BB126_503 Depth=1
	s_or_b32 exec_lo, exec_lo, s22
	s_xor_b32 s0, s21, -1
	s_and_b32 s22, exec_lo, s20
	s_delay_alu instid0(SALU_CYCLE_1) | instskip(SKIP_2) | instid1(SALU_CYCLE_1)
	s_or_b32 s19, s22, s19
	s_and_not1_b32 s4, s4, exec_lo
	s_and_b32 s0, s0, exec_lo
	s_or_b32 s4, s4, s0
	s_and_not1_b32 exec_lo, exec_lo, s19
	s_cbranch_execz .LBB126_518
.LBB126_503:                            ; =>This Inner Loop Header: Depth=1
	s_or_b32 s21, s21, exec_lo
	s_or_b32 s20, s20, exec_lo
	s_mov_b32 s22, exec_lo
	v_cmpx_gt_u64_e64 s[6:7], v[0:1]
	s_cbranch_execz .LBB126_502
; %bb.504:                              ;   in Loop: Header=BB126_503 Depth=1
	v_add_co_u32 v6, vcc_lo, v0, s33
	v_add_co_ci_u32_e32 v7, vcc_lo, 0, v1, vcc_lo
	v_mov_b32_e32 v10, 0
	s_mov_b32 s0, exec_lo
	s_delay_alu instid0(VALU_DEP_2)
	v_cmpx_gt_u64_e64 s[36:37], v[6:7]
	s_cbranch_execz .LBB126_506
; %bb.505:                              ;   in Loop: Header=BB126_503 Depth=1
	v_mad_u64_u32 v[9:10], null, v6, s30, s[28:29]
	v_mul_lo_u32 v2, v6, s31
	v_mul_lo_u32 v11, v7, s30
	s_delay_alu instid0(VALU_DEP_1)
	v_add3_u32 v10, v11, v10, v2
	global_load_u8 v10, v[9:10], off
.LBB126_506:                            ;   in Loop: Header=BB126_503 Depth=1
	s_or_b32 exec_lo, exec_lo, s0
	s_waitcnt vmcnt(0)
	v_and_b32_e32 v2, 0xff, v8
	v_cmp_gt_u64_e32 vcc_lo, s[36:37], v[0:1]
	s_delay_alu instid0(VALU_DEP_2) | instskip(NEXT) | instid1(VALU_DEP_1)
	v_cmp_eq_u16_e64 s0, v2, v14
	s_and_b32 s24, vcc_lo, s0
	s_delay_alu instid0(SALU_CYCLE_1) | instskip(NEXT) | instid1(VALU_DEP_1)
	v_cndmask_b32_e64 v2, 0, 1, s24
	v_cmp_ne_u32_e32 vcc_lo, 0, v2
	s_cmp_lg_u32 vcc_lo, 0
	s_cselect_b32 s0, -1, 0
	s_delay_alu instid0(SALU_CYCLE_1) | instskip(NEXT) | instid1(SALU_CYCLE_1)
	s_and_b32 s0, s2, s0
	s_and_saveexec_b32 s23, s0
	s_cbranch_execz .LBB126_510
; %bb.507:                              ;   in Loop: Header=BB126_503 Depth=1
	s_mov_b32 s27, exec_lo
	s_bcnt1_i32_b32 s25, vcc_lo
	v_mbcnt_lo_u32_b32 v9, s27, 0
	s_mov_b32 s26, exec_lo
                                        ; implicit-def: $vgpr4_vgpr5
	s_delay_alu instid0(VALU_DEP_1)
	v_cmpx_eq_u32_e32 0, v9
	s_cbranch_execz .LBB126_509
; %bb.508:                              ;   in Loop: Header=BB126_503 Depth=1
	s_bcnt1_i32_b32 s0, s27
	s_delay_alu instid0(SALU_CYCLE_1) | instskip(NEXT) | instid1(SALU_CYCLE_1)
	s_mul_i32 s0, s25, s0
	v_mov_b32_e32 v2, s0
	ds_add_rtn_u64 v[4:5], v3, v[2:3] offset:5136
.LBB126_509:                            ;   in Loop: Header=BB126_503 Depth=1
	s_or_b32 exec_lo, exec_lo, s26
	s_waitcnt lgkmcnt(0)
	v_readfirstlane_b32 s27, v5
	v_readfirstlane_b32 s26, v4
	s_delay_alu instid0(VALU_DEP_1)
	v_mad_u64_u32 v[4:5], null, s25, v9, s[26:27]
.LBB126_510:                            ;   in Loop: Header=BB126_503 Depth=1
	s_or_b32 exec_lo, exec_lo, s23
	ds_bpermute_b32 v4, v3, v4
	ds_bpermute_b32 v5, v3, v5
	s_cmp_eq_u32 vcc_lo, 0
	s_mov_b32 s23, -1
	s_cselect_b32 s25, -1, 0
	s_mov_b32 s26, -1
	s_waitcnt lgkmcnt(0)
	v_cmp_gt_u64_e64 s0, s[38:39], v[4:5]
	s_delay_alu instid0(VALU_DEP_1) | instskip(SKIP_3) | instid1(SALU_CYCLE_1)
	s_or_b32 s0, s25, s0
	s_mov_b32 s25, -1
	v_cndmask_b32_e64 v8, v8, v10, s0
	s_and_b32 s27, s24, s0
	s_and_saveexec_b32 s24, s27
	s_cbranch_execz .LBB126_516
; %bb.511:                              ;   in Loop: Header=BB126_503 Depth=1
	v_and_b32_e32 v2, vcc_lo, v22
	v_sub_co_u32 v8, vcc_lo, s38, v4
	v_sub_co_ci_u32_e32 v9, vcc_lo, s39, v5, vcc_lo
	s_delay_alu instid0(VALU_DEP_3) | instskip(SKIP_2) | instid1(VALU_DEP_1)
	v_bcnt_u32_b32 v2, v2, 0
	s_mov_b32 s27, -1
	s_mov_b32 s26, exec_lo
	v_cmp_le_u64_e64 s25, v[8:9], v[2:3]
	v_cmpx_gt_u64_e64 v[8:9], v[2:3]
	s_cbranch_execz .LBB126_515
; %bb.512:                              ;   in Loop: Header=BB126_503 Depth=1
	v_add_co_u32 v8, vcc_lo, v4, v2
	v_add_co_ci_u32_e32 v9, vcc_lo, 0, v5, vcc_lo
	s_delay_alu instid0(VALU_DEP_4) | instskip(SKIP_1) | instid1(VALU_DEP_1)
	s_mov_b32 s34, s25
	s_mov_b32 s27, exec_lo
	v_cmpx_gt_u64_e64 s[38:39], v[8:9]
	s_cbranch_execz .LBB126_514
; %bb.513:                              ;   in Loop: Header=BB126_503 Depth=1
	v_mul_lo_u32 v2, v9, s12
	v_mul_lo_u32 v13, v8, s13
	v_mad_u64_u32 v[11:12], null, v8, s12, 0
	v_mad_u64_u32 v[15:16], null, v8, s10, s[8:9]
	v_mul_lo_u32 v17, v8, s11
	s_or_b32 s34, s25, exec_lo
	s_delay_alu instid0(VALU_DEP_3) | instskip(SKIP_1) | instid1(VALU_DEP_2)
	v_add3_u32 v12, v12, v13, v2
	v_mul_lo_u32 v2, v9, s10
	v_lshlrev_b64 v[8:9], 3, v[11:12]
	s_delay_alu instid0(VALU_DEP_2) | instskip(NEXT) | instid1(VALU_DEP_2)
	v_add3_u32 v16, v2, v16, v17
	v_add_co_u32 v8, vcc_lo, s1, v8
	s_delay_alu instid0(VALU_DEP_3)
	v_add_co_ci_u32_e32 v9, vcc_lo, s5, v9, vcc_lo
	global_store_b8 v[15:16], v18, off
	global_store_b64 v[8:9], v[0:1], off
.LBB126_514:                            ;   in Loop: Header=BB126_503 Depth=1
	s_or_b32 exec_lo, exec_lo, s27
	s_delay_alu instid0(SALU_CYCLE_1)
	s_and_not1_b32 s25, s25, exec_lo
	s_and_b32 s34, s34, exec_lo
	s_xor_b32 s27, exec_lo, -1
	s_or_b32 s25, s25, s34
.LBB126_515:                            ;   in Loop: Header=BB126_503 Depth=1
	s_or_b32 exec_lo, exec_lo, s26
	v_mov_b32_e32 v8, v10
	s_or_not1_b32 s26, s27, exec_lo
	s_or_b32 s0, s0, exec_lo
	s_or_not1_b32 s25, s25, exec_lo
.LBB126_516:                            ;   in Loop: Header=BB126_503 Depth=1
	s_or_b32 exec_lo, exec_lo, s24
	s_and_saveexec_b32 s24, s25
	s_cbranch_execz .LBB126_501
; %bb.517:                              ;   in Loop: Header=BB126_503 Depth=1
	s_xor_b32 s0, s0, -1
	s_or_b32 s26, s26, exec_lo
	s_or_not1_b32 s23, s0, exec_lo
	s_branch .LBB126_501
.LBB126_518:
	s_or_b32 exec_lo, exec_lo, s19
	s_mov_b32 s0, 0
	s_and_saveexec_b32 s1, s4
	s_delay_alu instid0(SALU_CYCLE_1)
	s_xor_b32 s1, exec_lo, s1
	s_cbranch_execnz .LBB126_550
.LBB126_519:
	s_or_b32 exec_lo, exec_lo, s1
	s_delay_alu instid0(SALU_CYCLE_1)
	s_and_b32 s19, s0, exec_lo
	s_and_not1_b32 s18, s18, exec_lo
.LBB126_520:
	s_or_b32 exec_lo, exec_lo, s3
	s_and_saveexec_b32 s0, s18
	s_delay_alu instid0(SALU_CYCLE_1)
	s_xor_b32 s0, exec_lo, s0
	s_cbranch_execnz .LBB126_546
.LBB126_521:
	s_or_b32 exec_lo, exec_lo, s0
	s_delay_alu instid0(SALU_CYCLE_1)
	s_and_b32 s8, s19, exec_lo
.LBB126_522:
	s_and_not1_saveexec_b32 s0, s17
	s_cbranch_execnz .LBB126_542
.LBB126_523:
	s_or_b32 exec_lo, exec_lo, s0
	s_delay_alu instid0(SALU_CYCLE_1)
	s_and_b32 s8, s8, exec_lo
.LBB126_524:
	s_and_not1_saveexec_b32 s0, s16
	s_cbranch_execnz .LBB126_538
.LBB126_525:
	s_or_b32 exec_lo, exec_lo, s0
	s_delay_alu instid0(SALU_CYCLE_1)
	s_and_b32 s8, s8, exec_lo
.LBB126_526:
	s_and_not1_saveexec_b32 s0, s15
	s_cbranch_execnz .LBB126_534
.LBB126_527:
	s_or_b32 exec_lo, exec_lo, s0
	s_delay_alu instid0(SALU_CYCLE_1)
	s_and_b32 s8, s8, exec_lo
.LBB126_528:
	s_and_not1_saveexec_b32 s0, s14
	s_cbranch_execnz .LBB126_532
; %bb.529:
	s_or_b32 exec_lo, exec_lo, s0
	s_and_saveexec_b32 s0, s8
.LBB126_530:
	; divergent unreachable
.LBB126_531:
	s_nop 0
	s_sendmsg sendmsg(MSG_DEALLOC_VGPRS)
	s_endpgm
.LBB126_532:
	s_cbranch_execnz .LBB126_536
; %bb.533:
	s_or_b32 s8, s8, exec_lo
	s_or_b32 exec_lo, exec_lo, s0
	s_and_saveexec_b32 s0, s8
	s_cbranch_execnz .LBB126_530
	s_branch .LBB126_531
.LBB126_534:
	s_cbranch_execnz .LBB126_540
; %bb.535:
	s_or_b32 s8, s8, exec_lo
	s_branch .LBB126_527
.LBB126_536:
	s_trap 2
	s_sendmsg_rtn_b32 s0, sendmsg(MSG_RTN_GET_DOORBELL)
	s_mov_b32 ttmp2, m0
	s_waitcnt lgkmcnt(0)
	s_and_b32 s0, s0, 0x3ff
	s_delay_alu instid0(SALU_CYCLE_1) | instskip(NEXT) | instid1(SALU_CYCLE_1)
	s_bitset1_b32 s0, 10
	s_mov_b32 m0, s0
	s_sendmsg sendmsg(MSG_INTERRUPT)
	s_mov_b32 m0, ttmp2
.LBB126_537:                            ; =>This Inner Loop Header: Depth=1
	s_sethalt 5
	s_branch .LBB126_537
.LBB126_538:
	s_cbranch_execnz .LBB126_544
; %bb.539:
	s_or_b32 s8, s8, exec_lo
	s_branch .LBB126_525
.LBB126_540:
	s_trap 2
	s_sendmsg_rtn_b32 s0, sendmsg(MSG_RTN_GET_DOORBELL)
	s_mov_b32 ttmp2, m0
	s_waitcnt lgkmcnt(0)
	s_and_b32 s0, s0, 0x3ff
	s_delay_alu instid0(SALU_CYCLE_1) | instskip(NEXT) | instid1(SALU_CYCLE_1)
	s_bitset1_b32 s0, 10
	s_mov_b32 m0, s0
	s_sendmsg sendmsg(MSG_INTERRUPT)
	s_mov_b32 m0, ttmp2
.LBB126_541:                            ; =>This Inner Loop Header: Depth=1
	s_sethalt 5
	s_branch .LBB126_541
.LBB126_542:
	s_cbranch_execnz .LBB126_548
; %bb.543:
	s_or_b32 s8, s8, exec_lo
	s_branch .LBB126_523
.LBB126_544:
	s_trap 2
	s_sendmsg_rtn_b32 s0, sendmsg(MSG_RTN_GET_DOORBELL)
	s_mov_b32 ttmp2, m0
	s_waitcnt lgkmcnt(0)
	s_and_b32 s0, s0, 0x3ff
	s_delay_alu instid0(SALU_CYCLE_1) | instskip(NEXT) | instid1(SALU_CYCLE_1)
	s_bitset1_b32 s0, 10
	s_mov_b32 m0, s0
	s_sendmsg sendmsg(MSG_INTERRUPT)
	s_mov_b32 m0, ttmp2
.LBB126_545:                            ; =>This Inner Loop Header: Depth=1
	s_sethalt 5
	s_branch .LBB126_545
.LBB126_546:
	s_cbranch_execnz .LBB126_552
; %bb.547:
	s_or_b32 s19, s19, exec_lo
	s_branch .LBB126_521
.LBB126_548:
	s_trap 2
	s_sendmsg_rtn_b32 s0, sendmsg(MSG_RTN_GET_DOORBELL)
	s_mov_b32 ttmp2, m0
	s_waitcnt lgkmcnt(0)
	s_and_b32 s0, s0, 0x3ff
	s_delay_alu instid0(SALU_CYCLE_1) | instskip(NEXT) | instid1(SALU_CYCLE_1)
	s_bitset1_b32 s0, 10
	s_mov_b32 m0, s0
	s_sendmsg sendmsg(MSG_INTERRUPT)
	s_mov_b32 m0, ttmp2
.LBB126_549:                            ; =>This Inner Loop Header: Depth=1
	s_sethalt 5
	s_branch .LBB126_549
.LBB126_550:
	s_cbranch_execnz .LBB126_554
; %bb.551:
	s_mov_b32 s0, exec_lo
	s_branch .LBB126_519
.LBB126_552:
	s_trap 2
	s_sendmsg_rtn_b32 s0, sendmsg(MSG_RTN_GET_DOORBELL)
	s_mov_b32 ttmp2, m0
	s_waitcnt lgkmcnt(0)
	s_and_b32 s0, s0, 0x3ff
	s_delay_alu instid0(SALU_CYCLE_1) | instskip(NEXT) | instid1(SALU_CYCLE_1)
	s_bitset1_b32 s0, 10
	s_mov_b32 m0, s0
	s_sendmsg sendmsg(MSG_INTERRUPT)
	s_mov_b32 m0, ttmp2
.LBB126_553:                            ; =>This Inner Loop Header: Depth=1
	s_sethalt 5
	s_branch .LBB126_553
.LBB126_554:
	s_trap 2
	s_sendmsg_rtn_b32 s0, sendmsg(MSG_RTN_GET_DOORBELL)
	s_mov_b32 ttmp2, m0
	s_waitcnt lgkmcnt(0)
	s_and_b32 s0, s0, 0x3ff
	s_delay_alu instid0(SALU_CYCLE_1) | instskip(NEXT) | instid1(SALU_CYCLE_1)
	s_bitset1_b32 s0, 10
	s_mov_b32 m0, s0
	s_sendmsg sendmsg(MSG_INTERRUPT)
	s_mov_b32 m0, ttmp2
.LBB126_555:                            ; =>This Inner Loop Header: Depth=1
	s_sethalt 5
	s_branch .LBB126_555
	.section	.rodata,"a",@progbits
	.p2align	6, 0x0
	.amdhsa_kernel _ZN2at6native6sbtopk10gatherTopKIhmLi3ELb0EEEvNS_4cuda6detail10TensorInfoIKT_T0_EES8_S8_bS8_S8_NS5_IS6_S8_EES8_NS5_IlS8_EES8_PS6_
		.amdhsa_group_segment_fixed_size 5152
		.amdhsa_private_segment_fixed_size 0
		.amdhsa_kernarg_size 1568
		.amdhsa_user_sgpr_count 13
		.amdhsa_user_sgpr_dispatch_ptr 0
		.amdhsa_user_sgpr_queue_ptr 0
		.amdhsa_user_sgpr_kernarg_segment_ptr 1
		.amdhsa_user_sgpr_dispatch_id 0
		.amdhsa_user_sgpr_private_segment_size 0
		.amdhsa_wavefront_size32 1
		.amdhsa_uses_dynamic_stack 0
		.amdhsa_enable_private_segment 0
		.amdhsa_system_sgpr_workgroup_id_x 1
		.amdhsa_system_sgpr_workgroup_id_y 1
		.amdhsa_system_sgpr_workgroup_id_z 1
		.amdhsa_system_sgpr_workgroup_info 0
		.amdhsa_system_vgpr_workitem_id 0
		.amdhsa_next_free_vgpr 34
		.amdhsa_next_free_sgpr 105
		.amdhsa_reserve_vcc 1
		.amdhsa_float_round_mode_32 0
		.amdhsa_float_round_mode_16_64 0
		.amdhsa_float_denorm_mode_32 3
		.amdhsa_float_denorm_mode_16_64 3
		.amdhsa_dx10_clamp 1
		.amdhsa_ieee_mode 1
		.amdhsa_fp16_overflow 0
		.amdhsa_workgroup_processor_mode 1
		.amdhsa_memory_ordered 1
		.amdhsa_forward_progress 0
		.amdhsa_shared_vgpr_count 0
		.amdhsa_exception_fp_ieee_invalid_op 0
		.amdhsa_exception_fp_denorm_src 0
		.amdhsa_exception_fp_ieee_div_zero 0
		.amdhsa_exception_fp_ieee_overflow 0
		.amdhsa_exception_fp_ieee_underflow 0
		.amdhsa_exception_fp_ieee_inexact 0
		.amdhsa_exception_int_div_zero 0
	.end_amdhsa_kernel
	.section	.text._ZN2at6native6sbtopk10gatherTopKIhmLi3ELb0EEEvNS_4cuda6detail10TensorInfoIKT_T0_EES8_S8_bS8_S8_NS5_IS6_S8_EES8_NS5_IlS8_EES8_PS6_,"axG",@progbits,_ZN2at6native6sbtopk10gatherTopKIhmLi3ELb0EEEvNS_4cuda6detail10TensorInfoIKT_T0_EES8_S8_bS8_S8_NS5_IS6_S8_EES8_NS5_IlS8_EES8_PS6_,comdat
.Lfunc_end126:
	.size	_ZN2at6native6sbtopk10gatherTopKIhmLi3ELb0EEEvNS_4cuda6detail10TensorInfoIKT_T0_EES8_S8_bS8_S8_NS5_IS6_S8_EES8_NS5_IlS8_EES8_PS6_, .Lfunc_end126-_ZN2at6native6sbtopk10gatherTopKIhmLi3ELb0EEEvNS_4cuda6detail10TensorInfoIKT_T0_EES8_S8_bS8_S8_NS5_IS6_S8_EES8_NS5_IlS8_EES8_PS6_
                                        ; -- End function
	.section	.AMDGPU.csdata,"",@progbits
; Kernel info:
; codeLenInByte = 29436
; NumSgprs: 107
; NumVgprs: 34
; ScratchSize: 0
; MemoryBound: 0
; FloatMode: 240
; IeeeMode: 1
; LDSByteSize: 5152 bytes/workgroup (compile time only)
; SGPRBlocks: 13
; VGPRBlocks: 4
; NumSGPRsForWavesPerEU: 107
; NumVGPRsForWavesPerEU: 34
; Occupancy: 16
; WaveLimiterHint : 1
; COMPUTE_PGM_RSRC2:SCRATCH_EN: 0
; COMPUTE_PGM_RSRC2:USER_SGPR: 13
; COMPUTE_PGM_RSRC2:TRAP_HANDLER: 0
; COMPUTE_PGM_RSRC2:TGID_X_EN: 1
; COMPUTE_PGM_RSRC2:TGID_Y_EN: 1
; COMPUTE_PGM_RSRC2:TGID_Z_EN: 1
; COMPUTE_PGM_RSRC2:TIDIG_COMP_CNT: 0
	.section	.text._ZN2at6native6mbtopk23computeBlockDigitCountsIhmjLin1EEEvNS_4cuda6detail10TensorInfoIKT_T0_EEjPjjS8_iijT1_PSB_Ps,"axG",@progbits,_ZN2at6native6mbtopk23computeBlockDigitCountsIhmjLin1EEEvNS_4cuda6detail10TensorInfoIKT_T0_EEjPjjS8_iijT1_PSB_Ps,comdat
	.protected	_ZN2at6native6mbtopk23computeBlockDigitCountsIhmjLin1EEEvNS_4cuda6detail10TensorInfoIKT_T0_EEjPjjS8_iijT1_PSB_Ps ; -- Begin function _ZN2at6native6mbtopk23computeBlockDigitCountsIhmjLin1EEEvNS_4cuda6detail10TensorInfoIKT_T0_EEjPjjS8_iijT1_PSB_Ps
	.globl	_ZN2at6native6mbtopk23computeBlockDigitCountsIhmjLin1EEEvNS_4cuda6detail10TensorInfoIKT_T0_EEjPjjS8_iijT1_PSB_Ps
	.p2align	8
	.type	_ZN2at6native6mbtopk23computeBlockDigitCountsIhmjLin1EEEvNS_4cuda6detail10TensorInfoIKT_T0_EEjPjjS8_iijT1_PSB_Ps,@function
_ZN2at6native6mbtopk23computeBlockDigitCountsIhmjLin1EEEvNS_4cuda6detail10TensorInfoIKT_T0_EEjPjjS8_iijT1_PSB_Ps: ; @_ZN2at6native6mbtopk23computeBlockDigitCountsIhmjLin1EEEvNS_4cuda6detail10TensorInfoIKT_T0_EEjPjjS8_iijT1_PSB_Ps
; %bb.0:
	s_clause 0x2
	s_load_b128 s[4:7], s[0:1], 0x1c0
	s_load_b32 s9, s[0:1], 0x1b0
	s_load_b64 s[2:3], s[0:1], 0x1e0
	s_waitcnt lgkmcnt(0)
	v_cvt_f32_u32_e32 v1, s6
	s_sub_i32 s10, 0, s6
	s_mul_i32 s3, s3, s15
	s_delay_alu instid0(SALU_CYCLE_1) | instskip(NEXT) | instid1(VALU_DEP_1)
	s_add_i32 s3, s3, s14
	v_rcp_iflag_f32_e32 v1, v1
	s_mul_i32 s24, s3, s2
	s_delay_alu instid0(SALU_CYCLE_1) | instskip(SKIP_3) | instid1(VALU_DEP_1)
	s_add_i32 s24, s24, s13
	s_mov_b32 s13, 0
	s_waitcnt_depctr 0xfff
	v_mul_f32_e32 v1, 0x4f7ffffe, v1
	v_cvt_u32_f32_e32 v1, v1
	s_delay_alu instid0(VALU_DEP_1) | instskip(NEXT) | instid1(VALU_DEP_1)
	v_readfirstlane_b32 s8, v1
	s_mul_i32 s10, s10, s8
	s_delay_alu instid0(SALU_CYCLE_1) | instskip(NEXT) | instid1(SALU_CYCLE_1)
	s_mul_hi_u32 s2, s8, s10
	s_add_i32 s8, s8, s2
	s_delay_alu instid0(SALU_CYCLE_1) | instskip(NEXT) | instid1(SALU_CYCLE_1)
	s_mul_hi_u32 s2, s24, s8
	s_mul_i32 s3, s2, s6
	s_add_i32 s8, s2, 1
	s_sub_i32 s3, s24, s3
	s_delay_alu instid0(SALU_CYCLE_1)
	s_sub_i32 s10, s3, s6
	s_cmp_ge_u32 s3, s6
	s_cselect_b32 s2, s8, s2
	s_cselect_b32 s3, s10, s3
	s_add_i32 s8, s2, 1
	s_cmp_ge_u32 s3, s6
	s_cselect_b32 s12, s8, s2
	s_delay_alu instid0(SALU_CYCLE_1)
	s_cmp_ge_u32 s12, s9
	s_cbranch_scc1 .LBB127_38
; %bb.1:
	s_clause 0x1
	s_load_b128 s[8:11], s[0:1], 0x1d0
	s_load_b32 s15, s[0:1], 0x198
	s_lshl_b64 s[2:3], s[12:13], 2
	s_mov_b64 s[18:19], s[12:13]
	s_waitcnt lgkmcnt(0)
	s_add_u32 s8, s8, s2
	s_addc_u32 s9, s9, s3
	s_cmp_lt_i32 s15, 2
	s_mov_b64 s[2:3], 0
	s_cbranch_scc1 .LBB127_9
; %bb.2:
	s_mov_b32 s14, 0
	s_add_i32 s2, s15, -1
	s_mov_b32 s3, s14
	s_add_i32 s13, s15, 1
	s_lshl_b64 s[2:3], s[2:3], 3
	s_delay_alu instid0(SALU_CYCLE_1)
	s_add_u32 s2, s2, s0
	s_addc_u32 s3, s3, s1
	s_add_u32 s16, s2, 8
	s_addc_u32 s17, s3, 0
	s_mov_b64 s[2:3], 0
.LBB127_3:                              ; =>This Inner Loop Header: Depth=1
	s_load_b64 s[20:21], s[16:17], 0x0
	s_waitcnt lgkmcnt(0)
	s_or_b64 s[22:23], s[18:19], s[20:21]
	s_delay_alu instid0(SALU_CYCLE_1) | instskip(NEXT) | instid1(SALU_CYCLE_1)
	s_mov_b32 s15, s23
                                        ; implicit-def: $sgpr22_sgpr23
	s_cmp_lg_u64 s[14:15], 0
	s_mov_b32 s15, -1
	s_cbranch_scc0 .LBB127_5
; %bb.4:                                ;   in Loop: Header=BB127_3 Depth=1
	v_cvt_f32_u32_e32 v1, s20
	v_cvt_f32_u32_e32 v2, s21
	s_sub_u32 s23, 0, s20
	s_subb_u32 s25, 0, s21
	s_waitcnt_depctr 0xfff
	v_fmac_f32_e32 v1, 0x4f800000, v2
	s_delay_alu instid0(VALU_DEP_1) | instskip(SKIP_2) | instid1(VALU_DEP_1)
	v_rcp_f32_e32 v1, v1
	s_waitcnt_depctr 0xfff
	v_mul_f32_e32 v1, 0x5f7ffffc, v1
	v_mul_f32_e32 v2, 0x2f800000, v1
	s_delay_alu instid0(VALU_DEP_1) | instskip(NEXT) | instid1(VALU_DEP_1)
	v_trunc_f32_e32 v2, v2
	v_fmac_f32_e32 v1, 0xcf800000, v2
	v_cvt_u32_f32_e32 v2, v2
	s_delay_alu instid0(VALU_DEP_2) | instskip(NEXT) | instid1(VALU_DEP_2)
	v_cvt_u32_f32_e32 v1, v1
	v_readfirstlane_b32 s15, v2
	s_delay_alu instid0(VALU_DEP_2) | instskip(NEXT) | instid1(VALU_DEP_2)
	v_readfirstlane_b32 s22, v1
	s_mul_i32 s26, s23, s15
	s_delay_alu instid0(VALU_DEP_1)
	s_mul_hi_u32 s28, s23, s22
	s_mul_i32 s27, s25, s22
	s_add_i32 s26, s28, s26
	s_mul_i32 s29, s23, s22
	s_add_i32 s26, s26, s27
	s_mul_hi_u32 s28, s22, s29
	s_mul_hi_u32 s30, s15, s29
	s_mul_i32 s27, s15, s29
	s_mul_hi_u32 s29, s22, s26
	s_mul_i32 s22, s22, s26
	s_mul_hi_u32 s31, s15, s26
	s_add_u32 s22, s28, s22
	s_addc_u32 s28, 0, s29
	s_add_u32 s22, s22, s27
	s_mul_i32 s26, s15, s26
	s_addc_u32 s22, s28, s30
	s_addc_u32 s27, s31, 0
	s_add_u32 s22, s22, s26
	s_addc_u32 s26, 0, s27
	v_add_co_u32 v1, s22, v1, s22
	s_delay_alu instid0(VALU_DEP_1) | instskip(SKIP_1) | instid1(VALU_DEP_1)
	s_cmp_lg_u32 s22, 0
	s_addc_u32 s15, s15, s26
	v_readfirstlane_b32 s22, v1
	s_mul_i32 s26, s23, s15
	s_delay_alu instid0(VALU_DEP_1)
	s_mul_hi_u32 s27, s23, s22
	s_mul_i32 s25, s25, s22
	s_add_i32 s26, s27, s26
	s_mul_i32 s23, s23, s22
	s_add_i32 s26, s26, s25
	s_mul_hi_u32 s27, s15, s23
	s_mul_i32 s28, s15, s23
	s_mul_hi_u32 s23, s22, s23
	s_mul_hi_u32 s29, s22, s26
	s_mul_i32 s22, s22, s26
	s_mul_hi_u32 s25, s15, s26
	s_add_u32 s22, s23, s22
	s_addc_u32 s23, 0, s29
	s_add_u32 s22, s22, s28
	s_mul_i32 s26, s15, s26
	s_addc_u32 s22, s23, s27
	s_addc_u32 s23, s25, 0
	s_add_u32 s22, s22, s26
	s_addc_u32 s23, 0, s23
	v_add_co_u32 v1, s22, v1, s22
	s_delay_alu instid0(VALU_DEP_1) | instskip(SKIP_1) | instid1(VALU_DEP_1)
	s_cmp_lg_u32 s22, 0
	s_addc_u32 s15, s15, s23
	v_readfirstlane_b32 s22, v1
	s_mul_i32 s25, s18, s15
	s_mul_hi_u32 s23, s18, s15
	s_mul_hi_u32 s26, s19, s15
	s_mul_i32 s15, s19, s15
	s_mul_hi_u32 s27, s18, s22
	s_mul_hi_u32 s28, s19, s22
	s_mul_i32 s22, s19, s22
	s_add_u32 s25, s27, s25
	s_addc_u32 s23, 0, s23
	s_add_u32 s22, s25, s22
	s_addc_u32 s22, s23, s28
	s_addc_u32 s23, s26, 0
	s_add_u32 s22, s22, s15
	s_addc_u32 s23, 0, s23
	s_mul_hi_u32 s15, s20, s22
	s_mul_i32 s26, s20, s23
	s_mul_i32 s27, s20, s22
	s_add_i32 s15, s15, s26
	v_sub_co_u32 v1, s26, s18, s27
	s_mul_i32 s25, s21, s22
	s_delay_alu instid0(SALU_CYCLE_1) | instskip(NEXT) | instid1(VALU_DEP_1)
	s_add_i32 s15, s15, s25
	v_sub_co_u32 v2, s27, v1, s20
	s_sub_i32 s25, s19, s15
	s_cmp_lg_u32 s26, 0
	s_subb_u32 s25, s25, s21
	s_cmp_lg_u32 s27, 0
	v_readfirstlane_b32 s27, v2
	s_subb_u32 s25, s25, 0
	s_delay_alu instid0(SALU_CYCLE_1) | instskip(SKIP_1) | instid1(VALU_DEP_1)
	s_cmp_ge_u32 s25, s21
	s_cselect_b32 s28, -1, 0
	s_cmp_ge_u32 s27, s20
	s_cselect_b32 s27, -1, 0
	s_cmp_eq_u32 s25, s21
	s_cselect_b32 s25, s27, s28
	s_add_u32 s27, s22, 1
	s_addc_u32 s28, s23, 0
	s_add_u32 s29, s22, 2
	s_addc_u32 s30, s23, 0
	s_cmp_lg_u32 s25, 0
	s_cselect_b32 s25, s29, s27
	s_cselect_b32 s27, s30, s28
	s_cmp_lg_u32 s26, 0
	v_readfirstlane_b32 s26, v1
	s_subb_u32 s15, s19, s15
	s_delay_alu instid0(SALU_CYCLE_1) | instskip(SKIP_1) | instid1(VALU_DEP_1)
	s_cmp_ge_u32 s15, s21
	s_cselect_b32 s28, -1, 0
	s_cmp_ge_u32 s26, s20
	s_cselect_b32 s26, -1, 0
	s_cmp_eq_u32 s15, s21
	s_cselect_b32 s15, s26, s28
	s_delay_alu instid0(SALU_CYCLE_1)
	s_cmp_lg_u32 s15, 0
	s_mov_b32 s15, 0
	s_cselect_b32 s23, s27, s23
	s_cselect_b32 s22, s25, s22
.LBB127_5:                              ;   in Loop: Header=BB127_3 Depth=1
	s_and_not1_b32 vcc_lo, exec_lo, s15
	s_cbranch_vccnz .LBB127_7
; %bb.6:                                ;   in Loop: Header=BB127_3 Depth=1
	v_cvt_f32_u32_e32 v1, s20
	s_sub_i32 s22, 0, s20
	s_waitcnt_depctr 0xfff
	v_rcp_iflag_f32_e32 v1, v1
	s_waitcnt_depctr 0xfff
	v_mul_f32_e32 v1, 0x4f7ffffe, v1
	s_delay_alu instid0(VALU_DEP_1) | instskip(NEXT) | instid1(VALU_DEP_1)
	v_cvt_u32_f32_e32 v1, v1
	v_readfirstlane_b32 s15, v1
	s_delay_alu instid0(VALU_DEP_1) | instskip(NEXT) | instid1(SALU_CYCLE_1)
	s_mul_i32 s22, s22, s15
	s_mul_hi_u32 s22, s15, s22
	s_delay_alu instid0(SALU_CYCLE_1) | instskip(NEXT) | instid1(SALU_CYCLE_1)
	s_add_i32 s15, s15, s22
	s_mul_hi_u32 s15, s18, s15
	s_delay_alu instid0(SALU_CYCLE_1) | instskip(SKIP_2) | instid1(SALU_CYCLE_1)
	s_mul_i32 s22, s15, s20
	s_add_i32 s23, s15, 1
	s_sub_i32 s22, s18, s22
	s_sub_i32 s25, s22, s20
	s_cmp_ge_u32 s22, s20
	s_cselect_b32 s15, s23, s15
	s_cselect_b32 s22, s25, s22
	s_add_i32 s23, s15, 1
	s_cmp_ge_u32 s22, s20
	s_cselect_b32 s22, s23, s15
	s_mov_b32 s23, s14
.LBB127_7:                              ;   in Loop: Header=BB127_3 Depth=1
	s_load_b64 s[26:27], s[16:17], 0xc8
	s_mul_i32 s15, s22, s21
	s_mul_hi_u32 s21, s22, s20
	s_mul_i32 s25, s23, s20
	s_add_i32 s15, s21, s15
	s_mul_i32 s20, s22, s20
	s_add_i32 s15, s15, s25
	s_sub_u32 s18, s18, s20
	s_subb_u32 s15, s19, s15
	s_waitcnt lgkmcnt(0)
	s_mul_i32 s15, s26, s15
	s_mul_hi_u32 s19, s26, s18
	s_mul_i32 s20, s27, s18
	s_add_i32 s15, s19, s15
	s_mul_i32 s18, s26, s18
	s_add_i32 s15, s15, s20
	s_add_u32 s2, s18, s2
	s_addc_u32 s3, s15, s3
	s_add_i32 s13, s13, -1
	s_add_u32 s16, s16, -8
	s_addc_u32 s17, s17, -1
	s_cmp_gt_u32 s13, 2
	s_cbranch_scc0 .LBB127_10
; %bb.8:                                ;   in Loop: Header=BB127_3 Depth=1
	s_mov_b64 s[18:19], s[22:23]
	s_branch .LBB127_3
.LBB127_9:
	s_mov_b64 s[22:23], s[18:19]
.LBB127_10:
	s_load_b32 s13, s[8:9], 0x0
	v_cmp_gt_u32_e32 vcc_lo, 0x100, v0
	v_lshlrev_b32_e32 v1, 2, v0
	s_and_saveexec_b32 s8, vcc_lo
	s_cbranch_execz .LBB127_12
; %bb.11:
	v_mov_b32_e32 v2, 0
	ds_store_b32 v1, v2
.LBB127_12:
	s_or_b32 exec_lo, exec_lo, s8
	s_load_b32 s14, s[0:1], 0x1a0
	s_mul_i32 s8, s12, s6
	s_waitcnt lgkmcnt(0)
	s_sub_i32 s8, s24, s8
	s_barrier
	s_mul_i32 s9, s5, s8
	s_add_i32 s8, s8, 1
	s_lshl_b32 s12, s9, 8
	buffer_gl0_inv
	s_sub_i32 s9, s14, s12
	s_delay_alu instid0(SALU_CYCLE_1) | instskip(SKIP_4) | instid1(VALU_DEP_1)
	s_add_u32 s9, s9, 0xff
	s_addc_u32 s15, 0, 0
	s_cmp_lt_u32 s8, s6
	v_alignbit_b32 v2, s15, s9, 8
	s_mov_b32 s6, 0
	v_readfirstlane_b32 s9, v2
	s_delay_alu instid0(VALU_DEP_1) | instskip(NEXT) | instid1(SALU_CYCLE_1)
	s_cselect_b32 s5, s5, s9
	s_cmp_lt_i32 s5, 1
	s_cbranch_scc1 .LBB127_34
; %bb.13:
	s_clause 0x2
	s_load_b64 s[16:17], s[0:1], 0xd0
	s_load_b64 s[8:9], s[0:1], 0x1b8
	;; [unrolled: 1-line block ×3, first 2 shown]
	s_waitcnt lgkmcnt(0)
	s_mul_i32 s15, s16, s23
	s_mul_hi_u32 s18, s16, s22
	s_mul_i32 s17, s17, s22
	s_add_i32 s15, s18, s15
	s_mul_i32 s16, s16, s22
	s_add_i32 s15, s15, s17
	s_add_u32 s0, s0, s16
	s_addc_u32 s1, s1, s15
	s_add_u32 s2, s0, s2
	s_addc_u32 s3, s1, s3
	s_and_b32 s1, s4, 0xff
	s_cmp_lt_u32 s5, 4
	s_cbranch_scc1 .LBB127_28
; %bb.14:
	v_dual_mov_b32 v3, 1 :: v_dual_add_nc_u32 v2, s12, v0
	s_and_b32 s6, s5, 0x7ffffffc
	s_mov_b32 s4, 0
	s_branch .LBB127_16
.LBB127_15:                             ;   in Loop: Header=BB127_16 Depth=1
	s_or_b32 exec_lo, exec_lo, s15
	v_add_nc_u32_e32 v2, 0x400, v2
	s_add_i32 s4, s4, 4
	s_delay_alu instid0(SALU_CYCLE_1)
	s_cmp_eq_u32 s6, s4
	s_cbranch_scc1 .LBB127_28
.LBB127_16:                             ; =>This Inner Loop Header: Depth=1
	s_mov_b32 s15, exec_lo
	v_cmpx_gt_u32_e64 s14, v2
	s_cbranch_execz .LBB127_19
; %bb.17:                               ;   in Loop: Header=BB127_16 Depth=1
	v_mad_u64_u32 v[4:5], null, v2, s8, s[2:3]
	s_delay_alu instid0(VALU_DEP_1) | instskip(NEXT) | instid1(VALU_DEP_1)
	v_mad_u64_u32 v[6:7], null, v2, s9, v[5:6]
	v_mov_b32_e32 v5, v6
	global_load_u8 v4, v[4:5], off
	s_waitcnt vmcnt(0)
	v_xor_b32_e32 v5, s13, v4
	s_delay_alu instid0(VALU_DEP_1) | instskip(NEXT) | instid1(VALU_DEP_1)
	v_and_b32_e32 v5, s7, v5
	v_cmp_eq_u32_e64 s0, 0, v5
	s_delay_alu instid0(VALU_DEP_1)
	s_and_b32 exec_lo, exec_lo, s0
	s_cbranch_execz .LBB127_19
; %bb.18:                               ;   in Loop: Header=BB127_16 Depth=1
	v_lshrrev_b32_e32 v4, s1, v4
	s_delay_alu instid0(VALU_DEP_1)
	v_lshlrev_b32_e32 v4, 2, v4
	ds_add_u32 v4, v3
.LBB127_19:                             ;   in Loop: Header=BB127_16 Depth=1
	s_or_b32 exec_lo, exec_lo, s15
	v_add_nc_u32_e32 v4, 0x100, v2
	s_mov_b32 s15, exec_lo
	s_delay_alu instid0(VALU_DEP_1)
	v_cmpx_gt_u32_e64 s14, v4
	s_cbranch_execz .LBB127_22
; %bb.20:                               ;   in Loop: Header=BB127_16 Depth=1
	v_mad_u64_u32 v[5:6], null, v4, s8, s[2:3]
	s_delay_alu instid0(VALU_DEP_1) | instskip(NEXT) | instid1(VALU_DEP_1)
	v_mad_u64_u32 v[7:8], null, v4, s9, v[6:7]
	v_mov_b32_e32 v6, v7
	global_load_u8 v4, v[5:6], off
	s_waitcnt vmcnt(0)
	v_xor_b32_e32 v5, s13, v4
	s_delay_alu instid0(VALU_DEP_1) | instskip(NEXT) | instid1(VALU_DEP_1)
	v_and_b32_e32 v5, s7, v5
	v_cmp_eq_u32_e64 s0, 0, v5
	s_delay_alu instid0(VALU_DEP_1)
	s_and_b32 exec_lo, exec_lo, s0
	s_cbranch_execz .LBB127_22
; %bb.21:                               ;   in Loop: Header=BB127_16 Depth=1
	v_lshrrev_b32_e32 v4, s1, v4
	s_delay_alu instid0(VALU_DEP_1)
	v_lshlrev_b32_e32 v4, 2, v4
	ds_add_u32 v4, v3
.LBB127_22:                             ;   in Loop: Header=BB127_16 Depth=1
	s_or_b32 exec_lo, exec_lo, s15
	v_add_nc_u32_e32 v4, 0x200, v2
	s_mov_b32 s15, exec_lo
	s_delay_alu instid0(VALU_DEP_1)
	;; [unrolled: 26-line block ×3, first 2 shown]
	v_cmpx_gt_u32_e64 s14, v4
	s_cbranch_execz .LBB127_15
; %bb.26:                               ;   in Loop: Header=BB127_16 Depth=1
	v_mad_u64_u32 v[5:6], null, v4, s8, s[2:3]
	s_delay_alu instid0(VALU_DEP_1) | instskip(NEXT) | instid1(VALU_DEP_1)
	v_mad_u64_u32 v[7:8], null, v4, s9, v[6:7]
	v_mov_b32_e32 v6, v7
	global_load_u8 v4, v[5:6], off
	s_waitcnt vmcnt(0)
	v_xor_b32_e32 v5, s13, v4
	s_delay_alu instid0(VALU_DEP_1) | instskip(NEXT) | instid1(VALU_DEP_1)
	v_and_b32_e32 v5, s7, v5
	v_cmp_eq_u32_e64 s0, 0, v5
	s_delay_alu instid0(VALU_DEP_1)
	s_and_b32 exec_lo, exec_lo, s0
	s_cbranch_execz .LBB127_15
; %bb.27:                               ;   in Loop: Header=BB127_16 Depth=1
	v_lshrrev_b32_e32 v4, s1, v4
	s_delay_alu instid0(VALU_DEP_1)
	v_lshlrev_b32_e32 v4, 2, v4
	ds_add_u32 v4, v3
	s_branch .LBB127_15
.LBB127_28:
	s_and_b32 s4, s5, 3
	s_delay_alu instid0(SALU_CYCLE_1)
	s_cmp_eq_u32 s4, 0
	s_cbranch_scc1 .LBB127_34
; %bb.29:
	s_lshl_b32 s0, s6, 8
	v_mov_b32_e32 v3, 1
	v_add3_u32 v2, s0, s12, v0
	s_set_inst_prefetch_distance 0x1
	s_branch .LBB127_31
	.p2align	6
.LBB127_30:                             ;   in Loop: Header=BB127_31 Depth=1
	s_or_b32 exec_lo, exec_lo, s5
	v_add_nc_u32_e32 v2, 0x100, v2
	s_add_i32 s4, s4, -1
	s_delay_alu instid0(SALU_CYCLE_1)
	s_cmp_lg_u32 s4, 0
	s_cbranch_scc0 .LBB127_34
.LBB127_31:                             ; =>This Inner Loop Header: Depth=1
	s_mov_b32 s5, exec_lo
	s_delay_alu instid0(VALU_DEP_1)
	v_cmpx_gt_u32_e64 s14, v2
	s_cbranch_execz .LBB127_30
; %bb.32:                               ;   in Loop: Header=BB127_31 Depth=1
	v_mad_u64_u32 v[4:5], null, v2, s8, s[2:3]
	s_delay_alu instid0(VALU_DEP_1) | instskip(NEXT) | instid1(VALU_DEP_1)
	v_mad_u64_u32 v[6:7], null, v2, s9, v[5:6]
	v_mov_b32_e32 v5, v6
	global_load_u8 v4, v[4:5], off
	s_waitcnt vmcnt(0)
	v_xor_b32_e32 v5, s13, v4
	s_delay_alu instid0(VALU_DEP_1) | instskip(NEXT) | instid1(VALU_DEP_1)
	v_and_b32_e32 v5, s7, v5
	v_cmp_eq_u32_e64 s0, 0, v5
	s_delay_alu instid0(VALU_DEP_1)
	s_and_b32 exec_lo, exec_lo, s0
	s_cbranch_execz .LBB127_30
; %bb.33:                               ;   in Loop: Header=BB127_31 Depth=1
	v_lshrrev_b32_e32 v4, s1, v4
	s_delay_alu instid0(VALU_DEP_1)
	v_lshlrev_b32_e32 v4, 2, v4
	ds_add_u32 v4, v3
	s_branch .LBB127_30
.LBB127_34:
	s_set_inst_prefetch_distance 0x2
	v_mov_b32_e32 v2, 0
	s_waitcnt lgkmcnt(0)
	s_barrier
	buffer_gl0_inv
	s_and_saveexec_b32 s0, vcc_lo
	s_cbranch_execz .LBB127_36
; %bb.35:
	ds_load_b32 v2, v1
.LBB127_36:
	s_or_b32 exec_lo, exec_lo, s0
	s_and_saveexec_b32 s0, vcc_lo
	s_cbranch_execz .LBB127_38
; %bb.37:
	v_lshl_or_b32 v0, s24, 8, v0
	v_mov_b32_e32 v1, 0
	s_delay_alu instid0(VALU_DEP_1) | instskip(NEXT) | instid1(VALU_DEP_1)
	v_lshlrev_b64 v[0:1], 1, v[0:1]
	v_add_co_u32 v0, vcc_lo, s10, v0
	s_delay_alu instid0(VALU_DEP_2)
	v_add_co_ci_u32_e32 v1, vcc_lo, s11, v1, vcc_lo
	s_waitcnt lgkmcnt(0)
	global_store_b16 v[0:1], v2, off
.LBB127_38:
	s_nop 0
	s_sendmsg sendmsg(MSG_DEALLOC_VGPRS)
	s_endpgm
	.section	.rodata,"a",@progbits
	.p2align	6, 0x0
	.amdhsa_kernel _ZN2at6native6mbtopk23computeBlockDigitCountsIhmjLin1EEEvNS_4cuda6detail10TensorInfoIKT_T0_EEjPjjS8_iijT1_PSB_Ps
		.amdhsa_group_segment_fixed_size 1024
		.amdhsa_private_segment_fixed_size 0
		.amdhsa_kernarg_size 736
		.amdhsa_user_sgpr_count 13
		.amdhsa_user_sgpr_dispatch_ptr 0
		.amdhsa_user_sgpr_queue_ptr 0
		.amdhsa_user_sgpr_kernarg_segment_ptr 1
		.amdhsa_user_sgpr_dispatch_id 0
		.amdhsa_user_sgpr_private_segment_size 0
		.amdhsa_wavefront_size32 1
		.amdhsa_uses_dynamic_stack 0
		.amdhsa_enable_private_segment 0
		.amdhsa_system_sgpr_workgroup_id_x 1
		.amdhsa_system_sgpr_workgroup_id_y 1
		.amdhsa_system_sgpr_workgroup_id_z 1
		.amdhsa_system_sgpr_workgroup_info 0
		.amdhsa_system_vgpr_workitem_id 0
		.amdhsa_next_free_vgpr 9
		.amdhsa_next_free_sgpr 32
		.amdhsa_reserve_vcc 1
		.amdhsa_float_round_mode_32 0
		.amdhsa_float_round_mode_16_64 0
		.amdhsa_float_denorm_mode_32 3
		.amdhsa_float_denorm_mode_16_64 3
		.amdhsa_dx10_clamp 1
		.amdhsa_ieee_mode 1
		.amdhsa_fp16_overflow 0
		.amdhsa_workgroup_processor_mode 1
		.amdhsa_memory_ordered 1
		.amdhsa_forward_progress 0
		.amdhsa_shared_vgpr_count 0
		.amdhsa_exception_fp_ieee_invalid_op 0
		.amdhsa_exception_fp_denorm_src 0
		.amdhsa_exception_fp_ieee_div_zero 0
		.amdhsa_exception_fp_ieee_overflow 0
		.amdhsa_exception_fp_ieee_underflow 0
		.amdhsa_exception_fp_ieee_inexact 0
		.amdhsa_exception_int_div_zero 0
	.end_amdhsa_kernel
	.section	.text._ZN2at6native6mbtopk23computeBlockDigitCountsIhmjLin1EEEvNS_4cuda6detail10TensorInfoIKT_T0_EEjPjjS8_iijT1_PSB_Ps,"axG",@progbits,_ZN2at6native6mbtopk23computeBlockDigitCountsIhmjLin1EEEvNS_4cuda6detail10TensorInfoIKT_T0_EEjPjjS8_iijT1_PSB_Ps,comdat
.Lfunc_end127:
	.size	_ZN2at6native6mbtopk23computeBlockDigitCountsIhmjLin1EEEvNS_4cuda6detail10TensorInfoIKT_T0_EEjPjjS8_iijT1_PSB_Ps, .Lfunc_end127-_ZN2at6native6mbtopk23computeBlockDigitCountsIhmjLin1EEEvNS_4cuda6detail10TensorInfoIKT_T0_EEjPjjS8_iijT1_PSB_Ps
                                        ; -- End function
	.section	.AMDGPU.csdata,"",@progbits
; Kernel info:
; codeLenInByte = 2136
; NumSgprs: 34
; NumVgprs: 9
; ScratchSize: 0
; MemoryBound: 0
; FloatMode: 240
; IeeeMode: 1
; LDSByteSize: 1024 bytes/workgroup (compile time only)
; SGPRBlocks: 4
; VGPRBlocks: 1
; NumSGPRsForWavesPerEU: 34
; NumVGPRsForWavesPerEU: 9
; Occupancy: 16
; WaveLimiterHint : 0
; COMPUTE_PGM_RSRC2:SCRATCH_EN: 0
; COMPUTE_PGM_RSRC2:USER_SGPR: 13
; COMPUTE_PGM_RSRC2:TRAP_HANDLER: 0
; COMPUTE_PGM_RSRC2:TGID_X_EN: 1
; COMPUTE_PGM_RSRC2:TGID_Y_EN: 1
; COMPUTE_PGM_RSRC2:TGID_Z_EN: 1
; COMPUTE_PGM_RSRC2:TIDIG_COMP_CNT: 0
	.section	.text._ZN2at6native6mbtopk10gatherTopKIhmLin1EEEvNS_4cuda6detail10TensorInfoIKT_T0_EES8_S8_bjS8_NS5_IS6_S8_EES8_NS5_IlS8_EES8_jjPS6_PjSD_j,"axG",@progbits,_ZN2at6native6mbtopk10gatherTopKIhmLin1EEEvNS_4cuda6detail10TensorInfoIKT_T0_EES8_S8_bjS8_NS5_IS6_S8_EES8_NS5_IlS8_EES8_jjPS6_PjSD_j,comdat
	.protected	_ZN2at6native6mbtopk10gatherTopKIhmLin1EEEvNS_4cuda6detail10TensorInfoIKT_T0_EES8_S8_bjS8_NS5_IS6_S8_EES8_NS5_IlS8_EES8_jjPS6_PjSD_j ; -- Begin function _ZN2at6native6mbtopk10gatherTopKIhmLin1EEEvNS_4cuda6detail10TensorInfoIKT_T0_EES8_S8_bjS8_NS5_IS6_S8_EES8_NS5_IlS8_EES8_jjPS6_PjSD_j
	.globl	_ZN2at6native6mbtopk10gatherTopKIhmLin1EEEvNS_4cuda6detail10TensorInfoIKT_T0_EES8_S8_bjS8_NS5_IS6_S8_EES8_NS5_IlS8_EES8_jjPS6_PjSD_j
	.p2align	8
	.type	_ZN2at6native6mbtopk10gatherTopKIhmLin1EEEvNS_4cuda6detail10TensorInfoIKT_T0_EES8_S8_bjS8_NS5_IS6_S8_EES8_NS5_IlS8_EES8_jjPS6_PjSD_j,@function
_ZN2at6native6mbtopk10gatherTopKIhmLin1EEEvNS_4cuda6detail10TensorInfoIKT_T0_EES8_S8_bjS8_NS5_IS6_S8_EES8_NS5_IlS8_EES8_jjPS6_PjSD_j: ; @_ZN2at6native6mbtopk10gatherTopKIhmLin1EEEvNS_4cuda6detail10TensorInfoIKT_T0_EES8_S8_bjS8_NS5_IS6_S8_EES8_NS5_IlS8_EES8_jjPS6_PjSD_j
; %bb.0:
	s_clause 0x1
	s_load_b64 s[2:3], s[0:1], 0x538
	s_load_b32 s4, s[0:1], 0x530
	s_waitcnt lgkmcnt(0)
	s_mul_i32 s3, s3, s15
	s_delay_alu instid0(SALU_CYCLE_1) | instskip(NEXT) | instid1(SALU_CYCLE_1)
	s_add_i32 s3, s3, s14
	s_mul_i32 s3, s3, s2
	s_delay_alu instid0(SALU_CYCLE_1) | instskip(NEXT) | instid1(SALU_CYCLE_1)
	s_add_i32 s3, s3, s13
	s_cmp_ge_u32 s3, s4
	s_cbranch_scc1 .LBB128_67
; %bb.1:
	s_load_b64 s[16:17], s[0:1], 0x510
	s_waitcnt lgkmcnt(0)
	v_cvt_f32_u32_e32 v1, s17
	s_sub_i32 s4, 0, s17
	s_lshl_b32 s33, s16, 8
	s_delay_alu instid0(VALU_DEP_1) | instskip(SKIP_2) | instid1(VALU_DEP_1)
	v_rcp_iflag_f32_e32 v1, v1
	s_waitcnt_depctr 0xfff
	v_mul_f32_e32 v1, 0x4f7ffffe, v1
	v_cvt_u32_f32_e32 v1, v1
	s_delay_alu instid0(VALU_DEP_1) | instskip(NEXT) | instid1(VALU_DEP_1)
	v_readfirstlane_b32 s2, v1
	s_mul_i32 s4, s4, s2
	s_delay_alu instid0(SALU_CYCLE_1) | instskip(NEXT) | instid1(SALU_CYCLE_1)
	s_mul_hi_u32 s4, s2, s4
	s_add_i32 s2, s2, s4
	s_load_b128 s[4:7], s[0:1], 0x1a0
	s_mul_hi_u32 s2, s3, s2
	s_delay_alu instid0(SALU_CYCLE_1) | instskip(SKIP_2) | instid1(SALU_CYCLE_1)
	s_mul_i32 s8, s2, s17
	s_add_i32 s9, s2, 1
	s_sub_i32 s8, s3, s8
	s_sub_i32 s10, s8, s17
	s_cmp_ge_u32 s8, s17
	s_cselect_b32 s2, s9, s2
	s_cselect_b32 s8, s10, s8
	s_add_i32 s9, s2, 1
	s_cmp_ge_u32 s8, s17
	s_cselect_b32 s2, s9, s2
	s_delay_alu instid0(SALU_CYCLE_1) | instskip(NEXT) | instid1(SALU_CYCLE_1)
	s_mul_i32 s20, s2, s17
	s_sub_i32 s50, s3, s20
	s_delay_alu instid0(SALU_CYCLE_1) | instskip(NEXT) | instid1(SALU_CYCLE_1)
	s_add_i32 s3, s50, 1
	s_cmp_lt_u32 s3, s17
	s_mov_b32 s3, 0
	s_cbranch_scc1 .LBB128_3
; %bb.2:
	s_mul_i32 s8, s50, s33
	s_waitcnt lgkmcnt(0)
	s_sub_u32 s8, s4, s8
	s_subb_u32 s9, s5, 0
	s_add_u32 s8, s8, 0xff
	s_addc_u32 s9, s9, 0
	s_delay_alu instid0(SALU_CYCLE_1) | instskip(NEXT) | instid1(SALU_CYCLE_1)
	s_ashr_i32 s10, s9, 31
	s_lshr_b32 s10, s10, 24
	s_delay_alu instid0(SALU_CYCLE_1) | instskip(SKIP_1) | instid1(SALU_CYCLE_1)
	s_add_u32 s8, s8, s10
	s_addc_u32 s9, s9, 0
	v_alignbit_b32 v1, s9, s8, 8
	s_delay_alu instid0(VALU_DEP_1)
	v_readfirstlane_b32 s16, v1
.LBB128_3:
	s_load_b32 s9, s[0:1], 0x198
	s_mov_b64 s[18:19], 0
	s_mov_b64 s[22:23], s[2:3]
	s_waitcnt lgkmcnt(0)
	s_cmp_lt_i32 s9, 2
	s_cbranch_scc1 .LBB128_11
; %bb.4:
	s_mov_b32 s8, 0
	s_add_i32 s10, s9, -1
	s_mov_b32 s11, s8
	s_add_i32 s21, s9, 1
	s_lshl_b64 s[10:11], s[10:11], 3
	s_mov_b64 s[12:13], s[2:3]
	s_add_u32 s9, s10, s0
	s_addc_u32 s11, s11, s1
	s_add_u32 s10, s9, 8
	s_addc_u32 s11, s11, 0
.LBB128_5:                              ; =>This Inner Loop Header: Depth=1
	s_load_b64 s[14:15], s[10:11], 0x0
	s_waitcnt lgkmcnt(0)
	s_or_b64 s[22:23], s[12:13], s[14:15]
	s_delay_alu instid0(SALU_CYCLE_1) | instskip(NEXT) | instid1(SALU_CYCLE_1)
	s_mov_b32 s9, s23
                                        ; implicit-def: $sgpr22_sgpr23
	s_cmp_lg_u64 s[8:9], 0
	s_mov_b32 s9, -1
	s_cbranch_scc0 .LBB128_7
; %bb.6:                                ;   in Loop: Header=BB128_5 Depth=1
	v_cvt_f32_u32_e32 v1, s14
	v_cvt_f32_u32_e32 v2, s15
	s_sub_u32 s23, 0, s14
	s_subb_u32 s24, 0, s15
	s_waitcnt_depctr 0xfff
	v_fmac_f32_e32 v1, 0x4f800000, v2
	s_delay_alu instid0(VALU_DEP_1) | instskip(SKIP_2) | instid1(VALU_DEP_1)
	v_rcp_f32_e32 v1, v1
	s_waitcnt_depctr 0xfff
	v_mul_f32_e32 v1, 0x5f7ffffc, v1
	v_mul_f32_e32 v2, 0x2f800000, v1
	s_delay_alu instid0(VALU_DEP_1) | instskip(NEXT) | instid1(VALU_DEP_1)
	v_trunc_f32_e32 v2, v2
	v_fmac_f32_e32 v1, 0xcf800000, v2
	v_cvt_u32_f32_e32 v2, v2
	s_delay_alu instid0(VALU_DEP_2) | instskip(NEXT) | instid1(VALU_DEP_2)
	v_cvt_u32_f32_e32 v1, v1
	v_readfirstlane_b32 s9, v2
	s_delay_alu instid0(VALU_DEP_2) | instskip(NEXT) | instid1(VALU_DEP_2)
	v_readfirstlane_b32 s22, v1
	s_mul_i32 s25, s23, s9
	s_delay_alu instid0(VALU_DEP_1)
	s_mul_hi_u32 s27, s23, s22
	s_mul_i32 s26, s24, s22
	s_add_i32 s25, s27, s25
	s_mul_i32 s28, s23, s22
	s_add_i32 s25, s25, s26
	s_mul_hi_u32 s27, s22, s28
	s_mul_hi_u32 s29, s9, s28
	s_mul_i32 s26, s9, s28
	s_mul_hi_u32 s28, s22, s25
	s_mul_i32 s22, s22, s25
	s_mul_hi_u32 s30, s9, s25
	s_add_u32 s22, s27, s22
	s_addc_u32 s27, 0, s28
	s_add_u32 s22, s22, s26
	s_mul_i32 s25, s9, s25
	s_addc_u32 s22, s27, s29
	s_addc_u32 s26, s30, 0
	s_add_u32 s22, s22, s25
	s_addc_u32 s25, 0, s26
	v_add_co_u32 v1, s22, v1, s22
	s_delay_alu instid0(VALU_DEP_1) | instskip(SKIP_1) | instid1(VALU_DEP_1)
	s_cmp_lg_u32 s22, 0
	s_addc_u32 s9, s9, s25
	v_readfirstlane_b32 s22, v1
	s_mul_i32 s25, s23, s9
	s_delay_alu instid0(VALU_DEP_1)
	s_mul_hi_u32 s26, s23, s22
	s_mul_i32 s24, s24, s22
	s_add_i32 s25, s26, s25
	s_mul_i32 s23, s23, s22
	s_add_i32 s25, s25, s24
	s_mul_hi_u32 s26, s9, s23
	s_mul_i32 s27, s9, s23
	s_mul_hi_u32 s23, s22, s23
	s_mul_hi_u32 s28, s22, s25
	s_mul_i32 s22, s22, s25
	s_mul_hi_u32 s24, s9, s25
	s_add_u32 s22, s23, s22
	s_addc_u32 s23, 0, s28
	s_add_u32 s22, s22, s27
	s_mul_i32 s25, s9, s25
	s_addc_u32 s22, s23, s26
	s_addc_u32 s23, s24, 0
	s_add_u32 s22, s22, s25
	s_addc_u32 s23, 0, s23
	v_add_co_u32 v1, s22, v1, s22
	s_delay_alu instid0(VALU_DEP_1) | instskip(SKIP_1) | instid1(VALU_DEP_1)
	s_cmp_lg_u32 s22, 0
	s_addc_u32 s9, s9, s23
	v_readfirstlane_b32 s22, v1
	s_mul_i32 s24, s12, s9
	s_mul_hi_u32 s23, s12, s9
	s_mul_hi_u32 s25, s13, s9
	s_mul_i32 s9, s13, s9
	s_mul_hi_u32 s26, s12, s22
	s_mul_hi_u32 s27, s13, s22
	s_mul_i32 s22, s13, s22
	s_add_u32 s24, s26, s24
	s_addc_u32 s23, 0, s23
	s_add_u32 s22, s24, s22
	s_addc_u32 s22, s23, s27
	s_addc_u32 s23, s25, 0
	s_add_u32 s22, s22, s9
	s_addc_u32 s23, 0, s23
	s_mul_hi_u32 s9, s14, s22
	s_mul_i32 s25, s14, s23
	s_mul_i32 s26, s14, s22
	s_add_i32 s9, s9, s25
	v_sub_co_u32 v1, s25, s12, s26
	s_mul_i32 s24, s15, s22
	s_delay_alu instid0(SALU_CYCLE_1) | instskip(NEXT) | instid1(VALU_DEP_1)
	s_add_i32 s9, s9, s24
	v_sub_co_u32 v2, s26, v1, s14
	s_sub_i32 s24, s13, s9
	s_cmp_lg_u32 s25, 0
	s_subb_u32 s24, s24, s15
	s_cmp_lg_u32 s26, 0
	v_readfirstlane_b32 s26, v2
	s_subb_u32 s24, s24, 0
	s_delay_alu instid0(SALU_CYCLE_1) | instskip(SKIP_1) | instid1(VALU_DEP_1)
	s_cmp_ge_u32 s24, s15
	s_cselect_b32 s27, -1, 0
	s_cmp_ge_u32 s26, s14
	s_cselect_b32 s26, -1, 0
	s_cmp_eq_u32 s24, s15
	s_cselect_b32 s24, s26, s27
	s_add_u32 s26, s22, 1
	s_addc_u32 s27, s23, 0
	s_add_u32 s28, s22, 2
	s_addc_u32 s29, s23, 0
	s_cmp_lg_u32 s24, 0
	s_cselect_b32 s24, s28, s26
	s_cselect_b32 s26, s29, s27
	s_cmp_lg_u32 s25, 0
	v_readfirstlane_b32 s25, v1
	s_subb_u32 s9, s13, s9
	s_delay_alu instid0(SALU_CYCLE_1) | instskip(SKIP_1) | instid1(VALU_DEP_1)
	s_cmp_ge_u32 s9, s15
	s_cselect_b32 s27, -1, 0
	s_cmp_ge_u32 s25, s14
	s_cselect_b32 s25, -1, 0
	s_cmp_eq_u32 s9, s15
	s_cselect_b32 s9, s25, s27
	s_delay_alu instid0(SALU_CYCLE_1)
	s_cmp_lg_u32 s9, 0
	s_mov_b32 s9, 0
	s_cselect_b32 s23, s26, s23
	s_cselect_b32 s22, s24, s22
.LBB128_7:                              ;   in Loop: Header=BB128_5 Depth=1
	s_and_not1_b32 vcc_lo, exec_lo, s9
	s_cbranch_vccnz .LBB128_9
; %bb.8:                                ;   in Loop: Header=BB128_5 Depth=1
	v_cvt_f32_u32_e32 v1, s14
	s_sub_i32 s22, 0, s14
	s_waitcnt_depctr 0xfff
	v_rcp_iflag_f32_e32 v1, v1
	s_waitcnt_depctr 0xfff
	v_mul_f32_e32 v1, 0x4f7ffffe, v1
	s_delay_alu instid0(VALU_DEP_1) | instskip(NEXT) | instid1(VALU_DEP_1)
	v_cvt_u32_f32_e32 v1, v1
	v_readfirstlane_b32 s9, v1
	s_delay_alu instid0(VALU_DEP_1) | instskip(NEXT) | instid1(SALU_CYCLE_1)
	s_mul_i32 s22, s22, s9
	s_mul_hi_u32 s22, s9, s22
	s_delay_alu instid0(SALU_CYCLE_1) | instskip(NEXT) | instid1(SALU_CYCLE_1)
	s_add_i32 s9, s9, s22
	s_mul_hi_u32 s9, s12, s9
	s_delay_alu instid0(SALU_CYCLE_1) | instskip(SKIP_2) | instid1(SALU_CYCLE_1)
	s_mul_i32 s22, s9, s14
	s_add_i32 s23, s9, 1
	s_sub_i32 s22, s12, s22
	s_sub_i32 s24, s22, s14
	s_cmp_ge_u32 s22, s14
	s_cselect_b32 s9, s23, s9
	s_cselect_b32 s22, s24, s22
	s_add_i32 s23, s9, 1
	s_cmp_ge_u32 s22, s14
	s_cselect_b32 s22, s23, s9
	s_mov_b32 s23, s8
.LBB128_9:                              ;   in Loop: Header=BB128_5 Depth=1
	s_load_b64 s[24:25], s[10:11], 0xc8
	s_mul_i32 s9, s22, s15
	s_mul_hi_u32 s15, s22, s14
	s_mul_i32 s26, s23, s14
	s_add_i32 s9, s15, s9
	s_mul_i32 s14, s22, s14
	s_add_i32 s9, s9, s26
	s_sub_u32 s12, s12, s14
	s_subb_u32 s9, s13, s9
	s_waitcnt lgkmcnt(0)
	s_mul_i32 s9, s24, s9
	s_mul_hi_u32 s13, s24, s12
	s_mul_i32 s14, s25, s12
	s_add_i32 s9, s13, s9
	s_mul_i32 s12, s24, s12
	s_add_i32 s9, s9, s14
	s_add_u32 s18, s12, s18
	s_addc_u32 s19, s9, s19
	s_add_i32 s21, s21, -1
	s_add_u32 s10, s10, -8
	s_addc_u32 s11, s11, -1
	s_cmp_gt_u32 s21, 2
	s_cbranch_scc0 .LBB128_11
; %bb.10:                               ;   in Loop: Header=BB128_5 Depth=1
	s_mov_b64 s[12:13], s[22:23]
	s_branch .LBB128_5
.LBB128_11:
	s_clause 0x1
	s_load_b32 s11, s[0:1], 0x358
	s_load_b64 s[26:27], s[0:1], 0xd0
	s_add_u32 s8, s0, 0x1c0
	s_addc_u32 s9, s1, 0
	s_mov_b64 s[24:25], 0
	s_mov_b64 s[28:29], s[2:3]
	s_waitcnt lgkmcnt(0)
	s_cmp_lt_i32 s11, 2
	s_cbranch_scc1 .LBB128_19
; %bb.12:
	s_mov_b32 s10, 0
	s_add_i32 s12, s11, -1
	s_mov_b32 s13, s10
	s_add_i32 s21, s11, 1
	s_lshl_b64 s[12:13], s[12:13], 3
	s_mov_b64 s[14:15], s[2:3]
	s_add_u32 s11, s12, s8
	s_addc_u32 s13, s13, s9
	s_add_u32 s12, s11, 8
	s_addc_u32 s13, s13, 0
.LBB128_13:                             ; =>This Inner Loop Header: Depth=1
	s_load_b64 s[30:31], s[12:13], 0x0
	s_waitcnt lgkmcnt(0)
	s_or_b64 s[28:29], s[14:15], s[30:31]
	s_delay_alu instid0(SALU_CYCLE_1) | instskip(NEXT) | instid1(SALU_CYCLE_1)
	s_mov_b32 s11, s29
                                        ; implicit-def: $sgpr28_sgpr29
	s_cmp_lg_u64 s[10:11], 0
	s_mov_b32 s11, -1
	s_cbranch_scc0 .LBB128_15
; %bb.14:                               ;   in Loop: Header=BB128_13 Depth=1
	v_cvt_f32_u32_e32 v1, s30
	v_cvt_f32_u32_e32 v2, s31
	s_sub_u32 s29, 0, s30
	s_subb_u32 s34, 0, s31
	s_waitcnt_depctr 0xfff
	v_fmac_f32_e32 v1, 0x4f800000, v2
	s_delay_alu instid0(VALU_DEP_1) | instskip(SKIP_2) | instid1(VALU_DEP_1)
	v_rcp_f32_e32 v1, v1
	s_waitcnt_depctr 0xfff
	v_mul_f32_e32 v1, 0x5f7ffffc, v1
	v_mul_f32_e32 v2, 0x2f800000, v1
	s_delay_alu instid0(VALU_DEP_1) | instskip(NEXT) | instid1(VALU_DEP_1)
	v_trunc_f32_e32 v2, v2
	v_fmac_f32_e32 v1, 0xcf800000, v2
	v_cvt_u32_f32_e32 v2, v2
	s_delay_alu instid0(VALU_DEP_2) | instskip(NEXT) | instid1(VALU_DEP_2)
	v_cvt_u32_f32_e32 v1, v1
	v_readfirstlane_b32 s11, v2
	s_delay_alu instid0(VALU_DEP_2) | instskip(NEXT) | instid1(VALU_DEP_2)
	v_readfirstlane_b32 s28, v1
	s_mul_i32 s35, s29, s11
	s_delay_alu instid0(VALU_DEP_1)
	s_mul_hi_u32 s37, s29, s28
	s_mul_i32 s36, s34, s28
	s_add_i32 s35, s37, s35
	s_mul_i32 s38, s29, s28
	s_add_i32 s35, s35, s36
	s_mul_hi_u32 s37, s28, s38
	s_mul_hi_u32 s39, s11, s38
	s_mul_i32 s36, s11, s38
	s_mul_hi_u32 s38, s28, s35
	s_mul_i32 s28, s28, s35
	s_mul_hi_u32 s40, s11, s35
	s_add_u32 s28, s37, s28
	s_addc_u32 s37, 0, s38
	s_add_u32 s28, s28, s36
	s_mul_i32 s35, s11, s35
	s_addc_u32 s28, s37, s39
	s_addc_u32 s36, s40, 0
	s_add_u32 s28, s28, s35
	s_addc_u32 s35, 0, s36
	v_add_co_u32 v1, s28, v1, s28
	s_delay_alu instid0(VALU_DEP_1) | instskip(SKIP_1) | instid1(VALU_DEP_1)
	s_cmp_lg_u32 s28, 0
	s_addc_u32 s11, s11, s35
	v_readfirstlane_b32 s28, v1
	s_mul_i32 s35, s29, s11
	s_delay_alu instid0(VALU_DEP_1)
	s_mul_hi_u32 s36, s29, s28
	s_mul_i32 s34, s34, s28
	s_add_i32 s35, s36, s35
	s_mul_i32 s29, s29, s28
	s_add_i32 s35, s35, s34
	s_mul_hi_u32 s36, s11, s29
	s_mul_i32 s37, s11, s29
	s_mul_hi_u32 s29, s28, s29
	s_mul_hi_u32 s38, s28, s35
	s_mul_i32 s28, s28, s35
	s_mul_hi_u32 s34, s11, s35
	s_add_u32 s28, s29, s28
	s_addc_u32 s29, 0, s38
	s_add_u32 s28, s28, s37
	s_mul_i32 s35, s11, s35
	s_addc_u32 s28, s29, s36
	s_addc_u32 s29, s34, 0
	s_add_u32 s28, s28, s35
	s_addc_u32 s29, 0, s29
	v_add_co_u32 v1, s28, v1, s28
	s_delay_alu instid0(VALU_DEP_1) | instskip(SKIP_1) | instid1(VALU_DEP_1)
	s_cmp_lg_u32 s28, 0
	s_addc_u32 s11, s11, s29
	v_readfirstlane_b32 s28, v1
	s_mul_i32 s34, s14, s11
	s_mul_hi_u32 s29, s14, s11
	s_mul_hi_u32 s35, s15, s11
	s_mul_i32 s11, s15, s11
	s_mul_hi_u32 s36, s14, s28
	s_mul_hi_u32 s37, s15, s28
	s_mul_i32 s28, s15, s28
	s_add_u32 s34, s36, s34
	s_addc_u32 s29, 0, s29
	s_add_u32 s28, s34, s28
	s_addc_u32 s28, s29, s37
	s_addc_u32 s29, s35, 0
	s_add_u32 s28, s28, s11
	s_addc_u32 s29, 0, s29
	s_mul_hi_u32 s11, s30, s28
	s_mul_i32 s35, s30, s29
	s_mul_i32 s36, s30, s28
	s_add_i32 s11, s11, s35
	v_sub_co_u32 v1, s35, s14, s36
	s_mul_i32 s34, s31, s28
	s_delay_alu instid0(SALU_CYCLE_1) | instskip(NEXT) | instid1(VALU_DEP_1)
	s_add_i32 s11, s11, s34
	v_sub_co_u32 v2, s36, v1, s30
	s_sub_i32 s34, s15, s11
	s_cmp_lg_u32 s35, 0
	s_subb_u32 s34, s34, s31
	s_cmp_lg_u32 s36, 0
	v_readfirstlane_b32 s36, v2
	s_subb_u32 s34, s34, 0
	s_delay_alu instid0(SALU_CYCLE_1) | instskip(SKIP_1) | instid1(VALU_DEP_1)
	s_cmp_ge_u32 s34, s31
	s_cselect_b32 s37, -1, 0
	s_cmp_ge_u32 s36, s30
	s_cselect_b32 s36, -1, 0
	s_cmp_eq_u32 s34, s31
	s_cselect_b32 s34, s36, s37
	s_add_u32 s36, s28, 1
	s_addc_u32 s37, s29, 0
	s_add_u32 s38, s28, 2
	s_addc_u32 s39, s29, 0
	s_cmp_lg_u32 s34, 0
	s_cselect_b32 s34, s38, s36
	s_cselect_b32 s36, s39, s37
	s_cmp_lg_u32 s35, 0
	v_readfirstlane_b32 s35, v1
	s_subb_u32 s11, s15, s11
	s_delay_alu instid0(SALU_CYCLE_1) | instskip(SKIP_1) | instid1(VALU_DEP_1)
	s_cmp_ge_u32 s11, s31
	s_cselect_b32 s37, -1, 0
	s_cmp_ge_u32 s35, s30
	s_cselect_b32 s35, -1, 0
	s_cmp_eq_u32 s11, s31
	s_cselect_b32 s11, s35, s37
	s_delay_alu instid0(SALU_CYCLE_1)
	s_cmp_lg_u32 s11, 0
	s_mov_b32 s11, 0
	s_cselect_b32 s29, s36, s29
	s_cselect_b32 s28, s34, s28
.LBB128_15:                             ;   in Loop: Header=BB128_13 Depth=1
	s_and_not1_b32 vcc_lo, exec_lo, s11
	s_cbranch_vccnz .LBB128_17
; %bb.16:                               ;   in Loop: Header=BB128_13 Depth=1
	v_cvt_f32_u32_e32 v1, s30
	s_sub_i32 s28, 0, s30
	s_waitcnt_depctr 0xfff
	v_rcp_iflag_f32_e32 v1, v1
	s_waitcnt_depctr 0xfff
	v_mul_f32_e32 v1, 0x4f7ffffe, v1
	s_delay_alu instid0(VALU_DEP_1) | instskip(NEXT) | instid1(VALU_DEP_1)
	v_cvt_u32_f32_e32 v1, v1
	v_readfirstlane_b32 s11, v1
	s_delay_alu instid0(VALU_DEP_1) | instskip(NEXT) | instid1(SALU_CYCLE_1)
	s_mul_i32 s28, s28, s11
	s_mul_hi_u32 s28, s11, s28
	s_delay_alu instid0(SALU_CYCLE_1) | instskip(NEXT) | instid1(SALU_CYCLE_1)
	s_add_i32 s11, s11, s28
	s_mul_hi_u32 s11, s14, s11
	s_delay_alu instid0(SALU_CYCLE_1) | instskip(SKIP_2) | instid1(SALU_CYCLE_1)
	s_mul_i32 s28, s11, s30
	s_add_i32 s29, s11, 1
	s_sub_i32 s28, s14, s28
	s_sub_i32 s34, s28, s30
	s_cmp_ge_u32 s28, s30
	s_cselect_b32 s11, s29, s11
	s_cselect_b32 s28, s34, s28
	s_add_i32 s29, s11, 1
	s_cmp_ge_u32 s28, s30
	s_cselect_b32 s28, s29, s11
	s_mov_b32 s29, s10
.LBB128_17:                             ;   in Loop: Header=BB128_13 Depth=1
	s_load_b64 s[34:35], s[12:13], 0xc8
	s_mul_i32 s11, s28, s31
	s_mul_hi_u32 s31, s28, s30
	s_mul_i32 s36, s29, s30
	s_add_i32 s11, s31, s11
	s_mul_i32 s30, s28, s30
	s_add_i32 s11, s11, s36
	s_sub_u32 s14, s14, s30
	s_subb_u32 s11, s15, s11
	s_waitcnt lgkmcnt(0)
	s_mul_i32 s11, s34, s11
	s_mul_hi_u32 s15, s34, s14
	s_mul_i32 s30, s35, s14
	s_add_i32 s11, s15, s11
	s_mul_i32 s14, s34, s14
	s_add_i32 s11, s11, s30
	s_add_u32 s24, s14, s24
	s_addc_u32 s25, s11, s25
	s_add_i32 s21, s21, -1
	s_add_u32 s12, s12, -8
	s_addc_u32 s13, s13, -1
	s_cmp_gt_u32 s21, 2
	s_cbranch_scc0 .LBB128_19
; %bb.18:                               ;   in Loop: Header=BB128_13 Depth=1
	s_mov_b64 s[14:15], s[28:29]
	s_branch .LBB128_13
.LBB128_19:
	s_clause 0x1
	s_load_b32 s11, s[0:1], 0x500
	s_load_b64 s[34:35], s[8:9], 0xd0
	s_add_u32 s9, s0, 0x368
	s_addc_u32 s10, s1, 0
	s_mov_b64 s[30:31], 0
	s_waitcnt lgkmcnt(0)
	s_cmp_lt_i32 s11, 2
	s_cbranch_scc1 .LBB128_27
; %bb.20:
	s_mov_b32 s8, 0
	s_add_i32 s12, s11, -1
	s_mov_b32 s13, s8
	s_add_i32 s21, s11, 1
	s_lshl_b64 s[12:13], s[12:13], 3
	s_delay_alu instid0(SALU_CYCLE_1)
	s_add_u32 s9, s12, s9
	s_addc_u32 s11, s13, s10
	s_add_u32 s10, s9, 8
	s_addc_u32 s11, s11, 0
	s_mov_b64 s[12:13], s[2:3]
.LBB128_21:                             ; =>This Inner Loop Header: Depth=1
	s_load_b64 s[14:15], s[10:11], 0x0
	s_mov_b32 s3, -1
	s_waitcnt lgkmcnt(0)
	s_or_b64 s[36:37], s[12:13], s[14:15]
	s_delay_alu instid0(SALU_CYCLE_1) | instskip(NEXT) | instid1(SALU_CYCLE_1)
	s_mov_b32 s9, s37
                                        ; implicit-def: $sgpr36_sgpr37
	s_cmp_lg_u64 s[8:9], 0
	s_cbranch_scc0 .LBB128_23
; %bb.22:                               ;   in Loop: Header=BB128_21 Depth=1
	v_cvt_f32_u32_e32 v1, s14
	v_cvt_f32_u32_e32 v2, s15
	s_sub_u32 s36, 0, s14
	s_subb_u32 s37, 0, s15
	s_waitcnt_depctr 0xfff
	v_fmac_f32_e32 v1, 0x4f800000, v2
	s_delay_alu instid0(VALU_DEP_1) | instskip(SKIP_2) | instid1(VALU_DEP_1)
	v_rcp_f32_e32 v1, v1
	s_waitcnt_depctr 0xfff
	v_mul_f32_e32 v1, 0x5f7ffffc, v1
	v_mul_f32_e32 v2, 0x2f800000, v1
	s_delay_alu instid0(VALU_DEP_1) | instskip(NEXT) | instid1(VALU_DEP_1)
	v_trunc_f32_e32 v2, v2
	v_fmac_f32_e32 v1, 0xcf800000, v2
	v_cvt_u32_f32_e32 v2, v2
	s_delay_alu instid0(VALU_DEP_2) | instskip(NEXT) | instid1(VALU_DEP_2)
	v_cvt_u32_f32_e32 v1, v1
	v_readfirstlane_b32 s3, v2
	s_delay_alu instid0(VALU_DEP_2) | instskip(NEXT) | instid1(VALU_DEP_2)
	v_readfirstlane_b32 s9, v1
	s_mul_i32 s38, s36, s3
	s_delay_alu instid0(VALU_DEP_1)
	s_mul_hi_u32 s40, s36, s9
	s_mul_i32 s39, s37, s9
	s_add_i32 s38, s40, s38
	s_mul_i32 s41, s36, s9
	s_add_i32 s38, s38, s39
	s_mul_hi_u32 s40, s9, s41
	s_mul_hi_u32 s42, s3, s41
	s_mul_i32 s39, s3, s41
	s_mul_hi_u32 s41, s9, s38
	s_mul_i32 s9, s9, s38
	s_mul_hi_u32 s43, s3, s38
	s_add_u32 s9, s40, s9
	s_addc_u32 s40, 0, s41
	s_add_u32 s9, s9, s39
	s_mul_i32 s38, s3, s38
	s_addc_u32 s9, s40, s42
	s_addc_u32 s39, s43, 0
	s_add_u32 s9, s9, s38
	s_addc_u32 s38, 0, s39
	v_add_co_u32 v1, s9, v1, s9
	s_delay_alu instid0(VALU_DEP_1) | instskip(SKIP_1) | instid1(VALU_DEP_1)
	s_cmp_lg_u32 s9, 0
	s_addc_u32 s3, s3, s38
	v_readfirstlane_b32 s9, v1
	s_mul_i32 s38, s36, s3
	s_delay_alu instid0(VALU_DEP_1)
	s_mul_hi_u32 s39, s36, s9
	s_mul_i32 s37, s37, s9
	s_add_i32 s38, s39, s38
	s_mul_i32 s36, s36, s9
	s_add_i32 s38, s38, s37
	s_mul_hi_u32 s39, s3, s36
	s_mul_i32 s40, s3, s36
	s_mul_hi_u32 s36, s9, s36
	s_mul_hi_u32 s41, s9, s38
	s_mul_i32 s9, s9, s38
	s_mul_hi_u32 s37, s3, s38
	s_add_u32 s9, s36, s9
	s_addc_u32 s36, 0, s41
	s_add_u32 s9, s9, s40
	s_mul_i32 s38, s3, s38
	s_addc_u32 s9, s36, s39
	s_addc_u32 s36, s37, 0
	s_add_u32 s9, s9, s38
	s_addc_u32 s36, 0, s36
	v_add_co_u32 v1, s9, v1, s9
	s_delay_alu instid0(VALU_DEP_1) | instskip(SKIP_1) | instid1(VALU_DEP_1)
	s_cmp_lg_u32 s9, 0
	s_addc_u32 s3, s3, s36
	v_readfirstlane_b32 s9, v1
	s_mul_i32 s37, s12, s3
	s_mul_hi_u32 s36, s12, s3
	s_mul_hi_u32 s38, s13, s3
	s_mul_i32 s3, s13, s3
	s_mul_hi_u32 s39, s12, s9
	s_mul_hi_u32 s40, s13, s9
	s_mul_i32 s9, s13, s9
	s_add_u32 s37, s39, s37
	s_addc_u32 s36, 0, s36
	s_add_u32 s9, s37, s9
	s_addc_u32 s9, s36, s40
	s_addc_u32 s36, s38, 0
	s_add_u32 s9, s9, s3
	s_addc_u32 s36, 0, s36
	s_mul_hi_u32 s3, s14, s9
	s_mul_i32 s38, s14, s36
	s_mul_i32 s39, s14, s9
	s_add_i32 s3, s3, s38
	v_sub_co_u32 v1, s38, s12, s39
	s_mul_i32 s37, s15, s9
	s_delay_alu instid0(SALU_CYCLE_1) | instskip(NEXT) | instid1(VALU_DEP_1)
	s_add_i32 s3, s3, s37
	v_sub_co_u32 v2, s39, v1, s14
	s_sub_i32 s37, s13, s3
	s_cmp_lg_u32 s38, 0
	s_subb_u32 s37, s37, s15
	s_cmp_lg_u32 s39, 0
	v_readfirstlane_b32 s39, v2
	s_subb_u32 s37, s37, 0
	s_delay_alu instid0(SALU_CYCLE_1) | instskip(SKIP_1) | instid1(VALU_DEP_1)
	s_cmp_ge_u32 s37, s15
	s_cselect_b32 s40, -1, 0
	s_cmp_ge_u32 s39, s14
	s_cselect_b32 s39, -1, 0
	s_cmp_eq_u32 s37, s15
	s_cselect_b32 s37, s39, s40
	s_add_u32 s39, s9, 1
	s_addc_u32 s40, s36, 0
	s_add_u32 s41, s9, 2
	s_addc_u32 s42, s36, 0
	s_cmp_lg_u32 s37, 0
	s_cselect_b32 s39, s41, s39
	s_cselect_b32 s37, s42, s40
	s_cmp_lg_u32 s38, 0
	v_readfirstlane_b32 s38, v1
	s_subb_u32 s3, s13, s3
	s_delay_alu instid0(SALU_CYCLE_1) | instskip(SKIP_1) | instid1(VALU_DEP_1)
	s_cmp_ge_u32 s3, s15
	s_cselect_b32 s40, -1, 0
	s_cmp_ge_u32 s38, s14
	s_cselect_b32 s38, -1, 0
	s_cmp_eq_u32 s3, s15
	s_cselect_b32 s3, s38, s40
	s_delay_alu instid0(SALU_CYCLE_1)
	s_cmp_lg_u32 s3, 0
	s_mov_b32 s3, 0
	s_cselect_b32 s37, s37, s36
	s_cselect_b32 s36, s39, s9
.LBB128_23:                             ;   in Loop: Header=BB128_21 Depth=1
	s_and_not1_b32 vcc_lo, exec_lo, s3
	s_cbranch_vccnz .LBB128_25
; %bb.24:                               ;   in Loop: Header=BB128_21 Depth=1
	v_cvt_f32_u32_e32 v1, s14
	s_sub_i32 s9, 0, s14
	s_waitcnt_depctr 0xfff
	v_rcp_iflag_f32_e32 v1, v1
	s_waitcnt_depctr 0xfff
	v_mul_f32_e32 v1, 0x4f7ffffe, v1
	s_delay_alu instid0(VALU_DEP_1) | instskip(NEXT) | instid1(VALU_DEP_1)
	v_cvt_u32_f32_e32 v1, v1
	v_readfirstlane_b32 s3, v1
	s_delay_alu instid0(VALU_DEP_1) | instskip(NEXT) | instid1(SALU_CYCLE_1)
	s_mul_i32 s9, s9, s3
	s_mul_hi_u32 s9, s3, s9
	s_delay_alu instid0(SALU_CYCLE_1) | instskip(NEXT) | instid1(SALU_CYCLE_1)
	s_add_i32 s3, s3, s9
	s_mul_hi_u32 s3, s12, s3
	s_delay_alu instid0(SALU_CYCLE_1) | instskip(SKIP_2) | instid1(SALU_CYCLE_1)
	s_mul_i32 s9, s3, s14
	s_add_i32 s36, s3, 1
	s_sub_i32 s9, s12, s9
	s_sub_i32 s37, s9, s14
	s_cmp_ge_u32 s9, s14
	s_cselect_b32 s3, s36, s3
	s_cselect_b32 s9, s37, s9
	s_add_i32 s36, s3, 1
	s_cmp_ge_u32 s9, s14
	s_mov_b32 s37, s8
	s_cselect_b32 s36, s36, s3
.LBB128_25:                             ;   in Loop: Header=BB128_21 Depth=1
	s_load_b64 s[38:39], s[10:11], 0xc8
	s_mul_i32 s3, s36, s15
	s_mul_hi_u32 s9, s36, s14
	s_mul_i32 s15, s37, s14
	s_add_i32 s3, s9, s3
	s_mul_i32 s9, s36, s14
	s_add_i32 s3, s3, s15
	s_sub_u32 s9, s12, s9
	s_subb_u32 s3, s13, s3
	s_waitcnt lgkmcnt(0)
	s_mul_i32 s3, s38, s3
	s_mul_hi_u32 s12, s38, s9
	s_mul_i32 s13, s39, s9
	s_add_i32 s3, s12, s3
	s_mul_i32 s9, s38, s9
	s_add_i32 s3, s3, s13
	s_add_u32 s30, s9, s30
	s_addc_u32 s31, s3, s31
	s_add_i32 s21, s21, -1
	s_add_u32 s10, s10, -8
	s_addc_u32 s11, s11, -1
	s_cmp_gt_u32 s21, 2
	s_cbranch_scc0 .LBB128_28
; %bb.26:                               ;   in Loop: Header=BB128_21 Depth=1
	s_mov_b64 s[12:13], s[36:37]
	s_branch .LBB128_21
.LBB128_27:
	s_mov_b64 s[36:37], s[2:3]
.LBB128_28:
	s_load_b128 s[8:11], s[0:1], 0x518
	v_mov_b32_e32 v1, 0
	s_mov_b32 s21, 0
	s_waitcnt lgkmcnt(0)
	s_add_u32 s2, s8, s2
	s_addc_u32 s3, s9, 0
	global_load_u8 v4, v1, s[2:3]
	s_clause 0x3
	s_load_b64 s[8:9], s[0:1], 0x0
	s_load_b64 s[40:41], s[0:1], 0x1c0
	;; [unrolled: 1-line block ×4, first 2 shown]
	v_cmp_ne_u32_e64 s2, 0, v0
	v_cmp_eq_u32_e64 s3, 0, v0
	s_delay_alu instid0(VALU_DEP_1)
	s_and_saveexec_b32 s51, s3
	s_cbranch_execz .LBB128_44
; %bb.29:
	s_load_b64 s[44:45], s[0:1], 0x528
	s_lshl_b64 s[46:47], s[20:21], 2
	s_mov_b32 s20, 0
	s_add_u32 s12, s10, s46
	s_addc_u32 s13, s11, s47
	s_mov_b32 s52, 0
	s_waitcnt lgkmcnt(0)
	s_add_u32 s14, s44, s46
	s_addc_u32 s15, s45, s47
	s_cmp_lt_u32 s17, 4
	s_cbranch_scc1 .LBB128_41
; %bb.30:
	s_mov_b32 s53, 0
.LBB128_31:                             ; =>This Inner Loop Header: Depth=1
	s_add_u32 s12, s10, s46
	s_addc_u32 s13, s11, s47
	s_add_u32 s48, s44, s46
	s_load_b128 s[12:15], s[12:13], 0x0
	s_addc_u32 s49, s45, s47
	s_cmp_ge_u32 s53, s50
	s_cbranch_scc0 .LBB128_38
; %bb.32:                               ;   in Loop: Header=BB128_31 Depth=1
	s_add_i32 s54, s53, 1
	s_delay_alu instid0(SALU_CYCLE_1)
	s_cmp_ge_u32 s54, s50
	s_cbranch_scc0 .LBB128_39
.LBB128_33:                             ;   in Loop: Header=BB128_31 Depth=1
	s_add_i32 s54, s54, 1
	s_delay_alu instid0(SALU_CYCLE_1)
	s_cmp_ge_u32 s54, s50
	s_cbranch_scc0 .LBB128_40
.LBB128_34:                             ;   in Loop: Header=BB128_31 Depth=1
	s_add_i32 s54, s54, 1
	s_delay_alu instid0(SALU_CYCLE_1)
	s_cmp_ge_u32 s54, s50
	s_cbranch_scc1 .LBB128_36
.LBB128_35:                             ;   in Loop: Header=BB128_31 Depth=1
	s_load_b32 s48, s[48:49], 0xc
	s_waitcnt lgkmcnt(0)
	s_add_i32 s21, s21, s15
	s_add_i32 s20, s48, s20
.LBB128_36:                             ;   in Loop: Header=BB128_31 Depth=1
	s_waitcnt lgkmcnt(0)
	s_add_i32 s12, s12, s52
	s_delay_alu instid0(SALU_CYCLE_1) | instskip(NEXT) | instid1(SALU_CYCLE_1)
	s_add_i32 s12, s12, s13
	s_add_i32 s12, s12, s14
	s_delay_alu instid0(SALU_CYCLE_1)
	s_add_i32 s52, s12, s15
	s_add_u32 s10, s10, 16
	s_addc_u32 s11, s11, 0
	s_add_u32 s44, s44, 16
	s_addc_u32 s45, s45, 0
	s_add_i32 s49, s54, 4
	s_add_u32 s14, s44, s46
	s_addc_u32 s15, s45, s47
	s_add_u32 s12, s10, s46
	s_addc_u32 s13, s11, s47
	s_add_i32 s48, s54, 1
	s_cmp_ge_u32 s49, s17
	s_cbranch_scc1 .LBB128_42
; %bb.37:                               ;   in Loop: Header=BB128_31 Depth=1
	s_mov_b32 s53, s48
	s_branch .LBB128_31
.LBB128_38:                             ;   in Loop: Header=BB128_31 Depth=1
	s_load_b32 s54, s[48:49], 0x0
	s_waitcnt lgkmcnt(0)
	s_add_i32 s21, s12, s21
	s_add_i32 s20, s54, s20
	;; [unrolled: 1-line block ×3, first 2 shown]
	s_delay_alu instid0(SALU_CYCLE_1)
	s_cmp_ge_u32 s54, s50
	s_cbranch_scc1 .LBB128_33
.LBB128_39:                             ;   in Loop: Header=BB128_31 Depth=1
	s_load_b32 s55, s[48:49], 0x4
	s_waitcnt lgkmcnt(0)
	s_add_i32 s21, s21, s13
	s_add_i32 s20, s55, s20
	;; [unrolled: 1-line block ×3, first 2 shown]
	s_delay_alu instid0(SALU_CYCLE_1)
	s_cmp_ge_u32 s54, s50
	s_cbranch_scc1 .LBB128_34
.LBB128_40:                             ;   in Loop: Header=BB128_31 Depth=1
	s_load_b32 s55, s[48:49], 0x8
	s_waitcnt lgkmcnt(0)
	s_add_i32 s21, s21, s14
	s_add_i32 s20, s55, s20
	;; [unrolled: 1-line block ×3, first 2 shown]
	s_delay_alu instid0(SALU_CYCLE_1)
	s_cmp_ge_u32 s54, s50
	s_cbranch_scc0 .LBB128_35
	s_branch .LBB128_36
.LBB128_41:
	s_mov_b32 s10, 0
	s_delay_alu instid0(SALU_CYCLE_1)
	s_cmp_ge_u32 s10, s17
	s_cbranch_scc0 .LBB128_65
	s_branch .LBB128_43
.LBB128_42:
	s_add_i32 s10, s53, 4
	s_delay_alu instid0(SALU_CYCLE_1)
	s_cmp_ge_u32 s10, s17
	s_cbranch_scc0 .LBB128_65
.LBB128_43:
	v_dual_mov_b32 v1, s20 :: v_dual_mov_b32 v2, s52
	v_mov_b32_e32 v3, s21
	v_mov_b32_e32 v5, 0
	ds_store_b96 v5, v[1:3] offset:1056
.LBB128_44:
	s_or_b32 exec_lo, exec_lo, s51
	s_cmp_eq_u32 s16, 0
	s_waitcnt vmcnt(0) lgkmcnt(0)
	s_barrier
	buffer_gl0_inv
	s_cbranch_scc1 .LBB128_67
; %bb.45:
	s_mul_i32 s10, s34, s29
	s_mul_hi_u32 s11, s34, s28
	s_mul_i32 s12, s35, s28
	s_add_i32 s10, s11, s10
	v_dual_mov_b32 v5, 0 :: v_dual_add_nc_u32 v10, -1, v0
	s_add_i32 s10, s10, s12
	s_mul_i32 s11, s26, s23
	s_mul_hi_u32 s12, s26, s22
	s_mul_i32 s13, s42, s37
	s_add_i32 s11, s12, s11
	s_mul_i32 s12, s27, s22
	s_mul_hi_u32 s15, s42, s36
	ds_load_b96 v[1:3], v5 offset:1056
	s_add_i32 s11, s11, s12
	s_add_i32 s12, s15, s13
	s_mul_i32 s13, s43, s36
	s_mul_i32 s15, s26, s22
	s_add_i32 s13, s12, s13
	s_add_u32 s8, s8, s15
	s_addc_u32 s9, s9, s11
	s_mul_i32 s14, s34, s28
	s_add_u32 s8, s8, s18
	s_addc_u32 s9, s9, s19
	s_add_u32 s11, s40, s14
	s_mul_i32 s12, s42, s36
	s_addc_u32 s14, s41, s10
	s_add_u32 s10, s11, s24
	s_addc_u32 s11, s14, s25
	s_lshl_b64 s[12:13], s[12:13], 3
	v_lshrrev_b32_e32 v6, 5, v0
	s_add_u32 s14, s38, s12
	s_addc_u32 s15, s39, s13
	s_lshl_b64 s[12:13], s[30:31], 3
	s_waitcnt lgkmcnt(0)
	v_add_nc_u32_e32 v1, v1, v2
	s_add_u32 s17, s14, s12
	s_addc_u32 s20, s15, s13
	s_clause 0x3
	s_load_b32 s21, s[0:1], 0x1b0
	s_load_b64 s[12:13], s[0:1], 0x1b8
	s_load_b64 s[14:15], s[0:1], 0x360
	;; [unrolled: 1-line block ×3, first 2 shown]
	v_add_lshl_u32 v8, v6, v0, 2
	v_mad_u64_u32 v[6:7], null, s50, s33, v[0:1]
	v_lshlrev_b32_e32 v2, 3, v0
	v_lshrrev_b32_e32 v11, 2, v0
	v_lshrrev_b32_e32 v12, 5, v10
	v_mbcnt_lo_u32_b32 v9, -1, 0
	v_cmp_gt_u32_e64 s0, 32, v0
                                        ; implicit-def: $vgpr15
	s_delay_alu instid0(VALU_DEP_4) | instskip(NEXT) | instid1(VALU_DEP_4)
	v_add_lshl_u32 v0, v11, v2, 2
	v_add_lshl_u32 v10, v12, v10, 2
	v_dual_mov_b32 v4, v6 :: v_dual_and_b32 v11, 0xff, v4
	v_and_b32_e32 v12, 15, v9
	v_bfe_i32 v13, v9, 4, 1
	v_add_nc_u32_e32 v14, -1, v9
	s_waitcnt lgkmcnt(0)
	s_bitcmp1_b32 s21, 0
	s_cselect_b32 s1, -1, 0
	s_branch .LBB128_48
.LBB128_46:                             ;   in Loop: Header=BB128_48 Depth=1
	s_or_b32 exec_lo, exec_lo, s21
	v_add_nc_u32_e32 v1, v2, v1
.LBB128_47:                             ;   in Loop: Header=BB128_48 Depth=1
	v_add_nc_u32_e32 v3, v16, v3
	v_add_nc_u32_e32 v4, 0x100, v4
	s_add_i32 s16, s16, -1
	s_delay_alu instid0(SALU_CYCLE_1)
	s_cmp_lg_u32 s16, 0
	s_cbranch_scc0 .LBB128_67
.LBB128_48:                             ; =>This Inner Loop Header: Depth=1
	v_mov_b32_e32 v2, v5
	v_mov_b32_e32 v6, v5
	s_mov_b32 s21, exec_lo
	v_cmpx_gt_u64_e64 s[4:5], v[4:5]
	s_cbranch_execz .LBB128_50
; %bb.49:                               ;   in Loop: Header=BB128_48 Depth=1
	v_mad_u64_u32 v[6:7], null, v4, s12, s[8:9]
	s_delay_alu instid0(VALU_DEP_1) | instskip(NEXT) | instid1(VALU_DEP_1)
	v_mov_b32_e32 v2, v7
	v_mad_u64_u32 v[15:16], null, v4, s13, v[2:3]
	s_delay_alu instid0(VALU_DEP_1)
	v_mov_b32_e32 v7, v15
	global_load_u8 v15, v[6:7], off
	s_waitcnt vmcnt(0)
	v_cmp_gt_u16_e32 vcc_lo, v15, v11
	v_cndmask_b32_e64 v2, 0, 1, vcc_lo
	v_cmp_lt_u16_e32 vcc_lo, v15, v11
	v_cndmask_b32_e64 v6, 0, 1, vcc_lo
	v_cmp_eq_u16_e32 vcc_lo, v15, v11
	s_delay_alu instid0(VALU_DEP_2) | instskip(SKIP_1) | instid1(VALU_DEP_2)
	v_cndmask_b32_e64 v2, v6, v2, s1
	v_cndmask_b32_e64 v6, 0, 1, vcc_lo
	v_and_b32_e32 v2, 1, v2
.LBB128_50:                             ;   in Loop: Header=BB128_48 Depth=1
	s_or_b32 exec_lo, exec_lo, s21
	ds_store_b32 v8, v2
	s_waitcnt lgkmcnt(0)
	s_waitcnt_vscnt null, 0x0
	s_barrier
	buffer_gl0_inv
	s_and_saveexec_b32 s21, s0
	s_cbranch_execz .LBB128_52
; %bb.51:                               ;   in Loop: Header=BB128_48 Depth=1
	ds_load_2addr_b32 v[16:17], v0 offset1:1
	ds_load_2addr_b32 v[18:19], v0 offset0:2 offset1:3
	ds_load_2addr_b32 v[20:21], v0 offset0:4 offset1:5
	;; [unrolled: 1-line block ×3, first 2 shown]
	v_cmp_ne_u32_e32 vcc_lo, 0, v12
	; wave barrier
	s_waitcnt lgkmcnt(3)
	v_add_nc_u32_e32 v7, v17, v16
	s_waitcnt lgkmcnt(2)
	s_delay_alu instid0(VALU_DEP_1) | instskip(SKIP_1) | instid1(VALU_DEP_1)
	v_add3_u32 v7, v7, v18, v19
	s_waitcnt lgkmcnt(1)
	v_add3_u32 v7, v7, v20, v21
	s_waitcnt lgkmcnt(0)
	s_delay_alu instid0(VALU_DEP_1) | instskip(NEXT) | instid1(VALU_DEP_1)
	v_add3_u32 v7, v7, v22, v23
	v_mov_b32_dpp v17, v7 row_shr:1 row_mask:0xf bank_mask:0xf
	s_delay_alu instid0(VALU_DEP_1) | instskip(SKIP_1) | instid1(VALU_DEP_2)
	v_cndmask_b32_e32 v17, 0, v17, vcc_lo
	v_cmp_lt_u32_e32 vcc_lo, 1, v12
	v_add_nc_u32_e32 v7, v17, v7
	s_delay_alu instid0(VALU_DEP_1) | instskip(NEXT) | instid1(VALU_DEP_1)
	v_mov_b32_dpp v17, v7 row_shr:2 row_mask:0xf bank_mask:0xf
	v_cndmask_b32_e32 v17, 0, v17, vcc_lo
	v_cmp_lt_u32_e32 vcc_lo, 3, v12
	s_delay_alu instid0(VALU_DEP_2) | instskip(NEXT) | instid1(VALU_DEP_1)
	v_add_nc_u32_e32 v7, v7, v17
	v_mov_b32_dpp v17, v7 row_shr:4 row_mask:0xf bank_mask:0xf
	s_delay_alu instid0(VALU_DEP_1) | instskip(SKIP_1) | instid1(VALU_DEP_2)
	v_cndmask_b32_e32 v17, 0, v17, vcc_lo
	v_cmp_lt_u32_e32 vcc_lo, 7, v12
	v_add_nc_u32_e32 v7, v7, v17
	s_delay_alu instid0(VALU_DEP_1) | instskip(NEXT) | instid1(VALU_DEP_1)
	v_mov_b32_dpp v17, v7 row_shr:8 row_mask:0xf bank_mask:0xf
	v_cndmask_b32_e32 v17, 0, v17, vcc_lo
	v_cmp_gt_i32_e32 vcc_lo, 0, v14
	s_delay_alu instid0(VALU_DEP_2)
	v_add_nc_u32_e32 v7, v7, v17
	v_cndmask_b32_e32 v18, v14, v9, vcc_lo
	ds_swizzle_b32 v17, v7 offset:swizzle(BROADCAST,32,15)
	v_lshlrev_b32_e32 v18, 2, v18
	s_waitcnt lgkmcnt(0)
	v_and_b32_e32 v17, v13, v17
	s_delay_alu instid0(VALU_DEP_1) | instskip(SKIP_3) | instid1(VALU_DEP_1)
	v_add_nc_u32_e32 v7, v7, v17
	ds_bpermute_b32 v7, v18, v7
	s_waitcnt lgkmcnt(0)
	v_add_nc_u32_e32 v7, v7, v16
	v_cndmask_b32_e64 v7, v7, v2, s3
	ds_store_b32 v0, v7
	; wave barrier
	ds_load_2addr_b32 v[16:17], v0 offset0:1 offset1:2
	ds_load_2addr_b32 v[18:19], v0 offset0:3 offset1:4
	;; [unrolled: 1-line block ×3, first 2 shown]
	ds_load_b32 v22, v0 offset:28
	s_waitcnt lgkmcnt(3)
	v_add_nc_u32_e32 v7, v16, v7
	s_delay_alu instid0(VALU_DEP_1) | instskip(SKIP_1) | instid1(VALU_DEP_1)
	v_add_nc_u32_e32 v16, v17, v7
	s_waitcnt lgkmcnt(2)
	v_add_nc_u32_e32 v17, v18, v16
	s_delay_alu instid0(VALU_DEP_1) | instskip(SKIP_1) | instid1(VALU_DEP_1)
	v_add_nc_u32_e32 v18, v19, v17
	;; [unrolled: 4-line block ×3, first 2 shown]
	s_waitcnt lgkmcnt(0)
	v_add_nc_u32_e32 v21, v22, v20
	ds_store_2addr_b32 v0, v7, v16 offset0:1 offset1:2
	ds_store_2addr_b32 v0, v17, v18 offset0:3 offset1:4
	;; [unrolled: 1-line block ×3, first 2 shown]
	ds_store_b32 v0, v21 offset:28
.LBB128_52:                             ;   in Loop: Header=BB128_48 Depth=1
	s_or_b32 exec_lo, exec_lo, s21
	v_mov_b32_e32 v7, 0
	s_waitcnt lgkmcnt(0)
	s_barrier
	buffer_gl0_inv
	s_and_saveexec_b32 s21, s2
	s_cbranch_execz .LBB128_54
; %bb.53:                               ;   in Loop: Header=BB128_48 Depth=1
	ds_load_b32 v7, v10
.LBB128_54:                             ;   in Loop: Header=BB128_48 Depth=1
	s_or_b32 exec_lo, exec_lo, s21
	ds_load_b32 v16, v5 offset:1048
	s_mov_b32 s21, exec_lo
	s_waitcnt lgkmcnt(0)
	s_barrier
	buffer_gl0_inv
	v_cmpx_ne_u32_e32 0, v2
	s_cbranch_execz .LBB128_56
; %bb.55:                               ;   in Loop: Header=BB128_48 Depth=1
	v_add_nc_u32_e32 v7, v7, v3
	s_delay_alu instid0(VALU_DEP_1) | instskip(NEXT) | instid1(VALU_DEP_1)
	v_mad_u64_u32 v[17:18], null, v7, s18, 0
	v_mov_b32_e32 v2, v18
	v_mad_u64_u32 v[19:20], null, v7, s14, s[10:11]
	s_delay_alu instid0(VALU_DEP_2) | instskip(NEXT) | instid1(VALU_DEP_2)
	v_mad_u64_u32 v[21:22], null, v7, s19, v[2:3]
	v_mov_b32_e32 v2, v20
	s_delay_alu instid0(VALU_DEP_2) | instskip(NEXT) | instid1(VALU_DEP_2)
	v_mov_b32_e32 v18, v21
	v_mad_u64_u32 v[20:21], null, v7, s15, v[2:3]
	s_delay_alu instid0(VALU_DEP_2) | instskip(NEXT) | instid1(VALU_DEP_1)
	v_lshlrev_b64 v[17:18], 3, v[17:18]
	v_add_co_u32 v17, vcc_lo, s17, v17
	s_delay_alu instid0(VALU_DEP_2)
	v_add_co_ci_u32_e32 v18, vcc_lo, s20, v18, vcc_lo
	global_store_b8 v[19:20], v15, off
	global_store_b64 v[17:18], v[4:5], off
.LBB128_56:                             ;   in Loop: Header=BB128_48 Depth=1
	s_or_b32 exec_lo, exec_lo, s21
	v_mov_b32_e32 v2, v5
	s_delay_alu instid0(VALU_DEP_1)
	v_cmp_le_u64_e32 vcc_lo, s[6:7], v[1:2]
	s_cbranch_vccnz .LBB128_47
; %bb.57:                               ;   in Loop: Header=BB128_48 Depth=1
	ds_store_b32 v8, v6
	s_waitcnt lgkmcnt(0)
	s_waitcnt_vscnt null, 0x0
	s_barrier
	buffer_gl0_inv
	s_and_saveexec_b32 s21, s0
	s_cbranch_execz .LBB128_59
; %bb.58:                               ;   in Loop: Header=BB128_48 Depth=1
	ds_load_2addr_b32 v[17:18], v0 offset1:1
	ds_load_2addr_b32 v[19:20], v0 offset0:2 offset1:3
	ds_load_2addr_b32 v[21:22], v0 offset0:4 offset1:5
	;; [unrolled: 1-line block ×3, first 2 shown]
	v_cmp_ne_u32_e32 vcc_lo, 0, v12
	; wave barrier
	s_waitcnt lgkmcnt(3)
	v_add_nc_u32_e32 v2, v18, v17
	s_waitcnt lgkmcnt(2)
	s_delay_alu instid0(VALU_DEP_1) | instskip(SKIP_1) | instid1(VALU_DEP_1)
	v_add3_u32 v2, v2, v19, v20
	s_waitcnt lgkmcnt(1)
	v_add3_u32 v2, v2, v21, v22
	s_waitcnt lgkmcnt(0)
	s_delay_alu instid0(VALU_DEP_1) | instskip(NEXT) | instid1(VALU_DEP_1)
	v_add3_u32 v2, v2, v23, v24
	v_mov_b32_dpp v7, v2 row_shr:1 row_mask:0xf bank_mask:0xf
	s_delay_alu instid0(VALU_DEP_1) | instskip(SKIP_1) | instid1(VALU_DEP_2)
	v_cndmask_b32_e32 v7, 0, v7, vcc_lo
	v_cmp_lt_u32_e32 vcc_lo, 1, v12
	v_add_nc_u32_e32 v2, v7, v2
	s_delay_alu instid0(VALU_DEP_1) | instskip(NEXT) | instid1(VALU_DEP_1)
	v_mov_b32_dpp v7, v2 row_shr:2 row_mask:0xf bank_mask:0xf
	v_cndmask_b32_e32 v7, 0, v7, vcc_lo
	v_cmp_lt_u32_e32 vcc_lo, 3, v12
	s_delay_alu instid0(VALU_DEP_2) | instskip(NEXT) | instid1(VALU_DEP_1)
	v_add_nc_u32_e32 v2, v2, v7
	v_mov_b32_dpp v7, v2 row_shr:4 row_mask:0xf bank_mask:0xf
	s_delay_alu instid0(VALU_DEP_1) | instskip(SKIP_1) | instid1(VALU_DEP_2)
	v_cndmask_b32_e32 v7, 0, v7, vcc_lo
	v_cmp_lt_u32_e32 vcc_lo, 7, v12
	v_add_nc_u32_e32 v2, v2, v7
	s_delay_alu instid0(VALU_DEP_1) | instskip(NEXT) | instid1(VALU_DEP_1)
	v_mov_b32_dpp v7, v2 row_shr:8 row_mask:0xf bank_mask:0xf
	v_cndmask_b32_e32 v7, 0, v7, vcc_lo
	v_cmp_gt_i32_e32 vcc_lo, 0, v14
	v_cndmask_b32_e32 v18, v14, v9, vcc_lo
	s_delay_alu instid0(VALU_DEP_1) | instskip(NEXT) | instid1(VALU_DEP_4)
	v_lshlrev_b32_e32 v18, 2, v18
	v_add_nc_u32_e32 v2, v2, v7
	ds_swizzle_b32 v7, v2 offset:swizzle(BROADCAST,32,15)
	s_waitcnt lgkmcnt(0)
	v_and_b32_e32 v7, v13, v7
	s_delay_alu instid0(VALU_DEP_1) | instskip(SKIP_3) | instid1(VALU_DEP_1)
	v_add_nc_u32_e32 v2, v2, v7
	ds_bpermute_b32 v2, v18, v2
	s_waitcnt lgkmcnt(0)
	v_add_nc_u32_e32 v2, v2, v17
	v_cndmask_b32_e64 v2, v2, v6, s3
	ds_store_b32 v0, v2
	; wave barrier
	ds_load_2addr_b32 v[17:18], v0 offset0:1 offset1:2
	ds_load_2addr_b32 v[19:20], v0 offset0:3 offset1:4
	;; [unrolled: 1-line block ×3, first 2 shown]
	ds_load_b32 v7, v0 offset:28
	s_waitcnt lgkmcnt(3)
	v_add_nc_u32_e32 v2, v17, v2
	s_delay_alu instid0(VALU_DEP_1) | instskip(SKIP_1) | instid1(VALU_DEP_1)
	v_add_nc_u32_e32 v17, v18, v2
	s_waitcnt lgkmcnt(2)
	v_add_nc_u32_e32 v18, v19, v17
	s_delay_alu instid0(VALU_DEP_1) | instskip(SKIP_1) | instid1(VALU_DEP_1)
	v_add_nc_u32_e32 v19, v20, v18
	;; [unrolled: 4-line block ×3, first 2 shown]
	s_waitcnt lgkmcnt(0)
	v_add_nc_u32_e32 v7, v7, v21
	ds_store_2addr_b32 v0, v2, v17 offset0:1 offset1:2
	ds_store_2addr_b32 v0, v18, v19 offset0:3 offset1:4
	;; [unrolled: 1-line block ×3, first 2 shown]
	ds_store_b32 v0, v7 offset:28
.LBB128_59:                             ;   in Loop: Header=BB128_48 Depth=1
	s_or_b32 exec_lo, exec_lo, s21
	v_mov_b32_e32 v7, 0
	s_waitcnt lgkmcnt(0)
	s_barrier
	buffer_gl0_inv
	s_and_saveexec_b32 s21, s2
	s_cbranch_execz .LBB128_61
; %bb.60:                               ;   in Loop: Header=BB128_48 Depth=1
	ds_load_b32 v7, v10
.LBB128_61:                             ;   in Loop: Header=BB128_48 Depth=1
	s_or_b32 exec_lo, exec_lo, s21
	ds_load_b32 v2, v5 offset:1048
	s_mov_b32 s21, exec_lo
	s_waitcnt lgkmcnt(0)
	s_barrier
	buffer_gl0_inv
	v_cmpx_ne_u32_e32 0, v6
	s_cbranch_execz .LBB128_46
; %bb.62:                               ;   in Loop: Header=BB128_48 Depth=1
	v_dual_mov_b32 v7, v5 :: v_dual_add_nc_u32 v6, v7, v1
	s_delay_alu instid0(VALU_DEP_1)
	v_cmp_gt_u64_e32 vcc_lo, s[6:7], v[6:7]
	s_and_b32 exec_lo, exec_lo, vcc_lo
	s_cbranch_execz .LBB128_46
; %bb.63:                               ;   in Loop: Header=BB128_48 Depth=1
	v_mad_u64_u32 v[17:18], null, v6, s18, 0
	v_mad_u64_u32 v[19:20], null, v6, s14, s[10:11]
	s_delay_alu instid0(VALU_DEP_2) | instskip(NEXT) | instid1(VALU_DEP_1)
	v_mov_b32_e32 v7, v18
	v_mad_u64_u32 v[21:22], null, v6, s19, v[7:8]
	s_delay_alu instid0(VALU_DEP_1) | instskip(NEXT) | instid1(VALU_DEP_1)
	v_dual_mov_b32 v7, v20 :: v_dual_mov_b32 v18, v21
	v_mad_u64_u32 v[20:21], null, v6, s15, v[7:8]
	s_delay_alu instid0(VALU_DEP_2) | instskip(NEXT) | instid1(VALU_DEP_1)
	v_lshlrev_b64 v[6:7], 3, v[17:18]
	v_add_co_u32 v6, vcc_lo, s17, v6
	s_delay_alu instid0(VALU_DEP_2)
	v_add_co_ci_u32_e32 v7, vcc_lo, s20, v7, vcc_lo
	global_store_b8 v[19:20], v15, off
	global_store_b64 v[6:7], v[4:5], off
	s_branch .LBB128_46
	.p2align	6
.LBB128_64:                             ;   in Loop: Header=BB128_65 Depth=1
	s_add_u32 s12, s12, 4
	s_addc_u32 s13, s13, 0
	s_waitcnt lgkmcnt(0)
	s_add_i32 s52, s11, s52
	s_add_u32 s14, s14, 4
	s_addc_u32 s15, s15, 0
	s_add_i32 s10, s10, 1
	s_delay_alu instid0(SALU_CYCLE_1)
	s_cmp_lt_u32 s10, s17
	s_cbranch_scc0 .LBB128_43
.LBB128_65:                             ; =>This Inner Loop Header: Depth=1
	s_load_b32 s11, s[12:13], 0x0
	s_cmp_ge_u32 s10, s50
	s_cbranch_scc1 .LBB128_64
; %bb.66:                               ;   in Loop: Header=BB128_65 Depth=1
	s_load_b32 s44, s[14:15], 0x0
	s_waitcnt lgkmcnt(0)
	s_add_i32 s21, s11, s21
	s_add_i32 s20, s44, s20
	s_branch .LBB128_64
.LBB128_67:
	s_nop 0
	s_sendmsg sendmsg(MSG_DEALLOC_VGPRS)
	s_endpgm
	.section	.rodata,"a",@progbits
	.p2align	6, 0x0
	.amdhsa_kernel _ZN2at6native6mbtopk10gatherTopKIhmLin1EEEvNS_4cuda6detail10TensorInfoIKT_T0_EES8_S8_bjS8_NS5_IS6_S8_EES8_NS5_IlS8_EES8_jjPS6_PjSD_j
		.amdhsa_group_segment_fixed_size 1068
		.amdhsa_private_segment_fixed_size 0
		.amdhsa_kernarg_size 1592
		.amdhsa_user_sgpr_count 13
		.amdhsa_user_sgpr_dispatch_ptr 0
		.amdhsa_user_sgpr_queue_ptr 0
		.amdhsa_user_sgpr_kernarg_segment_ptr 1
		.amdhsa_user_sgpr_dispatch_id 0
		.amdhsa_user_sgpr_private_segment_size 0
		.amdhsa_wavefront_size32 1
		.amdhsa_uses_dynamic_stack 0
		.amdhsa_enable_private_segment 0
		.amdhsa_system_sgpr_workgroup_id_x 1
		.amdhsa_system_sgpr_workgroup_id_y 1
		.amdhsa_system_sgpr_workgroup_id_z 1
		.amdhsa_system_sgpr_workgroup_info 0
		.amdhsa_system_vgpr_workitem_id 0
		.amdhsa_next_free_vgpr 25
		.amdhsa_next_free_sgpr 56
		.amdhsa_reserve_vcc 1
		.amdhsa_float_round_mode_32 0
		.amdhsa_float_round_mode_16_64 0
		.amdhsa_float_denorm_mode_32 3
		.amdhsa_float_denorm_mode_16_64 3
		.amdhsa_dx10_clamp 1
		.amdhsa_ieee_mode 1
		.amdhsa_fp16_overflow 0
		.amdhsa_workgroup_processor_mode 1
		.amdhsa_memory_ordered 1
		.amdhsa_forward_progress 0
		.amdhsa_shared_vgpr_count 0
		.amdhsa_exception_fp_ieee_invalid_op 0
		.amdhsa_exception_fp_denorm_src 0
		.amdhsa_exception_fp_ieee_div_zero 0
		.amdhsa_exception_fp_ieee_overflow 0
		.amdhsa_exception_fp_ieee_underflow 0
		.amdhsa_exception_fp_ieee_inexact 0
		.amdhsa_exception_int_div_zero 0
	.end_amdhsa_kernel
	.section	.text._ZN2at6native6mbtopk10gatherTopKIhmLin1EEEvNS_4cuda6detail10TensorInfoIKT_T0_EES8_S8_bjS8_NS5_IS6_S8_EES8_NS5_IlS8_EES8_jjPS6_PjSD_j,"axG",@progbits,_ZN2at6native6mbtopk10gatherTopKIhmLin1EEEvNS_4cuda6detail10TensorInfoIKT_T0_EES8_S8_bjS8_NS5_IS6_S8_EES8_NS5_IlS8_EES8_jjPS6_PjSD_j,comdat
.Lfunc_end128:
	.size	_ZN2at6native6mbtopk10gatherTopKIhmLin1EEEvNS_4cuda6detail10TensorInfoIKT_T0_EES8_S8_bjS8_NS5_IS6_S8_EES8_NS5_IlS8_EES8_jjPS6_PjSD_j, .Lfunc_end128-_ZN2at6native6mbtopk10gatherTopKIhmLin1EEEvNS_4cuda6detail10TensorInfoIKT_T0_EES8_S8_bjS8_NS5_IS6_S8_EES8_NS5_IlS8_EES8_jjPS6_PjSD_j
                                        ; -- End function
	.section	.AMDGPU.csdata,"",@progbits
; Kernel info:
; codeLenInByte = 5296
; NumSgprs: 58
; NumVgprs: 25
; ScratchSize: 0
; MemoryBound: 0
; FloatMode: 240
; IeeeMode: 1
; LDSByteSize: 1068 bytes/workgroup (compile time only)
; SGPRBlocks: 7
; VGPRBlocks: 3
; NumSGPRsForWavesPerEU: 58
; NumVGPRsForWavesPerEU: 25
; Occupancy: 16
; WaveLimiterHint : 1
; COMPUTE_PGM_RSRC2:SCRATCH_EN: 0
; COMPUTE_PGM_RSRC2:USER_SGPR: 13
; COMPUTE_PGM_RSRC2:TRAP_HANDLER: 0
; COMPUTE_PGM_RSRC2:TGID_X_EN: 1
; COMPUTE_PGM_RSRC2:TGID_Y_EN: 1
; COMPUTE_PGM_RSRC2:TGID_Z_EN: 1
; COMPUTE_PGM_RSRC2:TIDIG_COMP_CNT: 0
	.section	.text._ZN2at6native6sbtopk10gatherTopKIhmLin1ELb0EEEvNS_4cuda6detail10TensorInfoIKT_T0_EES8_S8_bS8_S8_NS5_IS6_S8_EES8_NS5_IlS8_EES8_PS6_,"axG",@progbits,_ZN2at6native6sbtopk10gatherTopKIhmLin1ELb0EEEvNS_4cuda6detail10TensorInfoIKT_T0_EES8_S8_bS8_S8_NS5_IS6_S8_EES8_NS5_IlS8_EES8_PS6_,comdat
	.protected	_ZN2at6native6sbtopk10gatherTopKIhmLin1ELb0EEEvNS_4cuda6detail10TensorInfoIKT_T0_EES8_S8_bS8_S8_NS5_IS6_S8_EES8_NS5_IlS8_EES8_PS6_ ; -- Begin function _ZN2at6native6sbtopk10gatherTopKIhmLin1ELb0EEEvNS_4cuda6detail10TensorInfoIKT_T0_EES8_S8_bS8_S8_NS5_IS6_S8_EES8_NS5_IlS8_EES8_PS6_
	.globl	_ZN2at6native6sbtopk10gatherTopKIhmLin1ELb0EEEvNS_4cuda6detail10TensorInfoIKT_T0_EES8_S8_bS8_S8_NS5_IS6_S8_EES8_NS5_IlS8_EES8_PS6_
	.p2align	8
	.type	_ZN2at6native6sbtopk10gatherTopKIhmLin1ELb0EEEvNS_4cuda6detail10TensorInfoIKT_T0_EES8_S8_bS8_S8_NS5_IS6_S8_EES8_NS5_IlS8_EES8_PS6_,@function
_ZN2at6native6sbtopk10gatherTopKIhmLin1ELb0EEEvNS_4cuda6detail10TensorInfoIKT_T0_EES8_S8_bS8_S8_NS5_IS6_S8_EES8_NS5_IlS8_EES8_PS6_: ; @_ZN2at6native6sbtopk10gatherTopKIhmLin1ELb0EEEvNS_4cuda6detail10TensorInfoIKT_T0_EES8_S8_bS8_S8_NS5_IS6_S8_EES8_NS5_IlS8_EES8_PS6_
; %bb.0:
	s_clause 0x1
	s_load_b64 s[16:17], s[0:1], 0x520
	s_load_b128 s[28:31], s[0:1], 0x1b8
	s_add_u32 s10, s0, 0x520
	s_addc_u32 s11, s1, 0
	s_mov_b32 s3, 0
	s_waitcnt lgkmcnt(0)
	s_mul_i32 s2, s17, s15
	s_delay_alu instid0(SALU_CYCLE_1) | instskip(NEXT) | instid1(SALU_CYCLE_1)
	s_add_i32 s2, s2, s14
	s_mul_i32 s2, s2, s16
	s_delay_alu instid0(SALU_CYCLE_1) | instskip(NEXT) | instid1(SALU_CYCLE_1)
	s_add_i32 s2, s2, s13
	v_cmp_ge_u64_e64 s4, s[2:3], s[28:29]
	s_delay_alu instid0(VALU_DEP_1)
	s_and_b32 vcc_lo, exec_lo, s4
	s_cbranch_vccnz .LBB129_544
; %bb.1:
	s_load_b32 s5, s[0:1], 0x198
	s_mov_b64 s[8:9], 0
	s_mov_b64 s[6:7], s[2:3]
	s_waitcnt lgkmcnt(0)
	s_cmp_lt_i32 s5, 2
	s_cbranch_scc1 .LBB129_9
; %bb.2:
	s_mov_b32 s4, 0
	s_add_i32 s6, s5, -1
	s_mov_b32 s7, s4
	s_add_i32 s12, s5, 1
	s_lshl_b64 s[6:7], s[6:7], 3
	s_mov_b64 s[18:19], s[2:3]
	s_add_u32 s5, s6, s0
	s_addc_u32 s6, s7, s1
	s_add_u32 s14, s5, 8
	s_addc_u32 s15, s6, 0
.LBB129_3:                              ; =>This Inner Loop Header: Depth=1
	s_load_b64 s[20:21], s[14:15], 0x0
	s_waitcnt lgkmcnt(0)
	s_or_b64 s[6:7], s[18:19], s[20:21]
	s_delay_alu instid0(SALU_CYCLE_1) | instskip(NEXT) | instid1(SALU_CYCLE_1)
	s_mov_b32 s5, s7
                                        ; implicit-def: $sgpr6_sgpr7
	s_cmp_lg_u64 s[4:5], 0
	s_mov_b32 s5, -1
	s_cbranch_scc0 .LBB129_5
; %bb.4:                                ;   in Loop: Header=BB129_3 Depth=1
	v_cvt_f32_u32_e32 v1, s20
	v_cvt_f32_u32_e32 v2, s21
	s_sub_u32 s7, 0, s20
	s_subb_u32 s17, 0, s21
	s_waitcnt_depctr 0xfff
	v_fmac_f32_e32 v1, 0x4f800000, v2
	s_delay_alu instid0(VALU_DEP_1) | instskip(SKIP_2) | instid1(VALU_DEP_1)
	v_rcp_f32_e32 v1, v1
	s_waitcnt_depctr 0xfff
	v_mul_f32_e32 v1, 0x5f7ffffc, v1
	v_mul_f32_e32 v2, 0x2f800000, v1
	s_delay_alu instid0(VALU_DEP_1) | instskip(NEXT) | instid1(VALU_DEP_1)
	v_trunc_f32_e32 v2, v2
	v_fmac_f32_e32 v1, 0xcf800000, v2
	v_cvt_u32_f32_e32 v2, v2
	s_delay_alu instid0(VALU_DEP_2) | instskip(NEXT) | instid1(VALU_DEP_2)
	v_cvt_u32_f32_e32 v1, v1
	v_readfirstlane_b32 s5, v2
	s_delay_alu instid0(VALU_DEP_2) | instskip(NEXT) | instid1(VALU_DEP_2)
	v_readfirstlane_b32 s6, v1
	s_mul_i32 s22, s7, s5
	s_delay_alu instid0(VALU_DEP_1)
	s_mul_hi_u32 s24, s7, s6
	s_mul_i32 s23, s17, s6
	s_add_i32 s22, s24, s22
	s_mul_i32 s25, s7, s6
	s_add_i32 s22, s22, s23
	s_mul_hi_u32 s24, s6, s25
	s_mul_hi_u32 s26, s5, s25
	s_mul_i32 s23, s5, s25
	s_mul_hi_u32 s25, s6, s22
	s_mul_i32 s6, s6, s22
	s_mul_hi_u32 s27, s5, s22
	s_add_u32 s6, s24, s6
	s_addc_u32 s24, 0, s25
	s_add_u32 s6, s6, s23
	s_mul_i32 s22, s5, s22
	s_addc_u32 s6, s24, s26
	s_addc_u32 s23, s27, 0
	s_add_u32 s6, s6, s22
	s_addc_u32 s22, 0, s23
	v_add_co_u32 v1, s6, v1, s6
	s_delay_alu instid0(VALU_DEP_1) | instskip(SKIP_1) | instid1(VALU_DEP_1)
	s_cmp_lg_u32 s6, 0
	s_addc_u32 s5, s5, s22
	v_readfirstlane_b32 s6, v1
	s_mul_i32 s22, s7, s5
	s_delay_alu instid0(VALU_DEP_1)
	s_mul_hi_u32 s23, s7, s6
	s_mul_i32 s17, s17, s6
	s_add_i32 s22, s23, s22
	s_mul_i32 s7, s7, s6
	s_add_i32 s22, s22, s17
	s_mul_hi_u32 s23, s5, s7
	s_mul_i32 s24, s5, s7
	s_mul_hi_u32 s7, s6, s7
	s_mul_hi_u32 s25, s6, s22
	s_mul_i32 s6, s6, s22
	s_mul_hi_u32 s17, s5, s22
	s_add_u32 s6, s7, s6
	s_addc_u32 s7, 0, s25
	s_add_u32 s6, s6, s24
	s_mul_i32 s22, s5, s22
	s_addc_u32 s6, s7, s23
	s_addc_u32 s7, s17, 0
	s_add_u32 s6, s6, s22
	s_addc_u32 s7, 0, s7
	v_add_co_u32 v1, s6, v1, s6
	s_delay_alu instid0(VALU_DEP_1) | instskip(SKIP_1) | instid1(VALU_DEP_1)
	s_cmp_lg_u32 s6, 0
	s_addc_u32 s5, s5, s7
	v_readfirstlane_b32 s6, v1
	s_mul_i32 s17, s18, s5
	s_mul_hi_u32 s7, s18, s5
	s_mul_hi_u32 s22, s19, s5
	s_mul_i32 s5, s19, s5
	s_mul_hi_u32 s23, s18, s6
	s_mul_hi_u32 s24, s19, s6
	s_mul_i32 s6, s19, s6
	s_add_u32 s17, s23, s17
	s_addc_u32 s7, 0, s7
	s_add_u32 s6, s17, s6
	s_addc_u32 s6, s7, s24
	s_addc_u32 s7, s22, 0
	s_add_u32 s6, s6, s5
	s_addc_u32 s7, 0, s7
	s_mul_hi_u32 s5, s20, s6
	s_mul_i32 s22, s20, s7
	s_mul_i32 s23, s20, s6
	s_add_i32 s5, s5, s22
	v_sub_co_u32 v1, s22, s18, s23
	s_mul_i32 s17, s21, s6
	s_delay_alu instid0(SALU_CYCLE_1) | instskip(NEXT) | instid1(VALU_DEP_1)
	s_add_i32 s5, s5, s17
	v_sub_co_u32 v2, s23, v1, s20
	s_sub_i32 s17, s19, s5
	s_cmp_lg_u32 s22, 0
	s_subb_u32 s17, s17, s21
	s_cmp_lg_u32 s23, 0
	v_readfirstlane_b32 s23, v2
	s_subb_u32 s17, s17, 0
	s_delay_alu instid0(SALU_CYCLE_1) | instskip(SKIP_1) | instid1(VALU_DEP_1)
	s_cmp_ge_u32 s17, s21
	s_cselect_b32 s24, -1, 0
	s_cmp_ge_u32 s23, s20
	s_cselect_b32 s23, -1, 0
	s_cmp_eq_u32 s17, s21
	s_cselect_b32 s17, s23, s24
	s_add_u32 s23, s6, 1
	s_addc_u32 s24, s7, 0
	s_add_u32 s25, s6, 2
	s_addc_u32 s26, s7, 0
	s_cmp_lg_u32 s17, 0
	s_cselect_b32 s17, s25, s23
	s_cselect_b32 s23, s26, s24
	s_cmp_lg_u32 s22, 0
	v_readfirstlane_b32 s22, v1
	s_subb_u32 s5, s19, s5
	s_delay_alu instid0(SALU_CYCLE_1) | instskip(SKIP_1) | instid1(VALU_DEP_1)
	s_cmp_ge_u32 s5, s21
	s_cselect_b32 s24, -1, 0
	s_cmp_ge_u32 s22, s20
	s_cselect_b32 s22, -1, 0
	s_cmp_eq_u32 s5, s21
	s_cselect_b32 s5, s22, s24
	s_delay_alu instid0(SALU_CYCLE_1)
	s_cmp_lg_u32 s5, 0
	s_mov_b32 s5, 0
	s_cselect_b32 s7, s23, s7
	s_cselect_b32 s6, s17, s6
.LBB129_5:                              ;   in Loop: Header=BB129_3 Depth=1
	s_and_not1_b32 vcc_lo, exec_lo, s5
	s_cbranch_vccnz .LBB129_7
; %bb.6:                                ;   in Loop: Header=BB129_3 Depth=1
	v_cvt_f32_u32_e32 v1, s20
	s_sub_i32 s6, 0, s20
	s_waitcnt_depctr 0xfff
	v_rcp_iflag_f32_e32 v1, v1
	s_waitcnt_depctr 0xfff
	v_mul_f32_e32 v1, 0x4f7ffffe, v1
	s_delay_alu instid0(VALU_DEP_1) | instskip(NEXT) | instid1(VALU_DEP_1)
	v_cvt_u32_f32_e32 v1, v1
	v_readfirstlane_b32 s5, v1
	s_delay_alu instid0(VALU_DEP_1) | instskip(NEXT) | instid1(SALU_CYCLE_1)
	s_mul_i32 s6, s6, s5
	s_mul_hi_u32 s6, s5, s6
	s_delay_alu instid0(SALU_CYCLE_1) | instskip(NEXT) | instid1(SALU_CYCLE_1)
	s_add_i32 s5, s5, s6
	s_mul_hi_u32 s5, s18, s5
	s_delay_alu instid0(SALU_CYCLE_1) | instskip(SKIP_2) | instid1(SALU_CYCLE_1)
	s_mul_i32 s6, s5, s20
	s_add_i32 s7, s5, 1
	s_sub_i32 s6, s18, s6
	s_sub_i32 s17, s6, s20
	s_cmp_ge_u32 s6, s20
	s_cselect_b32 s5, s7, s5
	s_cselect_b32 s6, s17, s6
	s_add_i32 s7, s5, 1
	s_cmp_ge_u32 s6, s20
	s_cselect_b32 s6, s7, s5
	s_mov_b32 s7, s4
.LBB129_7:                              ;   in Loop: Header=BB129_3 Depth=1
	s_load_b64 s[22:23], s[14:15], 0xc8
	s_mul_i32 s5, s6, s21
	s_mul_hi_u32 s17, s6, s20
	s_mul_i32 s21, s7, s20
	s_add_i32 s5, s17, s5
	s_mul_i32 s17, s6, s20
	s_add_i32 s5, s5, s21
	s_sub_u32 s17, s18, s17
	s_subb_u32 s5, s19, s5
	s_waitcnt lgkmcnt(0)
	s_mul_i32 s5, s22, s5
	s_mul_hi_u32 s18, s22, s17
	s_mul_i32 s19, s23, s17
	s_add_i32 s5, s18, s5
	s_mul_i32 s17, s22, s17
	s_add_i32 s5, s5, s19
	s_add_u32 s8, s17, s8
	s_addc_u32 s9, s5, s9
	s_add_i32 s12, s12, -1
	s_add_u32 s14, s14, -8
	s_addc_u32 s15, s15, -1
	s_cmp_gt_u32 s12, 2
	s_cbranch_scc0 .LBB129_9
; %bb.8:                                ;   in Loop: Header=BB129_3 Depth=1
	s_mov_b64 s[18:19], s[6:7]
	s_branch .LBB129_3
.LBB129_9:
	s_clause 0x1
	s_load_b32 s12, s[0:1], 0x360
	s_load_b64 s[14:15], s[0:1], 0xd0
	s_add_u32 s4, s0, 0x1c8
	s_addc_u32 s5, s1, 0
	s_mov_b64 s[28:29], 0
	s_mov_b64 s[34:35], s[2:3]
	s_waitcnt lgkmcnt(0)
	s_cmp_lt_i32 s12, 2
	s_cbranch_scc1 .LBB129_17
; %bb.10:
	s_mov_b32 s18, 0
	s_add_i32 s20, s12, -1
	s_mov_b32 s21, s18
	s_add_i32 s12, s12, 1
	s_lshl_b64 s[20:21], s[20:21], 3
	s_mov_b64 s[22:23], s[2:3]
	s_add_u32 s17, s20, s4
	s_addc_u32 s19, s21, s5
	s_add_u32 s20, s17, 8
	s_addc_u32 s21, s19, 0
.LBB129_11:                             ; =>This Inner Loop Header: Depth=1
	s_load_b64 s[24:25], s[20:21], 0x0
	s_mov_b32 s17, -1
                                        ; implicit-def: $sgpr34_sgpr35
	s_waitcnt lgkmcnt(0)
	s_or_b64 s[26:27], s[22:23], s[24:25]
	s_delay_alu instid0(SALU_CYCLE_1) | instskip(NEXT) | instid1(SALU_CYCLE_1)
	s_mov_b32 s19, s27
	s_cmp_lg_u64 s[18:19], 0
	s_cbranch_scc0 .LBB129_13
; %bb.12:                               ;   in Loop: Header=BB129_11 Depth=1
	v_cvt_f32_u32_e32 v1, s24
	v_cvt_f32_u32_e32 v2, s25
	s_sub_u32 s26, 0, s24
	s_subb_u32 s27, 0, s25
	s_waitcnt_depctr 0xfff
	v_fmac_f32_e32 v1, 0x4f800000, v2
	s_delay_alu instid0(VALU_DEP_1) | instskip(SKIP_2) | instid1(VALU_DEP_1)
	v_rcp_f32_e32 v1, v1
	s_waitcnt_depctr 0xfff
	v_mul_f32_e32 v1, 0x5f7ffffc, v1
	v_mul_f32_e32 v2, 0x2f800000, v1
	s_delay_alu instid0(VALU_DEP_1) | instskip(NEXT) | instid1(VALU_DEP_1)
	v_trunc_f32_e32 v2, v2
	v_fmac_f32_e32 v1, 0xcf800000, v2
	v_cvt_u32_f32_e32 v2, v2
	s_delay_alu instid0(VALU_DEP_2) | instskip(NEXT) | instid1(VALU_DEP_2)
	v_cvt_u32_f32_e32 v1, v1
	v_readfirstlane_b32 s17, v2
	s_delay_alu instid0(VALU_DEP_2) | instskip(NEXT) | instid1(VALU_DEP_2)
	v_readfirstlane_b32 s19, v1
	s_mul_i32 s33, s26, s17
	s_delay_alu instid0(VALU_DEP_1)
	s_mul_hi_u32 s35, s26, s19
	s_mul_i32 s34, s27, s19
	s_add_i32 s33, s35, s33
	s_mul_i32 s36, s26, s19
	s_add_i32 s33, s33, s34
	s_mul_hi_u32 s35, s19, s36
	s_mul_hi_u32 s37, s17, s36
	s_mul_i32 s34, s17, s36
	s_mul_hi_u32 s36, s19, s33
	s_mul_i32 s19, s19, s33
	s_mul_hi_u32 s38, s17, s33
	s_add_u32 s19, s35, s19
	s_addc_u32 s35, 0, s36
	s_add_u32 s19, s19, s34
	s_mul_i32 s33, s17, s33
	s_addc_u32 s19, s35, s37
	s_addc_u32 s34, s38, 0
	s_add_u32 s19, s19, s33
	s_addc_u32 s33, 0, s34
	v_add_co_u32 v1, s19, v1, s19
	s_delay_alu instid0(VALU_DEP_1) | instskip(SKIP_1) | instid1(VALU_DEP_1)
	s_cmp_lg_u32 s19, 0
	s_addc_u32 s17, s17, s33
	v_readfirstlane_b32 s19, v1
	s_mul_i32 s33, s26, s17
	s_delay_alu instid0(VALU_DEP_1)
	s_mul_hi_u32 s34, s26, s19
	s_mul_i32 s27, s27, s19
	s_add_i32 s33, s34, s33
	s_mul_i32 s26, s26, s19
	s_add_i32 s33, s33, s27
	s_mul_hi_u32 s34, s17, s26
	s_mul_i32 s35, s17, s26
	s_mul_hi_u32 s26, s19, s26
	s_mul_hi_u32 s36, s19, s33
	s_mul_i32 s19, s19, s33
	s_mul_hi_u32 s27, s17, s33
	s_add_u32 s19, s26, s19
	s_addc_u32 s26, 0, s36
	s_add_u32 s19, s19, s35
	s_mul_i32 s33, s17, s33
	s_addc_u32 s19, s26, s34
	s_addc_u32 s26, s27, 0
	s_add_u32 s19, s19, s33
	s_addc_u32 s26, 0, s26
	v_add_co_u32 v1, s19, v1, s19
	s_delay_alu instid0(VALU_DEP_1) | instskip(SKIP_1) | instid1(VALU_DEP_1)
	s_cmp_lg_u32 s19, 0
	s_addc_u32 s17, s17, s26
	v_readfirstlane_b32 s19, v1
	s_mul_i32 s27, s22, s17
	s_mul_hi_u32 s26, s22, s17
	s_mul_hi_u32 s33, s23, s17
	s_mul_i32 s17, s23, s17
	s_mul_hi_u32 s34, s22, s19
	s_mul_hi_u32 s35, s23, s19
	s_mul_i32 s19, s23, s19
	s_add_u32 s27, s34, s27
	s_addc_u32 s26, 0, s26
	s_add_u32 s19, s27, s19
	s_addc_u32 s19, s26, s35
	s_addc_u32 s26, s33, 0
	s_add_u32 s19, s19, s17
	s_addc_u32 s26, 0, s26
	s_mul_hi_u32 s17, s24, s19
	s_mul_i32 s33, s24, s26
	s_mul_i32 s34, s24, s19
	s_add_i32 s17, s17, s33
	v_sub_co_u32 v1, s33, s22, s34
	s_mul_i32 s27, s25, s19
	s_delay_alu instid0(SALU_CYCLE_1) | instskip(NEXT) | instid1(VALU_DEP_1)
	s_add_i32 s17, s17, s27
	v_sub_co_u32 v2, s34, v1, s24
	s_sub_i32 s27, s23, s17
	s_cmp_lg_u32 s33, 0
	s_subb_u32 s27, s27, s25
	s_cmp_lg_u32 s34, 0
	v_readfirstlane_b32 s34, v2
	s_subb_u32 s27, s27, 0
	s_delay_alu instid0(SALU_CYCLE_1) | instskip(SKIP_1) | instid1(VALU_DEP_1)
	s_cmp_ge_u32 s27, s25
	s_cselect_b32 s35, -1, 0
	s_cmp_ge_u32 s34, s24
	s_cselect_b32 s34, -1, 0
	s_cmp_eq_u32 s27, s25
	s_cselect_b32 s27, s34, s35
	s_add_u32 s34, s19, 1
	s_addc_u32 s35, s26, 0
	s_add_u32 s36, s19, 2
	s_addc_u32 s37, s26, 0
	s_cmp_lg_u32 s27, 0
	s_cselect_b32 s27, s36, s34
	s_cselect_b32 s34, s37, s35
	s_cmp_lg_u32 s33, 0
	v_readfirstlane_b32 s33, v1
	s_subb_u32 s17, s23, s17
	s_delay_alu instid0(SALU_CYCLE_1) | instskip(SKIP_1) | instid1(VALU_DEP_1)
	s_cmp_ge_u32 s17, s25
	s_cselect_b32 s35, -1, 0
	s_cmp_ge_u32 s33, s24
	s_cselect_b32 s33, -1, 0
	s_cmp_eq_u32 s17, s25
	s_cselect_b32 s17, s33, s35
	s_delay_alu instid0(SALU_CYCLE_1)
	s_cmp_lg_u32 s17, 0
	s_mov_b32 s17, 0
	s_cselect_b32 s35, s34, s26
	s_cselect_b32 s34, s27, s19
.LBB129_13:                             ;   in Loop: Header=BB129_11 Depth=1
	s_and_not1_b32 vcc_lo, exec_lo, s17
	s_cbranch_vccnz .LBB129_15
; %bb.14:                               ;   in Loop: Header=BB129_11 Depth=1
	v_cvt_f32_u32_e32 v1, s24
	s_sub_i32 s19, 0, s24
	s_mov_b32 s35, s18
	s_waitcnt_depctr 0xfff
	v_rcp_iflag_f32_e32 v1, v1
	s_waitcnt_depctr 0xfff
	v_mul_f32_e32 v1, 0x4f7ffffe, v1
	s_delay_alu instid0(VALU_DEP_1) | instskip(NEXT) | instid1(VALU_DEP_1)
	v_cvt_u32_f32_e32 v1, v1
	v_readfirstlane_b32 s17, v1
	s_delay_alu instid0(VALU_DEP_1) | instskip(NEXT) | instid1(SALU_CYCLE_1)
	s_mul_i32 s19, s19, s17
	s_mul_hi_u32 s19, s17, s19
	s_delay_alu instid0(SALU_CYCLE_1) | instskip(NEXT) | instid1(SALU_CYCLE_1)
	s_add_i32 s17, s17, s19
	s_mul_hi_u32 s17, s22, s17
	s_delay_alu instid0(SALU_CYCLE_1) | instskip(SKIP_2) | instid1(SALU_CYCLE_1)
	s_mul_i32 s19, s17, s24
	s_add_i32 s26, s17, 1
	s_sub_i32 s19, s22, s19
	s_sub_i32 s27, s19, s24
	s_cmp_ge_u32 s19, s24
	s_cselect_b32 s17, s26, s17
	s_cselect_b32 s19, s27, s19
	s_add_i32 s26, s17, 1
	s_cmp_ge_u32 s19, s24
	s_cselect_b32 s34, s26, s17
.LBB129_15:                             ;   in Loop: Header=BB129_11 Depth=1
	s_load_b64 s[26:27], s[20:21], 0xc8
	s_mul_i32 s17, s34, s25
	s_mul_hi_u32 s19, s34, s24
	s_mul_i32 s25, s35, s24
	s_add_i32 s17, s19, s17
	s_mul_i32 s19, s34, s24
	s_add_i32 s17, s17, s25
	s_sub_u32 s19, s22, s19
	s_subb_u32 s17, s23, s17
	s_waitcnt lgkmcnt(0)
	s_mul_i32 s17, s26, s17
	s_mul_hi_u32 s22, s26, s19
	s_mul_i32 s23, s27, s19
	s_add_i32 s17, s22, s17
	s_mul_i32 s19, s26, s19
	s_add_i32 s17, s17, s23
	s_add_u32 s28, s19, s28
	s_addc_u32 s29, s17, s29
	s_add_i32 s12, s12, -1
	s_add_u32 s20, s20, -8
	s_addc_u32 s21, s21, -1
	s_cmp_gt_u32 s12, 2
	s_cbranch_scc0 .LBB129_17
; %bb.16:                               ;   in Loop: Header=BB129_11 Depth=1
	s_mov_b64 s[22:23], s[34:35]
	s_branch .LBB129_11
.LBB129_17:
	s_clause 0x1
	s_load_b32 s12, s[0:1], 0x508
	s_load_b64 s[4:5], s[4:5], 0xd0
                                        ; implicit-def: $vgpr45 : SGPR spill to VGPR lane
	s_mov_b64 s[40:41], 0
	s_waitcnt lgkmcnt(0)
	v_writelane_b32 v45, s4, 0
	v_writelane_b32 v45, s5, 1
	s_add_u32 s5, s0, 0x370
	s_addc_u32 s17, s1, 0
	s_cmp_lt_i32 s12, 2
	s_cbranch_scc1 .LBB129_25
; %bb.18:
	s_mov_b32 s4, 0
	s_add_i32 s18, s12, -1
	s_mov_b32 s19, s4
	s_add_i32 s12, s12, 1
	s_lshl_b64 s[18:19], s[18:19], 3
	s_delay_alu instid0(SALU_CYCLE_1)
	s_add_u32 s5, s18, s5
	s_addc_u32 s17, s19, s17
	s_add_u32 s18, s5, 8
	s_addc_u32 s19, s17, 0
.LBB129_19:                             ; =>This Inner Loop Header: Depth=1
	s_load_b64 s[20:21], s[18:19], 0x0
                                        ; implicit-def: $sgpr46_sgpr47
	s_waitcnt lgkmcnt(0)
	s_or_b64 s[22:23], s[2:3], s[20:21]
	s_delay_alu instid0(SALU_CYCLE_1) | instskip(NEXT) | instid1(SALU_CYCLE_1)
	s_mov_b32 s5, s23
	s_cmp_lg_u64 s[4:5], 0
	s_mov_b32 s5, -1
	s_cbranch_scc0 .LBB129_21
; %bb.20:                               ;   in Loop: Header=BB129_19 Depth=1
	v_cvt_f32_u32_e32 v1, s20
	v_cvt_f32_u32_e32 v2, s21
	s_sub_u32 s22, 0, s20
	s_subb_u32 s23, 0, s21
	s_waitcnt_depctr 0xfff
	v_fmac_f32_e32 v1, 0x4f800000, v2
	s_delay_alu instid0(VALU_DEP_1) | instskip(SKIP_2) | instid1(VALU_DEP_1)
	v_rcp_f32_e32 v1, v1
	s_waitcnt_depctr 0xfff
	v_mul_f32_e32 v1, 0x5f7ffffc, v1
	v_mul_f32_e32 v2, 0x2f800000, v1
	s_delay_alu instid0(VALU_DEP_1) | instskip(NEXT) | instid1(VALU_DEP_1)
	v_trunc_f32_e32 v2, v2
	v_fmac_f32_e32 v1, 0xcf800000, v2
	v_cvt_u32_f32_e32 v2, v2
	s_delay_alu instid0(VALU_DEP_2) | instskip(NEXT) | instid1(VALU_DEP_2)
	v_cvt_u32_f32_e32 v1, v1
	v_readfirstlane_b32 s5, v2
	s_delay_alu instid0(VALU_DEP_2) | instskip(NEXT) | instid1(VALU_DEP_2)
	v_readfirstlane_b32 s17, v1
	s_mul_i32 s24, s22, s5
	s_delay_alu instid0(VALU_DEP_1)
	s_mul_hi_u32 s26, s22, s17
	s_mul_i32 s25, s23, s17
	s_add_i32 s24, s26, s24
	s_mul_i32 s27, s22, s17
	s_add_i32 s24, s24, s25
	s_mul_hi_u32 s26, s17, s27
	s_mul_hi_u32 s33, s5, s27
	s_mul_i32 s25, s5, s27
	s_mul_hi_u32 s27, s17, s24
	s_mul_i32 s17, s17, s24
	s_mul_hi_u32 s36, s5, s24
	s_add_u32 s17, s26, s17
	s_addc_u32 s26, 0, s27
	s_add_u32 s17, s17, s25
	s_mul_i32 s24, s5, s24
	s_addc_u32 s17, s26, s33
	s_addc_u32 s25, s36, 0
	s_add_u32 s17, s17, s24
	s_addc_u32 s24, 0, s25
	v_add_co_u32 v1, s17, v1, s17
	s_delay_alu instid0(VALU_DEP_1) | instskip(SKIP_1) | instid1(VALU_DEP_1)
	s_cmp_lg_u32 s17, 0
	s_addc_u32 s5, s5, s24
	v_readfirstlane_b32 s17, v1
	s_mul_i32 s24, s22, s5
	s_delay_alu instid0(VALU_DEP_1)
	s_mul_hi_u32 s25, s22, s17
	s_mul_i32 s23, s23, s17
	s_add_i32 s24, s25, s24
	s_mul_i32 s22, s22, s17
	s_add_i32 s24, s24, s23
	s_mul_hi_u32 s25, s5, s22
	s_mul_i32 s26, s5, s22
	s_mul_hi_u32 s22, s17, s22
	s_mul_hi_u32 s27, s17, s24
	s_mul_i32 s17, s17, s24
	s_mul_hi_u32 s23, s5, s24
	s_add_u32 s17, s22, s17
	s_addc_u32 s22, 0, s27
	s_add_u32 s17, s17, s26
	s_mul_i32 s24, s5, s24
	s_addc_u32 s17, s22, s25
	s_addc_u32 s22, s23, 0
	s_add_u32 s17, s17, s24
	s_addc_u32 s22, 0, s22
	v_add_co_u32 v1, s17, v1, s17
	s_delay_alu instid0(VALU_DEP_1) | instskip(SKIP_1) | instid1(VALU_DEP_1)
	s_cmp_lg_u32 s17, 0
	s_addc_u32 s5, s5, s22
	v_readfirstlane_b32 s17, v1
	s_mul_i32 s23, s2, s5
	s_mul_hi_u32 s22, s2, s5
	s_mul_hi_u32 s24, s3, s5
	s_mul_i32 s5, s3, s5
	s_mul_hi_u32 s25, s2, s17
	s_mul_hi_u32 s26, s3, s17
	s_mul_i32 s17, s3, s17
	s_add_u32 s23, s25, s23
	s_addc_u32 s22, 0, s22
	s_add_u32 s17, s23, s17
	s_addc_u32 s17, s22, s26
	s_addc_u32 s22, s24, 0
	s_add_u32 s17, s17, s5
	s_addc_u32 s22, 0, s22
	s_mul_hi_u32 s5, s20, s17
	s_mul_i32 s24, s20, s22
	s_mul_i32 s25, s20, s17
	s_add_i32 s5, s5, s24
	v_sub_co_u32 v1, s24, s2, s25
	s_mul_i32 s23, s21, s17
	s_delay_alu instid0(SALU_CYCLE_1) | instskip(NEXT) | instid1(VALU_DEP_1)
	s_add_i32 s5, s5, s23
	v_sub_co_u32 v2, s25, v1, s20
	s_sub_i32 s23, s3, s5
	s_cmp_lg_u32 s24, 0
	s_subb_u32 s23, s23, s21
	s_cmp_lg_u32 s25, 0
	v_readfirstlane_b32 s25, v2
	s_subb_u32 s23, s23, 0
	s_delay_alu instid0(SALU_CYCLE_1) | instskip(SKIP_1) | instid1(VALU_DEP_1)
	s_cmp_ge_u32 s23, s21
	s_cselect_b32 s26, -1, 0
	s_cmp_ge_u32 s25, s20
	s_cselect_b32 s25, -1, 0
	s_cmp_eq_u32 s23, s21
	s_cselect_b32 s23, s25, s26
	s_add_u32 s25, s17, 1
	s_addc_u32 s26, s22, 0
	s_add_u32 s27, s17, 2
	s_addc_u32 s33, s22, 0
	s_cmp_lg_u32 s23, 0
	s_cselect_b32 s23, s27, s25
	s_cselect_b32 s25, s33, s26
	s_cmp_lg_u32 s24, 0
	v_readfirstlane_b32 s24, v1
	s_subb_u32 s5, s3, s5
	s_delay_alu instid0(SALU_CYCLE_1) | instskip(SKIP_1) | instid1(VALU_DEP_1)
	s_cmp_ge_u32 s5, s21
	s_cselect_b32 s26, -1, 0
	s_cmp_ge_u32 s24, s20
	s_cselect_b32 s24, -1, 0
	s_cmp_eq_u32 s5, s21
	s_cselect_b32 s5, s24, s26
	s_delay_alu instid0(SALU_CYCLE_1)
	s_cmp_lg_u32 s5, 0
	s_mov_b32 s5, 0
	s_cselect_b32 s47, s25, s22
	s_cselect_b32 s46, s23, s17
.LBB129_21:                             ;   in Loop: Header=BB129_19 Depth=1
	s_and_not1_b32 vcc_lo, exec_lo, s5
	s_cbranch_vccnz .LBB129_23
; %bb.22:                               ;   in Loop: Header=BB129_19 Depth=1
	v_cvt_f32_u32_e32 v1, s20
	s_sub_i32 s17, 0, s20
	s_mov_b32 s47, s4
	s_waitcnt_depctr 0xfff
	v_rcp_iflag_f32_e32 v1, v1
	s_waitcnt_depctr 0xfff
	v_mul_f32_e32 v1, 0x4f7ffffe, v1
	s_delay_alu instid0(VALU_DEP_1) | instskip(NEXT) | instid1(VALU_DEP_1)
	v_cvt_u32_f32_e32 v1, v1
	v_readfirstlane_b32 s5, v1
	s_delay_alu instid0(VALU_DEP_1) | instskip(NEXT) | instid1(SALU_CYCLE_1)
	s_mul_i32 s17, s17, s5
	s_mul_hi_u32 s17, s5, s17
	s_delay_alu instid0(SALU_CYCLE_1) | instskip(NEXT) | instid1(SALU_CYCLE_1)
	s_add_i32 s5, s5, s17
	s_mul_hi_u32 s5, s2, s5
	s_delay_alu instid0(SALU_CYCLE_1) | instskip(SKIP_2) | instid1(SALU_CYCLE_1)
	s_mul_i32 s17, s5, s20
	s_add_i32 s22, s5, 1
	s_sub_i32 s17, s2, s17
	s_sub_i32 s23, s17, s20
	s_cmp_ge_u32 s17, s20
	s_cselect_b32 s5, s22, s5
	s_cselect_b32 s17, s23, s17
	s_add_i32 s22, s5, 1
	s_cmp_ge_u32 s17, s20
	s_cselect_b32 s46, s22, s5
.LBB129_23:                             ;   in Loop: Header=BB129_19 Depth=1
	s_load_b64 s[22:23], s[18:19], 0xc8
	s_mul_i32 s5, s46, s21
	s_mul_hi_u32 s17, s46, s20
	s_mul_i32 s21, s47, s20
	s_add_i32 s5, s17, s5
	s_mul_i32 s17, s46, s20
	s_add_i32 s5, s5, s21
	s_sub_u32 s2, s2, s17
	s_subb_u32 s3, s3, s5
	s_waitcnt lgkmcnt(0)
	s_mul_i32 s3, s22, s3
	s_mul_hi_u32 s5, s22, s2
	s_mul_i32 s17, s23, s2
	s_add_i32 s3, s5, s3
	s_mul_i32 s2, s22, s2
	s_add_i32 s3, s3, s17
	s_add_u32 s40, s2, s40
	s_addc_u32 s41, s3, s41
	s_add_i32 s12, s12, -1
	s_add_u32 s18, s18, -8
	s_addc_u32 s19, s19, -1
	s_cmp_gt_u32 s12, 2
	s_cbranch_scc0 .LBB129_26
; %bb.24:                               ;   in Loop: Header=BB129_19 Depth=1
	s_mov_b64 s[2:3], s[46:47]
	s_branch .LBB129_19
.LBB129_25:
	s_mov_b64 s[46:47], s[2:3]
.LBB129_26:
	s_clause 0x2
	s_load_b128 s[36:39], s[0:1], 0x1a0
	s_load_b64 s[44:45], s[0:1], 0x0
	s_load_b64 s[2:3], s[0:1], 0x1c8
	v_cmp_eq_u32_e64 s5, 0, v0
	s_mov_b32 s55, 0
	s_waitcnt lgkmcnt(0)
	v_writelane_b32 v45, s2, 2
	v_writelane_b32 v45, s3, 3
	s_load_b64 s[2:3], s[0:1], 0x370
	s_waitcnt lgkmcnt(0)
	v_writelane_b32 v45, s2, 4
	v_writelane_b32 v45, s3, 5
	s_and_saveexec_b32 s2, s5
	s_cbranch_execz .LBB129_28
; %bb.27:
	v_dual_mov_b32 v1, 0 :: v_dual_mov_b32 v4, s37
	s_delay_alu instid0(VALU_DEP_1)
	v_dual_mov_b32 v3, s36 :: v_dual_mov_b32 v2, v1
	ds_store_b32 v1, v1 offset:5144
	ds_store_b128 v1, v[1:4] offset:5120
.LBB129_28:
	s_or_b32 exec_lo, exec_lo, s2
	v_mad_u64_u32 v[2:3], null, v0, s30, 0
	s_load_b32 s2, s[0:1], 0x1b0
	s_mul_i32 s3, s14, s7
	s_mul_hi_u32 s4, s14, s6
	s_mul_i32 s12, s14, s6
	s_waitcnt lgkmcnt(0)
	s_barrier
	buffer_gl0_inv
	s_load_b32 s14, s[10:11], 0xc
	v_dual_mov_b32 v1, v3 :: v_dual_lshlrev_b32 v14, 2, v0
	s_mul_i32 s7, s15, s6
	s_add_i32 s3, s4, s3
	v_mbcnt_lo_u32_b32 v34, -1, 0
	s_delay_alu instid0(VALU_DEP_2)
	v_mad_u64_u32 v[3:4], null, v0, s31, v[1:2]
	v_or_b32_e32 v9, 3, v14
	v_or_b32_e32 v12, 2, v14
	v_lshrrev_b32_e32 v4, 3, v0
	s_add_i32 s7, s3, s7
	s_add_u32 s4, s44, s12
	s_addc_u32 s6, s45, s7
	v_mad_u64_u32 v[16:17], null, s30, v9, 0
	v_mad_u64_u32 v[18:19], null, s30, v12, 0
	s_add_u32 s56, s4, s8
	v_cmp_gt_u32_e32 vcc_lo, 32, v0
	v_cmp_gt_i32_e64 s3, 4, v34
	s_addc_u32 s57, s6, s9
	v_mad_u64_u32 v[20:21], null, s30, v14, s[30:31]
	v_and_b32_e32 v35, 0x7c, v4
	v_lshlrev_b64 v[4:5], v34, -1
	s_bitcmp1_b32 s2, 0
	v_mov_b32_e32 v13, 0
	s_cselect_b32 s4, -1, 0
	s_waitcnt lgkmcnt(0)
	s_and_b32 s33, s14, 0xffff
	s_xor_b32 s78, s4, -1
	s_and_b32 s79, vcc_lo, s3
	s_bfe_u32 s15, s14, 0xb0005
	s_add_u32 s81, s33, -1
	v_not_b32_e32 v33, v4
	v_dual_mov_b32 v4, v17 :: v_dual_mov_b32 v5, v19
	v_mov_b32_e32 v40, 0
	s_addc_u32 s82, 0, -1
	s_add_u32 s83, s81, s36
	s_addc_u32 s27, s82, s37
	s_cmp_lt_u32 s13, s16
	v_mad_u64_u32 v[7:8], null, s31, v9, v[4:5]
	s_cselect_b32 s13, 12, 18
	v_mov_b32_e32 v6, v21
	s_add_u32 s58, s10, s13
	s_addc_u32 s59, s11, 0
	s_add_i32 s10, s15, -1
	s_bfe_u32 s85, s33, 0x30005
	s_cmp_gt_u32 s10, 6
	v_mad_u64_u32 v[8:9], null, s31, v12, v[5:6]
	s_cselect_b32 s86, -1, 0
	s_and_b32 s87, s15, 0x7f8
	v_mad_u64_u32 v[4:5], null, s31, v14, v[6:7]
	s_cmp_lg_u32 s85, 0
	v_mov_b32_e32 v1, v13
	s_cselect_b32 s88, -1, 0
	s_add_u32 s76, s8, s12
	v_add_co_u32 v10, vcc_lo, s56, v2
	s_delay_alu instid0(VALU_DEP_3)
	v_mov_b32_e32 v36, v4
	s_addc_u32 s77, s9, s7
	s_add_u32 s60, s44, s76
	v_add_co_ci_u32_e32 v11, vcc_lo, s57, v3, vcc_lo
	s_addc_u32 s61, s45, s77
	v_add_co_u32 v23, vcc_lo, s60, v2
	v_cmp_lt_u64_e64 s80, 0xc00, s[36:37]
	v_cmp_gt_u64_e64 s3, s[36:37], v[0:1]
	v_lshlrev_b64 v[21:22], 2, v[2:3]
	v_mov_b32_e32 v25, s38
	v_cmp_eq_u32_e64 s2, 0, v34
	v_dual_mov_b32 v15, v13 :: v_dual_mov_b32 v26, s39
	v_cmp_gt_u32_e64 s6, 2, v0
	v_cmp_gt_u16_e64 s84, s14, 31
	v_dual_mov_b32 v17, v7 :: v_dual_mov_b32 v38, 0
	v_mov_b32_e32 v19, v8
	v_lshl_or_b32 v37, v34, 3, 0xc00
	v_add_co_ci_u32_e32 v24, vcc_lo, s61, v3, vcc_lo
	v_mov_b32_e32 v39, 0
	s_mul_i32 s7, s31, s33
	s_mul_hi_u32 s8, s30, s33
	s_mov_b32 s89, 6
	s_lshl_b64 s[62:63], s[30:31], 2
	s_add_i32 s74, s8, s7
	s_mul_i32 s75, s30, s33
	s_mov_b32 s90, 0
	s_mov_b32 s92, 0
                                        ; implicit-def: $sgpr91
                                        ; implicit-def: $sgpr95
                                        ; implicit-def: $sgpr94
                                        ; implicit-def: $sgpr96
                                        ; implicit-def: $sgpr93
                                        ; implicit-def: $sgpr97
                                        ; implicit-def: $sgpr99
                                        ; implicit-def: $sgpr98
                                        ; implicit-def: $sgpr100
                                        ; implicit-def: $sgpr101
	s_branch .LBB129_31
.LBB129_29:                             ;   in Loop: Header=BB129_31 Depth=1
	s_or_b32 exec_lo, exec_lo, s10
	v_dual_mov_b32 v38, v28 :: v_dual_mov_b32 v39, v27
	v_dual_mov_b32 v26, v3 :: v_dual_mov_b32 v25, v2
	v_mov_b32_e32 v40, v29
	s_and_not1_b32 s10, s101, exec_lo
	s_and_b32 s9, s9, exec_lo
	s_and_not1_b32 s100, s100, exec_lo
	s_or_b32 s101, s10, s9
	s_and_not1_b32 s98, s98, exec_lo
	s_and_not1_b32 s99, s99, exec_lo
	;; [unrolled: 1-line block ×3, first 2 shown]
	s_or_not1_b32 s8, s8, exec_lo
.LBB129_30:                             ;   in Loop: Header=BB129_31 Depth=1
	s_or_b32 exec_lo, exec_lo, s7
	s_delay_alu instid0(SALU_CYCLE_1) | instskip(NEXT) | instid1(SALU_CYCLE_1)
	s_and_b32 s7, exec_lo, s8
	s_or_b32 s90, s7, s90
	s_and_not1_b32 s7, s93, exec_lo
	s_and_b32 s8, s101, exec_lo
	s_and_not1_b32 s9, s96, exec_lo
	s_or_b32 s93, s7, s8
	s_and_b32 s7, s100, exec_lo
	s_and_not1_b32 s8, s94, exec_lo
	s_and_b32 s10, s98, exec_lo
	s_or_b32 s96, s9, s7
	s_or_b32 s94, s8, s10
	s_and_not1_b32 s7, s95, exec_lo
	s_and_b32 s8, s99, exec_lo
	s_and_not1_b32 s9, s91, exec_lo
	s_and_b32 s10, s97, exec_lo
	s_or_b32 s95, s7, s8
	s_or_b32 s91, s9, s10
	s_and_not1_b32 exec_lo, exec_lo, s90
	s_cbranch_execz .LBB129_484
.LBB129_31:                             ; =>This Loop Header: Depth=1
                                        ;     Child Loop BB129_36 Depth 2
                                        ;     Child Loop BB129_54 Depth 2
	;; [unrolled: 1-line block ×24, first 2 shown]
	ds_load_b128 v[2:5], v13 offset:5120
	s_waitcnt lgkmcnt(0)
	v_readfirstlane_b32 s65, v3
	v_readfirstlane_b32 s64, v2
	s_delay_alu instid0(VALU_DEP_1)
	s_cmp_lg_u64 s[64:65], 0
	s_cbranch_scc1 .LBB129_61
; %bb.32:                               ;   in Loop: Header=BB129_31 Depth=1
	s_and_b32 vcc_lo, exec_lo, s80
	s_cbranch_vccz .LBB129_44
; %bb.33:                               ;   in Loop: Header=BB129_31 Depth=1
	v_cmp_gt_u64_e32 vcc_lo, 0xc01, v[4:5]
	s_mov_b32 s9, 0
	s_mov_b32 s7, 0
	s_cbranch_vccz .LBB129_45
; %bb.34:                               ;   in Loop: Header=BB129_31 Depth=1
	global_load_u16 v6, v13, s[58:59]
	global_load_u8 v7, v[10:11], off
	s_mov_b32 s11, 0
	s_waitcnt vmcnt(1)
	v_readfirstlane_b32 s7, v6
	v_and_b32_e32 v6, 0xffff, v6
	s_delay_alu instid0(VALU_DEP_2) | instskip(NEXT) | instid1(SALU_CYCLE_1)
	s_and_b32 s7, 0xffff, s7
	v_add_nc_u32_e32 v8, s7, v0
	s_mul_i32 s8, s31, s7
	s_mul_hi_u32 s10, s30, s7
	s_mul_i32 s12, s30, s7
	s_add_i32 s10, s10, s8
	v_mad_u64_u32 v[2:3], null, s30, v8, s[60:61]
	s_delay_alu instid0(VALU_DEP_1) | instskip(NEXT) | instid1(VALU_DEP_1)
	v_mad_u64_u32 v[4:5], null, s31, v8, v[3:4]
	v_mov_b32_e32 v3, v4
	v_dual_mov_b32 v5, v1 :: v_dual_mov_b32 v4, v0
	s_branch .LBB129_36
.LBB129_35:                             ;   in Loop: Header=BB129_36 Depth=2
	s_or_b32 exec_lo, exec_lo, s8
	v_add_co_u32 v2, vcc_lo, v2, s12
	v_add_co_ci_u32_e32 v3, vcc_lo, s10, v3, vcc_lo
	v_mov_b32_e32 v7, v8
	s_and_not1_b32 exec_lo, exec_lo, s11
	s_cbranch_execz .LBB129_46
.LBB129_36:                             ;   Parent Loop BB129_31 Depth=1
                                        ; =>  This Inner Loop Header: Depth=2
	s_delay_alu instid0(VALU_DEP_1) | instskip(NEXT) | instid1(VALU_DEP_2)
	v_add_co_u32 v4, vcc_lo, v4, v6
	v_add_co_ci_u32_e32 v5, vcc_lo, 0, v5, vcc_lo
	s_waitcnt lgkmcnt(0)
	v_dual_mov_b32 v9, 0 :: v_dual_mov_b32 v8, 0
	s_mov_b32 s8, exec_lo
	s_delay_alu instid0(VALU_DEP_2)
	v_cmp_le_u64_e32 vcc_lo, s[36:37], v[4:5]
	v_cmpx_gt_u64_e64 s[36:37], v[4:5]
	s_cbranch_execz .LBB129_38
; %bb.37:                               ;   in Loop: Header=BB129_36 Depth=2
	global_load_u8 v8, v[2:3], off
.LBB129_38:                             ;   in Loop: Header=BB129_36 Depth=2
	s_or_b32 exec_lo, exec_lo, s8
	s_waitcnt vmcnt(0)
	v_and_b32_e32 v12, v7, v38
	s_delay_alu instid0(VALU_DEP_1) | instskip(NEXT) | instid1(VALU_DEP_1)
	v_and_b32_e32 v12, 0xff, v12
	v_cmp_eq_u32_e64 s7, v12, v39
	s_delay_alu instid0(VALU_DEP_1) | instskip(SKIP_1) | instid1(SALU_CYCLE_1)
	s_cmp_lg_u32 s7, 0
	s_cselect_b32 s8, -1, 0
	s_and_b32 s8, s2, s8
	s_delay_alu instid0(SALU_CYCLE_1)
	s_and_saveexec_b32 s13, s8
	s_cbranch_execz .LBB129_42
; %bb.39:                               ;   in Loop: Header=BB129_36 Depth=2
	s_mov_b32 s16, exec_lo
	s_bcnt1_i32_b32 s14, s7
	v_mbcnt_lo_u32_b32 v9, s16, 0
	s_mov_b32 s15, exec_lo
                                        ; implicit-def: $vgpr12
	s_delay_alu instid0(VALU_DEP_1)
	v_cmpx_eq_u32_e32 0, v9
	s_cbranch_execz .LBB129_41
; %bb.40:                               ;   in Loop: Header=BB129_36 Depth=2
	s_bcnt1_i32_b32 s8, s16
	s_delay_alu instid0(SALU_CYCLE_1) | instskip(NEXT) | instid1(SALU_CYCLE_1)
	s_mul_i32 s8, s14, s8
	v_mov_b32_e32 v12, s8
	ds_add_rtn_u32 v12, v13, v12 offset:5144
.LBB129_41:                             ;   in Loop: Header=BB129_36 Depth=2
	s_or_b32 exec_lo, exec_lo, s15
	s_waitcnt lgkmcnt(0)
	v_readfirstlane_b32 s8, v12
	s_delay_alu instid0(VALU_DEP_1)
	v_mad_u32_u24 v9, s14, v9, s8
.LBB129_42:                             ;   in Loop: Header=BB129_36 Depth=2
	s_or_b32 exec_lo, exec_lo, s13
	ds_bpermute_b32 v9, v13, v9
	s_and_b32 s8, exec_lo, vcc_lo
	s_delay_alu instid0(SALU_CYCLE_1)
	s_or_b32 s11, s8, s11
	s_and_saveexec_b32 s8, s7
	s_cbranch_execz .LBB129_35
; %bb.43:                               ;   in Loop: Header=BB129_36 Depth=2
	v_and_b32_e32 v12, s7, v33
	s_waitcnt lgkmcnt(0)
	s_delay_alu instid0(VALU_DEP_1)
	v_bcnt_u32_b32 v9, v12, v9
	ds_store_b8 v9, v7
	s_branch .LBB129_35
.LBB129_44:                             ;   in Loop: Header=BB129_31 Depth=1
	s_mov_b32 s7, 0
                                        ; implicit-def: $sgpr64_sgpr65
	s_cbranch_execnz .LBB129_49
	s_branch .LBB129_59
.LBB129_45:                             ;   in Loop: Header=BB129_31 Depth=1
	s_mov_b64 s[64:65], 0
	s_and_b32 vcc_lo, exec_lo, s9
	s_cbranch_vccnz .LBB129_49
	s_branch .LBB129_59
.LBB129_46:                             ;   in Loop: Header=BB129_31 Depth=1
	s_or_b32 exec_lo, exec_lo, s11
	s_waitcnt lgkmcnt(0)
	s_barrier
	buffer_gl0_inv
	s_and_saveexec_b32 s7, s5
	s_cbranch_execz .LBB129_48
; %bb.47:                               ;   in Loop: Header=BB129_31 Depth=1
	ds_load_b32 v2, v13 offset:5144
	s_waitcnt lgkmcnt(0)
	v_ashrrev_i32_e32 v3, 31, v2
	ds_store_b64 v13, v[2:3] offset:5120
.LBB129_48:                             ;   in Loop: Header=BB129_31 Depth=1
	s_or_b32 exec_lo, exec_lo, s7
	s_waitcnt lgkmcnt(0)
	s_mov_b32 s7, -1
	s_barrier
	s_mov_b64 s[64:65], 0
	s_and_b32 vcc_lo, exec_lo, s9
	s_cbranch_vccz .LBB129_59
.LBB129_49:                             ;   in Loop: Header=BB129_31 Depth=1
	v_mov_b32_e32 v6, 0
	s_and_saveexec_b32 s7, s3
	s_cbranch_execz .LBB129_51
; %bb.50:                               ;   in Loop: Header=BB129_31 Depth=1
	global_load_u8 v6, v[10:11], off
.LBB129_51:                             ;   in Loop: Header=BB129_31 Depth=1
	s_or_b32 exec_lo, exec_lo, s7
	s_and_saveexec_b32 s8, s3
	s_cbranch_execz .LBB129_56
; %bb.52:                               ;   in Loop: Header=BB129_31 Depth=1
	global_load_u16 v8, v13, s[58:59]
	s_mov_b32 s12, 0
	s_waitcnt vmcnt(0)
	v_readfirstlane_b32 s7, v8
	v_and_b32_e32 v8, 0xffff, v8
	s_delay_alu instid0(VALU_DEP_2) | instskip(NEXT) | instid1(SALU_CYCLE_1)
	s_and_b32 s9, 0xffff, s7
	v_add_nc_u32_e32 v7, s9, v0
	s_mul_i32 s7, s31, s9
	s_mul_hi_u32 s10, s30, s9
	s_mul_i32 s11, s30, s9
	s_add_i32 s10, s10, s7
	v_mad_u64_u32 v[2:3], null, s30, v7, s[60:61]
	s_delay_alu instid0(VALU_DEP_1) | instskip(SKIP_1) | instid1(VALU_DEP_2)
	v_mad_u64_u32 v[4:5], null, s31, v7, v[3:4]
	v_mov_b32_e32 v7, v0
	v_mov_b32_e32 v3, v4
	v_dual_mov_b32 v5, v1 :: v_dual_mov_b32 v4, v0
	s_branch .LBB129_54
	.p2align	6
.LBB129_53:                             ;   in Loop: Header=BB129_54 Depth=2
	s_or_b32 exec_lo, exec_lo, s13
	s_delay_alu instid0(SALU_CYCLE_1)
	s_and_b32 s7, exec_lo, vcc_lo
	v_add_co_u32 v2, vcc_lo, v2, s11
	ds_store_b8 v7, v6
	s_waitcnt vmcnt(0)
	v_dual_mov_b32 v6, v9 :: v_dual_add_nc_u32 v7, s9, v7
	v_add_co_ci_u32_e32 v3, vcc_lo, s10, v3, vcc_lo
	s_or_b32 s12, s7, s12
	s_delay_alu instid0(SALU_CYCLE_1)
	s_and_not1_b32 exec_lo, exec_lo, s12
	s_cbranch_execz .LBB129_56
.LBB129_54:                             ;   Parent Loop BB129_31 Depth=1
                                        ; =>  This Inner Loop Header: Depth=2
	s_delay_alu instid0(VALU_DEP_1) | instskip(NEXT) | instid1(VALU_DEP_2)
	v_add_co_u32 v4, vcc_lo, v4, v8
	v_add_co_ci_u32_e32 v5, vcc_lo, 0, v5, vcc_lo
	v_mov_b32_e32 v9, 0
	s_mov_b32 s13, exec_lo
	s_delay_alu instid0(VALU_DEP_2)
	v_cmp_le_u64_e32 vcc_lo, s[36:37], v[4:5]
	v_cmpx_gt_u64_e64 s[36:37], v[4:5]
	s_cbranch_execz .LBB129_53
; %bb.55:                               ;   in Loop: Header=BB129_54 Depth=2
	global_load_u8 v9, v[2:3], off
	s_branch .LBB129_53
.LBB129_56:                             ;   in Loop: Header=BB129_31 Depth=1
	s_or_b32 exec_lo, exec_lo, s8
	s_waitcnt vmcnt(0) lgkmcnt(0)
	s_barrier
	buffer_gl0_inv
	s_and_saveexec_b32 s7, s5
	s_cbranch_execz .LBB129_58
; %bb.57:                               ;   in Loop: Header=BB129_31 Depth=1
	v_dual_mov_b32 v2, s36 :: v_dual_mov_b32 v3, s37
	ds_store_b64 v13, v[2:3] offset:5120
.LBB129_58:                             ;   in Loop: Header=BB129_31 Depth=1
	s_or_b32 exec_lo, exec_lo, s7
	s_mov_b32 s7, -1
	s_waitcnt lgkmcnt(0)
	s_barrier
                                        ; implicit-def: $sgpr64_sgpr65
.LBB129_59:                             ;   in Loop: Header=BB129_31 Depth=1
	s_and_b32 vcc_lo, exec_lo, s7
	s_cbranch_vccz .LBB129_61
; %bb.60:                               ;   in Loop: Header=BB129_31 Depth=1
	buffer_gl0_inv
	ds_load_b64 v[2:3], v13 offset:5120
	s_waitcnt lgkmcnt(0)
	v_readfirstlane_b32 s64, v2
.LBB129_61:                             ;   in Loop: Header=BB129_31 Depth=1
	s_delay_alu instid0(VALU_DEP_1)
	s_cmp_lt_i32 s64, 1
	s_cbranch_scc0 .LBB129_76
; %bb.62:                               ;   in Loop: Header=BB129_31 Depth=1
	global_load_u16 v4, v13, s[58:59]
	s_mov_b32 s8, s55
	s_mov_b32 s9, s37
	s_waitcnt vmcnt(0)
	v_readfirstlane_b32 s7, v4
	s_delay_alu instid0(VALU_DEP_1) | instskip(NEXT) | instid1(SALU_CYCLE_1)
	s_and_b32 s7, 0xffff, s7
	s_lshl_b32 s54, s7, 2
	s_cmp_lg_u64 s[8:9], 0
	s_cbranch_scc0 .LBB129_96
; %bb.63:                               ;   in Loop: Header=BB129_31 Depth=1
	v_cvt_f32_u32_e32 v2, s54
	s_sub_u32 s9, 0, s54
	s_subb_u32 s10, 0, 0
	s_delay_alu instid0(VALU_DEP_1) | instskip(NEXT) | instid1(VALU_DEP_1)
	v_fmac_f32_e64 v2, 0, 0x4f800000
	v_rcp_f32_e32 v2, v2
	s_waitcnt_depctr 0xfff
	v_mul_f32_e32 v2, 0x5f7ffffc, v2
	s_delay_alu instid0(VALU_DEP_1) | instskip(NEXT) | instid1(VALU_DEP_1)
	v_mul_f32_e32 v3, 0x2f800000, v2
	v_trunc_f32_e32 v3, v3
	s_delay_alu instid0(VALU_DEP_1) | instskip(SKIP_1) | instid1(VALU_DEP_2)
	v_fmac_f32_e32 v2, 0xcf800000, v3
	v_cvt_u32_f32_e32 v3, v3
	v_cvt_u32_f32_e32 v2, v2
	s_delay_alu instid0(VALU_DEP_2) | instskip(NEXT) | instid1(VALU_DEP_2)
	v_readfirstlane_b32 s7, v3
	v_readfirstlane_b32 s8, v2
	s_delay_alu instid0(VALU_DEP_2) | instskip(NEXT) | instid1(VALU_DEP_1)
	s_mul_i32 s11, s9, s7
	s_mul_hi_u32 s13, s9, s8
	s_mul_i32 s12, s10, s8
	s_add_i32 s11, s13, s11
	s_mul_i32 s14, s9, s8
	s_add_i32 s11, s11, s12
	s_mul_hi_u32 s13, s8, s14
	s_mul_hi_u32 s15, s7, s14
	s_mul_i32 s12, s7, s14
	s_mul_hi_u32 s14, s8, s11
	s_mul_i32 s8, s8, s11
	s_mul_hi_u32 s16, s7, s11
	s_add_u32 s8, s13, s8
	s_addc_u32 s13, 0, s14
	s_add_u32 s8, s8, s12
	s_mul_i32 s11, s7, s11
	s_addc_u32 s8, s13, s15
	s_addc_u32 s12, s16, 0
	s_add_u32 s8, s8, s11
	s_addc_u32 s11, 0, s12
	v_add_co_u32 v2, s8, v2, s8
	s_delay_alu instid0(VALU_DEP_1) | instskip(SKIP_1) | instid1(VALU_DEP_1)
	s_cmp_lg_u32 s8, 0
	s_addc_u32 s7, s7, s11
	v_readfirstlane_b32 s8, v2
	s_mul_i32 s11, s9, s7
	s_delay_alu instid0(VALU_DEP_1)
	s_mul_hi_u32 s12, s9, s8
	s_mul_i32 s10, s10, s8
	s_add_i32 s11, s12, s11
	s_mul_i32 s9, s9, s8
	s_add_i32 s11, s11, s10
	s_mul_hi_u32 s12, s7, s9
	s_mul_i32 s13, s7, s9
	s_mul_hi_u32 s9, s8, s9
	s_mul_hi_u32 s14, s8, s11
	s_mul_i32 s8, s8, s11
	s_mul_hi_u32 s10, s7, s11
	s_add_u32 s8, s9, s8
	s_addc_u32 s9, 0, s14
	s_add_u32 s8, s8, s13
	s_mul_i32 s11, s7, s11
	s_addc_u32 s8, s9, s12
	s_addc_u32 s9, s10, 0
	s_add_u32 s8, s8, s11
	s_addc_u32 s9, 0, s9
	v_add_co_u32 v2, s8, v2, s8
	s_delay_alu instid0(VALU_DEP_1) | instskip(SKIP_1) | instid1(VALU_DEP_1)
	s_cmp_lg_u32 s8, 0
	s_addc_u32 s7, s7, s9
	v_readfirstlane_b32 s8, v2
	s_mul_i32 s10, s36, s7
	s_mul_hi_u32 s9, s36, s7
	s_mul_hi_u32 s11, s37, s7
	s_mul_i32 s7, s37, s7
	s_mul_hi_u32 s12, s36, s8
	s_mul_hi_u32 s13, s37, s8
	s_mul_i32 s8, s37, s8
	s_add_u32 s10, s12, s10
	s_addc_u32 s9, 0, s9
	s_add_u32 s8, s10, s8
	s_addc_u32 s8, s9, s13
	s_addc_u32 s9, s11, 0
	s_add_u32 s7, s8, s7
	s_addc_u32 s8, 0, s9
	s_mul_hi_u32 s9, s54, s7
	s_mul_i32 s7, s54, s7
	s_mul_i32 s8, s54, s8
	v_sub_co_u32 v2, s7, s36, s7
	s_add_i32 s9, s9, s8
	s_cmp_lg_u32 s7, 0
	s_delay_alu instid0(VALU_DEP_1) | instskip(SKIP_2) | instid1(VALU_DEP_1)
	v_sub_co_u32 v3, s7, v2, s54
	s_subb_u32 s8, s37, s9
	s_cmp_lg_u32 s7, 0
	v_cmp_le_u32_e32 vcc_lo, s54, v3
	v_sub_co_u32 v5, s7, v3, s54
	s_subb_u32 s9, s8, 0
	s_cmp_lg_u32 s7, 0
	v_cndmask_b32_e64 v6, 0, -1, vcc_lo
	s_subb_u32 s7, s9, 0
	s_cmp_eq_u32 s9, 0
	v_mov_b32_e32 v8, s7
	s_cselect_b32 vcc_lo, -1, 0
	s_cmp_eq_u32 s8, 0
	v_cndmask_b32_e32 v6, -1, v6, vcc_lo
	v_cmp_le_u32_e32 vcc_lo, s54, v2
	s_cselect_b32 s7, -1, 0
	v_cndmask_b32_e64 v7, 0, -1, vcc_lo
	s_delay_alu instid0(VALU_DEP_3) | instskip(NEXT) | instid1(VALU_DEP_2)
	v_cmp_ne_u32_e32 vcc_lo, 0, v6
	v_cndmask_b32_e64 v6, -1, v7, s7
	v_cndmask_b32_e32 v7, s9, v8, vcc_lo
	v_cndmask_b32_e32 v5, v3, v5, vcc_lo
	s_delay_alu instid0(VALU_DEP_3) | instskip(NEXT) | instid1(VALU_DEP_3)
	v_cmp_ne_u32_e32 vcc_lo, 0, v6
	v_cndmask_b32_e32 v3, s8, v7, vcc_lo
	s_delay_alu instid0(VALU_DEP_3)
	v_cndmask_b32_e32 v2, v2, v5, vcc_lo
	s_cbranch_execnz .LBB129_65
.LBB129_64:                             ;   in Loop: Header=BB129_31 Depth=1
	v_cvt_f32_u32_e32 v2, s54
	s_sub_i32 s7, 0, s54
	s_delay_alu instid0(VALU_DEP_1) | instskip(SKIP_2) | instid1(VALU_DEP_1)
	v_rcp_iflag_f32_e32 v2, v2
	s_waitcnt_depctr 0xfff
	v_mul_f32_e32 v2, 0x4f7ffffe, v2
	v_cvt_u32_f32_e32 v2, v2
	s_delay_alu instid0(VALU_DEP_1) | instskip(NEXT) | instid1(VALU_DEP_1)
	v_mul_lo_u32 v3, s7, v2
	v_mul_hi_u32 v3, v2, v3
	s_delay_alu instid0(VALU_DEP_1) | instskip(NEXT) | instid1(VALU_DEP_1)
	v_add_nc_u32_e32 v2, v2, v3
	v_mul_hi_u32 v2, s36, v2
	s_delay_alu instid0(VALU_DEP_1) | instskip(NEXT) | instid1(VALU_DEP_1)
	v_mul_lo_u32 v2, v2, s54
	v_sub_nc_u32_e32 v2, s36, v2
	s_delay_alu instid0(VALU_DEP_1) | instskip(SKIP_1) | instid1(VALU_DEP_2)
	v_subrev_nc_u32_e32 v3, s54, v2
	v_cmp_le_u32_e32 vcc_lo, s54, v2
	v_cndmask_b32_e32 v2, v2, v3, vcc_lo
	s_delay_alu instid0(VALU_DEP_1) | instskip(SKIP_1) | instid1(VALU_DEP_2)
	v_subrev_nc_u32_e32 v3, s54, v2
	v_cmp_le_u32_e32 vcc_lo, s54, v2
	v_cndmask_b32_e32 v12, v2, v3, vcc_lo
	s_delay_alu instid0(VALU_DEP_1)
	v_dual_mov_b32 v2, v12 :: v_dual_mov_b32 v3, v13
.LBB129_65:                             ;   in Loop: Header=BB129_31 Depth=1
	s_delay_alu instid0(VALU_DEP_1) | instskip(NEXT) | instid1(VALU_DEP_2)
	v_sub_co_u32 v27, vcc_lo, s36, v2
	v_sub_co_ci_u32_e32 v28, vcc_lo, s37, v3, vcc_lo
	v_mov_b32_e32 v2, 0
	v_dual_mov_b32 v3, 0 :: v_dual_and_b32 v12, 0xffff, v4
	s_mov_b64 s[66:67], 0
	s_mov_b32 s65, exec_lo
	s_delay_alu instid0(VALU_DEP_1)
	v_dual_mov_b32 v5, v3 :: v_dual_mov_b32 v4, v2
	v_dual_mov_b32 v7, v3 :: v_dual_mov_b32 v6, v2
	;; [unrolled: 1-line block ×3, first 2 shown]
	v_cmpx_gt_u64_e64 v[27:28], v[14:15]
	s_cbranch_execz .LBB129_69
; %bb.66:                               ;   in Loop: Header=BB129_31 Depth=1
	v_mul_lo_u32 v2, s63, v12
	v_mul_hi_u32 v3, s62, v12
	v_mul_lo_u32 v41, s62, v12
	v_dual_mov_b32 v32, v15 :: v_dual_mov_b32 v29, s56
	v_mov_b32_e32 v30, s57
	s_and_b32 s102, s89, 0xfe
	s_mov_b32 s103, 0
	s_delay_alu instid0(VALU_DEP_4)
	v_dual_mov_b32 v31, v14 :: v_dual_add_nc_u32 v42, v3, v2
	s_mov_b64 s[68:69], 0
	s_mov_b64 s[70:71], 0
	;; [unrolled: 1-line block ×3, first 2 shown]
.LBB129_67:                             ;   Parent Loop BB129_31 Depth=1
                                        ; =>  This Inner Loop Header: Depth=2
	v_add_co_u32 v2, vcc_lo, v29, v21
	v_add_co_ci_u32_e32 v3, vcc_lo, v30, v22, vcc_lo
	v_add_co_u32 v4, vcc_lo, v29, v20
	v_add_co_ci_u32_e32 v5, vcc_lo, v30, v36, vcc_lo
	;; [unrolled: 2-line block ×4, first 2 shown]
	s_clause 0x3
	global_load_u8 v2, v[2:3], off
	global_load_u8 v3, v[4:5], off
	global_load_u8 v4, v[6:7], off
	global_load_u8 v5, v[8:9], off
	v_add_co_u32 v31, vcc_lo, v31, s54
	v_add_co_ci_u32_e32 v32, vcc_lo, 0, v32, vcc_lo
	v_add_co_u32 v29, vcc_lo, v29, v41
	v_add_co_ci_u32_e32 v30, vcc_lo, v30, v42, vcc_lo
	s_delay_alu instid0(VALU_DEP_3)
	v_cmp_ge_u64_e32 vcc_lo, v[31:32], v[27:28]
	s_waitcnt vmcnt(3)
	v_and_b32_e32 v6, v38, v2
	v_bfe_u32 v2, v2, s102, 2
	s_waitcnt vmcnt(2)
	v_and_b32_e32 v7, v38, v3
	v_bfe_u32 v3, v3, s102, 2
	;; [unrolled: 3-line block ×3, first 2 shown]
	v_cmp_eq_u32_e64 s7, v6, v39
	v_cmp_eq_u32_e64 s11, 0, v2
	s_waitcnt vmcnt(0)
	v_and_b32_e32 v9, v38, v5
	v_bfe_u32 v5, v5, s102, 2
	v_cmp_eq_u32_e64 s8, v7, v39
	v_cmp_eq_u32_e64 s12, 0, v3
	;; [unrolled: 1-line block ×4, first 2 shown]
	s_and_b32 s11, s7, s11
	v_cmp_eq_u32_e64 s10, v9, v39
	v_cmp_eq_u32_e64 s14, 0, v5
	;; [unrolled: 1-line block ×5, first 2 shown]
	v_cndmask_b32_e64 v2, 0, 1, s11
	s_and_b32 s11, s8, s12
	v_cmp_eq_u32_e64 s16, 1, v3
	v_cmp_eq_u32_e64 s20, 2, v3
	v_cmp_eq_u32_e64 s24, 3, v3
	v_cndmask_b32_e64 v3, 0, 1, s11
	s_and_b32 s11, s9, s13
	v_cmp_eq_u32_e64 s17, 1, v4
	v_cmp_eq_u32_e64 s21, 2, v4
	v_cmp_eq_u32_e64 s25, 3, v4
	;; [unrolled: 5-line block ×3, first 2 shown]
	v_cndmask_b32_e64 v5, 0, 1, s11
	v_cmp_ne_u32_e64 s11, 0, v2
	v_cmp_ne_u32_e64 s12, 0, v3
	;; [unrolled: 1-line block ×3, first 2 shown]
	s_delay_alu instid0(VALU_DEP_4) | instskip(NEXT) | instid1(VALU_DEP_4)
	v_cmp_ne_u32_e64 s14, 0, v5
	s_bcnt1_i32_b32 s11, s11
	s_delay_alu instid0(VALU_DEP_3) | instskip(NEXT) | instid1(VALU_DEP_2)
	s_bcnt1_i32_b32 s12, s12
	s_bcnt1_i32_b32 s13, s13
	s_add_i32 s11, s12, s11
	s_bcnt1_i32_b32 s14, s14
	s_add_i32 s11, s11, s13
	s_delay_alu instid0(SALU_CYCLE_1) | instskip(NEXT) | instid1(SALU_CYCLE_1)
	s_add_i32 s11, s11, s14
	s_add_u32 s72, s72, s11
	s_addc_u32 s73, s73, 0
	s_and_b32 s11, s7, s15
	s_delay_alu instid0(SALU_CYCLE_1) | instskip(SKIP_1) | instid1(SALU_CYCLE_1)
	v_cndmask_b32_e64 v2, 0, 1, s11
	s_and_b32 s11, s8, s16
	v_cndmask_b32_e64 v3, 0, 1, s11
	s_and_b32 s11, s9, s17
	s_delay_alu instid0(SALU_CYCLE_1) | instskip(SKIP_1) | instid1(VALU_DEP_2)
	v_cndmask_b32_e64 v4, 0, 1, s11
	s_and_b32 s11, s10, s18
	v_cmp_ne_u32_e64 s12, 0, v3
	v_cndmask_b32_e64 v5, 0, 1, s11
	v_cmp_ne_u32_e64 s11, 0, v2
	v_cmp_ne_u32_e64 s13, 0, v4
	s_delay_alu instid0(VALU_DEP_4) | instskip(NEXT) | instid1(VALU_DEP_3)
	s_bcnt1_i32_b32 s12, s12
	v_cmp_ne_u32_e64 s14, 0, v5
	s_delay_alu instid0(VALU_DEP_3) | instskip(NEXT) | instid1(VALU_DEP_2)
	s_bcnt1_i32_b32 s11, s11
	s_bcnt1_i32_b32 s13, s13
	s_add_i32 s11, s12, s11
	s_delay_alu instid0(VALU_DEP_1) | instskip(SKIP_1) | instid1(SALU_CYCLE_1)
	s_bcnt1_i32_b32 s14, s14
	s_add_i32 s11, s11, s13
	s_add_i32 s11, s11, s14
	s_delay_alu instid0(SALU_CYCLE_1) | instskip(SKIP_2) | instid1(SALU_CYCLE_1)
	s_add_u32 s70, s70, s11
	s_addc_u32 s71, s71, 0
	s_and_b32 s11, s7, s19
	v_cndmask_b32_e64 v2, 0, 1, s11
	s_and_b32 s11, s8, s20
	s_delay_alu instid0(SALU_CYCLE_1) | instskip(SKIP_1) | instid1(SALU_CYCLE_1)
	v_cndmask_b32_e64 v3, 0, 1, s11
	s_and_b32 s11, s9, s21
	v_cndmask_b32_e64 v4, 0, 1, s11
	s_and_b32 s11, s10, s22
	s_delay_alu instid0(VALU_DEP_2) | instskip(SKIP_3) | instid1(VALU_DEP_4)
	v_cmp_ne_u32_e64 s12, 0, v3
	v_cndmask_b32_e64 v5, 0, 1, s11
	v_cmp_ne_u32_e64 s11, 0, v2
	v_cmp_ne_u32_e64 s13, 0, v4
	s_bcnt1_i32_b32 s12, s12
	s_delay_alu instid0(VALU_DEP_3) | instskip(NEXT) | instid1(VALU_DEP_3)
	v_cmp_ne_u32_e64 s14, 0, v5
	s_bcnt1_i32_b32 s11, s11
	s_delay_alu instid0(VALU_DEP_2) | instskip(SKIP_1) | instid1(VALU_DEP_1)
	s_bcnt1_i32_b32 s13, s13
	s_add_i32 s11, s12, s11
	s_bcnt1_i32_b32 s14, s14
	s_add_i32 s11, s11, s13
	s_delay_alu instid0(SALU_CYCLE_1) | instskip(NEXT) | instid1(SALU_CYCLE_1)
	s_add_i32 s11, s11, s14
	s_add_u32 s68, s68, s11
	s_addc_u32 s69, s69, 0
	s_and_b32 s7, s7, s23
	v_dual_mov_b32 v6, s68 :: v_dual_mov_b32 v7, s69
	v_cndmask_b32_e64 v2, 0, 1, s7
	s_and_b32 s7, s8, s24
	s_delay_alu instid0(SALU_CYCLE_1) | instskip(SKIP_1) | instid1(SALU_CYCLE_1)
	v_cndmask_b32_e64 v3, 0, 1, s7
	s_and_b32 s7, s9, s25
	v_cndmask_b32_e64 v4, 0, 1, s7
	s_and_b32 s7, s10, s26
	s_delay_alu instid0(VALU_DEP_2)
	v_cmp_ne_u32_e64 s8, 0, v3
	v_cndmask_b32_e64 v5, 0, 1, s7
	v_cmp_ne_u32_e64 s7, 0, v2
	v_cmp_ne_u32_e64 s9, 0, v4
	v_mov_b32_e32 v2, s72
	s_bcnt1_i32_b32 s8, s8
	v_cmp_ne_u32_e64 s10, 0, v5
	s_bcnt1_i32_b32 s7, s7
	s_bcnt1_i32_b32 s9, s9
	s_add_i32 s7, s8, s7
	v_mov_b32_e32 v4, s70
	s_bcnt1_i32_b32 s8, s10
	s_add_i32 s7, s7, s9
	v_mov_b32_e32 v3, s73
	s_add_i32 s7, s7, s8
	v_mov_b32_e32 v5, s71
	s_add_u32 s66, s66, s7
	s_addc_u32 s67, s67, 0
	s_delay_alu instid0(SALU_CYCLE_1) | instskip(SKIP_1) | instid1(SALU_CYCLE_1)
	v_dual_mov_b32 v8, s66 :: v_dual_mov_b32 v9, s67
	s_or_b32 s103, vcc_lo, s103
	s_and_not1_b32 exec_lo, exec_lo, s103
	s_cbranch_execnz .LBB129_67
; %bb.68:                               ;   in Loop: Header=BB129_31 Depth=1
	s_or_b32 exec_lo, exec_lo, s103
.LBB129_69:                             ;   in Loop: Header=BB129_31 Depth=1
	s_delay_alu instid0(SALU_CYCLE_1) | instskip(SKIP_3) | instid1(VALU_DEP_2)
	s_or_b32 exec_lo, exec_lo, s65
	v_add_co_u32 v27, vcc_lo, v27, v0
	v_add_co_ci_u32_e32 v28, vcc_lo, 0, v28, vcc_lo
	v_mov_b32_e32 v30, 0
	v_cmp_gt_u64_e32 vcc_lo, s[36:37], v[27:28]
	s_and_saveexec_b32 s7, vcc_lo
	s_cbranch_execz .LBB129_71
; %bb.70:                               ;   in Loop: Header=BB129_31 Depth=1
	v_mad_u64_u32 v[29:30], null, v27, s30, s[56:57]
	v_mul_lo_u32 v31, v27, s31
	v_mul_lo_u32 v32, v28, s30
	s_delay_alu instid0(VALU_DEP_1)
	v_add3_u32 v30, v32, v30, v31
	global_load_u8 v30, v[29:30], off
.LBB129_71:                             ;   in Loop: Header=BB129_31 Depth=1
	s_or_b32 exec_lo, exec_lo, s7
	s_and_saveexec_b32 s10, vcc_lo
	s_cbranch_execz .LBB129_78
; %bb.72:                               ;   in Loop: Header=BB129_31 Depth=1
	s_and_b32 s12, s89, 0xfe
	s_mov_b32 s11, 0
	s_branch .LBB129_74
.LBB129_73:                             ;   in Loop: Header=BB129_74 Depth=2
	s_or_b32 exec_lo, exec_lo, s8
	s_waitcnt vmcnt(0)
	v_and_b32_e32 v30, 0xff, v30
	s_and_b32 s9, exec_lo, vcc_lo
	s_delay_alu instid0(SALU_CYCLE_1) | instskip(NEXT) | instid1(VALU_DEP_1)
	s_or_b32 s11, s9, s11
	v_and_b32_e32 v31, v38, v30
	v_bfe_u32 v30, v30, s12, 2
	s_delay_alu instid0(VALU_DEP_2) | instskip(NEXT) | instid1(VALU_DEP_2)
	v_cmp_eq_u32_e64 s7, v31, v39
	v_cmp_eq_u32_e64 s8, 0, v30
	v_cmp_eq_u32_e32 vcc_lo, 1, v30
	v_cmp_eq_u32_e64 s9, 2, v30
	s_delay_alu instid0(VALU_DEP_3) | instskip(NEXT) | instid1(SALU_CYCLE_1)
	s_and_b32 s8, s7, s8
	v_cndmask_b32_e64 v31, 0, 1, s8
	s_and_b32 s8, s7, vcc_lo
	v_cmp_eq_u32_e32 vcc_lo, 3, v30
	v_cndmask_b32_e64 v32, 0, 1, s8
	s_and_b32 s8, s7, s9
	s_delay_alu instid0(SALU_CYCLE_1) | instskip(SKIP_1) | instid1(VALU_DEP_3)
	v_cndmask_b32_e64 v30, 0, 1, s8
	v_cmp_ne_u32_e64 s8, 0, v31
	v_cmp_ne_u32_e64 s9, 0, v32
	s_and_b32 s7, s7, vcc_lo
	s_delay_alu instid0(SALU_CYCLE_1) | instskip(NEXT) | instid1(VALU_DEP_3)
	v_cndmask_b32_e64 v31, 0, 1, s7
	s_bcnt1_i32_b32 s7, s8
	v_cmp_ne_u32_e32 vcc_lo, 0, v30
	v_mov_b32_e32 v30, v29
	v_add_co_u32 v2, s7, v2, s7
	s_bcnt1_i32_b32 s8, s9
	v_add_co_ci_u32_e64 v3, s7, 0, v3, s7
	v_add_co_u32 v4, s7, v4, s8
	s_delay_alu instid0(VALU_DEP_1) | instskip(SKIP_3) | instid1(VALU_DEP_1)
	v_add_co_ci_u32_e64 v5, s7, 0, v5, s7
	s_bcnt1_i32_b32 s7, vcc_lo
	v_cmp_ne_u32_e32 vcc_lo, 0, v31
	v_add_co_u32 v6, s7, v6, s7
	v_add_co_ci_u32_e64 v7, s7, 0, v7, s7
	s_bcnt1_i32_b32 s7, vcc_lo
	s_delay_alu instid0(SALU_CYCLE_1)
	v_add_co_u32 v8, vcc_lo, v8, s7
	v_add_co_ci_u32_e32 v9, vcc_lo, 0, v9, vcc_lo
	s_and_not1_b32 exec_lo, exec_lo, s11
	s_cbranch_execz .LBB129_77
.LBB129_74:                             ;   Parent Loop BB129_31 Depth=1
                                        ; =>  This Inner Loop Header: Depth=2
	v_add_co_u32 v27, vcc_lo, v27, v12
	v_add_co_ci_u32_e32 v28, vcc_lo, 0, v28, vcc_lo
	v_mov_b32_e32 v29, 0
	s_mov_b32 s8, exec_lo
	s_delay_alu instid0(VALU_DEP_2)
	v_cmp_le_u64_e32 vcc_lo, s[36:37], v[27:28]
	v_cmpx_gt_u64_e64 s[36:37], v[27:28]
	s_cbranch_execz .LBB129_73
; %bb.75:                               ;   in Loop: Header=BB129_74 Depth=2
	v_mad_u64_u32 v[31:32], null, v27, s30, s[56:57]
	v_mul_lo_u32 v29, v27, s31
	v_mul_lo_u32 v41, v28, s30
	s_delay_alu instid0(VALU_DEP_1)
	v_add3_u32 v32, v41, v32, v29
	global_load_u8 v29, v[31:32], off
	s_branch .LBB129_73
.LBB129_76:                             ;   in Loop: Header=BB129_31 Depth=1
                                        ; implicit-def: $vgpr8_vgpr9
                                        ; implicit-def: $vgpr4_vgpr5
	s_cbranch_execnz .LBB129_79
	s_branch .LBB129_88
.LBB129_77:                             ;   in Loop: Header=BB129_31 Depth=1
	s_or_b32 exec_lo, exec_lo, s11
.LBB129_78:                             ;   in Loop: Header=BB129_31 Depth=1
	s_delay_alu instid0(SALU_CYCLE_1)
	s_or_b32 exec_lo, exec_lo, s10
	s_branch .LBB129_88
.LBB129_79:                             ;   in Loop: Header=BB129_31 Depth=1
	global_load_u16 v12, v13, s[58:59]
	s_mov_b64 s[66:67], 0
	s_mov_b32 s102, exec_lo
	s_waitcnt vmcnt(0)
	v_readfirstlane_b32 s7, v12
	s_delay_alu instid0(VALU_DEP_1) | instskip(NEXT) | instid1(SALU_CYCLE_1)
	s_and_b32 s7, 0xffff, s7
	s_lshl_b32 s65, s7, 2
	s_delay_alu instid0(SALU_CYCLE_1) | instskip(SKIP_1) | instid1(VALU_DEP_1)
	v_cvt_f32_u32_e32 v2, s65
	s_sub_i32 s8, 0, s65
	v_rcp_iflag_f32_e32 v2, v2
	s_waitcnt_depctr 0xfff
	v_mul_f32_e32 v2, 0x4f7ffffe, v2
	s_delay_alu instid0(VALU_DEP_1) | instskip(NEXT) | instid1(VALU_DEP_1)
	v_cvt_u32_f32_e32 v2, v2
	v_readfirstlane_b32 s7, v2
	v_mov_b32_e32 v2, 0
	v_mov_b32_e32 v3, 0
	s_delay_alu instid0(VALU_DEP_3) | instskip(NEXT) | instid1(VALU_DEP_1)
	s_mul_i32 s8, s8, s7
	v_dual_mov_b32 v5, v3 :: v_dual_mov_b32 v4, v2
	s_mul_hi_u32 s8, s7, s8
	v_dual_mov_b32 v7, v3 :: v_dual_mov_b32 v6, v2
	s_add_i32 s7, s7, s8
	v_dual_mov_b32 v9, v3 :: v_dual_mov_b32 v8, v2
	s_mul_hi_u32 s7, s64, s7
	s_delay_alu instid0(SALU_CYCLE_1) | instskip(NEXT) | instid1(SALU_CYCLE_1)
	s_mul_i32 s7, s7, s65
	s_sub_i32 s7, s64, s7
	s_delay_alu instid0(SALU_CYCLE_1) | instskip(SKIP_2) | instid1(SALU_CYCLE_1)
	s_sub_i32 s8, s7, s65
	s_cmp_ge_u32 s7, s65
	s_cselect_b32 s7, s8, s7
	s_sub_i32 s8, s7, s65
	s_cmp_ge_u32 s7, s65
	s_cselect_b32 s7, s8, s7
	s_delay_alu instid0(SALU_CYCLE_1) | instskip(NEXT) | instid1(SALU_CYCLE_1)
	s_sub_i32 s54, s64, s7
	v_cmpx_gt_u32_e64 s54, v14
	s_cbranch_execz .LBB129_83
; %bb.80:                               ;   in Loop: Header=BB129_31 Depth=1
	v_dual_mov_b32 v29, v14 :: v_dual_mov_b32 v28, v15
	v_mov_b32_e32 v27, v14
	s_and_b32 s104, s89, 0xfe
	s_mov_b32 s103, 0
	s_mov_b64 s[68:69], 0
	s_mov_b64 s[70:71], 0
	;; [unrolled: 1-line block ×3, first 2 shown]
.LBB129_81:                             ;   Parent Loop BB129_31 Depth=1
                                        ; =>  This Inner Loop Header: Depth=2
	ds_load_b32 v2, v29
	v_add_co_u32 v27, vcc_lo, v27, s65
	v_add_co_ci_u32_e32 v28, vcc_lo, 0, v28, vcc_lo
	s_delay_alu instid0(VALU_DEP_1)
	v_cmp_le_u64_e32 vcc_lo, s[54:55], v[27:28]
	s_waitcnt lgkmcnt(0)
	v_and_b32_e32 v3, 0xff, v2
	v_bfe_u32 v4, v2, 8, 8
	v_bfe_u32 v5, v2, 16, 8
	v_lshrrev_b32_e32 v2, 24, v2
	s_delay_alu instid0(VALU_DEP_4)
	v_and_b32_e32 v6, v38, v3
	v_bfe_u32 v3, v3, s104, 2
	v_and_b32_e32 v7, v38, v4
	v_bfe_u32 v4, v4, s104, 2
	v_and_b32_e32 v8, v38, v5
	v_bfe_u32 v5, v5, s104, 2
	v_cmp_eq_u32_e64 s7, v6, v39
	v_cmp_eq_u32_e64 s11, 0, v3
	v_and_b32_e32 v9, v38, v2
	v_bfe_u32 v2, v2, s104, 2
	v_cmp_eq_u32_e64 s8, v7, v39
	v_cmp_eq_u32_e64 s12, 0, v4
	;; [unrolled: 1-line block ×4, first 2 shown]
	s_and_b32 s11, s7, s11
	v_cmp_eq_u32_e64 s10, v9, v39
	v_cmp_eq_u32_e64 s14, 0, v2
	;; [unrolled: 1-line block ×5, first 2 shown]
	v_cndmask_b32_e64 v2, 0, 1, s11
	s_and_b32 s11, s8, s12
	v_cmp_eq_u32_e64 s15, 1, v3
	v_cmp_eq_u32_e64 s19, 2, v3
	v_cmp_eq_u32_e64 s23, 3, v3
	v_cndmask_b32_e64 v3, 0, 1, s11
	s_and_b32 s11, s9, s13
	v_cmp_eq_u32_e64 s16, 1, v4
	v_cmp_eq_u32_e64 s20, 2, v4
	v_cmp_eq_u32_e64 s24, 3, v4
	v_cndmask_b32_e64 v4, 0, 1, s11
	s_and_b32 s11, s10, s14
	v_cmp_eq_u32_e64 s17, 1, v5
	v_cmp_eq_u32_e64 s21, 2, v5
	v_cmp_eq_u32_e64 s25, 3, v5
	v_cndmask_b32_e64 v5, 0, 1, s11
	v_cmp_ne_u32_e64 s11, 0, v2
	v_cmp_ne_u32_e64 s12, 0, v3
	;; [unrolled: 1-line block ×3, first 2 shown]
	s_delay_alu instid0(VALU_DEP_4) | instskip(NEXT) | instid1(VALU_DEP_4)
	v_cmp_ne_u32_e64 s14, 0, v5
	s_bcnt1_i32_b32 s11, s11
	s_delay_alu instid0(VALU_DEP_3) | instskip(NEXT) | instid1(VALU_DEP_2)
	s_bcnt1_i32_b32 s12, s12
	s_bcnt1_i32_b32 s13, s13
	s_add_i32 s11, s12, s11
	s_bcnt1_i32_b32 s14, s14
	s_add_i32 s11, s11, s13
	s_delay_alu instid0(SALU_CYCLE_1) | instskip(NEXT) | instid1(SALU_CYCLE_1)
	s_add_i32 s11, s11, s14
	s_add_u32 s72, s72, s11
	s_addc_u32 s73, s73, 0
	s_and_b32 s11, s7, s15
	v_add_nc_u32_e32 v29, s65, v29
	v_cndmask_b32_e64 v2, 0, 1, s11
	s_and_b32 s11, s8, s16
	s_delay_alu instid0(SALU_CYCLE_1) | instskip(SKIP_1) | instid1(SALU_CYCLE_1)
	v_cndmask_b32_e64 v3, 0, 1, s11
	s_and_b32 s11, s9, s17
	v_cndmask_b32_e64 v4, 0, 1, s11
	s_and_b32 s11, s10, s18
	s_delay_alu instid0(VALU_DEP_2) | instskip(SKIP_3) | instid1(VALU_DEP_4)
	v_cmp_ne_u32_e64 s12, 0, v3
	v_cndmask_b32_e64 v5, 0, 1, s11
	v_cmp_ne_u32_e64 s11, 0, v2
	v_cmp_ne_u32_e64 s13, 0, v4
	s_bcnt1_i32_b32 s12, s12
	s_delay_alu instid0(VALU_DEP_3) | instskip(NEXT) | instid1(VALU_DEP_3)
	v_cmp_ne_u32_e64 s14, 0, v5
	s_bcnt1_i32_b32 s11, s11
	s_delay_alu instid0(VALU_DEP_2) | instskip(SKIP_1) | instid1(VALU_DEP_1)
	s_bcnt1_i32_b32 s13, s13
	s_add_i32 s11, s12, s11
	s_bcnt1_i32_b32 s14, s14
	s_add_i32 s11, s11, s13
	s_delay_alu instid0(SALU_CYCLE_1) | instskip(NEXT) | instid1(SALU_CYCLE_1)
	s_add_i32 s11, s11, s14
	s_add_u32 s70, s70, s11
	s_addc_u32 s71, s71, 0
	s_and_b32 s11, s7, s19
	s_delay_alu instid0(SALU_CYCLE_1) | instskip(SKIP_1) | instid1(SALU_CYCLE_1)
	v_cndmask_b32_e64 v2, 0, 1, s11
	s_and_b32 s11, s8, s20
	v_cndmask_b32_e64 v3, 0, 1, s11
	s_and_b32 s11, s9, s21
	s_delay_alu instid0(SALU_CYCLE_1) | instskip(SKIP_1) | instid1(VALU_DEP_2)
	v_cndmask_b32_e64 v4, 0, 1, s11
	s_and_b32 s11, s10, s22
	v_cmp_ne_u32_e64 s12, 0, v3
	v_cndmask_b32_e64 v5, 0, 1, s11
	v_cmp_ne_u32_e64 s11, 0, v2
	v_cmp_ne_u32_e64 s13, 0, v4
	s_delay_alu instid0(VALU_DEP_4) | instskip(NEXT) | instid1(VALU_DEP_3)
	s_bcnt1_i32_b32 s12, s12
	v_cmp_ne_u32_e64 s14, 0, v5
	s_delay_alu instid0(VALU_DEP_3) | instskip(NEXT) | instid1(VALU_DEP_2)
	s_bcnt1_i32_b32 s11, s11
	s_bcnt1_i32_b32 s13, s13
	s_add_i32 s11, s12, s11
	s_delay_alu instid0(VALU_DEP_1) | instskip(SKIP_1) | instid1(SALU_CYCLE_1)
	s_bcnt1_i32_b32 s14, s14
	s_add_i32 s11, s11, s13
	s_add_i32 s11, s11, s14
	s_delay_alu instid0(SALU_CYCLE_1)
	s_add_u32 s68, s68, s11
	s_addc_u32 s69, s69, 0
	s_and_b32 s7, s7, s23
	v_mov_b32_e32 v6, s68
	v_cndmask_b32_e64 v2, 0, 1, s7
	s_and_b32 s7, s8, s24
	v_mov_b32_e32 v7, s69
	v_cndmask_b32_e64 v3, 0, 1, s7
	s_and_b32 s7, s9, s25
	s_delay_alu instid0(SALU_CYCLE_1) | instskip(SKIP_1) | instid1(VALU_DEP_2)
	v_cndmask_b32_e64 v4, 0, 1, s7
	s_and_b32 s7, s10, s26
	v_cmp_ne_u32_e64 s8, 0, v3
	v_cndmask_b32_e64 v5, 0, 1, s7
	v_cmp_ne_u32_e64 s7, 0, v2
	v_mov_b32_e32 v2, s72
	v_cmp_ne_u32_e64 s9, 0, v4
	s_bcnt1_i32_b32 s8, s8
	v_cmp_ne_u32_e64 s10, 0, v5
	s_bcnt1_i32_b32 s7, s7
	v_mov_b32_e32 v4, s70
	s_bcnt1_i32_b32 s9, s9
	s_add_i32 s7, s8, s7
	s_bcnt1_i32_b32 s8, s10
	s_add_i32 s7, s7, s9
	v_mov_b32_e32 v3, s73
	s_add_i32 s7, s7, s8
	v_mov_b32_e32 v5, s71
	s_add_u32 s66, s66, s7
	s_addc_u32 s67, s67, 0
	s_delay_alu instid0(SALU_CYCLE_1) | instskip(SKIP_1) | instid1(SALU_CYCLE_1)
	v_dual_mov_b32 v8, s66 :: v_dual_mov_b32 v9, s67
	s_or_b32 s103, vcc_lo, s103
	s_and_not1_b32 exec_lo, exec_lo, s103
	s_cbranch_execnz .LBB129_81
; %bb.82:                               ;   in Loop: Header=BB129_31 Depth=1
	s_or_b32 exec_lo, exec_lo, s103
.LBB129_83:                             ;   in Loop: Header=BB129_31 Depth=1
	s_delay_alu instid0(SALU_CYCLE_1) | instskip(SKIP_3) | instid1(VALU_DEP_1)
	s_or_b32 exec_lo, exec_lo, s102
	v_and_b32_e32 v29, 0xffff, v12
	v_add_nc_u32_e32 v12, s54, v0
	s_mov_b32 s14, exec_lo
	v_cmpx_gt_u32_e64 s64, v12
	s_cbranch_execz .LBB129_87
; %bb.84:                               ;   in Loop: Header=BB129_31 Depth=1
	v_dual_mov_b32 v28, v13 :: v_dual_mov_b32 v27, v12
	s_mov_b32 s13, 0
	s_and_b32 s12, s64, 0x7fffffff
	s_and_b32 s16, s89, 0xfe
	s_mov_b32 s15, s13
.LBB129_85:                             ;   Parent Loop BB129_31 Depth=1
                                        ; =>  This Inner Loop Header: Depth=2
	ds_load_u8 v30, v12
	v_add_co_u32 v27, vcc_lo, v27, v29
	v_add_co_ci_u32_e32 v28, vcc_lo, 0, v28, vcc_lo
	v_add_nc_u32_e32 v12, v12, v29
	s_delay_alu instid0(VALU_DEP_2) | instskip(SKIP_3) | instid1(VALU_DEP_2)
	v_cmp_le_u64_e32 vcc_lo, s[12:13], v[27:28]
	s_waitcnt lgkmcnt(0)
	v_and_b32_e32 v31, v38, v30
	v_bfe_u32 v30, v30, s16, 2
	v_cmp_eq_u32_e64 s7, v31, v39
	s_delay_alu instid0(VALU_DEP_2) | instskip(SKIP_3) | instid1(VALU_DEP_4)
	v_cmp_eq_u32_e64 s8, 0, v30
	v_cmp_eq_u32_e64 s9, 1, v30
	;; [unrolled: 1-line block ×4, first 2 shown]
	s_and_b32 s8, s7, s8
	s_delay_alu instid0(SALU_CYCLE_1) | instskip(SKIP_1) | instid1(SALU_CYCLE_1)
	v_cndmask_b32_e64 v30, 0, 1, s8
	s_and_b32 s8, s7, s9
	v_cndmask_b32_e64 v31, 0, 1, s8
	s_and_b32 s8, s7, s10
	s_and_b32 s7, s7, s11
	v_cndmask_b32_e64 v32, 0, 1, s8
	v_cndmask_b32_e64 v41, 0, 1, s7
	v_cmp_ne_u32_e64 s7, 0, v30
	v_cmp_ne_u32_e64 s8, 0, v31
	s_delay_alu instid0(VALU_DEP_4) | instskip(NEXT) | instid1(VALU_DEP_4)
	v_cmp_ne_u32_e64 s9, 0, v32
	v_cmp_ne_u32_e64 s10, 0, v41
	s_delay_alu instid0(VALU_DEP_4) | instskip(NEXT) | instid1(VALU_DEP_3)
	s_bcnt1_i32_b32 s7, s7
	s_bcnt1_i32_b32 s8, s8
	v_add_co_u32 v2, s7, v2, s7
	s_delay_alu instid0(VALU_DEP_1)
	v_add_co_ci_u32_e64 v3, s7, 0, v3, s7
	v_add_co_u32 v4, s7, v4, s8
	s_bcnt1_i32_b32 s9, s9
	v_add_co_ci_u32_e64 v5, s7, 0, v5, s7
	v_add_co_u32 v6, s7, v6, s9
	s_bcnt1_i32_b32 s10, s10
	v_add_co_ci_u32_e64 v7, s7, 0, v7, s7
	v_add_co_u32 v8, s7, v8, s10
	s_delay_alu instid0(VALU_DEP_1) | instskip(SKIP_1) | instid1(SALU_CYCLE_1)
	v_add_co_ci_u32_e64 v9, s7, 0, v9, s7
	s_or_b32 s15, vcc_lo, s15
	s_and_not1_b32 exec_lo, exec_lo, s15
	s_cbranch_execnz .LBB129_85
; %bb.86:                               ;   in Loop: Header=BB129_31 Depth=1
	s_or_b32 exec_lo, exec_lo, s15
.LBB129_87:                             ;   in Loop: Header=BB129_31 Depth=1
	s_delay_alu instid0(SALU_CYCLE_1)
	s_or_b32 exec_lo, exec_lo, s14
.LBB129_88:                             ;   in Loop: Header=BB129_31 Depth=1
	s_lshl_b32 s7, s92, 7
	s_and_saveexec_b32 s8, s2
	s_cbranch_execz .LBB129_90
; %bb.89:                               ;   in Loop: Header=BB129_31 Depth=1
	v_or_b32_e32 v12, s7, v35
	s_delay_alu instid0(VALU_DEP_1)
	v_lshlrev_b32_e32 v12, 3, v12
	ds_store_b128 v12, v[2:5] offset:3072
	ds_store_b128 v12, v[6:9] offset:3088
.LBB129_90:                             ;   in Loop: Header=BB129_31 Depth=1
	s_or_b32 exec_lo, exec_lo, s8
	s_waitcnt vmcnt(0) lgkmcnt(0)
	s_barrier
	buffer_gl0_inv
	s_and_saveexec_b32 s8, s79
	s_cbranch_execz .LBB129_101
; %bb.91:                               ;   in Loop: Header=BB129_31 Depth=1
	v_mov_b32_e32 v2, 0
	v_mov_b32_e32 v3, 0
	s_and_not1_b32 vcc_lo, exec_lo, s84
	s_cbranch_vccnz .LBB129_100
; %bb.92:                               ;   in Loop: Header=BB129_31 Depth=1
	v_mov_b32_e32 v2, 0
	v_mov_b32_e32 v3, 0
	s_and_not1_b32 vcc_lo, exec_lo, s86
	s_cbranch_vccnz .LBB129_97
; %bb.93:                               ;   in Loop: Header=BB129_31 Depth=1
	v_lshl_add_u32 v4, s92, 10, v37
	s_mov_b32 s9, 0
	s_set_inst_prefetch_distance 0x1
	.p2align	6
.LBB129_94:                             ;   Parent Loop BB129_31 Depth=1
                                        ; =>  This Inner Loop Header: Depth=2
	ds_load_2addr_b64 v[5:8], v4 offset1:4
	ds_load_2addr_b64 v[27:30], v4 offset0:8 offset1:12
	ds_load_2addr_b64 v[41:44], v4 offset0:16 offset1:20
	s_add_i32 s9, s9, 8
	s_delay_alu instid0(SALU_CYCLE_1) | instskip(SKIP_3) | instid1(VALU_DEP_2)
	s_cmp_eq_u32 s87, s9
	s_waitcnt lgkmcnt(2)
	v_add_co_u32 v2, vcc_lo, v5, v2
	v_add_co_ci_u32_e32 v3, vcc_lo, v6, v3, vcc_lo
	v_add_co_u32 v2, vcc_lo, v7, v2
	s_delay_alu instid0(VALU_DEP_2)
	v_add_co_ci_u32_e32 v3, vcc_lo, v8, v3, vcc_lo
	ds_load_2addr_b64 v[5:8], v4 offset0:24 offset1:28
	s_waitcnt lgkmcnt(2)
	v_add_co_u32 v2, vcc_lo, v27, v2
	v_add_co_ci_u32_e32 v3, vcc_lo, v28, v3, vcc_lo
	v_add_nc_u32_e32 v4, 0x100, v4
	s_delay_alu instid0(VALU_DEP_3) | instskip(NEXT) | instid1(VALU_DEP_3)
	v_add_co_u32 v2, vcc_lo, v29, v2
	v_add_co_ci_u32_e32 v3, vcc_lo, v30, v3, vcc_lo
	s_waitcnt lgkmcnt(1)
	s_delay_alu instid0(VALU_DEP_2) | instskip(NEXT) | instid1(VALU_DEP_2)
	v_add_co_u32 v2, vcc_lo, v41, v2
	v_add_co_ci_u32_e32 v3, vcc_lo, v42, v3, vcc_lo
	s_delay_alu instid0(VALU_DEP_2) | instskip(NEXT) | instid1(VALU_DEP_2)
	v_add_co_u32 v2, vcc_lo, v43, v2
	v_add_co_ci_u32_e32 v3, vcc_lo, v44, v3, vcc_lo
	s_waitcnt lgkmcnt(0)
	s_delay_alu instid0(VALU_DEP_2) | instskip(NEXT) | instid1(VALU_DEP_2)
	v_add_co_u32 v2, vcc_lo, v5, v2
	v_add_co_ci_u32_e32 v3, vcc_lo, v6, v3, vcc_lo
	s_delay_alu instid0(VALU_DEP_2) | instskip(NEXT) | instid1(VALU_DEP_2)
	v_add_co_u32 v2, vcc_lo, v7, v2
	v_add_co_ci_u32_e32 v3, vcc_lo, v8, v3, vcc_lo
	s_cbranch_scc0 .LBB129_94
; %bb.95:                               ;   in Loop: Header=BB129_31 Depth=1
	s_set_inst_prefetch_distance 0x2
	s_mov_b32 s9, s87
	s_and_not1_b32 vcc_lo, exec_lo, s88
	s_cbranch_vccz .LBB129_98
	s_branch .LBB129_100
.LBB129_96:                             ;   in Loop: Header=BB129_31 Depth=1
                                        ; implicit-def: $vgpr2_vgpr3
	s_branch .LBB129_64
.LBB129_97:                             ;   in Loop: Header=BB129_31 Depth=1
	s_mov_b32 s9, 0
	s_and_not1_b32 vcc_lo, exec_lo, s88
	s_cbranch_vccnz .LBB129_100
.LBB129_98:                             ;   in Loop: Header=BB129_31 Depth=1
	s_lshl_b32 s10, s92, 10
	s_lshl_b32 s9, s9, 5
	s_delay_alu instid0(SALU_CYCLE_1)
	v_add3_u32 v4, s10, s9, v37
	s_mov_b32 s9, s85
.LBB129_99:                             ;   Parent Loop BB129_31 Depth=1
                                        ; =>  This Inner Loop Header: Depth=2
	ds_load_b64 v[5:6], v4
	v_add_nc_u32_e32 v4, 32, v4
	s_add_i32 s9, s9, -1
	s_delay_alu instid0(SALU_CYCLE_1)
	s_cmp_lg_u32 s9, 0
	s_waitcnt lgkmcnt(0)
	v_add_co_u32 v2, vcc_lo, v5, v2
	v_add_co_ci_u32_e32 v3, vcc_lo, v6, v3, vcc_lo
	s_cbranch_scc1 .LBB129_99
.LBB129_100:                            ;   in Loop: Header=BB129_31 Depth=1
	v_add_lshl_u32 v4, s7, v34, 3
	ds_store_b64 v4, v[2:3] offset:3072
.LBB129_101:                            ;   in Loop: Header=BB129_31 Depth=1
	s_or_b32 exec_lo, exec_lo, s8
	s_lshl_b32 s7, s7, 3
	s_waitcnt lgkmcnt(0)
	v_mov_b32_e32 v6, s7
	s_barrier
	buffer_gl0_inv
	s_and_b32 s22, s89, 0xfe
	v_cmp_eq_u64_e64 s7, 1, v[25:26]
	ds_load_b128 v[2:5], v6 offset:3072
	ds_load_b128 v[6:9], v6 offset:3088
	s_lshl_b32 s20, 3, s22
	s_and_not1_b32 vcc_lo, exec_lo, s78
	s_not_b32 s21, s20
	s_waitcnt lgkmcnt(1)
	v_readfirstlane_b32 s11, v3
	v_readfirstlane_b32 s10, v2
	;; [unrolled: 1-line block ×4, first 2 shown]
	s_waitcnt lgkmcnt(0)
	v_readfirstlane_b32 s15, v7
	v_readfirstlane_b32 s14, v6
	v_readfirstlane_b32 s17, v9
	v_readfirstlane_b32 s16, v8
	s_cbranch_vccnz .LBB129_116
; %bb.102:                              ;   in Loop: Header=BB129_31 Depth=1
	s_cmp_eq_u64 s[10:11], 1
	v_dual_mov_b32 v27, v39 :: v_dual_mov_b32 v28, v38
	v_mov_b32_e32 v29, v40
	s_cselect_b32 s8, -1, 0
                                        ; implicit-def: $sgpr23
                                        ; implicit-def: $sgpr64
                                        ; implicit-def: $sgpr54
	s_delay_alu instid0(SALU_CYCLE_1)
	s_and_b32 s67, s8, s7
	s_mov_b32 s8, -1
	s_and_saveexec_b32 s24, s67
	s_cbranch_execz .LBB129_134
; %bb.103:                              ;   in Loop: Header=BB129_31 Depth=1
	ds_load_b64 v[2:3], v13 offset:5120
	s_waitcnt lgkmcnt(0)
	s_barrier
	buffer_gl0_inv
	v_readfirstlane_b32 s18, v2
	v_readfirstlane_b32 s19, v3
	s_and_saveexec_b32 s8, s6
	s_cbranch_execz .LBB129_105
; %bb.104:                              ;   in Loop: Header=BB129_31 Depth=1
	ds_store_b8 v0, v13 offset:3072
.LBB129_105:                            ;   in Loop: Header=BB129_31 Depth=1
	s_or_b32 exec_lo, exec_lo, s8
	v_and_b32_e32 v27, s21, v39
	v_or_b32_e32 v28, s20, v38
	s_cmp_eq_u64 s[18:19], 0
	s_waitcnt lgkmcnt(0)
	s_barrier
	buffer_gl0_inv
	s_cbranch_scc1 .LBB129_118
; %bb.106:                              ;   in Loop: Header=BB129_31 Depth=1
	s_add_u32 s23, s81, s18
	s_addc_u32 s9, s82, s19
	s_mov_b32 s8, s55
	s_delay_alu instid0(SALU_CYCLE_1)
	s_cmp_lg_u64 s[8:9], 0
	s_cbranch_scc0 .LBB129_160
; %bb.107:                              ;   in Loop: Header=BB129_31 Depth=1
	v_cvt_f32_u32_e32 v2, s33
	s_sub_u32 s26, 0, s33
	s_subb_u32 s42, 0, 0
	s_delay_alu instid0(VALU_DEP_1) | instskip(NEXT) | instid1(VALU_DEP_1)
	v_fmac_f32_e64 v2, 0, 0x4f800000
	v_rcp_f32_e32 v2, v2
	s_waitcnt_depctr 0xfff
	v_mul_f32_e32 v2, 0x5f7ffffc, v2
	s_delay_alu instid0(VALU_DEP_1) | instskip(NEXT) | instid1(VALU_DEP_1)
	v_mul_f32_e32 v3, 0x2f800000, v2
	v_trunc_f32_e32 v3, v3
	s_delay_alu instid0(VALU_DEP_1) | instskip(SKIP_1) | instid1(VALU_DEP_2)
	v_fmac_f32_e32 v2, 0xcf800000, v3
	v_cvt_u32_f32_e32 v3, v3
	v_cvt_u32_f32_e32 v2, v2
	s_delay_alu instid0(VALU_DEP_2) | instskip(NEXT) | instid1(VALU_DEP_2)
	v_readfirstlane_b32 s8, v3
	v_readfirstlane_b32 s25, v2
	s_delay_alu instid0(VALU_DEP_2) | instskip(NEXT) | instid1(VALU_DEP_1)
	s_mul_i32 s43, s26, s8
	s_mul_hi_u32 s49, s26, s25
	s_mul_i32 s48, s42, s25
	s_add_i32 s43, s49, s43
	s_mul_i32 s50, s26, s25
	s_add_i32 s43, s43, s48
	s_mul_hi_u32 s49, s25, s50
	s_mul_hi_u32 s51, s8, s50
	s_mul_i32 s48, s8, s50
	s_mul_hi_u32 s50, s25, s43
	s_mul_i32 s25, s25, s43
	s_mul_hi_u32 s52, s8, s43
	s_add_u32 s25, s49, s25
	s_addc_u32 s49, 0, s50
	s_add_u32 s25, s25, s48
	s_mul_i32 s43, s8, s43
	s_addc_u32 s25, s49, s51
	s_addc_u32 s48, s52, 0
	s_add_u32 s25, s25, s43
	s_addc_u32 s43, 0, s48
	v_add_co_u32 v2, s25, v2, s25
	s_delay_alu instid0(VALU_DEP_1) | instskip(SKIP_1) | instid1(VALU_DEP_1)
	s_cmp_lg_u32 s25, 0
	s_addc_u32 s8, s8, s43
	v_readfirstlane_b32 s25, v2
	s_mul_i32 s43, s26, s8
	s_delay_alu instid0(VALU_DEP_1)
	s_mul_hi_u32 s48, s26, s25
	s_mul_i32 s42, s42, s25
	s_add_i32 s43, s48, s43
	s_mul_i32 s26, s26, s25
	s_add_i32 s43, s43, s42
	s_mul_hi_u32 s48, s8, s26
	s_mul_i32 s49, s8, s26
	s_mul_hi_u32 s26, s25, s26
	s_mul_hi_u32 s50, s25, s43
	s_mul_i32 s25, s25, s43
	s_mul_hi_u32 s42, s8, s43
	s_add_u32 s25, s26, s25
	s_addc_u32 s26, 0, s50
	s_add_u32 s25, s25, s49
	s_mul_i32 s43, s8, s43
	s_addc_u32 s25, s26, s48
	s_addc_u32 s26, s42, 0
	s_add_u32 s25, s25, s43
	s_addc_u32 s26, 0, s26
	v_add_co_u32 v2, s25, v2, s25
	s_delay_alu instid0(VALU_DEP_1) | instskip(SKIP_1) | instid1(VALU_DEP_1)
	s_cmp_lg_u32 s25, 0
	s_addc_u32 s8, s8, s26
	v_readfirstlane_b32 s25, v2
	s_mul_i32 s42, s23, s8
	s_mul_hi_u32 s26, s23, s8
	s_mul_hi_u32 s43, s9, s8
	s_mul_i32 s8, s9, s8
	s_mul_hi_u32 s48, s23, s25
	s_mul_hi_u32 s49, s9, s25
	s_mul_i32 s25, s9, s25
	s_add_u32 s42, s48, s42
	s_addc_u32 s26, 0, s26
	s_add_u32 s25, s42, s25
	s_addc_u32 s25, s26, s49
	s_addc_u32 s26, s43, 0
	s_add_u32 s8, s25, s8
	s_addc_u32 s25, 0, s26
	s_mul_hi_u32 s26, s33, s8
	s_mul_i32 s8, s33, s8
	s_mul_i32 s25, s33, s25
	v_sub_co_u32 v2, s8, s23, s8
	s_add_i32 s26, s26, s25
	s_cmp_lg_u32 s8, 0
	s_delay_alu instid0(VALU_DEP_1) | instskip(SKIP_2) | instid1(VALU_DEP_1)
	v_sub_co_u32 v3, s8, v2, s33
	s_subb_u32 s25, s9, s26
	s_cmp_lg_u32 s8, 0
	v_cmp_le_u32_e32 vcc_lo, s33, v3
	v_sub_co_u32 v4, s8, v3, s33
	s_subb_u32 s26, s25, 0
	s_cmp_lg_u32 s8, 0
	v_cndmask_b32_e64 v5, 0, -1, vcc_lo
	s_subb_u32 s8, s26, 0
	s_cmp_eq_u32 s26, 0
	v_mov_b32_e32 v7, s8
	s_cselect_b32 vcc_lo, -1, 0
	s_cmp_eq_u32 s25, 0
	v_cndmask_b32_e32 v5, -1, v5, vcc_lo
	v_cmp_le_u32_e32 vcc_lo, s33, v2
	s_cselect_b32 s8, -1, 0
	v_cndmask_b32_e64 v6, 0, -1, vcc_lo
	s_delay_alu instid0(VALU_DEP_3) | instskip(NEXT) | instid1(VALU_DEP_2)
	v_cmp_ne_u32_e32 vcc_lo, 0, v5
	v_cndmask_b32_e64 v5, -1, v6, s8
	v_cndmask_b32_e32 v6, s26, v7, vcc_lo
	v_cndmask_b32_e32 v4, v3, v4, vcc_lo
	s_delay_alu instid0(VALU_DEP_3) | instskip(NEXT) | instid1(VALU_DEP_3)
	v_cmp_ne_u32_e32 vcc_lo, 0, v5
	v_cndmask_b32_e32 v3, s25, v6, vcc_lo
	s_delay_alu instid0(VALU_DEP_3)
	v_cndmask_b32_e32 v2, v2, v4, vcc_lo
	s_cbranch_execnz .LBB129_109
.LBB129_108:                            ;   in Loop: Header=BB129_31 Depth=1
	v_cvt_f32_u32_e32 v2, s33
	s_sub_i32 s8, 0, s33
	s_delay_alu instid0(VALU_DEP_1) | instskip(SKIP_2) | instid1(VALU_DEP_1)
	v_rcp_iflag_f32_e32 v2, v2
	s_waitcnt_depctr 0xfff
	v_mul_f32_e32 v2, 0x4f7ffffe, v2
	v_cvt_u32_f32_e32 v2, v2
	s_delay_alu instid0(VALU_DEP_1) | instskip(NEXT) | instid1(VALU_DEP_1)
	v_mul_lo_u32 v3, s8, v2
	v_mul_hi_u32 v3, v2, v3
	s_delay_alu instid0(VALU_DEP_1) | instskip(NEXT) | instid1(VALU_DEP_1)
	v_add_nc_u32_e32 v2, v2, v3
	v_mul_hi_u32 v2, s23, v2
	s_delay_alu instid0(VALU_DEP_1) | instskip(NEXT) | instid1(VALU_DEP_1)
	v_mul_lo_u32 v2, v2, s33
	v_sub_nc_u32_e32 v2, s23, v2
	s_delay_alu instid0(VALU_DEP_1) | instskip(SKIP_1) | instid1(VALU_DEP_2)
	v_subrev_nc_u32_e32 v3, s33, v2
	v_cmp_le_u32_e32 vcc_lo, s33, v2
	v_cndmask_b32_e32 v2, v2, v3, vcc_lo
	s_delay_alu instid0(VALU_DEP_1) | instskip(SKIP_1) | instid1(VALU_DEP_2)
	v_subrev_nc_u32_e32 v3, s33, v2
	v_cmp_le_u32_e32 vcc_lo, s33, v2
	v_cndmask_b32_e32 v12, v2, v3, vcc_lo
	s_delay_alu instid0(VALU_DEP_1)
	v_dual_mov_b32 v2, v12 :: v_dual_mov_b32 v3, v13
.LBB129_109:                            ;   in Loop: Header=BB129_31 Depth=1
	s_delay_alu instid0(VALU_DEP_1) | instskip(NEXT) | instid1(VALU_DEP_2)
	v_sub_co_u32 v2, vcc_lo, s23, v2
	v_sub_co_ci_u32_e32 v3, vcc_lo, s9, v3, vcc_lo
	s_mov_b32 s8, 0
	s_mov_b32 s9, exec_lo
                                        ; implicit-def: $vgpr29
	s_delay_alu instid0(VALU_DEP_1)
	v_cmpx_gt_u64_e64 v[2:3], v[0:1]
	s_cbranch_execz .LBB129_120
; %bb.110:                              ;   in Loop: Header=BB129_31 Depth=1
	v_dual_mov_b32 v6, v0 :: v_dual_mov_b32 v5, v1
	v_mov_b32_e32 v4, v0
	s_mov_b32 s23, 0
                                        ; implicit-def: $sgpr25
	s_set_inst_prefetch_distance 0x1
	s_branch .LBB129_112
	.p2align	6
.LBB129_111:                            ;   in Loop: Header=BB129_112 Depth=2
	s_or_b32 exec_lo, exec_lo, s8
	s_waitcnt lgkmcnt(0)
	s_barrier
	buffer_gl0_inv
	ds_load_u16 v7, v13 offset:3072
	v_add_co_u32 v4, vcc_lo, v4, s33
	v_add_co_ci_u32_e32 v5, vcc_lo, 0, v5, vcc_lo
	v_add_nc_u32_e32 v6, s33, v6
	s_waitcnt lgkmcnt(0)
	s_barrier
	s_delay_alu instid0(VALU_DEP_2) | instskip(SKIP_2) | instid1(VALU_DEP_1)
	v_cmp_ge_u64_e32 vcc_lo, v[4:5], v[2:3]
	buffer_gl0_inv
	v_and_b32_e32 v8, 0xff, v7
	v_cmp_ne_u16_e64 s8, 0, v8
	s_delay_alu instid0(VALU_DEP_1) | instskip(NEXT) | instid1(SALU_CYCLE_1)
	s_or_b32 s26, vcc_lo, s8
	s_and_b32 s26, exec_lo, s26
	s_delay_alu instid0(SALU_CYCLE_1) | instskip(SKIP_2) | instid1(SALU_CYCLE_1)
	s_or_b32 s23, s26, s23
	s_and_not1_b32 s25, s25, exec_lo
	s_and_b32 s8, s8, exec_lo
	s_or_b32 s25, s25, s8
	s_and_not1_b32 exec_lo, exec_lo, s23
	s_cbranch_execz .LBB129_119
.LBB129_112:                            ;   Parent Loop BB129_31 Depth=1
                                        ; =>  This Inner Loop Header: Depth=2
	s_delay_alu instid0(VALU_DEP_1)
	v_cmp_gt_u64_e32 vcc_lo, s[18:19], v[4:5]
	v_mov_b32_e32 v7, 0
	s_and_saveexec_b32 s8, vcc_lo
	s_cbranch_execz .LBB129_114
; %bb.113:                              ;   in Loop: Header=BB129_112 Depth=2
	ds_load_u8 v7, v6
.LBB129_114:                            ;   in Loop: Header=BB129_112 Depth=2
	s_or_b32 exec_lo, exec_lo, s8
	s_waitcnt lgkmcnt(0)
	v_and_b32_e32 v8, v7, v28
	s_delay_alu instid0(VALU_DEP_1) | instskip(NEXT) | instid1(VALU_DEP_1)
	v_and_b32_e32 v8, 0xff, v8
	v_cmp_eq_u32_e64 s8, v8, v27
	s_delay_alu instid0(VALU_DEP_1) | instskip(NEXT) | instid1(SALU_CYCLE_1)
	s_and_b32 s26, vcc_lo, s8
	s_and_saveexec_b32 s8, s26
	s_cbranch_execz .LBB129_111
; %bb.115:                              ;   in Loop: Header=BB129_112 Depth=2
	v_lshlrev_b16 v7, 8, v7
	s_delay_alu instid0(VALU_DEP_1)
	v_or_b32_e32 v7, 1, v7
	ds_store_b16 v13, v7 offset:3072
	s_branch .LBB129_111
.LBB129_116:                            ;   in Loop: Header=BB129_31 Depth=1
	s_mov_b32 s25, 0
	s_mov_b32 s24, 0
                                        ; implicit-def: $sgpr54
                                        ; implicit-def: $sgpr64
                                        ; implicit-def: $sgpr23
                                        ; implicit-def: $vgpr6
                                        ; implicit-def: $vgpr2_vgpr3
                                        ; implicit-def: $vgpr27
                                        ; implicit-def: $vgpr28
                                        ; implicit-def: $vgpr29
	s_cbranch_execnz .LBB129_292
.LBB129_117:                            ;   in Loop: Header=BB129_31 Depth=1
	s_mov_b32 s18, s23
	s_mov_b32 s19, s23
	s_and_saveexec_b32 s7, s25
	s_cbranch_execnz .LBB129_480
	s_branch .LBB129_481
.LBB129_118:                            ;   in Loop: Header=BB129_31 Depth=1
	s_mov_b32 s23, -1
	s_mov_b32 s8, 0
                                        ; implicit-def: $sgpr54
                                        ; implicit-def: $vgpr29
	s_mov_b32 s64, s23
	s_cbranch_execnz .LBB129_121
	s_branch .LBB129_133
.LBB129_119:                            ;   in Loop: Header=BB129_31 Depth=1
	s_set_inst_prefetch_distance 0x2
	s_or_b32 exec_lo, exec_lo, s23
	v_lshrrev_b16 v29, 8, v7
	s_and_b32 s8, s25, exec_lo
.LBB129_120:                            ;   in Loop: Header=BB129_31 Depth=1
	s_or_b32 exec_lo, exec_lo, s9
	s_mov_b32 s54, -1
	s_mov_b32 s23, 0
	s_delay_alu instid0(SALU_CYCLE_1)
	s_mov_b32 s64, s23
	s_branch .LBB129_133
.LBB129_121:                            ;   in Loop: Header=BB129_31 Depth=1
	s_mov_b32 s26, s55
	s_delay_alu instid0(SALU_CYCLE_1)
	s_cmp_lg_u64 s[26:27], 0
	s_cbranch_scc0 .LBB129_161
; %bb.122:                              ;   in Loop: Header=BB129_31 Depth=1
	v_cvt_f32_u32_e32 v2, s33
	s_sub_u32 s18, 0, s33
	s_subb_u32 s19, 0, 0
	s_delay_alu instid0(VALU_DEP_1) | instskip(NEXT) | instid1(VALU_DEP_1)
	v_fmac_f32_e64 v2, 0, 0x4f800000
	v_rcp_f32_e32 v2, v2
	s_waitcnt_depctr 0xfff
	v_mul_f32_e32 v2, 0x5f7ffffc, v2
	s_delay_alu instid0(VALU_DEP_1) | instskip(NEXT) | instid1(VALU_DEP_1)
	v_mul_f32_e32 v3, 0x2f800000, v2
	v_trunc_f32_e32 v3, v3
	s_delay_alu instid0(VALU_DEP_1) | instskip(SKIP_1) | instid1(VALU_DEP_2)
	v_fmac_f32_e32 v2, 0xcf800000, v3
	v_cvt_u32_f32_e32 v3, v3
	v_cvt_u32_f32_e32 v2, v2
	s_delay_alu instid0(VALU_DEP_2) | instskip(NEXT) | instid1(VALU_DEP_2)
	v_readfirstlane_b32 s8, v3
	v_readfirstlane_b32 s9, v2
	s_delay_alu instid0(VALU_DEP_2) | instskip(NEXT) | instid1(VALU_DEP_1)
	s_mul_i32 s23, s18, s8
	s_mul_hi_u32 s26, s18, s9
	s_mul_i32 s25, s19, s9
	s_add_i32 s23, s26, s23
	s_mul_i32 s42, s18, s9
	s_add_i32 s23, s23, s25
	s_mul_hi_u32 s26, s9, s42
	s_mul_hi_u32 s43, s8, s42
	s_mul_i32 s25, s8, s42
	s_mul_hi_u32 s42, s9, s23
	s_mul_i32 s9, s9, s23
	s_mul_hi_u32 s48, s8, s23
	s_add_u32 s9, s26, s9
	s_addc_u32 s26, 0, s42
	s_add_u32 s9, s9, s25
	s_mul_i32 s23, s8, s23
	s_addc_u32 s9, s26, s43
	s_addc_u32 s25, s48, 0
	s_add_u32 s9, s9, s23
	s_addc_u32 s23, 0, s25
	v_add_co_u32 v2, s9, v2, s9
	s_delay_alu instid0(VALU_DEP_1) | instskip(SKIP_1) | instid1(VALU_DEP_1)
	s_cmp_lg_u32 s9, 0
	s_addc_u32 s8, s8, s23
	v_readfirstlane_b32 s9, v2
	s_mul_i32 s23, s18, s8
	s_delay_alu instid0(VALU_DEP_1)
	s_mul_hi_u32 s25, s18, s9
	s_mul_i32 s19, s19, s9
	s_add_i32 s23, s25, s23
	s_mul_i32 s18, s18, s9
	s_add_i32 s23, s23, s19
	s_mul_hi_u32 s25, s8, s18
	s_mul_i32 s26, s8, s18
	s_mul_hi_u32 s18, s9, s18
	s_mul_hi_u32 s42, s9, s23
	s_mul_i32 s9, s9, s23
	s_mul_hi_u32 s19, s8, s23
	s_add_u32 s9, s18, s9
	s_addc_u32 s18, 0, s42
	s_add_u32 s9, s9, s26
	s_mul_i32 s23, s8, s23
	s_addc_u32 s9, s18, s25
	s_addc_u32 s18, s19, 0
	s_add_u32 s9, s9, s23
	s_addc_u32 s18, 0, s18
	v_add_co_u32 v2, s9, v2, s9
	s_delay_alu instid0(VALU_DEP_1) | instskip(SKIP_1) | instid1(VALU_DEP_1)
	s_cmp_lg_u32 s9, 0
	s_addc_u32 s8, s8, s18
	v_readfirstlane_b32 s9, v2
	s_mul_i32 s19, s83, s8
	s_mul_hi_u32 s18, s83, s8
	s_mul_hi_u32 s23, s27, s8
	s_mul_i32 s8, s27, s8
	s_mul_hi_u32 s25, s83, s9
	s_mul_hi_u32 s26, s27, s9
	s_mul_i32 s9, s27, s9
	s_add_u32 s19, s25, s19
	s_addc_u32 s18, 0, s18
	s_add_u32 s9, s19, s9
	s_addc_u32 s9, s18, s26
	s_addc_u32 s18, s23, 0
	s_add_u32 s8, s9, s8
	s_addc_u32 s9, 0, s18
	s_mul_hi_u32 s18, s33, s8
	s_mul_i32 s8, s33, s8
	s_mul_i32 s9, s33, s9
	v_sub_co_u32 v2, s8, s83, s8
	s_add_i32 s18, s18, s9
	s_cmp_lg_u32 s8, 0
	s_delay_alu instid0(VALU_DEP_1) | instskip(SKIP_2) | instid1(VALU_DEP_1)
	v_sub_co_u32 v3, s8, v2, s33
	s_subb_u32 s9, s27, s18
	s_cmp_lg_u32 s8, 0
	v_cmp_le_u32_e32 vcc_lo, s33, v3
	v_sub_co_u32 v4, s8, v3, s33
	s_subb_u32 s18, s9, 0
	s_cmp_lg_u32 s8, 0
	v_cndmask_b32_e64 v5, 0, -1, vcc_lo
	s_subb_u32 s8, s18, 0
	s_cmp_eq_u32 s18, 0
	v_mov_b32_e32 v7, s8
	s_cselect_b32 vcc_lo, -1, 0
	s_cmp_eq_u32 s9, 0
	v_cndmask_b32_e32 v5, -1, v5, vcc_lo
	v_cmp_le_u32_e32 vcc_lo, s33, v2
	s_cselect_b32 s8, -1, 0
	v_cndmask_b32_e64 v6, 0, -1, vcc_lo
	s_delay_alu instid0(VALU_DEP_3) | instskip(NEXT) | instid1(VALU_DEP_2)
	v_cmp_ne_u32_e32 vcc_lo, 0, v5
	v_cndmask_b32_e64 v5, -1, v6, s8
	v_cndmask_b32_e32 v6, s18, v7, vcc_lo
	v_cndmask_b32_e32 v4, v3, v4, vcc_lo
	s_delay_alu instid0(VALU_DEP_3) | instskip(NEXT) | instid1(VALU_DEP_3)
	v_cmp_ne_u32_e32 vcc_lo, 0, v5
	v_cndmask_b32_e32 v3, s9, v6, vcc_lo
	s_delay_alu instid0(VALU_DEP_3)
	v_cndmask_b32_e32 v2, v2, v4, vcc_lo
	s_cbranch_execnz .LBB129_124
.LBB129_123:                            ;   in Loop: Header=BB129_31 Depth=1
	v_cvt_f32_u32_e32 v2, s33
	s_sub_i32 s8, 0, s33
	s_delay_alu instid0(VALU_DEP_1) | instskip(SKIP_2) | instid1(VALU_DEP_1)
	v_rcp_iflag_f32_e32 v2, v2
	s_waitcnt_depctr 0xfff
	v_mul_f32_e32 v2, 0x4f7ffffe, v2
	v_cvt_u32_f32_e32 v2, v2
	s_delay_alu instid0(VALU_DEP_1) | instskip(NEXT) | instid1(VALU_DEP_1)
	v_mul_lo_u32 v3, s8, v2
	v_mul_hi_u32 v3, v2, v3
	s_delay_alu instid0(VALU_DEP_1) | instskip(NEXT) | instid1(VALU_DEP_1)
	v_add_nc_u32_e32 v2, v2, v3
	v_mul_hi_u32 v2, s83, v2
	s_delay_alu instid0(VALU_DEP_1) | instskip(NEXT) | instid1(VALU_DEP_1)
	v_mul_lo_u32 v2, v2, s33
	v_sub_nc_u32_e32 v2, s83, v2
	s_delay_alu instid0(VALU_DEP_1) | instskip(SKIP_1) | instid1(VALU_DEP_2)
	v_subrev_nc_u32_e32 v3, s33, v2
	v_cmp_le_u32_e32 vcc_lo, s33, v2
	v_cndmask_b32_e32 v2, v2, v3, vcc_lo
	s_delay_alu instid0(VALU_DEP_1) | instskip(SKIP_1) | instid1(VALU_DEP_2)
	v_subrev_nc_u32_e32 v3, s33, v2
	v_cmp_le_u32_e32 vcc_lo, s33, v2
	v_cndmask_b32_e32 v12, v2, v3, vcc_lo
	s_delay_alu instid0(VALU_DEP_1)
	v_dual_mov_b32 v2, v12 :: v_dual_mov_b32 v3, v13
.LBB129_124:                            ;   in Loop: Header=BB129_31 Depth=1
	s_delay_alu instid0(VALU_DEP_1) | instskip(NEXT) | instid1(VALU_DEP_2)
	v_sub_co_u32 v2, vcc_lo, s83, v2
	v_sub_co_ci_u32_e32 v3, vcc_lo, s27, v3, vcc_lo
	s_mov_b32 s8, 0
	s_mov_b32 s9, exec_lo
                                        ; implicit-def: $vgpr29
	s_delay_alu instid0(VALU_DEP_1)
	v_cmpx_gt_u64_e64 v[2:3], v[0:1]
	s_cbranch_execz .LBB129_132
; %bb.125:                              ;   in Loop: Header=BB129_31 Depth=1
	v_dual_mov_b32 v4, v23 :: v_dual_mov_b32 v5, v24
	v_dual_mov_b32 v7, v1 :: v_dual_mov_b32 v6, v0
	s_mov_b32 s18, 0
                                        ; implicit-def: $sgpr19
	s_set_inst_prefetch_distance 0x1
	s_branch .LBB129_127
	.p2align	6
.LBB129_126:                            ;   in Loop: Header=BB129_127 Depth=2
	s_or_b32 exec_lo, exec_lo, s8
	s_waitcnt lgkmcnt(0)
	s_barrier
	buffer_gl0_inv
	ds_load_u16 v8, v13 offset:3072
	v_add_co_u32 v6, vcc_lo, v6, s33
	v_add_co_ci_u32_e32 v7, vcc_lo, 0, v7, vcc_lo
	s_waitcnt lgkmcnt(0)
	s_barrier
	buffer_gl0_inv
	v_cmp_ge_u64_e32 vcc_lo, v[6:7], v[2:3]
	v_and_b32_e32 v9, 0xff, v8
	s_delay_alu instid0(VALU_DEP_1) | instskip(NEXT) | instid1(VALU_DEP_1)
	v_cmp_ne_u16_e64 s8, 0, v9
	s_or_b32 s23, vcc_lo, s8
	v_add_co_u32 v4, vcc_lo, v4, s75
	s_and_b32 s23, exec_lo, s23
	v_add_co_ci_u32_e32 v5, vcc_lo, s74, v5, vcc_lo
	s_or_b32 s18, s23, s18
	s_and_not1_b32 s19, s19, exec_lo
	s_and_b32 s8, s8, exec_lo
	s_delay_alu instid0(SALU_CYCLE_1)
	s_or_b32 s19, s19, s8
	s_and_not1_b32 exec_lo, exec_lo, s18
	s_cbranch_execz .LBB129_131
.LBB129_127:                            ;   Parent Loop BB129_31 Depth=1
                                        ; =>  This Inner Loop Header: Depth=2
	s_delay_alu instid0(VALU_DEP_1)
	v_cmp_gt_u64_e32 vcc_lo, s[36:37], v[6:7]
	v_mov_b32_e32 v8, 0
	s_and_saveexec_b32 s8, vcc_lo
	s_cbranch_execz .LBB129_129
; %bb.128:                              ;   in Loop: Header=BB129_127 Depth=2
	global_load_u8 v8, v[4:5], off
.LBB129_129:                            ;   in Loop: Header=BB129_127 Depth=2
	s_or_b32 exec_lo, exec_lo, s8
	s_waitcnt vmcnt(0)
	v_and_b32_e32 v9, v8, v28
	s_delay_alu instid0(VALU_DEP_1) | instskip(NEXT) | instid1(VALU_DEP_1)
	v_and_b32_e32 v9, 0xff, v9
	v_cmp_eq_u32_e64 s8, v9, v27
	s_delay_alu instid0(VALU_DEP_1) | instskip(NEXT) | instid1(SALU_CYCLE_1)
	s_and_b32 s23, vcc_lo, s8
	s_and_saveexec_b32 s8, s23
	s_cbranch_execz .LBB129_126
; %bb.130:                              ;   in Loop: Header=BB129_127 Depth=2
	v_lshlrev_b16 v8, 8, v8
	s_delay_alu instid0(VALU_DEP_1)
	v_or_b32_e32 v8, 1, v8
	ds_store_b16 v13, v8 offset:3072
	s_branch .LBB129_126
.LBB129_131:                            ;   in Loop: Header=BB129_31 Depth=1
	s_set_inst_prefetch_distance 0x2
	s_or_b32 exec_lo, exec_lo, s18
	v_lshrrev_b16 v29, 8, v8
	s_and_b32 s8, s19, exec_lo
.LBB129_132:                            ;   in Loop: Header=BB129_31 Depth=1
	s_or_b32 exec_lo, exec_lo, s9
	s_mov_b32 s64, -1
	s_mov_b32 s23, 0
	s_mov_b32 s54, 0
.LBB129_133:                            ;   in Loop: Header=BB129_31 Depth=1
	s_or_not1_b32 s8, s8, exec_lo
.LBB129_134:                            ;   in Loop: Header=BB129_31 Depth=1
	s_or_b32 exec_lo, exec_lo, s24
	s_mov_b32 s65, 0
	s_mov_b32 s25, 0
	;; [unrolled: 1-line block ×3, first 2 shown]
                                        ; implicit-def: $vgpr6
                                        ; implicit-def: $vgpr2_vgpr3
	s_and_saveexec_b32 s66, s8
	s_cbranch_execz .LBB129_291
; %bb.135:                              ;   in Loop: Header=BB129_31 Depth=1
	v_mov_b32_e32 v2, 1
	v_dual_mov_b32 v3, 0 :: v_dual_mov_b32 v6, 1
	s_xor_b32 s9, s67, -1
	s_delay_alu instid0(SALU_CYCLE_1)
	s_and_saveexec_b32 s8, s9
	s_cbranch_execz .LBB129_145
; %bb.136:                              ;   in Loop: Header=BB129_31 Depth=1
	s_mov_b32 s18, exec_lo
                                        ; implicit-def: $sgpr19
                                        ; implicit-def: $sgpr9
	v_cmpx_ge_u64_e64 s[10:11], v[25:26]
	s_xor_b32 s18, exec_lo, s18
	s_cbranch_execz .LBB129_142
; %bb.137:                              ;   in Loop: Header=BB129_31 Depth=1
	ds_load_b64 v[2:3], v13 offset:5120
	s_waitcnt lgkmcnt(0)
	v_cmp_ne_u64_e32 vcc_lo, 0, v[2:3]
	s_cbranch_vccnz .LBB129_141
; %bb.138:                              ;   in Loop: Header=BB129_31 Depth=1
	s_and_saveexec_b32 s9, s5
	s_cbranch_execz .LBB129_140
; %bb.139:                              ;   in Loop: Header=BB129_31 Depth=1
	v_dual_mov_b32 v2, s10 :: v_dual_mov_b32 v3, s11
	ds_store_b64 v13, v[2:3] offset:5128
.LBB129_140:                            ;   in Loop: Header=BB129_31 Depth=1
	s_or_b32 exec_lo, exec_lo, s9
	s_waitcnt lgkmcnt(0)
	s_barrier
	buffer_gl0_inv
.LBB129_141:                            ;   in Loop: Header=BB129_31 Depth=1
	v_and_b32_e32 v27, s21, v27
	v_or_b32_e32 v28, s20, v28
	s_mov_b32 s9, 0
	s_mov_b32 s19, 8
.LBB129_142:                            ;   in Loop: Header=BB129_31 Depth=1
	s_or_saveexec_b32 s18, s18
	v_mov_b32_e32 v2, v25
	v_dual_mov_b32 v6, s19 :: v_dual_mov_b32 v3, v26
	s_xor_b32 exec_lo, exec_lo, s18
; %bb.143:                              ;   in Loop: Header=BB129_31 Depth=1
	v_sub_co_u32 v2, vcc_lo, v25, s10
	v_subrev_co_ci_u32_e32 v3, vcc_lo, s11, v26, vcc_lo
	v_mov_b32_e32 v6, 0
	s_or_b32 s9, s9, exec_lo
; %bb.144:                              ;   in Loop: Header=BB129_31 Depth=1
	s_or_b32 exec_lo, exec_lo, s18
	s_delay_alu instid0(SALU_CYCLE_1)
	s_and_b32 s24, s9, exec_lo
.LBB129_145:                            ;   in Loop: Header=BB129_31 Depth=1
	s_or_b32 exec_lo, exec_lo, s8
	s_mov_b32 s25, -1
                                        ; implicit-def: $sgpr9
                                        ; implicit-def: $sgpr18
                                        ; implicit-def: $sgpr19
	s_and_saveexec_b32 s8, s24
	s_delay_alu instid0(SALU_CYCLE_1)
	s_xor_b32 s24, exec_lo, s8
	s_cbranch_execz .LBB129_288
; %bb.146:                              ;   in Loop: Header=BB129_31 Depth=1
	v_cmp_eq_u64_e32 vcc_lo, 1, v[2:3]
	s_cmp_eq_u64 s[12:13], 1
                                        ; implicit-def: $sgpr25
                                        ; implicit-def: $sgpr68
                                        ; implicit-def: $sgpr67
	s_cselect_b32 s8, -1, 0
	s_delay_alu instid0(SALU_CYCLE_1)
	s_and_b32 s70, s8, vcc_lo
	s_mov_b32 s8, -1
	s_and_saveexec_b32 s69, s70
	s_cbranch_execz .LBB129_178
; %bb.147:                              ;   in Loop: Header=BB129_31 Depth=1
	ds_load_b64 v[4:5], v13 offset:5120
	s_waitcnt lgkmcnt(0)
	s_barrier
	buffer_gl0_inv
	v_readfirstlane_b32 s18, v4
	v_readfirstlane_b32 s19, v5
	s_and_saveexec_b32 s8, s6
	s_cbranch_execz .LBB129_149
; %bb.148:                              ;   in Loop: Header=BB129_31 Depth=1
	ds_store_b8 v0, v13 offset:3072
.LBB129_149:                            ;   in Loop: Header=BB129_31 Depth=1
	s_or_b32 exec_lo, exec_lo, s8
	s_lshl_b32 s8, 1, s22
	v_or_b32_e32 v28, s20, v28
	v_and_or_b32 v27, v27, s21, s8
	s_cmp_eq_u64 s[18:19], 0
	s_waitcnt lgkmcnt(0)
	s_barrier
	buffer_gl0_inv
	s_cbranch_scc1 .LBB129_162
; %bb.150:                              ;   in Loop: Header=BB129_31 Depth=1
	s_add_u32 s25, s81, s18
	s_addc_u32 s9, s82, s19
	s_mov_b32 s8, s55
	s_delay_alu instid0(SALU_CYCLE_1)
	s_cmp_lg_u64 s[8:9], 0
	s_cbranch_scc0 .LBB129_204
; %bb.151:                              ;   in Loop: Header=BB129_31 Depth=1
	v_cvt_f32_u32_e32 v4, s33
	s_sub_u32 s48, 0, s33
	s_subb_u32 s49, 0, 0
	s_delay_alu instid0(VALU_DEP_1) | instskip(NEXT) | instid1(VALU_DEP_1)
	v_fmac_f32_e64 v4, 0, 0x4f800000
	v_rcp_f32_e32 v4, v4
	s_waitcnt_depctr 0xfff
	v_mul_f32_e32 v4, 0x5f7ffffc, v4
	s_delay_alu instid0(VALU_DEP_1) | instskip(NEXT) | instid1(VALU_DEP_1)
	v_mul_f32_e32 v5, 0x2f800000, v4
	v_trunc_f32_e32 v5, v5
	s_delay_alu instid0(VALU_DEP_1) | instskip(SKIP_1) | instid1(VALU_DEP_2)
	v_fmac_f32_e32 v4, 0xcf800000, v5
	v_cvt_u32_f32_e32 v5, v5
	v_cvt_u32_f32_e32 v4, v4
	s_delay_alu instid0(VALU_DEP_2) | instskip(NEXT) | instid1(VALU_DEP_2)
	v_readfirstlane_b32 s8, v5
	v_readfirstlane_b32 s26, v4
	s_delay_alu instid0(VALU_DEP_2) | instskip(NEXT) | instid1(VALU_DEP_1)
	s_mul_i32 s67, s48, s8
	s_mul_hi_u32 s71, s48, s26
	s_mul_i32 s68, s49, s26
	s_add_i32 s67, s71, s67
	s_mul_i32 s72, s48, s26
	s_add_i32 s67, s67, s68
	s_mul_hi_u32 s71, s26, s72
	s_mul_hi_u32 s73, s8, s72
	s_mul_i32 s68, s8, s72
	s_mul_hi_u32 s72, s26, s67
	s_mul_i32 s26, s26, s67
	s_mul_hi_u32 s102, s8, s67
	s_add_u32 s26, s71, s26
	s_addc_u32 s71, 0, s72
	s_add_u32 s26, s26, s68
	s_mul_i32 s67, s8, s67
	s_addc_u32 s26, s71, s73
	s_addc_u32 s68, s102, 0
	s_add_u32 s26, s26, s67
	s_addc_u32 s67, 0, s68
	v_add_co_u32 v4, s26, v4, s26
	s_delay_alu instid0(VALU_DEP_1) | instskip(SKIP_1) | instid1(VALU_DEP_1)
	s_cmp_lg_u32 s26, 0
	s_addc_u32 s8, s8, s67
	v_readfirstlane_b32 s26, v4
	s_mul_i32 s67, s48, s8
	s_delay_alu instid0(VALU_DEP_1)
	s_mul_hi_u32 s68, s48, s26
	s_mul_i32 s49, s49, s26
	s_add_i32 s67, s68, s67
	s_mul_i32 s48, s48, s26
	s_add_i32 s67, s67, s49
	s_mul_hi_u32 s68, s8, s48
	s_mul_i32 s71, s8, s48
	s_mul_hi_u32 s48, s26, s48
	s_mul_hi_u32 s72, s26, s67
	s_mul_i32 s26, s26, s67
	s_mul_hi_u32 s49, s8, s67
	s_add_u32 s26, s48, s26
	s_addc_u32 s48, 0, s72
	s_add_u32 s26, s26, s71
	s_mul_i32 s67, s8, s67
	s_addc_u32 s26, s48, s68
	s_addc_u32 s48, s49, 0
	s_add_u32 s26, s26, s67
	s_addc_u32 s48, 0, s48
	v_add_co_u32 v4, s26, v4, s26
	s_delay_alu instid0(VALU_DEP_1) | instskip(SKIP_1) | instid1(VALU_DEP_1)
	s_cmp_lg_u32 s26, 0
	s_addc_u32 s8, s8, s48
	v_readfirstlane_b32 s26, v4
	s_mul_i32 s49, s25, s8
	s_mul_hi_u32 s48, s25, s8
	s_mul_hi_u32 s67, s9, s8
	s_mul_i32 s8, s9, s8
	s_mul_hi_u32 s68, s25, s26
	s_mul_hi_u32 s71, s9, s26
	s_mul_i32 s26, s9, s26
	s_add_u32 s49, s68, s49
	s_addc_u32 s48, 0, s48
	s_add_u32 s26, s49, s26
	s_addc_u32 s26, s48, s71
	s_addc_u32 s48, s67, 0
	s_add_u32 s8, s26, s8
	s_addc_u32 s26, 0, s48
	s_mul_hi_u32 s48, s33, s8
	s_mul_i32 s8, s33, s8
	s_mul_i32 s26, s33, s26
	v_sub_co_u32 v4, s8, s25, s8
	s_add_i32 s48, s48, s26
	s_cmp_lg_u32 s8, 0
	s_delay_alu instid0(VALU_DEP_1) | instskip(SKIP_2) | instid1(VALU_DEP_1)
	v_sub_co_u32 v5, s8, v4, s33
	s_subb_u32 s26, s9, s48
	s_cmp_lg_u32 s8, 0
	v_cmp_le_u32_e32 vcc_lo, s33, v5
	v_sub_co_u32 v6, s8, v5, s33
	s_subb_u32 s48, s26, 0
	s_cmp_lg_u32 s8, 0
	v_cndmask_b32_e64 v7, 0, -1, vcc_lo
	s_subb_u32 s8, s48, 0
	s_cmp_eq_u32 s48, 0
	v_mov_b32_e32 v9, s8
	s_cselect_b32 vcc_lo, -1, 0
	s_cmp_eq_u32 s26, 0
	v_cndmask_b32_e32 v7, -1, v7, vcc_lo
	v_cmp_le_u32_e32 vcc_lo, s33, v4
	s_cselect_b32 s8, -1, 0
	v_cndmask_b32_e64 v8, 0, -1, vcc_lo
	s_delay_alu instid0(VALU_DEP_3) | instskip(NEXT) | instid1(VALU_DEP_2)
	v_cmp_ne_u32_e32 vcc_lo, 0, v7
	v_cndmask_b32_e64 v7, -1, v8, s8
	v_cndmask_b32_e32 v8, s48, v9, vcc_lo
	v_cndmask_b32_e32 v6, v5, v6, vcc_lo
	s_delay_alu instid0(VALU_DEP_3) | instskip(NEXT) | instid1(VALU_DEP_3)
	v_cmp_ne_u32_e32 vcc_lo, 0, v7
	v_cndmask_b32_e32 v5, s26, v8, vcc_lo
	s_delay_alu instid0(VALU_DEP_3)
	v_cndmask_b32_e32 v4, v4, v6, vcc_lo
	s_cbranch_execnz .LBB129_153
.LBB129_152:                            ;   in Loop: Header=BB129_31 Depth=1
	v_cvt_f32_u32_e32 v4, s33
	s_sub_i32 s8, 0, s33
	s_delay_alu instid0(VALU_DEP_1) | instskip(SKIP_2) | instid1(VALU_DEP_1)
	v_rcp_iflag_f32_e32 v4, v4
	s_waitcnt_depctr 0xfff
	v_mul_f32_e32 v4, 0x4f7ffffe, v4
	v_cvt_u32_f32_e32 v4, v4
	s_delay_alu instid0(VALU_DEP_1) | instskip(NEXT) | instid1(VALU_DEP_1)
	v_mul_lo_u32 v5, s8, v4
	v_mul_hi_u32 v5, v4, v5
	s_delay_alu instid0(VALU_DEP_1) | instskip(NEXT) | instid1(VALU_DEP_1)
	v_add_nc_u32_e32 v4, v4, v5
	v_mul_hi_u32 v4, s25, v4
	s_delay_alu instid0(VALU_DEP_1) | instskip(NEXT) | instid1(VALU_DEP_1)
	v_mul_lo_u32 v4, v4, s33
	v_sub_nc_u32_e32 v4, s25, v4
	s_delay_alu instid0(VALU_DEP_1) | instskip(SKIP_1) | instid1(VALU_DEP_2)
	v_subrev_nc_u32_e32 v5, s33, v4
	v_cmp_le_u32_e32 vcc_lo, s33, v4
	v_cndmask_b32_e32 v4, v4, v5, vcc_lo
	s_delay_alu instid0(VALU_DEP_1) | instskip(SKIP_1) | instid1(VALU_DEP_2)
	v_subrev_nc_u32_e32 v5, s33, v4
	v_cmp_le_u32_e32 vcc_lo, s33, v4
	v_cndmask_b32_e32 v12, v4, v5, vcc_lo
	s_delay_alu instid0(VALU_DEP_1)
	v_dual_mov_b32 v4, v12 :: v_dual_mov_b32 v5, v13
.LBB129_153:                            ;   in Loop: Header=BB129_31 Depth=1
	s_delay_alu instid0(VALU_DEP_1) | instskip(NEXT) | instid1(VALU_DEP_2)
	v_sub_co_u32 v4, vcc_lo, s25, v4
	v_sub_co_ci_u32_e32 v5, vcc_lo, s9, v5, vcc_lo
	s_mov_b32 s8, 0
	s_mov_b32 s9, exec_lo
                                        ; implicit-def: $vgpr29
	s_delay_alu instid0(VALU_DEP_1)
	v_cmpx_gt_u64_e64 v[4:5], v[0:1]
	s_cbranch_execz .LBB129_164
; %bb.154:                              ;   in Loop: Header=BB129_31 Depth=1
	v_dual_mov_b32 v8, v0 :: v_dual_mov_b32 v7, v1
	v_mov_b32_e32 v6, v0
	s_mov_b32 s25, 0
                                        ; implicit-def: $sgpr26
	s_set_inst_prefetch_distance 0x1
	s_branch .LBB129_156
	.p2align	6
.LBB129_155:                            ;   in Loop: Header=BB129_156 Depth=2
	s_or_b32 exec_lo, exec_lo, s8
	s_waitcnt lgkmcnt(0)
	s_barrier
	buffer_gl0_inv
	ds_load_u16 v9, v13 offset:3072
	v_add_co_u32 v6, vcc_lo, v6, s33
	v_add_co_ci_u32_e32 v7, vcc_lo, 0, v7, vcc_lo
	v_add_nc_u32_e32 v8, s33, v8
	s_waitcnt lgkmcnt(0)
	s_barrier
	s_delay_alu instid0(VALU_DEP_2) | instskip(SKIP_2) | instid1(VALU_DEP_1)
	v_cmp_ge_u64_e32 vcc_lo, v[6:7], v[4:5]
	buffer_gl0_inv
	v_and_b32_e32 v12, 0xff, v9
	v_cmp_ne_u16_e64 s8, 0, v12
	s_delay_alu instid0(VALU_DEP_1) | instskip(NEXT) | instid1(SALU_CYCLE_1)
	s_or_b32 s48, vcc_lo, s8
	s_and_b32 s48, exec_lo, s48
	s_delay_alu instid0(SALU_CYCLE_1) | instskip(SKIP_2) | instid1(SALU_CYCLE_1)
	s_or_b32 s25, s48, s25
	s_and_not1_b32 s26, s26, exec_lo
	s_and_b32 s8, s8, exec_lo
	s_or_b32 s26, s26, s8
	s_and_not1_b32 exec_lo, exec_lo, s25
	s_cbranch_execz .LBB129_163
.LBB129_156:                            ;   Parent Loop BB129_31 Depth=1
                                        ; =>  This Inner Loop Header: Depth=2
	s_delay_alu instid0(VALU_DEP_1)
	v_cmp_gt_u64_e32 vcc_lo, s[18:19], v[6:7]
	v_mov_b32_e32 v9, 0
	s_and_saveexec_b32 s8, vcc_lo
	s_cbranch_execz .LBB129_158
; %bb.157:                              ;   in Loop: Header=BB129_156 Depth=2
	ds_load_u8 v9, v8
.LBB129_158:                            ;   in Loop: Header=BB129_156 Depth=2
	s_or_b32 exec_lo, exec_lo, s8
	s_waitcnt lgkmcnt(0)
	v_and_b32_e32 v12, v9, v28
	s_delay_alu instid0(VALU_DEP_1) | instskip(NEXT) | instid1(VALU_DEP_1)
	v_and_b32_e32 v12, 0xff, v12
	v_cmp_eq_u32_e64 s8, v12, v27
	s_delay_alu instid0(VALU_DEP_1) | instskip(NEXT) | instid1(SALU_CYCLE_1)
	s_and_b32 s48, vcc_lo, s8
	s_and_saveexec_b32 s8, s48
	s_cbranch_execz .LBB129_155
; %bb.159:                              ;   in Loop: Header=BB129_156 Depth=2
	v_lshlrev_b16 v9, 8, v9
	s_delay_alu instid0(VALU_DEP_1)
	v_or_b32_e32 v9, 1, v9
	ds_store_b16 v13, v9 offset:3072
	s_branch .LBB129_155
.LBB129_160:                            ;   in Loop: Header=BB129_31 Depth=1
                                        ; implicit-def: $vgpr2_vgpr3
	s_branch .LBB129_108
.LBB129_161:                            ;   in Loop: Header=BB129_31 Depth=1
                                        ; implicit-def: $vgpr2_vgpr3
	s_branch .LBB129_123
.LBB129_162:                            ;   in Loop: Header=BB129_31 Depth=1
	s_mov_b32 s25, -1
	s_mov_b32 s8, 0
                                        ; implicit-def: $sgpr67
                                        ; implicit-def: $vgpr29
	s_mov_b32 s68, s25
	s_cbranch_execnz .LBB129_165
	s_branch .LBB129_177
.LBB129_163:                            ;   in Loop: Header=BB129_31 Depth=1
	s_set_inst_prefetch_distance 0x2
	s_or_b32 exec_lo, exec_lo, s25
	v_lshrrev_b16 v29, 8, v9
	s_and_b32 s8, s26, exec_lo
.LBB129_164:                            ;   in Loop: Header=BB129_31 Depth=1
	s_or_b32 exec_lo, exec_lo, s9
	s_mov_b32 s67, -1
	s_mov_b32 s25, 0
	s_delay_alu instid0(SALU_CYCLE_1)
	s_mov_b32 s68, s25
	s_branch .LBB129_177
.LBB129_165:                            ;   in Loop: Header=BB129_31 Depth=1
	s_mov_b32 s26, s55
	s_delay_alu instid0(SALU_CYCLE_1)
	s_cmp_lg_u64 s[26:27], 0
	s_cbranch_scc0 .LBB129_205
; %bb.166:                              ;   in Loop: Header=BB129_31 Depth=1
	v_cvt_f32_u32_e32 v4, s33
	s_sub_u32 s18, 0, s33
	s_subb_u32 s19, 0, 0
	s_delay_alu instid0(VALU_DEP_1) | instskip(NEXT) | instid1(VALU_DEP_1)
	v_fmac_f32_e64 v4, 0, 0x4f800000
	v_rcp_f32_e32 v4, v4
	s_waitcnt_depctr 0xfff
	v_mul_f32_e32 v4, 0x5f7ffffc, v4
	s_delay_alu instid0(VALU_DEP_1) | instskip(NEXT) | instid1(VALU_DEP_1)
	v_mul_f32_e32 v5, 0x2f800000, v4
	v_trunc_f32_e32 v5, v5
	s_delay_alu instid0(VALU_DEP_1) | instskip(SKIP_1) | instid1(VALU_DEP_2)
	v_fmac_f32_e32 v4, 0xcf800000, v5
	v_cvt_u32_f32_e32 v5, v5
	v_cvt_u32_f32_e32 v4, v4
	s_delay_alu instid0(VALU_DEP_2) | instskip(NEXT) | instid1(VALU_DEP_2)
	v_readfirstlane_b32 s8, v5
	v_readfirstlane_b32 s9, v4
	s_delay_alu instid0(VALU_DEP_2) | instskip(NEXT) | instid1(VALU_DEP_1)
	s_mul_i32 s25, s18, s8
	s_mul_hi_u32 s48, s18, s9
	s_mul_i32 s26, s19, s9
	s_add_i32 s25, s48, s25
	s_mul_i32 s49, s18, s9
	s_add_i32 s25, s25, s26
	s_mul_hi_u32 s48, s9, s49
	s_mul_hi_u32 s67, s8, s49
	s_mul_i32 s26, s8, s49
	s_mul_hi_u32 s49, s9, s25
	s_mul_i32 s9, s9, s25
	s_mul_hi_u32 s68, s8, s25
	s_add_u32 s9, s48, s9
	s_addc_u32 s48, 0, s49
	s_add_u32 s9, s9, s26
	s_mul_i32 s25, s8, s25
	s_addc_u32 s9, s48, s67
	s_addc_u32 s26, s68, 0
	s_add_u32 s9, s9, s25
	s_addc_u32 s25, 0, s26
	v_add_co_u32 v4, s9, v4, s9
	s_delay_alu instid0(VALU_DEP_1) | instskip(SKIP_1) | instid1(VALU_DEP_1)
	s_cmp_lg_u32 s9, 0
	s_addc_u32 s8, s8, s25
	v_readfirstlane_b32 s9, v4
	s_mul_i32 s25, s18, s8
	s_delay_alu instid0(VALU_DEP_1)
	s_mul_hi_u32 s26, s18, s9
	s_mul_i32 s19, s19, s9
	s_add_i32 s25, s26, s25
	s_mul_i32 s18, s18, s9
	s_add_i32 s25, s25, s19
	s_mul_hi_u32 s26, s8, s18
	s_mul_i32 s48, s8, s18
	s_mul_hi_u32 s18, s9, s18
	s_mul_hi_u32 s49, s9, s25
	s_mul_i32 s9, s9, s25
	s_mul_hi_u32 s19, s8, s25
	s_add_u32 s9, s18, s9
	s_addc_u32 s18, 0, s49
	s_add_u32 s9, s9, s48
	s_mul_i32 s25, s8, s25
	s_addc_u32 s9, s18, s26
	s_addc_u32 s18, s19, 0
	s_add_u32 s9, s9, s25
	s_addc_u32 s18, 0, s18
	v_add_co_u32 v4, s9, v4, s9
	s_delay_alu instid0(VALU_DEP_1) | instskip(SKIP_1) | instid1(VALU_DEP_1)
	s_cmp_lg_u32 s9, 0
	s_addc_u32 s8, s8, s18
	v_readfirstlane_b32 s9, v4
	s_mul_i32 s19, s83, s8
	s_mul_hi_u32 s18, s83, s8
	s_mul_hi_u32 s25, s27, s8
	s_mul_i32 s8, s27, s8
	s_mul_hi_u32 s26, s83, s9
	s_mul_hi_u32 s48, s27, s9
	s_mul_i32 s9, s27, s9
	s_add_u32 s19, s26, s19
	s_addc_u32 s18, 0, s18
	s_add_u32 s9, s19, s9
	s_addc_u32 s9, s18, s48
	s_addc_u32 s18, s25, 0
	s_add_u32 s8, s9, s8
	s_addc_u32 s9, 0, s18
	s_mul_hi_u32 s18, s33, s8
	s_mul_i32 s8, s33, s8
	s_mul_i32 s9, s33, s9
	v_sub_co_u32 v4, s8, s83, s8
	s_add_i32 s18, s18, s9
	s_cmp_lg_u32 s8, 0
	s_delay_alu instid0(VALU_DEP_1) | instskip(SKIP_2) | instid1(VALU_DEP_1)
	v_sub_co_u32 v5, s8, v4, s33
	s_subb_u32 s9, s27, s18
	s_cmp_lg_u32 s8, 0
	v_cmp_le_u32_e32 vcc_lo, s33, v5
	v_sub_co_u32 v6, s8, v5, s33
	s_subb_u32 s18, s9, 0
	s_cmp_lg_u32 s8, 0
	v_cndmask_b32_e64 v7, 0, -1, vcc_lo
	s_subb_u32 s8, s18, 0
	s_cmp_eq_u32 s18, 0
	v_mov_b32_e32 v9, s8
	s_cselect_b32 vcc_lo, -1, 0
	s_cmp_eq_u32 s9, 0
	v_cndmask_b32_e32 v7, -1, v7, vcc_lo
	v_cmp_le_u32_e32 vcc_lo, s33, v4
	s_cselect_b32 s8, -1, 0
	v_cndmask_b32_e64 v8, 0, -1, vcc_lo
	s_delay_alu instid0(VALU_DEP_3) | instskip(NEXT) | instid1(VALU_DEP_2)
	v_cmp_ne_u32_e32 vcc_lo, 0, v7
	v_cndmask_b32_e64 v7, -1, v8, s8
	v_cndmask_b32_e32 v8, s18, v9, vcc_lo
	v_cndmask_b32_e32 v6, v5, v6, vcc_lo
	s_delay_alu instid0(VALU_DEP_3) | instskip(NEXT) | instid1(VALU_DEP_3)
	v_cmp_ne_u32_e32 vcc_lo, 0, v7
	v_cndmask_b32_e32 v5, s9, v8, vcc_lo
	s_delay_alu instid0(VALU_DEP_3)
	v_cndmask_b32_e32 v4, v4, v6, vcc_lo
	s_cbranch_execnz .LBB129_168
.LBB129_167:                            ;   in Loop: Header=BB129_31 Depth=1
	v_cvt_f32_u32_e32 v4, s33
	s_sub_i32 s8, 0, s33
	s_delay_alu instid0(VALU_DEP_1) | instskip(SKIP_2) | instid1(VALU_DEP_1)
	v_rcp_iflag_f32_e32 v4, v4
	s_waitcnt_depctr 0xfff
	v_mul_f32_e32 v4, 0x4f7ffffe, v4
	v_cvt_u32_f32_e32 v4, v4
	s_delay_alu instid0(VALU_DEP_1) | instskip(NEXT) | instid1(VALU_DEP_1)
	v_mul_lo_u32 v5, s8, v4
	v_mul_hi_u32 v5, v4, v5
	s_delay_alu instid0(VALU_DEP_1) | instskip(NEXT) | instid1(VALU_DEP_1)
	v_add_nc_u32_e32 v4, v4, v5
	v_mul_hi_u32 v4, s83, v4
	s_delay_alu instid0(VALU_DEP_1) | instskip(NEXT) | instid1(VALU_DEP_1)
	v_mul_lo_u32 v4, v4, s33
	v_sub_nc_u32_e32 v4, s83, v4
	s_delay_alu instid0(VALU_DEP_1) | instskip(SKIP_1) | instid1(VALU_DEP_2)
	v_subrev_nc_u32_e32 v5, s33, v4
	v_cmp_le_u32_e32 vcc_lo, s33, v4
	v_cndmask_b32_e32 v4, v4, v5, vcc_lo
	s_delay_alu instid0(VALU_DEP_1) | instskip(SKIP_1) | instid1(VALU_DEP_2)
	v_subrev_nc_u32_e32 v5, s33, v4
	v_cmp_le_u32_e32 vcc_lo, s33, v4
	v_cndmask_b32_e32 v12, v4, v5, vcc_lo
	s_delay_alu instid0(VALU_DEP_1)
	v_dual_mov_b32 v4, v12 :: v_dual_mov_b32 v5, v13
.LBB129_168:                            ;   in Loop: Header=BB129_31 Depth=1
	s_delay_alu instid0(VALU_DEP_1) | instskip(NEXT) | instid1(VALU_DEP_2)
	v_sub_co_u32 v4, vcc_lo, s83, v4
	v_sub_co_ci_u32_e32 v5, vcc_lo, s27, v5, vcc_lo
	s_mov_b32 s8, 0
	s_mov_b32 s9, exec_lo
                                        ; implicit-def: $vgpr29
	s_delay_alu instid0(VALU_DEP_1)
	v_cmpx_gt_u64_e64 v[4:5], v[0:1]
	s_cbranch_execz .LBB129_176
; %bb.169:                              ;   in Loop: Header=BB129_31 Depth=1
	v_dual_mov_b32 v6, v23 :: v_dual_mov_b32 v7, v24
	v_dual_mov_b32 v9, v1 :: v_dual_mov_b32 v8, v0
	s_mov_b32 s18, 0
                                        ; implicit-def: $sgpr19
	s_set_inst_prefetch_distance 0x1
	s_branch .LBB129_171
	.p2align	6
.LBB129_170:                            ;   in Loop: Header=BB129_171 Depth=2
	s_or_b32 exec_lo, exec_lo, s8
	s_waitcnt lgkmcnt(0)
	s_barrier
	buffer_gl0_inv
	ds_load_u16 v12, v13 offset:3072
	v_add_co_u32 v8, vcc_lo, v8, s33
	v_add_co_ci_u32_e32 v9, vcc_lo, 0, v9, vcc_lo
	s_waitcnt lgkmcnt(0)
	s_barrier
	buffer_gl0_inv
	v_cmp_ge_u64_e32 vcc_lo, v[8:9], v[4:5]
	v_and_b32_e32 v29, 0xff, v12
	s_delay_alu instid0(VALU_DEP_1) | instskip(NEXT) | instid1(VALU_DEP_1)
	v_cmp_ne_u16_e64 s8, 0, v29
	s_or_b32 s25, vcc_lo, s8
	v_add_co_u32 v6, vcc_lo, v6, s75
	s_and_b32 s25, exec_lo, s25
	v_add_co_ci_u32_e32 v7, vcc_lo, s74, v7, vcc_lo
	s_or_b32 s18, s25, s18
	s_and_not1_b32 s19, s19, exec_lo
	s_and_b32 s8, s8, exec_lo
	s_delay_alu instid0(SALU_CYCLE_1)
	s_or_b32 s19, s19, s8
	s_and_not1_b32 exec_lo, exec_lo, s18
	s_cbranch_execz .LBB129_175
.LBB129_171:                            ;   Parent Loop BB129_31 Depth=1
                                        ; =>  This Inner Loop Header: Depth=2
	s_delay_alu instid0(VALU_DEP_1)
	v_cmp_gt_u64_e32 vcc_lo, s[36:37], v[8:9]
	v_mov_b32_e32 v12, 0
	s_and_saveexec_b32 s8, vcc_lo
	s_cbranch_execz .LBB129_173
; %bb.172:                              ;   in Loop: Header=BB129_171 Depth=2
	global_load_u8 v12, v[6:7], off
.LBB129_173:                            ;   in Loop: Header=BB129_171 Depth=2
	s_or_b32 exec_lo, exec_lo, s8
	s_waitcnt vmcnt(0)
	v_and_b32_e32 v29, v12, v28
	s_delay_alu instid0(VALU_DEP_1) | instskip(NEXT) | instid1(VALU_DEP_1)
	v_and_b32_e32 v29, 0xff, v29
	v_cmp_eq_u32_e64 s8, v29, v27
	s_delay_alu instid0(VALU_DEP_1) | instskip(NEXT) | instid1(SALU_CYCLE_1)
	s_and_b32 s25, vcc_lo, s8
	s_and_saveexec_b32 s8, s25
	s_cbranch_execz .LBB129_170
; %bb.174:                              ;   in Loop: Header=BB129_171 Depth=2
	v_lshlrev_b16 v12, 8, v12
	s_delay_alu instid0(VALU_DEP_1)
	v_or_b32_e32 v12, 1, v12
	ds_store_b16 v13, v12 offset:3072
	s_branch .LBB129_170
.LBB129_175:                            ;   in Loop: Header=BB129_31 Depth=1
	s_set_inst_prefetch_distance 0x2
	s_or_b32 exec_lo, exec_lo, s18
	v_lshrrev_b16 v29, 8, v12
	s_and_b32 s8, s19, exec_lo
.LBB129_176:                            ;   in Loop: Header=BB129_31 Depth=1
	s_or_b32 exec_lo, exec_lo, s9
	s_mov_b32 s68, -1
	s_mov_b32 s25, 0
	s_mov_b32 s67, 0
.LBB129_177:                            ;   in Loop: Header=BB129_31 Depth=1
	s_or_not1_b32 s8, s8, exec_lo
.LBB129_178:                            ;   in Loop: Header=BB129_31 Depth=1
	s_or_b32 exec_lo, exec_lo, s69
	s_mov_b32 s26, 0
                                        ; implicit-def: $vgpr6
	s_and_saveexec_b32 s69, s8
	s_cbranch_execz .LBB129_287
; %bb.179:                              ;   in Loop: Header=BB129_31 Depth=1
	v_mov_b32_e32 v4, 1
	v_dual_mov_b32 v5, 0 :: v_dual_mov_b32 v6, 1
	s_xor_b32 s9, s70, -1
	s_delay_alu instid0(SALU_CYCLE_1)
	s_and_saveexec_b32 s8, s9
	s_cbranch_execz .LBB129_189
; %bb.180:                              ;   in Loop: Header=BB129_31 Depth=1
	s_mov_b32 s18, exec_lo
                                        ; implicit-def: $sgpr19
                                        ; implicit-def: $sgpr9
	v_cmpx_ge_u64_e64 s[12:13], v[2:3]
	s_xor_b32 s18, exec_lo, s18
	s_cbranch_execz .LBB129_186
; %bb.181:                              ;   in Loop: Header=BB129_31 Depth=1
	ds_load_b64 v[4:5], v13 offset:5120
	s_waitcnt lgkmcnt(0)
	v_cmp_ne_u64_e32 vcc_lo, 0, v[4:5]
	s_cbranch_vccnz .LBB129_185
; %bb.182:                              ;   in Loop: Header=BB129_31 Depth=1
	s_and_saveexec_b32 s9, s5
	s_cbranch_execz .LBB129_184
; %bb.183:                              ;   in Loop: Header=BB129_31 Depth=1
	v_dual_mov_b32 v4, s12 :: v_dual_mov_b32 v5, s13
	ds_store_b64 v13, v[4:5] offset:5128
.LBB129_184:                            ;   in Loop: Header=BB129_31 Depth=1
	s_or_b32 exec_lo, exec_lo, s9
	s_waitcnt lgkmcnt(0)
	s_barrier
	buffer_gl0_inv
.LBB129_185:                            ;   in Loop: Header=BB129_31 Depth=1
	s_lshl_b32 s9, 1, s22
	v_or_b32_e32 v28, s20, v28
	v_and_or_b32 v27, v27, s21, s9
	s_mov_b32 s9, 0
	s_mov_b32 s19, 8
.LBB129_186:                            ;   in Loop: Header=BB129_31 Depth=1
	s_or_saveexec_b32 s18, s18
	v_mov_b32_e32 v6, s19
	s_xor_b32 exec_lo, exec_lo, s18
; %bb.187:                              ;   in Loop: Header=BB129_31 Depth=1
	v_sub_co_u32 v2, vcc_lo, v2, s12
	v_subrev_co_ci_u32_e32 v3, vcc_lo, s13, v3, vcc_lo
	v_mov_b32_e32 v6, 0
	s_or_b32 s9, s9, exec_lo
; %bb.188:                              ;   in Loop: Header=BB129_31 Depth=1
	s_or_b32 exec_lo, exec_lo, s18
	s_delay_alu instid0(VALU_DEP_2)
	v_dual_mov_b32 v5, v3 :: v_dual_mov_b32 v4, v2
	s_and_b32 s26, s9, exec_lo
.LBB129_189:                            ;   in Loop: Header=BB129_31 Depth=1
	s_or_b32 exec_lo, exec_lo, s8
	s_mov_b32 s8, -1
                                        ; implicit-def: $sgpr9
                                        ; implicit-def: $sgpr18
                                        ; implicit-def: $sgpr19
	s_and_saveexec_b32 s70, s26
	s_cbranch_execz .LBB129_286
; %bb.190:                              ;   in Loop: Header=BB129_31 Depth=1
	v_cmp_eq_u64_e32 vcc_lo, 1, v[4:5]
	s_cmp_eq_u64 s[14:15], 1
                                        ; implicit-def: $sgpr71
                                        ; implicit-def: $sgpr73
                                        ; implicit-def: $sgpr72
	s_cselect_b32 s8, -1, 0
	s_delay_alu instid0(SALU_CYCLE_1)
	s_and_b32 s103, s8, vcc_lo
	s_mov_b32 s8, -1
	s_and_saveexec_b32 s102, s103
	s_cbranch_execz .LBB129_222
; %bb.191:                              ;   in Loop: Header=BB129_31 Depth=1
	ds_load_b64 v[2:3], v13 offset:5120
	s_waitcnt lgkmcnt(0)
	s_barrier
	buffer_gl0_inv
	v_readfirstlane_b32 s18, v2
	v_readfirstlane_b32 s19, v3
	s_and_saveexec_b32 s8, s6
	s_cbranch_execz .LBB129_193
; %bb.192:                              ;   in Loop: Header=BB129_31 Depth=1
	ds_store_b8 v0, v13 offset:3072
.LBB129_193:                            ;   in Loop: Header=BB129_31 Depth=1
	s_or_b32 exec_lo, exec_lo, s8
	s_lshl_b32 s8, 2, s22
	v_or_b32_e32 v28, s20, v28
	v_and_or_b32 v27, v27, s21, s8
	s_cmp_eq_u64 s[18:19], 0
	s_waitcnt lgkmcnt(0)
	s_barrier
	buffer_gl0_inv
	s_cbranch_scc1 .LBB129_206
; %bb.194:                              ;   in Loop: Header=BB129_31 Depth=1
	s_add_u32 s26, s81, s18
	s_addc_u32 s9, s82, s19
	s_mov_b32 s8, s55
	s_delay_alu instid0(SALU_CYCLE_1)
	s_cmp_lg_u64 s[8:9], 0
	s_cbranch_scc0 .LBB129_240
; %bb.195:                              ;   in Loop: Header=BB129_31 Depth=1
	v_cvt_f32_u32_e32 v2, s33
	s_sub_u32 s49, 0, s33
	s_subb_u32 s71, 0, 0
	s_delay_alu instid0(VALU_DEP_1) | instskip(NEXT) | instid1(VALU_DEP_1)
	v_fmac_f32_e64 v2, 0, 0x4f800000
	v_rcp_f32_e32 v2, v2
	s_waitcnt_depctr 0xfff
	v_mul_f32_e32 v2, 0x5f7ffffc, v2
	s_delay_alu instid0(VALU_DEP_1) | instskip(NEXT) | instid1(VALU_DEP_1)
	v_mul_f32_e32 v3, 0x2f800000, v2
	v_trunc_f32_e32 v3, v3
	s_delay_alu instid0(VALU_DEP_1) | instskip(SKIP_1) | instid1(VALU_DEP_2)
	v_fmac_f32_e32 v2, 0xcf800000, v3
	v_cvt_u32_f32_e32 v3, v3
	v_cvt_u32_f32_e32 v2, v2
	s_delay_alu instid0(VALU_DEP_2) | instskip(NEXT) | instid1(VALU_DEP_2)
	v_readfirstlane_b32 s8, v3
	v_readfirstlane_b32 s48, v2
	s_delay_alu instid0(VALU_DEP_2) | instskip(NEXT) | instid1(VALU_DEP_1)
	s_mul_i32 s72, s49, s8
	s_mul_hi_u32 s104, s49, s48
	s_mul_i32 s73, s71, s48
	s_add_i32 s72, s104, s72
	s_mul_i32 vcc_lo, s49, s48
	s_add_i32 s72, s72, s73
	s_mul_hi_u32 s104, s48, vcc_lo
	s_mul_hi_u32 vcc_hi, s8, vcc_lo
	s_mul_i32 s73, s8, vcc_lo
	s_mul_hi_u32 vcc_lo, s48, s72
	s_mul_i32 s48, s48, s72
	s_mul_hi_u32 s50, s8, s72
	s_add_u32 s48, s104, s48
	s_mul_i32 s51, s8, s72
	s_addc_u32 s72, 0, vcc_lo
	s_add_u32 s48, s48, s73
	s_addc_u32 s48, s72, vcc_hi
	s_addc_u32 s50, s50, 0
	s_add_u32 s48, s48, s51
	s_addc_u32 s50, 0, s50
	v_add_co_u32 v2, s48, v2, s48
	s_delay_alu instid0(VALU_DEP_1) | instskip(SKIP_1) | instid1(VALU_DEP_1)
	s_cmp_lg_u32 s48, 0
	s_addc_u32 s8, s8, s50
	v_readfirstlane_b32 s48, v2
	s_mul_i32 s50, s49, s8
	s_delay_alu instid0(VALU_DEP_1)
	s_mul_hi_u32 s51, s49, s48
	s_mul_i32 s71, s71, s48
	s_add_i32 s50, s51, s50
	s_mul_i32 s49, s49, s48
	s_add_i32 s50, s50, s71
	s_mul_hi_u32 s51, s8, s49
	s_mul_i32 s72, s8, s49
	s_mul_hi_u32 s49, s48, s49
	s_mul_hi_u32 s73, s48, s50
	s_mul_i32 s48, s48, s50
	s_mul_hi_u32 s71, s8, s50
	s_add_u32 s48, s49, s48
	s_addc_u32 s49, 0, s73
	s_add_u32 s48, s48, s72
	s_mul_i32 s50, s8, s50
	s_addc_u32 s48, s49, s51
	s_addc_u32 s49, s71, 0
	s_add_u32 s48, s48, s50
	s_addc_u32 s49, 0, s49
	v_add_co_u32 v2, s48, v2, s48
	s_delay_alu instid0(VALU_DEP_1) | instskip(SKIP_1) | instid1(VALU_DEP_1)
	s_cmp_lg_u32 s48, 0
	s_addc_u32 s8, s8, s49
	v_readfirstlane_b32 s48, v2
	s_mul_i32 s50, s26, s8
	s_mul_hi_u32 s49, s26, s8
	s_mul_hi_u32 s51, s9, s8
	s_mul_i32 s8, s9, s8
	s_mul_hi_u32 s71, s26, s48
	s_mul_hi_u32 s72, s9, s48
	s_mul_i32 s48, s9, s48
	s_add_u32 s50, s71, s50
	s_addc_u32 s49, 0, s49
	s_add_u32 s48, s50, s48
	s_addc_u32 s48, s49, s72
	s_addc_u32 s49, s51, 0
	s_add_u32 s8, s48, s8
	s_addc_u32 s48, 0, s49
	s_mul_hi_u32 s49, s33, s8
	s_mul_i32 s8, s33, s8
	s_mul_i32 s48, s33, s48
	v_sub_co_u32 v2, s8, s26, s8
	s_add_i32 s49, s49, s48
	s_cmp_lg_u32 s8, 0
	s_delay_alu instid0(VALU_DEP_1) | instskip(SKIP_3) | instid1(VALU_DEP_2)
	v_sub_co_u32 v3, s8, v2, s33
	s_subb_u32 s48, s9, s49
	s_cmp_lg_u32 s8, 0
	v_cmp_le_u32_e32 vcc_lo, s33, v2
	v_cmp_le_u32_e64 s8, s33, v3
	v_sub_co_u32 v6, s49, v3, s33
	s_subb_u32 s50, s48, 0
	s_cmp_lg_u32 s49, 0
	s_delay_alu instid0(VALU_DEP_2)
	v_cndmask_b32_e64 v7, 0, -1, s8
	s_subb_u32 s49, s50, 0
	s_cmp_eq_u32 s50, 0
	v_mov_b32_e32 v9, s49
	v_cndmask_b32_e64 v8, 0, -1, vcc_lo
	s_cselect_b32 vcc_lo, -1, 0
	s_cmp_eq_u32 s48, 0
	v_cndmask_b32_e32 v7, -1, v7, vcc_lo
	s_cselect_b32 vcc_lo, -1, 0
	v_cndmask_b32_e32 v8, -1, v8, vcc_lo
	s_delay_alu instid0(VALU_DEP_2) | instskip(NEXT) | instid1(VALU_DEP_2)
	v_cmp_ne_u32_e32 vcc_lo, 0, v7
	v_cmp_ne_u32_e64 s8, 0, v8
	v_cndmask_b32_e32 v7, s50, v9, vcc_lo
	v_cndmask_b32_e32 v6, v3, v6, vcc_lo
	s_delay_alu instid0(VALU_DEP_2) | instskip(NEXT) | instid1(VALU_DEP_2)
	v_cndmask_b32_e64 v3, s48, v7, s8
	v_cndmask_b32_e64 v2, v2, v6, s8
	s_cbranch_execnz .LBB129_197
.LBB129_196:                            ;   in Loop: Header=BB129_31 Depth=1
	v_cvt_f32_u32_e32 v2, s33
	s_sub_i32 s8, 0, s33
	s_delay_alu instid0(VALU_DEP_1) | instskip(SKIP_2) | instid1(VALU_DEP_1)
	v_rcp_iflag_f32_e32 v2, v2
	s_waitcnt_depctr 0xfff
	v_mul_f32_e32 v2, 0x4f7ffffe, v2
	v_cvt_u32_f32_e32 v2, v2
	s_delay_alu instid0(VALU_DEP_1) | instskip(NEXT) | instid1(VALU_DEP_1)
	v_mul_lo_u32 v3, s8, v2
	v_mul_hi_u32 v3, v2, v3
	s_delay_alu instid0(VALU_DEP_1) | instskip(NEXT) | instid1(VALU_DEP_1)
	v_add_nc_u32_e32 v2, v2, v3
	v_mul_hi_u32 v2, s26, v2
	s_delay_alu instid0(VALU_DEP_1) | instskip(NEXT) | instid1(VALU_DEP_1)
	v_mul_lo_u32 v2, v2, s33
	v_sub_nc_u32_e32 v2, s26, v2
	s_delay_alu instid0(VALU_DEP_1) | instskip(SKIP_1) | instid1(VALU_DEP_2)
	v_subrev_nc_u32_e32 v3, s33, v2
	v_cmp_le_u32_e32 vcc_lo, s33, v2
	v_cndmask_b32_e32 v2, v2, v3, vcc_lo
	s_delay_alu instid0(VALU_DEP_1) | instskip(SKIP_1) | instid1(VALU_DEP_2)
	v_subrev_nc_u32_e32 v3, s33, v2
	v_cmp_le_u32_e32 vcc_lo, s33, v2
	v_cndmask_b32_e32 v12, v2, v3, vcc_lo
	s_delay_alu instid0(VALU_DEP_1)
	v_dual_mov_b32 v2, v12 :: v_dual_mov_b32 v3, v13
.LBB129_197:                            ;   in Loop: Header=BB129_31 Depth=1
	s_delay_alu instid0(VALU_DEP_1) | instskip(NEXT) | instid1(VALU_DEP_2)
	v_sub_co_u32 v2, vcc_lo, s26, v2
	v_sub_co_ci_u32_e32 v3, vcc_lo, s9, v3, vcc_lo
	s_mov_b32 s8, 0
	s_mov_b32 s9, exec_lo
                                        ; implicit-def: $vgpr29
	s_delay_alu instid0(VALU_DEP_1)
	v_cmpx_gt_u64_e64 v[2:3], v[0:1]
	s_cbranch_execz .LBB129_208
; %bb.198:                              ;   in Loop: Header=BB129_31 Depth=1
	v_dual_mov_b32 v8, v0 :: v_dual_mov_b32 v7, v1
	v_mov_b32_e32 v6, v0
	s_mov_b32 s26, 0
                                        ; implicit-def: $sgpr71
	s_set_inst_prefetch_distance 0x1
	s_branch .LBB129_200
	.p2align	6
.LBB129_199:                            ;   in Loop: Header=BB129_200 Depth=2
	s_or_b32 exec_lo, exec_lo, s8
	s_waitcnt lgkmcnt(0)
	s_barrier
	buffer_gl0_inv
	ds_load_u16 v9, v13 offset:3072
	v_add_co_u32 v6, vcc_lo, v6, s33
	v_add_co_ci_u32_e32 v7, vcc_lo, 0, v7, vcc_lo
	v_add_nc_u32_e32 v8, s33, v8
	s_waitcnt lgkmcnt(0)
	s_barrier
	s_delay_alu instid0(VALU_DEP_2) | instskip(SKIP_2) | instid1(VALU_DEP_1)
	v_cmp_ge_u64_e32 vcc_lo, v[6:7], v[2:3]
	buffer_gl0_inv
	v_and_b32_e32 v12, 0xff, v9
	v_cmp_ne_u16_e64 s8, 0, v12
	s_delay_alu instid0(VALU_DEP_1) | instskip(NEXT) | instid1(SALU_CYCLE_1)
	s_or_b32 s48, vcc_lo, s8
	s_and_b32 s48, exec_lo, s48
	s_delay_alu instid0(SALU_CYCLE_1) | instskip(SKIP_2) | instid1(SALU_CYCLE_1)
	s_or_b32 s26, s48, s26
	s_and_not1_b32 s48, s71, exec_lo
	s_and_b32 s8, s8, exec_lo
	s_or_b32 s71, s48, s8
	s_and_not1_b32 exec_lo, exec_lo, s26
	s_cbranch_execz .LBB129_207
.LBB129_200:                            ;   Parent Loop BB129_31 Depth=1
                                        ; =>  This Inner Loop Header: Depth=2
	s_delay_alu instid0(VALU_DEP_1)
	v_cmp_gt_u64_e32 vcc_lo, s[18:19], v[6:7]
	v_mov_b32_e32 v9, 0
	s_and_saveexec_b32 s8, vcc_lo
	s_cbranch_execz .LBB129_202
; %bb.201:                              ;   in Loop: Header=BB129_200 Depth=2
	ds_load_u8 v9, v8
.LBB129_202:                            ;   in Loop: Header=BB129_200 Depth=2
	s_or_b32 exec_lo, exec_lo, s8
	s_waitcnt lgkmcnt(0)
	v_and_b32_e32 v12, v9, v28
	s_delay_alu instid0(VALU_DEP_1) | instskip(NEXT) | instid1(VALU_DEP_1)
	v_and_b32_e32 v12, 0xff, v12
	v_cmp_eq_u32_e64 s8, v12, v27
	s_delay_alu instid0(VALU_DEP_1) | instskip(NEXT) | instid1(SALU_CYCLE_1)
	s_and_b32 s48, vcc_lo, s8
	s_and_saveexec_b32 s8, s48
	s_cbranch_execz .LBB129_199
; %bb.203:                              ;   in Loop: Header=BB129_200 Depth=2
	v_lshlrev_b16 v9, 8, v9
	s_delay_alu instid0(VALU_DEP_1)
	v_or_b32_e32 v9, 1, v9
	ds_store_b16 v13, v9 offset:3072
	s_branch .LBB129_199
.LBB129_204:                            ;   in Loop: Header=BB129_31 Depth=1
                                        ; implicit-def: $vgpr4_vgpr5
	s_branch .LBB129_152
.LBB129_205:                            ;   in Loop: Header=BB129_31 Depth=1
                                        ; implicit-def: $vgpr4_vgpr5
	s_branch .LBB129_167
.LBB129_206:                            ;   in Loop: Header=BB129_31 Depth=1
	s_mov_b32 s71, -1
	s_mov_b32 s8, 0
                                        ; implicit-def: $sgpr72
                                        ; implicit-def: $vgpr29
	s_mov_b32 s73, s71
	s_cbranch_execnz .LBB129_209
	s_branch .LBB129_221
.LBB129_207:                            ;   in Loop: Header=BB129_31 Depth=1
	s_set_inst_prefetch_distance 0x2
	s_or_b32 exec_lo, exec_lo, s26
	v_lshrrev_b16 v29, 8, v9
	s_and_b32 s8, s71, exec_lo
.LBB129_208:                            ;   in Loop: Header=BB129_31 Depth=1
	s_or_b32 exec_lo, exec_lo, s9
	s_mov_b32 s72, -1
	s_mov_b32 s71, 0
	s_delay_alu instid0(SALU_CYCLE_1)
	s_mov_b32 s73, s71
	s_branch .LBB129_221
.LBB129_209:                            ;   in Loop: Header=BB129_31 Depth=1
	s_mov_b32 s26, s55
	s_delay_alu instid0(SALU_CYCLE_1)
	s_cmp_lg_u64 s[26:27], 0
	s_cbranch_scc0 .LBB129_241
; %bb.210:                              ;   in Loop: Header=BB129_31 Depth=1
	v_cvt_f32_u32_e32 v2, s33
	s_sub_u32 s18, 0, s33
	s_subb_u32 s19, 0, 0
	s_delay_alu instid0(VALU_DEP_1) | instskip(NEXT) | instid1(VALU_DEP_1)
	v_fmac_f32_e64 v2, 0, 0x4f800000
	v_rcp_f32_e32 v2, v2
	s_waitcnt_depctr 0xfff
	v_mul_f32_e32 v2, 0x5f7ffffc, v2
	s_delay_alu instid0(VALU_DEP_1) | instskip(NEXT) | instid1(VALU_DEP_1)
	v_mul_f32_e32 v3, 0x2f800000, v2
	v_trunc_f32_e32 v3, v3
	s_delay_alu instid0(VALU_DEP_1) | instskip(SKIP_1) | instid1(VALU_DEP_2)
	v_fmac_f32_e32 v2, 0xcf800000, v3
	v_cvt_u32_f32_e32 v3, v3
	v_cvt_u32_f32_e32 v2, v2
	s_delay_alu instid0(VALU_DEP_2) | instskip(NEXT) | instid1(VALU_DEP_2)
	v_readfirstlane_b32 s8, v3
	v_readfirstlane_b32 s9, v2
	s_delay_alu instid0(VALU_DEP_2) | instskip(NEXT) | instid1(VALU_DEP_1)
	s_mul_i32 s26, s18, s8
	s_mul_hi_u32 s49, s18, s9
	s_mul_i32 s48, s19, s9
	s_add_i32 s26, s49, s26
	s_mul_i32 s50, s18, s9
	s_add_i32 s26, s26, s48
	s_mul_hi_u32 s49, s9, s50
	s_mul_hi_u32 s51, s8, s50
	s_mul_i32 s48, s8, s50
	s_mul_hi_u32 s50, s9, s26
	s_mul_i32 s9, s9, s26
	s_mul_hi_u32 s71, s8, s26
	s_add_u32 s9, s49, s9
	s_addc_u32 s49, 0, s50
	s_add_u32 s9, s9, s48
	s_mul_i32 s26, s8, s26
	s_addc_u32 s9, s49, s51
	s_addc_u32 s48, s71, 0
	s_add_u32 s9, s9, s26
	s_addc_u32 s26, 0, s48
	v_add_co_u32 v2, s9, v2, s9
	s_delay_alu instid0(VALU_DEP_1) | instskip(SKIP_1) | instid1(VALU_DEP_1)
	s_cmp_lg_u32 s9, 0
	s_addc_u32 s8, s8, s26
	v_readfirstlane_b32 s9, v2
	s_mul_i32 s26, s18, s8
	s_delay_alu instid0(VALU_DEP_1)
	s_mul_hi_u32 s48, s18, s9
	s_mul_i32 s19, s19, s9
	s_add_i32 s26, s48, s26
	s_mul_i32 s18, s18, s9
	s_add_i32 s26, s26, s19
	s_mul_hi_u32 s48, s8, s18
	s_mul_i32 s49, s8, s18
	s_mul_hi_u32 s18, s9, s18
	s_mul_hi_u32 s50, s9, s26
	s_mul_i32 s9, s9, s26
	s_mul_hi_u32 s19, s8, s26
	s_add_u32 s9, s18, s9
	s_addc_u32 s18, 0, s50
	s_add_u32 s9, s9, s49
	s_mul_i32 s26, s8, s26
	s_addc_u32 s9, s18, s48
	s_addc_u32 s18, s19, 0
	s_add_u32 s9, s9, s26
	s_addc_u32 s18, 0, s18
	v_add_co_u32 v2, s9, v2, s9
	s_delay_alu instid0(VALU_DEP_1) | instskip(SKIP_1) | instid1(VALU_DEP_1)
	s_cmp_lg_u32 s9, 0
	s_addc_u32 s8, s8, s18
	v_readfirstlane_b32 s9, v2
	s_mul_i32 s19, s83, s8
	s_mul_hi_u32 s18, s83, s8
	s_mul_hi_u32 s26, s27, s8
	s_mul_i32 s8, s27, s8
	s_mul_hi_u32 s48, s83, s9
	s_mul_hi_u32 s49, s27, s9
	s_mul_i32 s9, s27, s9
	s_add_u32 s19, s48, s19
	s_addc_u32 s18, 0, s18
	s_add_u32 s9, s19, s9
	s_addc_u32 s9, s18, s49
	s_addc_u32 s18, s26, 0
	s_add_u32 s8, s9, s8
	s_addc_u32 s9, 0, s18
	s_mul_hi_u32 s18, s33, s8
	s_mul_i32 s8, s33, s8
	s_mul_i32 s9, s33, s9
	v_sub_co_u32 v2, s8, s83, s8
	s_add_i32 s18, s18, s9
	s_cmp_lg_u32 s8, 0
	s_delay_alu instid0(VALU_DEP_1) | instskip(SKIP_2) | instid1(VALU_DEP_1)
	v_sub_co_u32 v3, s8, v2, s33
	s_subb_u32 s9, s27, s18
	s_cmp_lg_u32 s8, 0
	v_cmp_le_u32_e32 vcc_lo, s33, v3
	v_sub_co_u32 v6, s8, v3, s33
	s_subb_u32 s18, s9, 0
	s_cmp_lg_u32 s8, 0
	v_cndmask_b32_e64 v7, 0, -1, vcc_lo
	s_subb_u32 s8, s18, 0
	s_cmp_eq_u32 s18, 0
	v_mov_b32_e32 v9, s8
	s_cselect_b32 vcc_lo, -1, 0
	s_cmp_eq_u32 s9, 0
	v_cndmask_b32_e32 v7, -1, v7, vcc_lo
	v_cmp_le_u32_e32 vcc_lo, s33, v2
	s_cselect_b32 s8, -1, 0
	v_cndmask_b32_e64 v8, 0, -1, vcc_lo
	s_delay_alu instid0(VALU_DEP_3) | instskip(NEXT) | instid1(VALU_DEP_2)
	v_cmp_ne_u32_e32 vcc_lo, 0, v7
	v_cndmask_b32_e64 v7, -1, v8, s8
	v_cndmask_b32_e32 v8, s18, v9, vcc_lo
	v_cndmask_b32_e32 v6, v3, v6, vcc_lo
	s_delay_alu instid0(VALU_DEP_3) | instskip(NEXT) | instid1(VALU_DEP_3)
	v_cmp_ne_u32_e32 vcc_lo, 0, v7
	v_cndmask_b32_e32 v3, s9, v8, vcc_lo
	s_delay_alu instid0(VALU_DEP_3)
	v_cndmask_b32_e32 v2, v2, v6, vcc_lo
	s_cbranch_execnz .LBB129_212
.LBB129_211:                            ;   in Loop: Header=BB129_31 Depth=1
	v_cvt_f32_u32_e32 v2, s33
	s_sub_i32 s8, 0, s33
	s_delay_alu instid0(VALU_DEP_1) | instskip(SKIP_2) | instid1(VALU_DEP_1)
	v_rcp_iflag_f32_e32 v2, v2
	s_waitcnt_depctr 0xfff
	v_mul_f32_e32 v2, 0x4f7ffffe, v2
	v_cvt_u32_f32_e32 v2, v2
	s_delay_alu instid0(VALU_DEP_1) | instskip(NEXT) | instid1(VALU_DEP_1)
	v_mul_lo_u32 v3, s8, v2
	v_mul_hi_u32 v3, v2, v3
	s_delay_alu instid0(VALU_DEP_1) | instskip(NEXT) | instid1(VALU_DEP_1)
	v_add_nc_u32_e32 v2, v2, v3
	v_mul_hi_u32 v2, s83, v2
	s_delay_alu instid0(VALU_DEP_1) | instskip(NEXT) | instid1(VALU_DEP_1)
	v_mul_lo_u32 v2, v2, s33
	v_sub_nc_u32_e32 v2, s83, v2
	s_delay_alu instid0(VALU_DEP_1) | instskip(SKIP_1) | instid1(VALU_DEP_2)
	v_subrev_nc_u32_e32 v3, s33, v2
	v_cmp_le_u32_e32 vcc_lo, s33, v2
	v_cndmask_b32_e32 v2, v2, v3, vcc_lo
	s_delay_alu instid0(VALU_DEP_1) | instskip(SKIP_1) | instid1(VALU_DEP_2)
	v_subrev_nc_u32_e32 v3, s33, v2
	v_cmp_le_u32_e32 vcc_lo, s33, v2
	v_cndmask_b32_e32 v12, v2, v3, vcc_lo
	s_delay_alu instid0(VALU_DEP_1)
	v_dual_mov_b32 v2, v12 :: v_dual_mov_b32 v3, v13
.LBB129_212:                            ;   in Loop: Header=BB129_31 Depth=1
	s_delay_alu instid0(VALU_DEP_1) | instskip(NEXT) | instid1(VALU_DEP_2)
	v_sub_co_u32 v2, vcc_lo, s83, v2
	v_sub_co_ci_u32_e32 v3, vcc_lo, s27, v3, vcc_lo
	s_mov_b32 s8, 0
	s_mov_b32 s9, exec_lo
                                        ; implicit-def: $vgpr29
	s_delay_alu instid0(VALU_DEP_1)
	v_cmpx_gt_u64_e64 v[2:3], v[0:1]
	s_cbranch_execz .LBB129_220
; %bb.213:                              ;   in Loop: Header=BB129_31 Depth=1
	v_dual_mov_b32 v6, v23 :: v_dual_mov_b32 v7, v24
	v_dual_mov_b32 v9, v1 :: v_dual_mov_b32 v8, v0
	s_mov_b32 s18, 0
                                        ; implicit-def: $sgpr19
	s_set_inst_prefetch_distance 0x1
	s_branch .LBB129_215
	.p2align	6
.LBB129_214:                            ;   in Loop: Header=BB129_215 Depth=2
	s_or_b32 exec_lo, exec_lo, s8
	s_waitcnt lgkmcnt(0)
	s_barrier
	buffer_gl0_inv
	ds_load_u16 v12, v13 offset:3072
	v_add_co_u32 v8, vcc_lo, v8, s33
	v_add_co_ci_u32_e32 v9, vcc_lo, 0, v9, vcc_lo
	s_waitcnt lgkmcnt(0)
	s_barrier
	buffer_gl0_inv
	v_cmp_ge_u64_e32 vcc_lo, v[8:9], v[2:3]
	v_and_b32_e32 v29, 0xff, v12
	s_delay_alu instid0(VALU_DEP_1) | instskip(NEXT) | instid1(VALU_DEP_1)
	v_cmp_ne_u16_e64 s8, 0, v29
	s_or_b32 s26, vcc_lo, s8
	v_add_co_u32 v6, vcc_lo, v6, s75
	s_and_b32 s26, exec_lo, s26
	v_add_co_ci_u32_e32 v7, vcc_lo, s74, v7, vcc_lo
	s_or_b32 s18, s26, s18
	s_and_not1_b32 s19, s19, exec_lo
	s_and_b32 s8, s8, exec_lo
	s_delay_alu instid0(SALU_CYCLE_1)
	s_or_b32 s19, s19, s8
	s_and_not1_b32 exec_lo, exec_lo, s18
	s_cbranch_execz .LBB129_219
.LBB129_215:                            ;   Parent Loop BB129_31 Depth=1
                                        ; =>  This Inner Loop Header: Depth=2
	s_delay_alu instid0(VALU_DEP_1)
	v_cmp_gt_u64_e32 vcc_lo, s[36:37], v[8:9]
	v_mov_b32_e32 v12, 0
	s_and_saveexec_b32 s8, vcc_lo
	s_cbranch_execz .LBB129_217
; %bb.216:                              ;   in Loop: Header=BB129_215 Depth=2
	global_load_u8 v12, v[6:7], off
.LBB129_217:                            ;   in Loop: Header=BB129_215 Depth=2
	s_or_b32 exec_lo, exec_lo, s8
	s_waitcnt vmcnt(0)
	v_and_b32_e32 v29, v12, v28
	s_delay_alu instid0(VALU_DEP_1) | instskip(NEXT) | instid1(VALU_DEP_1)
	v_and_b32_e32 v29, 0xff, v29
	v_cmp_eq_u32_e64 s8, v29, v27
	s_delay_alu instid0(VALU_DEP_1) | instskip(NEXT) | instid1(SALU_CYCLE_1)
	s_and_b32 s26, vcc_lo, s8
	s_and_saveexec_b32 s8, s26
	s_cbranch_execz .LBB129_214
; %bb.218:                              ;   in Loop: Header=BB129_215 Depth=2
	v_lshlrev_b16 v12, 8, v12
	s_delay_alu instid0(VALU_DEP_1)
	v_or_b32_e32 v12, 1, v12
	ds_store_b16 v13, v12 offset:3072
	s_branch .LBB129_214
.LBB129_219:                            ;   in Loop: Header=BB129_31 Depth=1
	s_set_inst_prefetch_distance 0x2
	s_or_b32 exec_lo, exec_lo, s18
	v_lshrrev_b16 v29, 8, v12
	s_and_b32 s8, s19, exec_lo
.LBB129_220:                            ;   in Loop: Header=BB129_31 Depth=1
	s_or_b32 exec_lo, exec_lo, s9
	s_mov_b32 s73, -1
	s_mov_b32 s71, 0
	s_mov_b32 s72, 0
.LBB129_221:                            ;   in Loop: Header=BB129_31 Depth=1
	s_or_not1_b32 s8, s8, exec_lo
.LBB129_222:                            ;   in Loop: Header=BB129_31 Depth=1
	s_or_b32 exec_lo, exec_lo, s102
	s_mov_b32 s26, 0
                                        ; implicit-def: $vgpr6
	s_and_saveexec_b32 s102, s8
	s_cbranch_execz .LBB129_285
; %bb.223:                              ;   in Loop: Header=BB129_31 Depth=1
	v_mov_b32_e32 v2, 1
	v_dual_mov_b32 v3, 0 :: v_dual_mov_b32 v6, 1
	s_xor_b32 s9, s103, -1
	s_delay_alu instid0(SALU_CYCLE_1)
	s_and_saveexec_b32 s8, s9
	s_cbranch_execz .LBB129_233
; %bb.224:                              ;   in Loop: Header=BB129_31 Depth=1
	s_mov_b32 s18, exec_lo
                                        ; implicit-def: $sgpr19
                                        ; implicit-def: $sgpr9
	v_cmpx_ge_u64_e64 s[14:15], v[4:5]
	s_xor_b32 s18, exec_lo, s18
	s_cbranch_execz .LBB129_230
; %bb.225:                              ;   in Loop: Header=BB129_31 Depth=1
	ds_load_b64 v[2:3], v13 offset:5120
	s_waitcnt lgkmcnt(0)
	v_cmp_ne_u64_e32 vcc_lo, 0, v[2:3]
	s_cbranch_vccnz .LBB129_229
; %bb.226:                              ;   in Loop: Header=BB129_31 Depth=1
	s_and_saveexec_b32 s9, s5
	s_cbranch_execz .LBB129_228
; %bb.227:                              ;   in Loop: Header=BB129_31 Depth=1
	v_dual_mov_b32 v2, s14 :: v_dual_mov_b32 v3, s15
	ds_store_b64 v13, v[2:3] offset:5128
.LBB129_228:                            ;   in Loop: Header=BB129_31 Depth=1
	s_or_b32 exec_lo, exec_lo, s9
	s_waitcnt lgkmcnt(0)
	s_barrier
	buffer_gl0_inv
.LBB129_229:                            ;   in Loop: Header=BB129_31 Depth=1
	s_lshl_b32 s9, 2, s22
	v_or_b32_e32 v28, s20, v28
	v_and_or_b32 v27, v27, s21, s9
	s_mov_b32 s9, 0
	s_mov_b32 s19, 8
.LBB129_230:                            ;   in Loop: Header=BB129_31 Depth=1
	s_or_saveexec_b32 s18, s18
	v_mov_b32_e32 v6, s19
	s_xor_b32 exec_lo, exec_lo, s18
; %bb.231:                              ;   in Loop: Header=BB129_31 Depth=1
	v_sub_co_u32 v4, vcc_lo, v4, s14
	v_subrev_co_ci_u32_e32 v5, vcc_lo, s15, v5, vcc_lo
	v_mov_b32_e32 v6, 0
	s_or_b32 s9, s9, exec_lo
; %bb.232:                              ;   in Loop: Header=BB129_31 Depth=1
	s_or_b32 exec_lo, exec_lo, s18
	s_delay_alu instid0(VALU_DEP_2)
	v_dual_mov_b32 v2, v4 :: v_dual_mov_b32 v3, v5
	s_and_b32 s26, s9, exec_lo
.LBB129_233:                            ;   in Loop: Header=BB129_31 Depth=1
	s_or_b32 exec_lo, exec_lo, s8
	s_mov_b32 s19, -1
                                        ; implicit-def: $sgpr8
                                        ; implicit-def: $sgpr18
                                        ; implicit-def: $sgpr9
	s_and_saveexec_b32 s103, s26
	s_cbranch_execz .LBB129_284
; %bb.234:                              ;   in Loop: Header=BB129_31 Depth=1
	v_cmp_eq_u64_e32 vcc_lo, 1, v[2:3]
	s_cmp_eq_u64 s[16:17], 1
	s_mov_b32 s26, -1
	s_cselect_b32 s8, -1, 0
                                        ; implicit-def: $sgpr18
                                        ; implicit-def: $sgpr9
	s_delay_alu instid0(SALU_CYCLE_1) | instskip(NEXT) | instid1(SALU_CYCLE_1)
	s_and_b32 s104, s8, vcc_lo
                                        ; implicit-def: $sgpr8
	s_and_saveexec_b32 vcc_hi, s104
	s_cbranch_execz .LBB129_271
; %bb.235:                              ;   in Loop: Header=BB129_31 Depth=1
	ds_load_b64 v[4:5], v13 offset:5120
	s_waitcnt lgkmcnt(0)
	s_barrier
	buffer_gl0_inv
	v_readfirstlane_b32 s18, v4
	v_readfirstlane_b32 s19, v5
	s_and_saveexec_b32 s8, s6
	s_cbranch_execz .LBB129_237
; %bb.236:                              ;   in Loop: Header=BB129_31 Depth=1
	ds_store_b8 v0, v13 offset:3072
.LBB129_237:                            ;   in Loop: Header=BB129_31 Depth=1
	s_or_b32 exec_lo, exec_lo, s8
	v_or_b32_e32 v27, s20, v27
	v_or_b32_e32 v28, s20, v28
	s_cmp_eq_u64 s[18:19], 0
	s_waitcnt lgkmcnt(0)
	s_barrier
	buffer_gl0_inv
	s_cbranch_scc1 .LBB129_242
; %bb.238:                              ;   in Loop: Header=BB129_31 Depth=1
	s_add_u32 s26, s81, s18
	s_addc_u32 s9, s82, s19
	s_mov_b32 s8, s55
	s_delay_alu instid0(SALU_CYCLE_1)
	s_cmp_lg_u64 s[8:9], 0
	s_cbranch_scc0 .LBB129_243
; %bb.239:                              ;   in Loop: Header=BB129_31 Depth=1
	v_cvt_f32_u32_e32 v4, s33
	s_sub_u32 s49, 0, s33
	s_subb_u32 s50, 0, 0
	s_delay_alu instid0(VALU_DEP_1) | instskip(NEXT) | instid1(VALU_DEP_1)
	v_fmac_f32_e64 v4, 0, 0x4f800000
	v_rcp_f32_e32 v4, v4
	s_waitcnt_depctr 0xfff
	v_mul_f32_e32 v4, 0x5f7ffffc, v4
	s_delay_alu instid0(VALU_DEP_1) | instskip(NEXT) | instid1(VALU_DEP_1)
	v_mul_f32_e32 v5, 0x2f800000, v4
	v_trunc_f32_e32 v5, v5
	s_delay_alu instid0(VALU_DEP_1) | instskip(SKIP_1) | instid1(VALU_DEP_2)
	v_fmac_f32_e32 v4, 0xcf800000, v5
	v_cvt_u32_f32_e32 v5, v5
	v_cvt_u32_f32_e32 v4, v4
	s_delay_alu instid0(VALU_DEP_2) | instskip(NEXT) | instid1(VALU_DEP_2)
	v_readfirstlane_b32 s8, v5
	v_readfirstlane_b32 s48, v4
	s_delay_alu instid0(VALU_DEP_2) | instskip(NEXT) | instid1(VALU_DEP_1)
	s_mul_i32 s51, s49, s8
	s_mul_hi_u32 s42, s49, s48
	s_mul_i32 vcc_lo, s50, s48
	s_add_i32 s42, s42, s51
	s_mul_i32 s43, s49, s48
	s_add_i32 s42, s42, vcc_lo
	s_mul_hi_u32 s51, s48, s43
	s_mul_hi_u32 s53, s48, s42
	s_mul_i32 s48, s48, s42
	s_mul_hi_u32 s52, s8, s43
	s_mul_i32 s43, s8, s43
	s_add_u32 s48, s51, s48
	s_addc_u32 s51, 0, s53
	s_mul_hi_u32 vcc_lo, s8, s42
	s_add_u32 s43, s48, s43
	s_mul_i32 s42, s8, s42
	s_addc_u32 s43, s51, s52
	s_addc_u32 s48, vcc_lo, 0
	s_add_u32 s42, s43, s42
	s_addc_u32 s43, 0, s48
	v_add_co_u32 v4, s42, v4, s42
	s_delay_alu instid0(VALU_DEP_1) | instskip(SKIP_1) | instid1(VALU_DEP_1)
	s_cmp_lg_u32 s42, 0
	s_addc_u32 s8, s8, s43
	v_readfirstlane_b32 s42, v4
	s_mul_i32 s43, s49, s8
	s_delay_alu instid0(VALU_DEP_1)
	s_mul_hi_u32 s48, s49, s42
	s_mul_i32 s50, s50, s42
	s_add_i32 s43, s48, s43
	s_mul_i32 s49, s49, s42
	s_add_i32 s43, s43, s50
	s_mul_hi_u32 s48, s8, s49
	s_mul_i32 s51, s8, s49
	s_mul_hi_u32 s49, s42, s49
	s_mul_hi_u32 s52, s42, s43
	s_mul_i32 s42, s42, s43
	s_mul_hi_u32 s50, s8, s43
	s_add_u32 s42, s49, s42
	s_addc_u32 s49, 0, s52
	s_add_u32 s42, s42, s51
	s_mul_i32 s43, s8, s43
	s_addc_u32 s42, s49, s48
	s_addc_u32 s48, s50, 0
	s_add_u32 s42, s42, s43
	s_addc_u32 s43, 0, s48
	v_add_co_u32 v4, s42, v4, s42
	s_delay_alu instid0(VALU_DEP_1) | instskip(SKIP_1) | instid1(VALU_DEP_1)
	s_cmp_lg_u32 s42, 0
	s_addc_u32 s8, s8, s43
	v_readfirstlane_b32 s42, v4
	s_mul_i32 s48, s26, s8
	s_mul_hi_u32 s43, s26, s8
	s_mul_hi_u32 s49, s9, s8
	s_mul_i32 s8, s9, s8
	s_mul_hi_u32 s50, s26, s42
	s_mul_hi_u32 s51, s9, s42
	s_mul_i32 s42, s9, s42
	s_add_u32 s48, s50, s48
	s_addc_u32 s43, 0, s43
	s_add_u32 s42, s48, s42
	s_addc_u32 s42, s43, s51
	s_addc_u32 s43, s49, 0
	s_add_u32 s8, s42, s8
	s_addc_u32 s42, 0, s43
	s_mul_hi_u32 s43, s33, s8
	s_mul_i32 s8, s33, s8
	s_mul_i32 s42, s33, s42
	v_sub_co_u32 v4, s8, s26, s8
	s_add_i32 s43, s43, s42
	s_cmp_lg_u32 s8, 0
	s_delay_alu instid0(VALU_DEP_1) | instskip(SKIP_3) | instid1(VALU_DEP_2)
	v_sub_co_u32 v5, s8, v4, s33
	s_subb_u32 s42, s9, s43
	s_cmp_lg_u32 s8, 0
	v_cmp_le_u32_e32 vcc_lo, s33, v4
	v_cmp_le_u32_e64 s8, s33, v5
	v_sub_co_u32 v6, s43, v5, s33
	s_subb_u32 s48, s42, 0
	s_cmp_lg_u32 s43, 0
	s_delay_alu instid0(VALU_DEP_2)
	v_cndmask_b32_e64 v7, 0, -1, s8
	s_subb_u32 s43, s48, 0
	s_cmp_eq_u32 s48, 0
	v_mov_b32_e32 v9, s43
	v_cndmask_b32_e64 v8, 0, -1, vcc_lo
	s_cselect_b32 vcc_lo, -1, 0
	s_cmp_eq_u32 s42, 0
	v_cndmask_b32_e32 v7, -1, v7, vcc_lo
	s_cselect_b32 vcc_lo, -1, 0
	v_cndmask_b32_e32 v8, -1, v8, vcc_lo
	s_delay_alu instid0(VALU_DEP_2) | instskip(NEXT) | instid1(VALU_DEP_2)
	v_cmp_ne_u32_e32 vcc_lo, 0, v7
	v_cmp_ne_u32_e64 s8, 0, v8
	v_cndmask_b32_e32 v7, s48, v9, vcc_lo
	v_cndmask_b32_e32 v6, v5, v6, vcc_lo
	s_delay_alu instid0(VALU_DEP_2) | instskip(NEXT) | instid1(VALU_DEP_2)
	v_cndmask_b32_e64 v5, s42, v7, s8
	v_cndmask_b32_e64 v4, v4, v6, s8
	s_mov_b32 s8, 0
	s_branch .LBB129_244
.LBB129_240:                            ;   in Loop: Header=BB129_31 Depth=1
                                        ; implicit-def: $vgpr2_vgpr3
	s_branch .LBB129_196
.LBB129_241:                            ;   in Loop: Header=BB129_31 Depth=1
                                        ; implicit-def: $vgpr2_vgpr3
	s_branch .LBB129_211
.LBB129_242:                            ;   in Loop: Header=BB129_31 Depth=1
	s_mov_b32 s8, -1
	s_mov_b32 s26, 0
                                        ; implicit-def: $sgpr9
                                        ; implicit-def: $vgpr29
	s_branch .LBB129_255
.LBB129_243:                            ;   in Loop: Header=BB129_31 Depth=1
	s_mov_b32 s8, -1
                                        ; implicit-def: $vgpr4_vgpr5
.LBB129_244:                            ;   in Loop: Header=BB129_31 Depth=1
	s_delay_alu instid0(SALU_CYCLE_1)
	s_and_not1_b32 vcc_lo, exec_lo, s8
	s_cbranch_vccnz .LBB129_246
; %bb.245:                              ;   in Loop: Header=BB129_31 Depth=1
	v_cvt_f32_u32_e32 v4, s33
	s_sub_i32 s8, 0, s33
	s_delay_alu instid0(VALU_DEP_1) | instskip(SKIP_2) | instid1(VALU_DEP_1)
	v_rcp_iflag_f32_e32 v4, v4
	s_waitcnt_depctr 0xfff
	v_mul_f32_e32 v4, 0x4f7ffffe, v4
	v_cvt_u32_f32_e32 v4, v4
	s_delay_alu instid0(VALU_DEP_1) | instskip(NEXT) | instid1(VALU_DEP_1)
	v_mul_lo_u32 v5, s8, v4
	v_mul_hi_u32 v5, v4, v5
	s_delay_alu instid0(VALU_DEP_1) | instskip(NEXT) | instid1(VALU_DEP_1)
	v_add_nc_u32_e32 v4, v4, v5
	v_mul_hi_u32 v4, s26, v4
	s_delay_alu instid0(VALU_DEP_1) | instskip(NEXT) | instid1(VALU_DEP_1)
	v_mul_lo_u32 v4, v4, s33
	v_sub_nc_u32_e32 v4, s26, v4
	s_delay_alu instid0(VALU_DEP_1) | instskip(SKIP_1) | instid1(VALU_DEP_2)
	v_subrev_nc_u32_e32 v5, s33, v4
	v_cmp_le_u32_e32 vcc_lo, s33, v4
	v_cndmask_b32_e32 v4, v4, v5, vcc_lo
	s_delay_alu instid0(VALU_DEP_1) | instskip(SKIP_1) | instid1(VALU_DEP_2)
	v_subrev_nc_u32_e32 v5, s33, v4
	v_cmp_le_u32_e32 vcc_lo, s33, v4
	v_cndmask_b32_e32 v12, v4, v5, vcc_lo
	s_delay_alu instid0(VALU_DEP_1)
	v_dual_mov_b32 v4, v12 :: v_dual_mov_b32 v5, v13
.LBB129_246:                            ;   in Loop: Header=BB129_31 Depth=1
	s_delay_alu instid0(VALU_DEP_1) | instskip(NEXT) | instid1(VALU_DEP_2)
	v_sub_co_u32 v4, vcc_lo, s26, v4
	v_sub_co_ci_u32_e32 v5, vcc_lo, s9, v5, vcc_lo
	s_mov_b32 s26, 0
	s_mov_b32 s9, exec_lo
                                        ; implicit-def: $vgpr29
	s_delay_alu instid0(VALU_DEP_1)
	v_cmpx_gt_u64_e64 v[4:5], v[0:1]
	s_cbranch_execz .LBB129_254
; %bb.247:                              ;   in Loop: Header=BB129_31 Depth=1
	v_dual_mov_b32 v8, v0 :: v_dual_mov_b32 v7, v1
	v_mov_b32_e32 v6, v0
                                        ; implicit-def: $sgpr48
	s_set_inst_prefetch_distance 0x1
	s_branch .LBB129_249
	.p2align	6
.LBB129_248:                            ;   in Loop: Header=BB129_249 Depth=2
	s_or_b32 exec_lo, exec_lo, s8
	s_waitcnt lgkmcnt(0)
	s_barrier
	buffer_gl0_inv
	ds_load_u16 v9, v13 offset:3072
	v_add_co_u32 v6, vcc_lo, v6, s33
	v_add_co_ci_u32_e32 v7, vcc_lo, 0, v7, vcc_lo
	v_add_nc_u32_e32 v8, s33, v8
	s_waitcnt lgkmcnt(0)
	s_barrier
	s_delay_alu instid0(VALU_DEP_2) | instskip(SKIP_2) | instid1(VALU_DEP_1)
	v_cmp_ge_u64_e32 vcc_lo, v[6:7], v[4:5]
	buffer_gl0_inv
	v_and_b32_e32 v12, 0xff, v9
	v_cmp_ne_u16_e64 s8, 0, v12
	s_delay_alu instid0(VALU_DEP_1) | instskip(NEXT) | instid1(SALU_CYCLE_1)
	s_or_b32 s42, vcc_lo, s8
	s_and_b32 s42, exec_lo, s42
	s_delay_alu instid0(SALU_CYCLE_1) | instskip(SKIP_2) | instid1(SALU_CYCLE_1)
	s_or_b32 s26, s42, s26
	s_and_not1_b32 s42, s48, exec_lo
	s_and_b32 s8, s8, exec_lo
	s_or_b32 s48, s42, s8
	s_and_not1_b32 exec_lo, exec_lo, s26
	s_cbranch_execz .LBB129_253
.LBB129_249:                            ;   Parent Loop BB129_31 Depth=1
                                        ; =>  This Inner Loop Header: Depth=2
	s_delay_alu instid0(VALU_DEP_1)
	v_cmp_gt_u64_e32 vcc_lo, s[18:19], v[6:7]
	v_mov_b32_e32 v9, 0
	s_and_saveexec_b32 s8, vcc_lo
	s_cbranch_execz .LBB129_251
; %bb.250:                              ;   in Loop: Header=BB129_249 Depth=2
	ds_load_u8 v9, v8
.LBB129_251:                            ;   in Loop: Header=BB129_249 Depth=2
	s_or_b32 exec_lo, exec_lo, s8
	s_waitcnt lgkmcnt(0)
	v_and_b32_e32 v12, v9, v28
	s_delay_alu instid0(VALU_DEP_1) | instskip(NEXT) | instid1(VALU_DEP_1)
	v_and_b32_e32 v12, 0xff, v12
	v_cmp_eq_u32_e64 s8, v12, v27
	s_delay_alu instid0(VALU_DEP_1) | instskip(NEXT) | instid1(SALU_CYCLE_1)
	s_and_b32 s42, vcc_lo, s8
	s_and_saveexec_b32 s8, s42
	s_cbranch_execz .LBB129_248
; %bb.252:                              ;   in Loop: Header=BB129_249 Depth=2
	v_lshlrev_b16 v9, 8, v9
	s_delay_alu instid0(VALU_DEP_1)
	v_or_b32_e32 v9, 1, v9
	ds_store_b16 v13, v9 offset:3072
	s_branch .LBB129_248
.LBB129_253:                            ;   in Loop: Header=BB129_31 Depth=1
	s_set_inst_prefetch_distance 0x2
	s_or_b32 exec_lo, exec_lo, s26
	v_lshrrev_b16 v29, 8, v9
	s_and_b32 s26, s48, exec_lo
.LBB129_254:                            ;   in Loop: Header=BB129_31 Depth=1
	s_or_b32 exec_lo, exec_lo, s9
	s_mov_b32 s9, -1
	s_mov_b32 s8, 0
.LBB129_255:                            ;   in Loop: Header=BB129_31 Depth=1
	s_delay_alu instid0(SALU_CYCLE_1)
	s_and_b32 vcc_lo, exec_lo, s8
	s_mov_b32 s18, s8
	s_cbranch_vccz .LBB129_270
; %bb.256:                              ;   in Loop: Header=BB129_31 Depth=1
	s_mov_b32 s26, s55
	s_delay_alu instid0(SALU_CYCLE_1)
	s_cmp_lg_u64 s[26:27], 0
	s_cbranch_scc0 .LBB129_258
; %bb.257:                              ;   in Loop: Header=BB129_31 Depth=1
	v_cvt_f32_u32_e32 v4, s33
	s_sub_u32 s18, 0, s33
	s_subb_u32 s19, 0, 0
	s_delay_alu instid0(VALU_DEP_1) | instskip(NEXT) | instid1(VALU_DEP_1)
	v_fmac_f32_e64 v4, 0, 0x4f800000
	v_rcp_f32_e32 v4, v4
	s_waitcnt_depctr 0xfff
	v_mul_f32_e32 v4, 0x5f7ffffc, v4
	s_delay_alu instid0(VALU_DEP_1) | instskip(NEXT) | instid1(VALU_DEP_1)
	v_mul_f32_e32 v5, 0x2f800000, v4
	v_trunc_f32_e32 v5, v5
	s_delay_alu instid0(VALU_DEP_1) | instskip(SKIP_1) | instid1(VALU_DEP_2)
	v_fmac_f32_e32 v4, 0xcf800000, v5
	v_cvt_u32_f32_e32 v5, v5
	v_cvt_u32_f32_e32 v4, v4
	s_delay_alu instid0(VALU_DEP_2) | instskip(NEXT) | instid1(VALU_DEP_2)
	v_readfirstlane_b32 s8, v5
	v_readfirstlane_b32 s9, v4
	s_delay_alu instid0(VALU_DEP_2) | instskip(NEXT) | instid1(VALU_DEP_1)
	s_mul_i32 s26, s18, s8
	s_mul_hi_u32 s43, s18, s9
	s_mul_i32 s42, s19, s9
	s_add_i32 s26, s43, s26
	s_mul_i32 s48, s18, s9
	s_add_i32 s26, s26, s42
	s_mul_hi_u32 s43, s9, s48
	s_mul_hi_u32 s49, s8, s48
	s_mul_i32 s42, s8, s48
	s_mul_hi_u32 s48, s9, s26
	s_mul_i32 s9, s9, s26
	s_mul_hi_u32 s50, s8, s26
	s_add_u32 s9, s43, s9
	s_addc_u32 s43, 0, s48
	s_add_u32 s9, s9, s42
	s_mul_i32 s26, s8, s26
	s_addc_u32 s9, s43, s49
	s_addc_u32 s42, s50, 0
	s_add_u32 s9, s9, s26
	s_addc_u32 s26, 0, s42
	v_add_co_u32 v4, s9, v4, s9
	s_delay_alu instid0(VALU_DEP_1) | instskip(SKIP_1) | instid1(VALU_DEP_1)
	s_cmp_lg_u32 s9, 0
	s_addc_u32 s8, s8, s26
	v_readfirstlane_b32 s9, v4
	s_mul_i32 s26, s18, s8
	s_delay_alu instid0(VALU_DEP_1)
	s_mul_hi_u32 s42, s18, s9
	s_mul_i32 s19, s19, s9
	s_add_i32 s26, s42, s26
	s_mul_i32 s18, s18, s9
	s_add_i32 s26, s26, s19
	s_mul_hi_u32 s42, s8, s18
	s_mul_i32 s43, s8, s18
	s_mul_hi_u32 s18, s9, s18
	s_mul_hi_u32 s48, s9, s26
	s_mul_i32 s9, s9, s26
	s_mul_hi_u32 s19, s8, s26
	s_add_u32 s9, s18, s9
	s_addc_u32 s18, 0, s48
	s_add_u32 s9, s9, s43
	s_mul_i32 s26, s8, s26
	s_addc_u32 s9, s18, s42
	s_addc_u32 s18, s19, 0
	s_add_u32 s9, s9, s26
	s_addc_u32 s18, 0, s18
	v_add_co_u32 v4, s9, v4, s9
	s_delay_alu instid0(VALU_DEP_1) | instskip(SKIP_1) | instid1(VALU_DEP_1)
	s_cmp_lg_u32 s9, 0
	s_addc_u32 s8, s8, s18
	v_readfirstlane_b32 s9, v4
	s_mul_i32 s19, s83, s8
	s_mul_hi_u32 s18, s83, s8
	s_mul_hi_u32 s26, s27, s8
	s_mul_i32 s8, s27, s8
	s_mul_hi_u32 s42, s83, s9
	s_mul_hi_u32 s43, s27, s9
	s_mul_i32 s9, s27, s9
	s_add_u32 s19, s42, s19
	s_addc_u32 s18, 0, s18
	s_add_u32 s9, s19, s9
	s_addc_u32 s9, s18, s43
	s_addc_u32 s18, s26, 0
	s_add_u32 s8, s9, s8
	s_addc_u32 s9, 0, s18
	s_mul_hi_u32 s18, s33, s8
	s_mul_i32 s8, s33, s8
	s_mul_i32 s9, s33, s9
	v_sub_co_u32 v4, s8, s83, s8
	s_add_i32 s18, s18, s9
	s_cmp_lg_u32 s8, 0
	s_delay_alu instid0(VALU_DEP_1) | instskip(SKIP_3) | instid1(VALU_DEP_2)
	v_sub_co_u32 v5, s8, v4, s33
	s_subb_u32 s9, s27, s18
	s_cmp_lg_u32 s8, 0
	v_cmp_le_u32_e32 vcc_lo, s33, v4
	v_cmp_le_u32_e64 s8, s33, v5
	v_sub_co_u32 v6, s18, v5, s33
	s_subb_u32 s19, s9, 0
	s_cmp_lg_u32 s18, 0
	s_delay_alu instid0(VALU_DEP_2)
	v_cndmask_b32_e64 v7, 0, -1, s8
	s_subb_u32 s18, s19, 0
	s_cmp_eq_u32 s19, 0
	v_mov_b32_e32 v9, s18
	v_cndmask_b32_e64 v8, 0, -1, vcc_lo
	s_cselect_b32 vcc_lo, -1, 0
	s_cmp_eq_u32 s9, 0
	v_cndmask_b32_e32 v7, -1, v7, vcc_lo
	s_cselect_b32 vcc_lo, -1, 0
	v_cndmask_b32_e32 v8, -1, v8, vcc_lo
	s_delay_alu instid0(VALU_DEP_2) | instskip(NEXT) | instid1(VALU_DEP_2)
	v_cmp_ne_u32_e32 vcc_lo, 0, v7
	v_cmp_ne_u32_e64 s8, 0, v8
	v_cndmask_b32_e32 v7, s19, v9, vcc_lo
	v_cndmask_b32_e32 v6, v5, v6, vcc_lo
	s_delay_alu instid0(VALU_DEP_2) | instskip(NEXT) | instid1(VALU_DEP_2)
	v_cndmask_b32_e64 v5, s9, v7, s8
	v_cndmask_b32_e64 v4, v4, v6, s8
	s_mov_b32 s8, 0
	s_branch .LBB129_259
.LBB129_258:                            ;   in Loop: Header=BB129_31 Depth=1
	s_mov_b32 s8, -1
                                        ; implicit-def: $vgpr4_vgpr5
.LBB129_259:                            ;   in Loop: Header=BB129_31 Depth=1
	s_delay_alu instid0(SALU_CYCLE_1)
	s_and_not1_b32 vcc_lo, exec_lo, s8
	s_cbranch_vccnz .LBB129_261
; %bb.260:                              ;   in Loop: Header=BB129_31 Depth=1
	v_cvt_f32_u32_e32 v4, s33
	s_sub_i32 s8, 0, s33
	s_delay_alu instid0(VALU_DEP_1) | instskip(SKIP_2) | instid1(VALU_DEP_1)
	v_rcp_iflag_f32_e32 v4, v4
	s_waitcnt_depctr 0xfff
	v_mul_f32_e32 v4, 0x4f7ffffe, v4
	v_cvt_u32_f32_e32 v4, v4
	s_delay_alu instid0(VALU_DEP_1) | instskip(NEXT) | instid1(VALU_DEP_1)
	v_mul_lo_u32 v5, s8, v4
	v_mul_hi_u32 v5, v4, v5
	s_delay_alu instid0(VALU_DEP_1) | instskip(NEXT) | instid1(VALU_DEP_1)
	v_add_nc_u32_e32 v4, v4, v5
	v_mul_hi_u32 v4, s83, v4
	s_delay_alu instid0(VALU_DEP_1) | instskip(NEXT) | instid1(VALU_DEP_1)
	v_mul_lo_u32 v4, v4, s33
	v_sub_nc_u32_e32 v4, s83, v4
	s_delay_alu instid0(VALU_DEP_1) | instskip(SKIP_1) | instid1(VALU_DEP_2)
	v_subrev_nc_u32_e32 v5, s33, v4
	v_cmp_le_u32_e32 vcc_lo, s33, v4
	v_cndmask_b32_e32 v4, v4, v5, vcc_lo
	s_delay_alu instid0(VALU_DEP_1) | instskip(SKIP_1) | instid1(VALU_DEP_2)
	v_subrev_nc_u32_e32 v5, s33, v4
	v_cmp_le_u32_e32 vcc_lo, s33, v4
	v_cndmask_b32_e32 v12, v4, v5, vcc_lo
	s_delay_alu instid0(VALU_DEP_1)
	v_dual_mov_b32 v4, v12 :: v_dual_mov_b32 v5, v13
.LBB129_261:                            ;   in Loop: Header=BB129_31 Depth=1
	s_delay_alu instid0(VALU_DEP_1) | instskip(NEXT) | instid1(VALU_DEP_2)
	v_sub_co_u32 v4, vcc_lo, s83, v4
	v_sub_co_ci_u32_e32 v5, vcc_lo, s27, v5, vcc_lo
	s_mov_b32 s26, 0
	s_mov_b32 s9, exec_lo
                                        ; implicit-def: $vgpr29
	s_delay_alu instid0(VALU_DEP_1)
	v_cmpx_gt_u64_e64 v[4:5], v[0:1]
	s_cbranch_execz .LBB129_269
; %bb.262:                              ;   in Loop: Header=BB129_31 Depth=1
	v_dual_mov_b32 v6, v23 :: v_dual_mov_b32 v7, v24
	v_dual_mov_b32 v9, v1 :: v_dual_mov_b32 v8, v0
	s_mov_b32 s18, 0
                                        ; implicit-def: $sgpr19
	s_set_inst_prefetch_distance 0x1
	s_branch .LBB129_264
	.p2align	6
.LBB129_263:                            ;   in Loop: Header=BB129_264 Depth=2
	s_or_b32 exec_lo, exec_lo, s8
	s_waitcnt lgkmcnt(0)
	s_barrier
	buffer_gl0_inv
	ds_load_u16 v12, v13 offset:3072
	v_add_co_u32 v8, vcc_lo, v8, s33
	v_add_co_ci_u32_e32 v9, vcc_lo, 0, v9, vcc_lo
	s_waitcnt lgkmcnt(0)
	s_barrier
	buffer_gl0_inv
	v_cmp_ge_u64_e32 vcc_lo, v[8:9], v[4:5]
	v_and_b32_e32 v29, 0xff, v12
	s_delay_alu instid0(VALU_DEP_1) | instskip(NEXT) | instid1(VALU_DEP_1)
	v_cmp_ne_u16_e64 s8, 0, v29
	s_or_b32 s26, vcc_lo, s8
	v_add_co_u32 v6, vcc_lo, v6, s75
	s_and_b32 s26, exec_lo, s26
	v_add_co_ci_u32_e32 v7, vcc_lo, s74, v7, vcc_lo
	s_or_b32 s18, s26, s18
	s_and_not1_b32 s19, s19, exec_lo
	s_and_b32 s8, s8, exec_lo
	s_delay_alu instid0(SALU_CYCLE_1)
	s_or_b32 s19, s19, s8
	s_and_not1_b32 exec_lo, exec_lo, s18
	s_cbranch_execz .LBB129_268
.LBB129_264:                            ;   Parent Loop BB129_31 Depth=1
                                        ; =>  This Inner Loop Header: Depth=2
	s_delay_alu instid0(VALU_DEP_1)
	v_cmp_gt_u64_e32 vcc_lo, s[36:37], v[8:9]
	v_mov_b32_e32 v12, 0
	s_and_saveexec_b32 s8, vcc_lo
	s_cbranch_execz .LBB129_266
; %bb.265:                              ;   in Loop: Header=BB129_264 Depth=2
	global_load_u8 v12, v[6:7], off
.LBB129_266:                            ;   in Loop: Header=BB129_264 Depth=2
	s_or_b32 exec_lo, exec_lo, s8
	s_waitcnt vmcnt(0)
	v_and_b32_e32 v29, v12, v28
	s_delay_alu instid0(VALU_DEP_1) | instskip(NEXT) | instid1(VALU_DEP_1)
	v_and_b32_e32 v29, 0xff, v29
	v_cmp_eq_u32_e64 s8, v29, v27
	s_delay_alu instid0(VALU_DEP_1) | instskip(NEXT) | instid1(SALU_CYCLE_1)
	s_and_b32 s26, vcc_lo, s8
	s_and_saveexec_b32 s8, s26
	s_cbranch_execz .LBB129_263
; %bb.267:                              ;   in Loop: Header=BB129_264 Depth=2
	v_lshlrev_b16 v12, 8, v12
	s_delay_alu instid0(VALU_DEP_1)
	v_or_b32_e32 v12, 1, v12
	ds_store_b16 v13, v12 offset:3072
	s_branch .LBB129_263
.LBB129_268:                            ;   in Loop: Header=BB129_31 Depth=1
	s_set_inst_prefetch_distance 0x2
	s_or_b32 exec_lo, exec_lo, s18
	v_lshrrev_b16 v29, 8, v12
	s_and_b32 s26, s19, exec_lo
.LBB129_269:                            ;   in Loop: Header=BB129_31 Depth=1
	s_or_b32 exec_lo, exec_lo, s9
	s_mov_b32 s18, -1
	s_mov_b32 s8, 0
	s_mov_b32 s9, 0
.LBB129_270:                            ;   in Loop: Header=BB129_31 Depth=1
	s_or_not1_b32 s26, s26, exec_lo
.LBB129_271:                            ;   in Loop: Header=BB129_31 Depth=1
	s_or_b32 exec_lo, exec_lo, vcc_hi
	s_mov_b32 s48, 0
                                        ; implicit-def: $vgpr6
                                        ; implicit-def: $vgpr4_vgpr5
	s_and_saveexec_b32 s19, s26
	s_cbranch_execz .LBB129_283
; %bb.272:                              ;   in Loop: Header=BB129_31 Depth=1
	v_mov_b32_e32 v4, 1
	v_dual_mov_b32 v5, 0 :: v_dual_mov_b32 v6, 1
	s_xor_b32 s42, s104, -1
	s_delay_alu instid0(SALU_CYCLE_1)
	s_and_saveexec_b32 s26, s42
	s_cbranch_execz .LBB129_282
; %bb.273:                              ;   in Loop: Header=BB129_31 Depth=1
                                        ; implicit-def: $sgpr49
	s_mov_b32 s42, exec_lo
	v_cmpx_ge_u64_e64 s[16:17], v[2:3]
	s_xor_b32 s48, exec_lo, s42
	s_cbranch_execz .LBB129_279
; %bb.274:                              ;   in Loop: Header=BB129_31 Depth=1
	ds_load_b64 v[4:5], v13 offset:5120
	s_waitcnt lgkmcnt(0)
	v_cmp_ne_u64_e32 vcc_lo, 0, v[4:5]
	s_cbranch_vccnz .LBB129_278
; %bb.275:                              ;   in Loop: Header=BB129_31 Depth=1
	s_and_saveexec_b32 s49, s5
	s_cbranch_execz .LBB129_277
; %bb.276:                              ;   in Loop: Header=BB129_31 Depth=1
	v_dual_mov_b32 v4, s16 :: v_dual_mov_b32 v5, s17
	ds_store_b64 v13, v[4:5] offset:5128
.LBB129_277:                            ;   in Loop: Header=BB129_31 Depth=1
	s_or_b32 exec_lo, exec_lo, s49
	s_waitcnt lgkmcnt(0)
	s_barrier
	buffer_gl0_inv
.LBB129_278:                            ;   in Loop: Header=BB129_31 Depth=1
	v_or_b32_e32 v27, s20, v27
	v_or_b32_e32 v28, s20, v28
	s_mov_b32 s49, 8
.LBB129_279:                            ;   in Loop: Header=BB129_31 Depth=1
	s_or_saveexec_b32 s48, s48
	v_mov_b32_e32 v6, s49
	s_xor_b32 exec_lo, exec_lo, s48
; %bb.280:                              ;   in Loop: Header=BB129_31 Depth=1
	v_sub_co_u32 v2, vcc_lo, v2, s16
	v_subrev_co_ci_u32_e32 v3, vcc_lo, s17, v3, vcc_lo
	v_mov_b32_e32 v6, 8
; %bb.281:                              ;   in Loop: Header=BB129_31 Depth=1
	s_or_b32 exec_lo, exec_lo, s48
	s_delay_alu instid0(VALU_DEP_2)
	v_dual_mov_b32 v5, v3 :: v_dual_mov_b32 v4, v2
.LBB129_282:                            ;   in Loop: Header=BB129_31 Depth=1
	s_or_b32 exec_lo, exec_lo, s26
	s_delay_alu instid0(SALU_CYCLE_1)
	s_mov_b32 s48, exec_lo
.LBB129_283:                            ;   in Loop: Header=BB129_31 Depth=1
	s_or_b32 exec_lo, exec_lo, s19
	s_delay_alu instid0(VALU_DEP_1)
	v_dual_mov_b32 v2, v4 :: v_dual_mov_b32 v3, v5
	s_or_not1_b32 s19, s48, exec_lo
.LBB129_284:                            ;   in Loop: Header=BB129_31 Depth=1
	s_or_b32 exec_lo, exec_lo, s103
	s_delay_alu instid0(SALU_CYCLE_1)
	s_and_not1_b32 s26, s71, exec_lo
	s_and_b32 s8, s8, exec_lo
	v_dual_mov_b32 v5, v3 :: v_dual_mov_b32 v4, v2
	s_or_b32 s71, s26, s8
	s_and_not1_b32 s8, s73, exec_lo
	s_and_b32 s18, s18, exec_lo
	s_and_not1_b32 s26, s72, exec_lo
	s_and_b32 s9, s9, exec_lo
	s_or_b32 s73, s8, s18
	s_or_b32 s72, s26, s9
	s_and_b32 s26, s19, exec_lo
.LBB129_285:                            ;   in Loop: Header=BB129_31 Depth=1
	s_or_b32 exec_lo, exec_lo, s102
	s_delay_alu instid0(SALU_CYCLE_1)
	s_and_b32 s19, s71, exec_lo
	s_and_b32 s18, s73, exec_lo
	;; [unrolled: 1-line block ×3, first 2 shown]
	s_or_not1_b32 s8, s26, exec_lo
.LBB129_286:                            ;   in Loop: Header=BB129_31 Depth=1
	s_or_b32 exec_lo, exec_lo, s70
	s_delay_alu instid0(SALU_CYCLE_1)
	s_and_not1_b32 s25, s25, exec_lo
	s_and_b32 s19, s19, exec_lo
	v_dual_mov_b32 v2, v4 :: v_dual_mov_b32 v3, v5
	s_or_b32 s25, s25, s19
	s_and_not1_b32 s19, s68, exec_lo
	s_and_b32 s18, s18, exec_lo
	s_and_not1_b32 s26, s67, exec_lo
	s_and_b32 s9, s9, exec_lo
	s_or_b32 s68, s19, s18
	s_or_b32 s67, s26, s9
	s_and_b32 s26, s8, exec_lo
.LBB129_287:                            ;   in Loop: Header=BB129_31 Depth=1
	s_or_b32 exec_lo, exec_lo, s69
	s_delay_alu instid0(SALU_CYCLE_1)
	s_and_b32 s19, s25, exec_lo
	s_and_b32 s18, s68, exec_lo
	;; [unrolled: 1-line block ×3, first 2 shown]
	s_or_not1_b32 s25, s26, exec_lo
.LBB129_288:                            ;   in Loop: Header=BB129_31 Depth=1
	s_or_b32 exec_lo, exec_lo, s24
	s_mov_b32 s8, 0
	s_mov_b32 s24, 0
	s_and_saveexec_b32 s26, s25
	s_delay_alu instid0(SALU_CYCLE_1)
	s_xor_b32 s25, exec_lo, s26
; %bb.289:                              ;   in Loop: Header=BB129_31 Depth=1
	v_cmp_ne_u32_e32 vcc_lo, 8, v6
	v_cmp_eq_u32_e64 s8, 8, v6
	s_and_not1_b32 s19, s19, exec_lo
	s_and_not1_b32 s18, s18, exec_lo
	;; [unrolled: 1-line block ×3, first 2 shown]
	s_and_b32 s24, vcc_lo, exec_lo
	s_and_b32 s8, s8, exec_lo
; %bb.290:                              ;   in Loop: Header=BB129_31 Depth=1
	s_or_b32 exec_lo, exec_lo, s25
	s_delay_alu instid0(SALU_CYCLE_1)
	s_and_not1_b32 s23, s23, exec_lo
	s_and_b32 s19, s19, exec_lo
	s_and_b32 s18, s18, exec_lo
	s_or_b32 s23, s23, s19
	s_and_not1_b32 s19, s64, exec_lo
	s_and_not1_b32 s25, s54, exec_lo
	s_and_b32 s9, s9, exec_lo
	s_or_b32 s64, s19, s18
	s_or_b32 s54, s25, s9
	s_and_b32 s24, s24, exec_lo
	s_and_b32 s25, s8, exec_lo
.LBB129_291:                            ;   in Loop: Header=BB129_31 Depth=1
	s_or_b32 exec_lo, exec_lo, s66
	s_delay_alu instid0(SALU_CYCLE_1)
	s_and_b32 vcc_lo, exec_lo, s65
	s_cbranch_vccz .LBB129_117
.LBB129_292:                            ;   in Loop: Header=BB129_31 Depth=1
	s_cmp_eq_u64 s[16:17], 1
                                        ; implicit-def: $sgpr18
                                        ; implicit-def: $sgpr19
                                        ; implicit-def: $sgpr23
	s_cselect_b32 s8, -1, 0
	s_delay_alu instid0(SALU_CYCLE_1)
	s_and_b32 s64, s8, s7
	s_mov_b32 s7, -1
	s_and_saveexec_b32 s54, s64
	s_cbranch_execz .LBB129_322
; %bb.293:                              ;   in Loop: Header=BB129_31 Depth=1
	ds_load_b64 v[2:3], v13 offset:5120
	s_waitcnt lgkmcnt(0)
	s_barrier
	buffer_gl0_inv
	v_readfirstlane_b32 s8, v2
	v_readfirstlane_b32 s9, v3
	s_and_saveexec_b32 s7, s6
	s_cbranch_execz .LBB129_295
; %bb.294:                              ;   in Loop: Header=BB129_31 Depth=1
	ds_store_b8 v0, v13 offset:3072
.LBB129_295:                            ;   in Loop: Header=BB129_31 Depth=1
	s_or_b32 exec_lo, exec_lo, s7
	v_or_b32_e32 v39, s20, v39
	v_or_b32_e32 v38, s20, v38
	s_cmp_eq_u64 s[8:9], 0
	s_waitcnt lgkmcnt(0)
	s_barrier
	buffer_gl0_inv
	s_cbranch_scc1 .LBB129_306
; %bb.296:                              ;   in Loop: Header=BB129_31 Depth=1
	s_add_u32 s23, s81, s8
	s_addc_u32 s19, s82, s9
	s_mov_b32 s18, s55
	s_delay_alu instid0(SALU_CYCLE_1)
	s_cmp_lg_u64 s[18:19], 0
	s_cbranch_scc0 .LBB129_348
; %bb.297:                              ;   in Loop: Header=BB129_31 Depth=1
	v_cvt_f32_u32_e32 v2, s33
	s_sub_u32 s26, 0, s33
	s_subb_u32 s48, 0, 0
	s_delay_alu instid0(VALU_DEP_1) | instskip(NEXT) | instid1(VALU_DEP_1)
	v_fmac_f32_e64 v2, 0, 0x4f800000
	v_rcp_f32_e32 v2, v2
	s_waitcnt_depctr 0xfff
	v_mul_f32_e32 v2, 0x5f7ffffc, v2
	s_delay_alu instid0(VALU_DEP_1) | instskip(NEXT) | instid1(VALU_DEP_1)
	v_mul_f32_e32 v3, 0x2f800000, v2
	v_trunc_f32_e32 v3, v3
	s_delay_alu instid0(VALU_DEP_1) | instskip(SKIP_1) | instid1(VALU_DEP_2)
	v_fmac_f32_e32 v2, 0xcf800000, v3
	v_cvt_u32_f32_e32 v3, v3
	v_cvt_u32_f32_e32 v2, v2
	s_delay_alu instid0(VALU_DEP_2) | instskip(NEXT) | instid1(VALU_DEP_2)
	v_readfirstlane_b32 s7, v3
	v_readfirstlane_b32 s18, v2
	s_delay_alu instid0(VALU_DEP_2) | instskip(NEXT) | instid1(VALU_DEP_1)
	s_mul_i32 s49, s26, s7
	s_mul_hi_u32 s66, s26, s18
	s_mul_i32 s65, s48, s18
	s_add_i32 s49, s66, s49
	s_mul_i32 s67, s26, s18
	s_add_i32 s49, s49, s65
	s_mul_hi_u32 s66, s18, s67
	s_mul_hi_u32 s68, s7, s67
	s_mul_i32 s65, s7, s67
	s_mul_hi_u32 s67, s18, s49
	s_mul_i32 s18, s18, s49
	s_mul_hi_u32 s69, s7, s49
	s_add_u32 s18, s66, s18
	s_addc_u32 s66, 0, s67
	s_add_u32 s18, s18, s65
	s_mul_i32 s49, s7, s49
	s_addc_u32 s18, s66, s68
	s_addc_u32 s65, s69, 0
	s_add_u32 s18, s18, s49
	s_addc_u32 s49, 0, s65
	v_add_co_u32 v2, s18, v2, s18
	s_delay_alu instid0(VALU_DEP_1) | instskip(SKIP_1) | instid1(VALU_DEP_1)
	s_cmp_lg_u32 s18, 0
	s_addc_u32 s7, s7, s49
	v_readfirstlane_b32 s18, v2
	s_mul_i32 s49, s26, s7
	s_delay_alu instid0(VALU_DEP_1)
	s_mul_hi_u32 s65, s26, s18
	s_mul_i32 s48, s48, s18
	s_add_i32 s49, s65, s49
	s_mul_i32 s26, s26, s18
	s_add_i32 s49, s49, s48
	s_mul_hi_u32 s65, s7, s26
	s_mul_i32 s66, s7, s26
	s_mul_hi_u32 s26, s18, s26
	s_mul_hi_u32 s67, s18, s49
	s_mul_i32 s18, s18, s49
	s_mul_hi_u32 s48, s7, s49
	s_add_u32 s18, s26, s18
	s_addc_u32 s26, 0, s67
	s_add_u32 s18, s18, s66
	s_mul_i32 s49, s7, s49
	s_addc_u32 s18, s26, s65
	s_addc_u32 s26, s48, 0
	s_add_u32 s18, s18, s49
	s_addc_u32 s26, 0, s26
	v_add_co_u32 v2, s18, v2, s18
	s_delay_alu instid0(VALU_DEP_1) | instskip(SKIP_1) | instid1(VALU_DEP_1)
	s_cmp_lg_u32 s18, 0
	s_addc_u32 s7, s7, s26
	v_readfirstlane_b32 s18, v2
	s_mul_i32 s48, s23, s7
	s_mul_hi_u32 s26, s23, s7
	s_mul_hi_u32 s49, s19, s7
	s_mul_i32 s7, s19, s7
	s_mul_hi_u32 s65, s23, s18
	s_mul_hi_u32 s66, s19, s18
	s_mul_i32 s18, s19, s18
	s_add_u32 s48, s65, s48
	s_addc_u32 s26, 0, s26
	s_add_u32 s18, s48, s18
	s_addc_u32 s18, s26, s66
	s_addc_u32 s26, s49, 0
	s_add_u32 s7, s18, s7
	s_addc_u32 s18, 0, s26
	s_mul_hi_u32 s26, s33, s7
	s_mul_i32 s7, s33, s7
	s_mul_i32 s18, s33, s18
	v_sub_co_u32 v2, s7, s23, s7
	s_add_i32 s26, s26, s18
	s_cmp_lg_u32 s7, 0
	s_delay_alu instid0(VALU_DEP_1) | instskip(SKIP_2) | instid1(VALU_DEP_1)
	v_sub_co_u32 v3, s7, v2, s33
	s_subb_u32 s18, s19, s26
	s_cmp_lg_u32 s7, 0
	v_cmp_le_u32_e32 vcc_lo, s33, v3
	v_sub_co_u32 v4, s7, v3, s33
	s_subb_u32 s26, s18, 0
	s_cmp_lg_u32 s7, 0
	v_cndmask_b32_e64 v5, 0, -1, vcc_lo
	s_subb_u32 s7, s26, 0
	s_cmp_eq_u32 s26, 0
	v_mov_b32_e32 v7, s7
	s_cselect_b32 vcc_lo, -1, 0
	s_cmp_eq_u32 s18, 0
	v_cndmask_b32_e32 v5, -1, v5, vcc_lo
	v_cmp_le_u32_e32 vcc_lo, s33, v2
	s_cselect_b32 s7, -1, 0
	v_cndmask_b32_e64 v6, 0, -1, vcc_lo
	s_delay_alu instid0(VALU_DEP_3) | instskip(NEXT) | instid1(VALU_DEP_2)
	v_cmp_ne_u32_e32 vcc_lo, 0, v5
	v_cndmask_b32_e64 v5, -1, v6, s7
	v_cndmask_b32_e32 v6, s26, v7, vcc_lo
	v_cndmask_b32_e32 v4, v3, v4, vcc_lo
	s_delay_alu instid0(VALU_DEP_3) | instskip(NEXT) | instid1(VALU_DEP_3)
	v_cmp_ne_u32_e32 vcc_lo, 0, v5
	v_cndmask_b32_e32 v3, s18, v6, vcc_lo
	s_delay_alu instid0(VALU_DEP_3)
	v_cndmask_b32_e32 v2, v2, v4, vcc_lo
	s_cbranch_execnz .LBB129_299
.LBB129_298:                            ;   in Loop: Header=BB129_31 Depth=1
	v_cvt_f32_u32_e32 v2, s33
	s_sub_i32 s7, 0, s33
	s_delay_alu instid0(VALU_DEP_1) | instskip(SKIP_2) | instid1(VALU_DEP_1)
	v_rcp_iflag_f32_e32 v2, v2
	s_waitcnt_depctr 0xfff
	v_mul_f32_e32 v2, 0x4f7ffffe, v2
	v_cvt_u32_f32_e32 v2, v2
	s_delay_alu instid0(VALU_DEP_1) | instskip(NEXT) | instid1(VALU_DEP_1)
	v_mul_lo_u32 v3, s7, v2
	v_mul_hi_u32 v3, v2, v3
	s_delay_alu instid0(VALU_DEP_1) | instskip(NEXT) | instid1(VALU_DEP_1)
	v_add_nc_u32_e32 v2, v2, v3
	v_mul_hi_u32 v2, s23, v2
	s_delay_alu instid0(VALU_DEP_1) | instskip(NEXT) | instid1(VALU_DEP_1)
	v_mul_lo_u32 v2, v2, s33
	v_sub_nc_u32_e32 v2, s23, v2
	s_delay_alu instid0(VALU_DEP_1) | instskip(SKIP_1) | instid1(VALU_DEP_2)
	v_subrev_nc_u32_e32 v3, s33, v2
	v_cmp_le_u32_e32 vcc_lo, s33, v2
	v_cndmask_b32_e32 v2, v2, v3, vcc_lo
	s_delay_alu instid0(VALU_DEP_1) | instskip(SKIP_1) | instid1(VALU_DEP_2)
	v_subrev_nc_u32_e32 v3, s33, v2
	v_cmp_le_u32_e32 vcc_lo, s33, v2
	v_cndmask_b32_e32 v12, v2, v3, vcc_lo
	s_delay_alu instid0(VALU_DEP_1)
	v_dual_mov_b32 v2, v12 :: v_dual_mov_b32 v3, v13
.LBB129_299:                            ;   in Loop: Header=BB129_31 Depth=1
	s_delay_alu instid0(VALU_DEP_1) | instskip(NEXT) | instid1(VALU_DEP_2)
	v_sub_co_u32 v2, vcc_lo, s23, v2
	v_sub_co_ci_u32_e32 v3, vcc_lo, s19, v3, vcc_lo
	s_mov_b32 s7, 0
	s_mov_b32 s18, exec_lo
                                        ; implicit-def: $vgpr40
	s_delay_alu instid0(VALU_DEP_1)
	v_cmpx_gt_u64_e64 v[2:3], v[0:1]
	s_cbranch_execz .LBB129_308
; %bb.300:                              ;   in Loop: Header=BB129_31 Depth=1
	v_dual_mov_b32 v6, v0 :: v_dual_mov_b32 v5, v1
	v_mov_b32_e32 v4, v0
	s_mov_b32 s19, 0
                                        ; implicit-def: $sgpr23
	s_set_inst_prefetch_distance 0x1
	s_branch .LBB129_302
	.p2align	6
.LBB129_301:                            ;   in Loop: Header=BB129_302 Depth=2
	s_or_b32 exec_lo, exec_lo, s7
	s_waitcnt lgkmcnt(0)
	s_barrier
	buffer_gl0_inv
	ds_load_u16 v7, v13 offset:3072
	v_add_co_u32 v4, vcc_lo, v4, s33
	v_add_co_ci_u32_e32 v5, vcc_lo, 0, v5, vcc_lo
	v_add_nc_u32_e32 v6, s33, v6
	s_waitcnt lgkmcnt(0)
	s_barrier
	s_delay_alu instid0(VALU_DEP_2) | instskip(SKIP_2) | instid1(VALU_DEP_1)
	v_cmp_ge_u64_e32 vcc_lo, v[4:5], v[2:3]
	buffer_gl0_inv
	v_and_b32_e32 v8, 0xff, v7
	v_cmp_ne_u16_e64 s7, 0, v8
	s_delay_alu instid0(VALU_DEP_1) | instskip(NEXT) | instid1(SALU_CYCLE_1)
	s_or_b32 s26, vcc_lo, s7
	s_and_b32 s26, exec_lo, s26
	s_delay_alu instid0(SALU_CYCLE_1) | instskip(SKIP_2) | instid1(SALU_CYCLE_1)
	s_or_b32 s19, s26, s19
	s_and_not1_b32 s23, s23, exec_lo
	s_and_b32 s7, s7, exec_lo
	s_or_b32 s23, s23, s7
	s_and_not1_b32 exec_lo, exec_lo, s19
	s_cbranch_execz .LBB129_307
.LBB129_302:                            ;   Parent Loop BB129_31 Depth=1
                                        ; =>  This Inner Loop Header: Depth=2
	s_delay_alu instid0(VALU_DEP_1)
	v_cmp_gt_u64_e32 vcc_lo, s[8:9], v[4:5]
	v_mov_b32_e32 v7, 0
	s_and_saveexec_b32 s7, vcc_lo
	s_cbranch_execz .LBB129_304
; %bb.303:                              ;   in Loop: Header=BB129_302 Depth=2
	ds_load_u8 v7, v6
.LBB129_304:                            ;   in Loop: Header=BB129_302 Depth=2
	s_or_b32 exec_lo, exec_lo, s7
	s_waitcnt lgkmcnt(0)
	v_and_b32_e32 v8, v7, v38
	s_delay_alu instid0(VALU_DEP_1) | instskip(NEXT) | instid1(VALU_DEP_1)
	v_and_b32_e32 v8, 0xff, v8
	v_cmp_eq_u32_e64 s7, v8, v39
	s_delay_alu instid0(VALU_DEP_1) | instskip(NEXT) | instid1(SALU_CYCLE_1)
	s_and_b32 s26, vcc_lo, s7
	s_and_saveexec_b32 s7, s26
	s_cbranch_execz .LBB129_301
; %bb.305:                              ;   in Loop: Header=BB129_302 Depth=2
	v_lshlrev_b16 v7, 8, v7
	s_delay_alu instid0(VALU_DEP_1)
	v_or_b32_e32 v7, 1, v7
	ds_store_b16 v13, v7 offset:3072
	s_branch .LBB129_301
.LBB129_306:                            ;   in Loop: Header=BB129_31 Depth=1
	s_mov_b32 s18, -1
	s_mov_b32 s7, 0
                                        ; implicit-def: $sgpr19
                                        ; implicit-def: $vgpr40
	s_mov_b32 s23, s18
	s_cbranch_execnz .LBB129_309
	s_branch .LBB129_321
.LBB129_307:                            ;   in Loop: Header=BB129_31 Depth=1
	s_set_inst_prefetch_distance 0x2
	s_or_b32 exec_lo, exec_lo, s19
	v_lshrrev_b16 v40, 8, v7
	s_and_b32 s7, s23, exec_lo
.LBB129_308:                            ;   in Loop: Header=BB129_31 Depth=1
	s_or_b32 exec_lo, exec_lo, s18
	s_mov_b32 s18, 0
	s_mov_b32 s19, -1
	s_mov_b32 s23, s18
	s_branch .LBB129_321
.LBB129_309:                            ;   in Loop: Header=BB129_31 Depth=1
	s_mov_b32 s26, s55
	s_delay_alu instid0(SALU_CYCLE_1)
	s_cmp_lg_u64 s[26:27], 0
	s_cbranch_scc0 .LBB129_349
; %bb.310:                              ;   in Loop: Header=BB129_31 Depth=1
	v_cvt_f32_u32_e32 v2, s33
	s_sub_u32 s9, 0, s33
	s_subb_u32 s18, 0, 0
	s_delay_alu instid0(VALU_DEP_1) | instskip(NEXT) | instid1(VALU_DEP_1)
	v_fmac_f32_e64 v2, 0, 0x4f800000
	v_rcp_f32_e32 v2, v2
	s_waitcnt_depctr 0xfff
	v_mul_f32_e32 v2, 0x5f7ffffc, v2
	s_delay_alu instid0(VALU_DEP_1) | instskip(NEXT) | instid1(VALU_DEP_1)
	v_mul_f32_e32 v3, 0x2f800000, v2
	v_trunc_f32_e32 v3, v3
	s_delay_alu instid0(VALU_DEP_1) | instskip(SKIP_1) | instid1(VALU_DEP_2)
	v_fmac_f32_e32 v2, 0xcf800000, v3
	v_cvt_u32_f32_e32 v3, v3
	v_cvt_u32_f32_e32 v2, v2
	s_delay_alu instid0(VALU_DEP_2) | instskip(NEXT) | instid1(VALU_DEP_2)
	v_readfirstlane_b32 s7, v3
	v_readfirstlane_b32 s8, v2
	s_delay_alu instid0(VALU_DEP_2) | instskip(NEXT) | instid1(VALU_DEP_1)
	s_mul_i32 s19, s9, s7
	s_mul_hi_u32 s26, s9, s8
	s_mul_i32 s23, s18, s8
	s_add_i32 s19, s26, s19
	s_mul_i32 s48, s9, s8
	s_add_i32 s19, s19, s23
	s_mul_hi_u32 s26, s8, s48
	s_mul_hi_u32 s49, s7, s48
	s_mul_i32 s23, s7, s48
	s_mul_hi_u32 s48, s8, s19
	s_mul_i32 s8, s8, s19
	s_mul_hi_u32 s65, s7, s19
	s_add_u32 s8, s26, s8
	s_addc_u32 s26, 0, s48
	s_add_u32 s8, s8, s23
	s_mul_i32 s19, s7, s19
	s_addc_u32 s8, s26, s49
	s_addc_u32 s23, s65, 0
	s_add_u32 s8, s8, s19
	s_addc_u32 s19, 0, s23
	v_add_co_u32 v2, s8, v2, s8
	s_delay_alu instid0(VALU_DEP_1) | instskip(SKIP_1) | instid1(VALU_DEP_1)
	s_cmp_lg_u32 s8, 0
	s_addc_u32 s7, s7, s19
	v_readfirstlane_b32 s8, v2
	s_mul_i32 s19, s9, s7
	s_delay_alu instid0(VALU_DEP_1)
	s_mul_hi_u32 s23, s9, s8
	s_mul_i32 s18, s18, s8
	s_add_i32 s19, s23, s19
	s_mul_i32 s9, s9, s8
	s_add_i32 s19, s19, s18
	s_mul_hi_u32 s23, s7, s9
	s_mul_i32 s26, s7, s9
	s_mul_hi_u32 s9, s8, s9
	s_mul_hi_u32 s48, s8, s19
	s_mul_i32 s8, s8, s19
	s_mul_hi_u32 s18, s7, s19
	s_add_u32 s8, s9, s8
	s_addc_u32 s9, 0, s48
	s_add_u32 s8, s8, s26
	s_mul_i32 s19, s7, s19
	s_addc_u32 s8, s9, s23
	s_addc_u32 s9, s18, 0
	s_add_u32 s8, s8, s19
	s_addc_u32 s9, 0, s9
	v_add_co_u32 v2, s8, v2, s8
	s_delay_alu instid0(VALU_DEP_1) | instskip(SKIP_1) | instid1(VALU_DEP_1)
	s_cmp_lg_u32 s8, 0
	s_addc_u32 s7, s7, s9
	v_readfirstlane_b32 s8, v2
	s_mul_i32 s18, s83, s7
	s_mul_hi_u32 s9, s83, s7
	s_mul_hi_u32 s19, s27, s7
	s_mul_i32 s7, s27, s7
	s_mul_hi_u32 s23, s83, s8
	s_mul_hi_u32 s26, s27, s8
	s_mul_i32 s8, s27, s8
	s_add_u32 s18, s23, s18
	s_addc_u32 s9, 0, s9
	s_add_u32 s8, s18, s8
	s_addc_u32 s8, s9, s26
	s_addc_u32 s9, s19, 0
	s_add_u32 s7, s8, s7
	s_addc_u32 s8, 0, s9
	s_mul_hi_u32 s9, s33, s7
	s_mul_i32 s7, s33, s7
	s_mul_i32 s8, s33, s8
	v_sub_co_u32 v2, s7, s83, s7
	s_add_i32 s9, s9, s8
	s_cmp_lg_u32 s7, 0
	s_delay_alu instid0(VALU_DEP_1) | instskip(SKIP_2) | instid1(VALU_DEP_1)
	v_sub_co_u32 v3, s7, v2, s33
	s_subb_u32 s8, s27, s9
	s_cmp_lg_u32 s7, 0
	v_cmp_le_u32_e32 vcc_lo, s33, v3
	v_sub_co_u32 v4, s7, v3, s33
	s_subb_u32 s9, s8, 0
	s_cmp_lg_u32 s7, 0
	v_cndmask_b32_e64 v5, 0, -1, vcc_lo
	s_subb_u32 s7, s9, 0
	s_cmp_eq_u32 s9, 0
	v_mov_b32_e32 v7, s7
	s_cselect_b32 vcc_lo, -1, 0
	s_cmp_eq_u32 s8, 0
	v_cndmask_b32_e32 v5, -1, v5, vcc_lo
	v_cmp_le_u32_e32 vcc_lo, s33, v2
	s_cselect_b32 s7, -1, 0
	v_cndmask_b32_e64 v6, 0, -1, vcc_lo
	s_delay_alu instid0(VALU_DEP_3) | instskip(NEXT) | instid1(VALU_DEP_2)
	v_cmp_ne_u32_e32 vcc_lo, 0, v5
	v_cndmask_b32_e64 v5, -1, v6, s7
	v_cndmask_b32_e32 v6, s9, v7, vcc_lo
	v_cndmask_b32_e32 v4, v3, v4, vcc_lo
	s_delay_alu instid0(VALU_DEP_3) | instskip(NEXT) | instid1(VALU_DEP_3)
	v_cmp_ne_u32_e32 vcc_lo, 0, v5
	v_cndmask_b32_e32 v3, s8, v6, vcc_lo
	s_delay_alu instid0(VALU_DEP_3)
	v_cndmask_b32_e32 v2, v2, v4, vcc_lo
	s_cbranch_execnz .LBB129_312
.LBB129_311:                            ;   in Loop: Header=BB129_31 Depth=1
	v_cvt_f32_u32_e32 v2, s33
	s_sub_i32 s7, 0, s33
	s_delay_alu instid0(VALU_DEP_1) | instskip(SKIP_2) | instid1(VALU_DEP_1)
	v_rcp_iflag_f32_e32 v2, v2
	s_waitcnt_depctr 0xfff
	v_mul_f32_e32 v2, 0x4f7ffffe, v2
	v_cvt_u32_f32_e32 v2, v2
	s_delay_alu instid0(VALU_DEP_1) | instskip(NEXT) | instid1(VALU_DEP_1)
	v_mul_lo_u32 v3, s7, v2
	v_mul_hi_u32 v3, v2, v3
	s_delay_alu instid0(VALU_DEP_1) | instskip(NEXT) | instid1(VALU_DEP_1)
	v_add_nc_u32_e32 v2, v2, v3
	v_mul_hi_u32 v2, s83, v2
	s_delay_alu instid0(VALU_DEP_1) | instskip(NEXT) | instid1(VALU_DEP_1)
	v_mul_lo_u32 v2, v2, s33
	v_sub_nc_u32_e32 v2, s83, v2
	s_delay_alu instid0(VALU_DEP_1) | instskip(SKIP_1) | instid1(VALU_DEP_2)
	v_subrev_nc_u32_e32 v3, s33, v2
	v_cmp_le_u32_e32 vcc_lo, s33, v2
	v_cndmask_b32_e32 v2, v2, v3, vcc_lo
	s_delay_alu instid0(VALU_DEP_1) | instskip(SKIP_1) | instid1(VALU_DEP_2)
	v_subrev_nc_u32_e32 v3, s33, v2
	v_cmp_le_u32_e32 vcc_lo, s33, v2
	v_cndmask_b32_e32 v12, v2, v3, vcc_lo
	s_delay_alu instid0(VALU_DEP_1)
	v_dual_mov_b32 v2, v12 :: v_dual_mov_b32 v3, v13
.LBB129_312:                            ;   in Loop: Header=BB129_31 Depth=1
	s_delay_alu instid0(VALU_DEP_1) | instskip(NEXT) | instid1(VALU_DEP_2)
	v_sub_co_u32 v2, vcc_lo, s83, v2
	v_sub_co_ci_u32_e32 v3, vcc_lo, s27, v3, vcc_lo
	s_mov_b32 s7, 0
	s_mov_b32 s8, exec_lo
                                        ; implicit-def: $vgpr40
	s_delay_alu instid0(VALU_DEP_1)
	v_cmpx_gt_u64_e64 v[2:3], v[0:1]
	s_cbranch_execz .LBB129_320
; %bb.313:                              ;   in Loop: Header=BB129_31 Depth=1
	v_dual_mov_b32 v4, v23 :: v_dual_mov_b32 v5, v24
	v_dual_mov_b32 v7, v1 :: v_dual_mov_b32 v6, v0
	s_mov_b32 s9, 0
                                        ; implicit-def: $sgpr18
	s_set_inst_prefetch_distance 0x1
	s_branch .LBB129_315
	.p2align	6
.LBB129_314:                            ;   in Loop: Header=BB129_315 Depth=2
	s_or_b32 exec_lo, exec_lo, s7
	s_waitcnt lgkmcnt(0)
	s_barrier
	buffer_gl0_inv
	ds_load_u16 v8, v13 offset:3072
	v_add_co_u32 v6, vcc_lo, v6, s33
	v_add_co_ci_u32_e32 v7, vcc_lo, 0, v7, vcc_lo
	s_waitcnt lgkmcnt(0)
	s_barrier
	buffer_gl0_inv
	v_cmp_ge_u64_e32 vcc_lo, v[6:7], v[2:3]
	v_and_b32_e32 v9, 0xff, v8
	s_delay_alu instid0(VALU_DEP_1) | instskip(NEXT) | instid1(VALU_DEP_1)
	v_cmp_ne_u16_e64 s7, 0, v9
	s_or_b32 s19, vcc_lo, s7
	v_add_co_u32 v4, vcc_lo, v4, s75
	s_and_b32 s19, exec_lo, s19
	v_add_co_ci_u32_e32 v5, vcc_lo, s74, v5, vcc_lo
	s_or_b32 s9, s19, s9
	s_and_not1_b32 s18, s18, exec_lo
	s_and_b32 s7, s7, exec_lo
	s_delay_alu instid0(SALU_CYCLE_1)
	s_or_b32 s18, s18, s7
	s_and_not1_b32 exec_lo, exec_lo, s9
	s_cbranch_execz .LBB129_319
.LBB129_315:                            ;   Parent Loop BB129_31 Depth=1
                                        ; =>  This Inner Loop Header: Depth=2
	s_delay_alu instid0(VALU_DEP_1)
	v_cmp_gt_u64_e32 vcc_lo, s[36:37], v[6:7]
	v_mov_b32_e32 v8, 0
	s_and_saveexec_b32 s7, vcc_lo
	s_cbranch_execz .LBB129_317
; %bb.316:                              ;   in Loop: Header=BB129_315 Depth=2
	global_load_u8 v8, v[4:5], off
.LBB129_317:                            ;   in Loop: Header=BB129_315 Depth=2
	s_or_b32 exec_lo, exec_lo, s7
	s_waitcnt vmcnt(0)
	v_and_b32_e32 v9, v8, v38
	s_delay_alu instid0(VALU_DEP_1) | instskip(NEXT) | instid1(VALU_DEP_1)
	v_and_b32_e32 v9, 0xff, v9
	v_cmp_eq_u32_e64 s7, v9, v39
	s_delay_alu instid0(VALU_DEP_1) | instskip(NEXT) | instid1(SALU_CYCLE_1)
	s_and_b32 s19, vcc_lo, s7
	s_and_saveexec_b32 s7, s19
	s_cbranch_execz .LBB129_314
; %bb.318:                              ;   in Loop: Header=BB129_315 Depth=2
	v_lshlrev_b16 v8, 8, v8
	s_delay_alu instid0(VALU_DEP_1)
	v_or_b32_e32 v8, 1, v8
	ds_store_b16 v13, v8 offset:3072
	s_branch .LBB129_314
.LBB129_319:                            ;   in Loop: Header=BB129_31 Depth=1
	s_set_inst_prefetch_distance 0x2
	s_or_b32 exec_lo, exec_lo, s9
	v_lshrrev_b16 v40, 8, v8
	s_and_b32 s7, s18, exec_lo
.LBB129_320:                            ;   in Loop: Header=BB129_31 Depth=1
	s_or_b32 exec_lo, exec_lo, s8
	s_mov_b32 s19, 0
	s_mov_b32 s18, -1
	s_mov_b32 s23, 0
.LBB129_321:                            ;   in Loop: Header=BB129_31 Depth=1
	s_or_not1_b32 s7, s7, exec_lo
.LBB129_322:                            ;   in Loop: Header=BB129_31 Depth=1
	s_or_b32 exec_lo, exec_lo, s54
                                        ; implicit-def: $vgpr6
                                        ; implicit-def: $vgpr2_vgpr3
                                        ; implicit-def: $vgpr27
                                        ; implicit-def: $vgpr28
                                        ; implicit-def: $vgpr29
	s_and_saveexec_b32 s54, s7
	s_cbranch_execz .LBB129_479
; %bb.323:                              ;   in Loop: Header=BB129_31 Depth=1
	v_mov_b32_e32 v2, 1
	v_dual_mov_b32 v3, 0 :: v_dual_mov_b32 v6, 1
	s_xor_b32 s8, s64, -1
	s_mov_b32 s26, 0
	s_and_saveexec_b32 s7, s8
	s_cbranch_execz .LBB129_333
; %bb.324:                              ;   in Loop: Header=BB129_31 Depth=1
	s_mov_b32 s9, exec_lo
                                        ; implicit-def: $sgpr26
                                        ; implicit-def: $sgpr8
	v_cmpx_ge_u64_e64 s[16:17], v[25:26]
	s_xor_b32 s9, exec_lo, s9
	s_cbranch_execz .LBB129_330
; %bb.325:                              ;   in Loop: Header=BB129_31 Depth=1
	ds_load_b64 v[2:3], v13 offset:5120
	s_waitcnt lgkmcnt(0)
	v_cmp_ne_u64_e32 vcc_lo, 0, v[2:3]
	s_cbranch_vccnz .LBB129_329
; %bb.326:                              ;   in Loop: Header=BB129_31 Depth=1
	s_and_saveexec_b32 s8, s5
	s_cbranch_execz .LBB129_328
; %bb.327:                              ;   in Loop: Header=BB129_31 Depth=1
	v_dual_mov_b32 v2, s16 :: v_dual_mov_b32 v3, s17
	ds_store_b64 v13, v[2:3] offset:5128
.LBB129_328:                            ;   in Loop: Header=BB129_31 Depth=1
	s_or_b32 exec_lo, exec_lo, s8
	s_waitcnt lgkmcnt(0)
	s_barrier
	buffer_gl0_inv
.LBB129_329:                            ;   in Loop: Header=BB129_31 Depth=1
	v_or_b32_e32 v39, s20, v39
	v_or_b32_e32 v38, s20, v38
	s_mov_b32 s8, 0
	s_mov_b32 s26, 5
.LBB129_330:                            ;   in Loop: Header=BB129_31 Depth=1
	s_or_saveexec_b32 s9, s9
	v_mov_b32_e32 v6, s26
	s_xor_b32 exec_lo, exec_lo, s9
; %bb.331:                              ;   in Loop: Header=BB129_31 Depth=1
	v_sub_co_u32 v25, vcc_lo, v25, s16
	v_subrev_co_ci_u32_e32 v26, vcc_lo, s17, v26, vcc_lo
	v_mov_b32_e32 v6, 0
	s_or_b32 s8, s8, exec_lo
; %bb.332:                              ;   in Loop: Header=BB129_31 Depth=1
	s_or_b32 exec_lo, exec_lo, s9
	s_delay_alu instid0(VALU_DEP_2)
	v_dual_mov_b32 v2, v25 :: v_dual_mov_b32 v3, v26
	s_and_b32 s26, s8, exec_lo
.LBB129_333:                            ;   in Loop: Header=BB129_31 Depth=1
	s_or_b32 exec_lo, exec_lo, s7
	s_mov_b32 s17, -1
                                        ; implicit-def: $sgpr8
                                        ; implicit-def: $sgpr9
                                        ; implicit-def: $sgpr16
	s_and_saveexec_b32 s7, s26
	s_delay_alu instid0(SALU_CYCLE_1)
	s_xor_b32 s64, exec_lo, s7
	s_cbranch_execz .LBB129_476
; %bb.334:                              ;   in Loop: Header=BB129_31 Depth=1
	v_cmp_eq_u64_e32 vcc_lo, 1, v[2:3]
	s_cmp_eq_u64 s[14:15], 1
                                        ; implicit-def: $sgpr16
                                        ; implicit-def: $sgpr17
                                        ; implicit-def: $sgpr65
	s_cselect_b32 s7, -1, 0
	s_delay_alu instid0(SALU_CYCLE_1)
	s_and_b32 s67, s7, vcc_lo
	s_mov_b32 s7, -1
	s_and_saveexec_b32 s66, s67
	s_cbranch_execz .LBB129_366
; %bb.335:                              ;   in Loop: Header=BB129_31 Depth=1
	ds_load_b64 v[4:5], v13 offset:5120
	s_waitcnt lgkmcnt(0)
	s_barrier
	buffer_gl0_inv
	v_readfirstlane_b32 s8, v4
	v_readfirstlane_b32 s9, v5
	s_and_saveexec_b32 s7, s6
	s_cbranch_execz .LBB129_337
; %bb.336:                              ;   in Loop: Header=BB129_31 Depth=1
	ds_store_b8 v0, v13 offset:3072
.LBB129_337:                            ;   in Loop: Header=BB129_31 Depth=1
	s_or_b32 exec_lo, exec_lo, s7
	s_lshl_b32 s7, 2, s22
	v_or_b32_e32 v38, s20, v38
	v_and_or_b32 v39, v39, s21, s7
	s_cmp_eq_u64 s[8:9], 0
	s_waitcnt lgkmcnt(0)
	s_barrier
	buffer_gl0_inv
	s_cbranch_scc1 .LBB129_350
; %bb.338:                              ;   in Loop: Header=BB129_31 Depth=1
	s_add_u32 s26, s81, s8
	s_addc_u32 s17, s82, s9
	s_mov_b32 s16, s55
	s_delay_alu instid0(SALU_CYCLE_1)
	s_cmp_lg_u64 s[16:17], 0
	s_cbranch_scc0 .LBB129_392
; %bb.339:                              ;   in Loop: Header=BB129_31 Depth=1
	v_cvt_f32_u32_e32 v4, s33
	s_sub_u32 s48, 0, s33
	s_subb_u32 s49, 0, 0
	s_delay_alu instid0(VALU_DEP_1) | instskip(NEXT) | instid1(VALU_DEP_1)
	v_fmac_f32_e64 v4, 0, 0x4f800000
	v_rcp_f32_e32 v4, v4
	s_waitcnt_depctr 0xfff
	v_mul_f32_e32 v4, 0x5f7ffffc, v4
	s_delay_alu instid0(VALU_DEP_1) | instskip(NEXT) | instid1(VALU_DEP_1)
	v_mul_f32_e32 v5, 0x2f800000, v4
	v_trunc_f32_e32 v5, v5
	s_delay_alu instid0(VALU_DEP_1) | instskip(SKIP_1) | instid1(VALU_DEP_2)
	v_fmac_f32_e32 v4, 0xcf800000, v5
	v_cvt_u32_f32_e32 v5, v5
	v_cvt_u32_f32_e32 v4, v4
	s_delay_alu instid0(VALU_DEP_2) | instskip(NEXT) | instid1(VALU_DEP_2)
	v_readfirstlane_b32 s7, v5
	v_readfirstlane_b32 s16, v4
	s_delay_alu instid0(VALU_DEP_2) | instskip(NEXT) | instid1(VALU_DEP_1)
	s_mul_i32 s65, s48, s7
	s_mul_hi_u32 s69, s48, s16
	s_mul_i32 s68, s49, s16
	s_add_i32 s65, s69, s65
	s_mul_i32 s70, s48, s16
	s_add_i32 s65, s65, s68
	s_mul_hi_u32 s69, s16, s70
	s_mul_hi_u32 s71, s7, s70
	s_mul_i32 s68, s7, s70
	s_mul_hi_u32 s70, s16, s65
	s_mul_i32 s16, s16, s65
	s_mul_hi_u32 s72, s7, s65
	s_add_u32 s16, s69, s16
	s_addc_u32 s69, 0, s70
	s_add_u32 s16, s16, s68
	s_mul_i32 s65, s7, s65
	s_addc_u32 s16, s69, s71
	s_addc_u32 s68, s72, 0
	s_add_u32 s16, s16, s65
	s_addc_u32 s65, 0, s68
	v_add_co_u32 v4, s16, v4, s16
	s_delay_alu instid0(VALU_DEP_1) | instskip(SKIP_1) | instid1(VALU_DEP_1)
	s_cmp_lg_u32 s16, 0
	s_addc_u32 s7, s7, s65
	v_readfirstlane_b32 s16, v4
	s_mul_i32 s65, s48, s7
	s_delay_alu instid0(VALU_DEP_1)
	s_mul_hi_u32 s68, s48, s16
	s_mul_i32 s49, s49, s16
	s_add_i32 s65, s68, s65
	s_mul_i32 s48, s48, s16
	s_add_i32 s65, s65, s49
	s_mul_hi_u32 s68, s7, s48
	s_mul_i32 s69, s7, s48
	s_mul_hi_u32 s48, s16, s48
	s_mul_hi_u32 s70, s16, s65
	s_mul_i32 s16, s16, s65
	s_mul_hi_u32 s49, s7, s65
	s_add_u32 s16, s48, s16
	s_addc_u32 s48, 0, s70
	s_add_u32 s16, s16, s69
	s_mul_i32 s65, s7, s65
	s_addc_u32 s16, s48, s68
	s_addc_u32 s48, s49, 0
	s_add_u32 s16, s16, s65
	s_addc_u32 s48, 0, s48
	v_add_co_u32 v4, s16, v4, s16
	s_delay_alu instid0(VALU_DEP_1) | instskip(SKIP_1) | instid1(VALU_DEP_1)
	s_cmp_lg_u32 s16, 0
	s_addc_u32 s7, s7, s48
	v_readfirstlane_b32 s16, v4
	s_mul_i32 s49, s26, s7
	s_mul_hi_u32 s48, s26, s7
	s_mul_hi_u32 s65, s17, s7
	s_mul_i32 s7, s17, s7
	s_mul_hi_u32 s68, s26, s16
	s_mul_hi_u32 s69, s17, s16
	s_mul_i32 s16, s17, s16
	s_add_u32 s49, s68, s49
	s_addc_u32 s48, 0, s48
	s_add_u32 s16, s49, s16
	s_addc_u32 s16, s48, s69
	s_addc_u32 s48, s65, 0
	s_add_u32 s7, s16, s7
	s_addc_u32 s16, 0, s48
	s_mul_hi_u32 s48, s33, s7
	s_mul_i32 s7, s33, s7
	s_mul_i32 s16, s33, s16
	v_sub_co_u32 v4, s7, s26, s7
	s_add_i32 s48, s48, s16
	s_cmp_lg_u32 s7, 0
	s_delay_alu instid0(VALU_DEP_1) | instskip(SKIP_2) | instid1(VALU_DEP_1)
	v_sub_co_u32 v5, s7, v4, s33
	s_subb_u32 s16, s17, s48
	s_cmp_lg_u32 s7, 0
	v_cmp_le_u32_e32 vcc_lo, s33, v5
	v_sub_co_u32 v6, s7, v5, s33
	s_subb_u32 s48, s16, 0
	s_cmp_lg_u32 s7, 0
	v_cndmask_b32_e64 v7, 0, -1, vcc_lo
	s_subb_u32 s7, s48, 0
	s_cmp_eq_u32 s48, 0
	v_mov_b32_e32 v9, s7
	s_cselect_b32 vcc_lo, -1, 0
	s_cmp_eq_u32 s16, 0
	v_cndmask_b32_e32 v7, -1, v7, vcc_lo
	v_cmp_le_u32_e32 vcc_lo, s33, v4
	s_cselect_b32 s7, -1, 0
	v_cndmask_b32_e64 v8, 0, -1, vcc_lo
	s_delay_alu instid0(VALU_DEP_3) | instskip(NEXT) | instid1(VALU_DEP_2)
	v_cmp_ne_u32_e32 vcc_lo, 0, v7
	v_cndmask_b32_e64 v7, -1, v8, s7
	v_cndmask_b32_e32 v8, s48, v9, vcc_lo
	v_cndmask_b32_e32 v6, v5, v6, vcc_lo
	s_delay_alu instid0(VALU_DEP_3) | instskip(NEXT) | instid1(VALU_DEP_3)
	v_cmp_ne_u32_e32 vcc_lo, 0, v7
	v_cndmask_b32_e32 v5, s16, v8, vcc_lo
	s_delay_alu instid0(VALU_DEP_3)
	v_cndmask_b32_e32 v4, v4, v6, vcc_lo
	s_cbranch_execnz .LBB129_341
.LBB129_340:                            ;   in Loop: Header=BB129_31 Depth=1
	v_cvt_f32_u32_e32 v4, s33
	s_sub_i32 s7, 0, s33
	s_delay_alu instid0(VALU_DEP_1) | instskip(SKIP_2) | instid1(VALU_DEP_1)
	v_rcp_iflag_f32_e32 v4, v4
	s_waitcnt_depctr 0xfff
	v_mul_f32_e32 v4, 0x4f7ffffe, v4
	v_cvt_u32_f32_e32 v4, v4
	s_delay_alu instid0(VALU_DEP_1) | instskip(NEXT) | instid1(VALU_DEP_1)
	v_mul_lo_u32 v5, s7, v4
	v_mul_hi_u32 v5, v4, v5
	s_delay_alu instid0(VALU_DEP_1) | instskip(NEXT) | instid1(VALU_DEP_1)
	v_add_nc_u32_e32 v4, v4, v5
	v_mul_hi_u32 v4, s26, v4
	s_delay_alu instid0(VALU_DEP_1) | instskip(NEXT) | instid1(VALU_DEP_1)
	v_mul_lo_u32 v4, v4, s33
	v_sub_nc_u32_e32 v4, s26, v4
	s_delay_alu instid0(VALU_DEP_1) | instskip(SKIP_1) | instid1(VALU_DEP_2)
	v_subrev_nc_u32_e32 v5, s33, v4
	v_cmp_le_u32_e32 vcc_lo, s33, v4
	v_cndmask_b32_e32 v4, v4, v5, vcc_lo
	s_delay_alu instid0(VALU_DEP_1) | instskip(SKIP_1) | instid1(VALU_DEP_2)
	v_subrev_nc_u32_e32 v5, s33, v4
	v_cmp_le_u32_e32 vcc_lo, s33, v4
	v_cndmask_b32_e32 v12, v4, v5, vcc_lo
	s_delay_alu instid0(VALU_DEP_1)
	v_dual_mov_b32 v4, v12 :: v_dual_mov_b32 v5, v13
.LBB129_341:                            ;   in Loop: Header=BB129_31 Depth=1
	s_delay_alu instid0(VALU_DEP_1) | instskip(NEXT) | instid1(VALU_DEP_2)
	v_sub_co_u32 v4, vcc_lo, s26, v4
	v_sub_co_ci_u32_e32 v5, vcc_lo, s17, v5, vcc_lo
	s_mov_b32 s7, 0
	s_mov_b32 s16, exec_lo
                                        ; implicit-def: $vgpr40
	s_delay_alu instid0(VALU_DEP_1)
	v_cmpx_gt_u64_e64 v[4:5], v[0:1]
	s_cbranch_execz .LBB129_352
; %bb.342:                              ;   in Loop: Header=BB129_31 Depth=1
	v_dual_mov_b32 v8, v0 :: v_dual_mov_b32 v7, v1
	v_mov_b32_e32 v6, v0
	s_mov_b32 s17, 0
                                        ; implicit-def: $sgpr26
	s_set_inst_prefetch_distance 0x1
	s_branch .LBB129_344
	.p2align	6
.LBB129_343:                            ;   in Loop: Header=BB129_344 Depth=2
	s_or_b32 exec_lo, exec_lo, s7
	s_waitcnt lgkmcnt(0)
	s_barrier
	buffer_gl0_inv
	ds_load_u16 v9, v13 offset:3072
	v_add_co_u32 v6, vcc_lo, v6, s33
	v_add_co_ci_u32_e32 v7, vcc_lo, 0, v7, vcc_lo
	v_add_nc_u32_e32 v8, s33, v8
	s_waitcnt lgkmcnt(0)
	s_barrier
	s_delay_alu instid0(VALU_DEP_2) | instskip(SKIP_2) | instid1(VALU_DEP_1)
	v_cmp_ge_u64_e32 vcc_lo, v[6:7], v[4:5]
	buffer_gl0_inv
	v_and_b32_e32 v12, 0xff, v9
	v_cmp_ne_u16_e64 s7, 0, v12
	s_delay_alu instid0(VALU_DEP_1) | instskip(NEXT) | instid1(SALU_CYCLE_1)
	s_or_b32 s48, vcc_lo, s7
	s_and_b32 s48, exec_lo, s48
	s_delay_alu instid0(SALU_CYCLE_1) | instskip(SKIP_2) | instid1(SALU_CYCLE_1)
	s_or_b32 s17, s48, s17
	s_and_not1_b32 s26, s26, exec_lo
	s_and_b32 s7, s7, exec_lo
	s_or_b32 s26, s26, s7
	s_and_not1_b32 exec_lo, exec_lo, s17
	s_cbranch_execz .LBB129_351
.LBB129_344:                            ;   Parent Loop BB129_31 Depth=1
                                        ; =>  This Inner Loop Header: Depth=2
	s_delay_alu instid0(VALU_DEP_1)
	v_cmp_gt_u64_e32 vcc_lo, s[8:9], v[6:7]
	v_mov_b32_e32 v9, 0
	s_and_saveexec_b32 s7, vcc_lo
	s_cbranch_execz .LBB129_346
; %bb.345:                              ;   in Loop: Header=BB129_344 Depth=2
	ds_load_u8 v9, v8
.LBB129_346:                            ;   in Loop: Header=BB129_344 Depth=2
	s_or_b32 exec_lo, exec_lo, s7
	s_waitcnt lgkmcnt(0)
	v_and_b32_e32 v12, v9, v38
	s_delay_alu instid0(VALU_DEP_1) | instskip(NEXT) | instid1(VALU_DEP_1)
	v_and_b32_e32 v12, 0xff, v12
	v_cmp_eq_u32_e64 s7, v12, v39
	s_delay_alu instid0(VALU_DEP_1) | instskip(NEXT) | instid1(SALU_CYCLE_1)
	s_and_b32 s48, vcc_lo, s7
	s_and_saveexec_b32 s7, s48
	s_cbranch_execz .LBB129_343
; %bb.347:                              ;   in Loop: Header=BB129_344 Depth=2
	v_lshlrev_b16 v9, 8, v9
	s_delay_alu instid0(VALU_DEP_1)
	v_or_b32_e32 v9, 1, v9
	ds_store_b16 v13, v9 offset:3072
	s_branch .LBB129_343
.LBB129_348:                            ;   in Loop: Header=BB129_31 Depth=1
                                        ; implicit-def: $vgpr2_vgpr3
	s_branch .LBB129_298
.LBB129_349:                            ;   in Loop: Header=BB129_31 Depth=1
                                        ; implicit-def: $vgpr2_vgpr3
	s_branch .LBB129_311
.LBB129_350:                            ;   in Loop: Header=BB129_31 Depth=1
	s_mov_b32 s16, -1
	s_mov_b32 s7, 0
                                        ; implicit-def: $sgpr17
                                        ; implicit-def: $vgpr40
	s_mov_b32 s65, s16
	s_cbranch_execnz .LBB129_353
	s_branch .LBB129_365
.LBB129_351:                            ;   in Loop: Header=BB129_31 Depth=1
	s_set_inst_prefetch_distance 0x2
	s_or_b32 exec_lo, exec_lo, s17
	v_lshrrev_b16 v40, 8, v9
	s_and_b32 s7, s26, exec_lo
.LBB129_352:                            ;   in Loop: Header=BB129_31 Depth=1
	s_or_b32 exec_lo, exec_lo, s16
	s_mov_b32 s16, 0
	s_mov_b32 s17, -1
	s_mov_b32 s65, s16
	s_branch .LBB129_365
.LBB129_353:                            ;   in Loop: Header=BB129_31 Depth=1
	s_mov_b32 s26, s55
	s_delay_alu instid0(SALU_CYCLE_1)
	s_cmp_lg_u64 s[26:27], 0
	s_cbranch_scc0 .LBB129_393
; %bb.354:                              ;   in Loop: Header=BB129_31 Depth=1
	v_cvt_f32_u32_e32 v4, s33
	s_sub_u32 s9, 0, s33
	s_subb_u32 s16, 0, 0
	s_delay_alu instid0(VALU_DEP_1) | instskip(NEXT) | instid1(VALU_DEP_1)
	v_fmac_f32_e64 v4, 0, 0x4f800000
	v_rcp_f32_e32 v4, v4
	s_waitcnt_depctr 0xfff
	v_mul_f32_e32 v4, 0x5f7ffffc, v4
	s_delay_alu instid0(VALU_DEP_1) | instskip(NEXT) | instid1(VALU_DEP_1)
	v_mul_f32_e32 v5, 0x2f800000, v4
	v_trunc_f32_e32 v5, v5
	s_delay_alu instid0(VALU_DEP_1) | instskip(SKIP_1) | instid1(VALU_DEP_2)
	v_fmac_f32_e32 v4, 0xcf800000, v5
	v_cvt_u32_f32_e32 v5, v5
	v_cvt_u32_f32_e32 v4, v4
	s_delay_alu instid0(VALU_DEP_2) | instskip(NEXT) | instid1(VALU_DEP_2)
	v_readfirstlane_b32 s7, v5
	v_readfirstlane_b32 s8, v4
	s_delay_alu instid0(VALU_DEP_2) | instskip(NEXT) | instid1(VALU_DEP_1)
	s_mul_i32 s17, s9, s7
	s_mul_hi_u32 s48, s9, s8
	s_mul_i32 s26, s16, s8
	s_add_i32 s17, s48, s17
	s_mul_i32 s49, s9, s8
	s_add_i32 s17, s17, s26
	s_mul_hi_u32 s48, s8, s49
	s_mul_hi_u32 s65, s7, s49
	s_mul_i32 s26, s7, s49
	s_mul_hi_u32 s49, s8, s17
	s_mul_i32 s8, s8, s17
	s_mul_hi_u32 s68, s7, s17
	s_add_u32 s8, s48, s8
	s_addc_u32 s48, 0, s49
	s_add_u32 s8, s8, s26
	s_mul_i32 s17, s7, s17
	s_addc_u32 s8, s48, s65
	s_addc_u32 s26, s68, 0
	s_add_u32 s8, s8, s17
	s_addc_u32 s17, 0, s26
	v_add_co_u32 v4, s8, v4, s8
	s_delay_alu instid0(VALU_DEP_1) | instskip(SKIP_1) | instid1(VALU_DEP_1)
	s_cmp_lg_u32 s8, 0
	s_addc_u32 s7, s7, s17
	v_readfirstlane_b32 s8, v4
	s_mul_i32 s17, s9, s7
	s_delay_alu instid0(VALU_DEP_1)
	s_mul_hi_u32 s26, s9, s8
	s_mul_i32 s16, s16, s8
	s_add_i32 s17, s26, s17
	s_mul_i32 s9, s9, s8
	s_add_i32 s17, s17, s16
	s_mul_hi_u32 s26, s7, s9
	s_mul_i32 s48, s7, s9
	s_mul_hi_u32 s9, s8, s9
	s_mul_hi_u32 s49, s8, s17
	s_mul_i32 s8, s8, s17
	s_mul_hi_u32 s16, s7, s17
	s_add_u32 s8, s9, s8
	s_addc_u32 s9, 0, s49
	s_add_u32 s8, s8, s48
	s_mul_i32 s17, s7, s17
	s_addc_u32 s8, s9, s26
	s_addc_u32 s9, s16, 0
	s_add_u32 s8, s8, s17
	s_addc_u32 s9, 0, s9
	v_add_co_u32 v4, s8, v4, s8
	s_delay_alu instid0(VALU_DEP_1) | instskip(SKIP_1) | instid1(VALU_DEP_1)
	s_cmp_lg_u32 s8, 0
	s_addc_u32 s7, s7, s9
	v_readfirstlane_b32 s8, v4
	s_mul_i32 s16, s83, s7
	s_mul_hi_u32 s9, s83, s7
	s_mul_hi_u32 s17, s27, s7
	s_mul_i32 s7, s27, s7
	s_mul_hi_u32 s26, s83, s8
	s_mul_hi_u32 s48, s27, s8
	s_mul_i32 s8, s27, s8
	s_add_u32 s16, s26, s16
	s_addc_u32 s9, 0, s9
	s_add_u32 s8, s16, s8
	s_addc_u32 s8, s9, s48
	s_addc_u32 s9, s17, 0
	s_add_u32 s7, s8, s7
	s_addc_u32 s8, 0, s9
	s_mul_hi_u32 s9, s33, s7
	s_mul_i32 s7, s33, s7
	s_mul_i32 s8, s33, s8
	v_sub_co_u32 v4, s7, s83, s7
	s_add_i32 s9, s9, s8
	s_cmp_lg_u32 s7, 0
	s_delay_alu instid0(VALU_DEP_1) | instskip(SKIP_2) | instid1(VALU_DEP_1)
	v_sub_co_u32 v5, s7, v4, s33
	s_subb_u32 s8, s27, s9
	s_cmp_lg_u32 s7, 0
	v_cmp_le_u32_e32 vcc_lo, s33, v5
	v_sub_co_u32 v6, s7, v5, s33
	s_subb_u32 s9, s8, 0
	s_cmp_lg_u32 s7, 0
	v_cndmask_b32_e64 v7, 0, -1, vcc_lo
	s_subb_u32 s7, s9, 0
	s_cmp_eq_u32 s9, 0
	v_mov_b32_e32 v9, s7
	s_cselect_b32 vcc_lo, -1, 0
	s_cmp_eq_u32 s8, 0
	v_cndmask_b32_e32 v7, -1, v7, vcc_lo
	v_cmp_le_u32_e32 vcc_lo, s33, v4
	s_cselect_b32 s7, -1, 0
	v_cndmask_b32_e64 v8, 0, -1, vcc_lo
	s_delay_alu instid0(VALU_DEP_3) | instskip(NEXT) | instid1(VALU_DEP_2)
	v_cmp_ne_u32_e32 vcc_lo, 0, v7
	v_cndmask_b32_e64 v7, -1, v8, s7
	v_cndmask_b32_e32 v8, s9, v9, vcc_lo
	v_cndmask_b32_e32 v6, v5, v6, vcc_lo
	s_delay_alu instid0(VALU_DEP_3) | instskip(NEXT) | instid1(VALU_DEP_3)
	v_cmp_ne_u32_e32 vcc_lo, 0, v7
	v_cndmask_b32_e32 v5, s8, v8, vcc_lo
	s_delay_alu instid0(VALU_DEP_3)
	v_cndmask_b32_e32 v4, v4, v6, vcc_lo
	s_cbranch_execnz .LBB129_356
.LBB129_355:                            ;   in Loop: Header=BB129_31 Depth=1
	v_cvt_f32_u32_e32 v4, s33
	s_sub_i32 s7, 0, s33
	s_delay_alu instid0(VALU_DEP_1) | instskip(SKIP_2) | instid1(VALU_DEP_1)
	v_rcp_iflag_f32_e32 v4, v4
	s_waitcnt_depctr 0xfff
	v_mul_f32_e32 v4, 0x4f7ffffe, v4
	v_cvt_u32_f32_e32 v4, v4
	s_delay_alu instid0(VALU_DEP_1) | instskip(NEXT) | instid1(VALU_DEP_1)
	v_mul_lo_u32 v5, s7, v4
	v_mul_hi_u32 v5, v4, v5
	s_delay_alu instid0(VALU_DEP_1) | instskip(NEXT) | instid1(VALU_DEP_1)
	v_add_nc_u32_e32 v4, v4, v5
	v_mul_hi_u32 v4, s83, v4
	s_delay_alu instid0(VALU_DEP_1) | instskip(NEXT) | instid1(VALU_DEP_1)
	v_mul_lo_u32 v4, v4, s33
	v_sub_nc_u32_e32 v4, s83, v4
	s_delay_alu instid0(VALU_DEP_1) | instskip(SKIP_1) | instid1(VALU_DEP_2)
	v_subrev_nc_u32_e32 v5, s33, v4
	v_cmp_le_u32_e32 vcc_lo, s33, v4
	v_cndmask_b32_e32 v4, v4, v5, vcc_lo
	s_delay_alu instid0(VALU_DEP_1) | instskip(SKIP_1) | instid1(VALU_DEP_2)
	v_subrev_nc_u32_e32 v5, s33, v4
	v_cmp_le_u32_e32 vcc_lo, s33, v4
	v_cndmask_b32_e32 v12, v4, v5, vcc_lo
	s_delay_alu instid0(VALU_DEP_1)
	v_dual_mov_b32 v4, v12 :: v_dual_mov_b32 v5, v13
.LBB129_356:                            ;   in Loop: Header=BB129_31 Depth=1
	s_delay_alu instid0(VALU_DEP_1) | instskip(NEXT) | instid1(VALU_DEP_2)
	v_sub_co_u32 v4, vcc_lo, s83, v4
	v_sub_co_ci_u32_e32 v5, vcc_lo, s27, v5, vcc_lo
	s_mov_b32 s7, 0
	s_mov_b32 s8, exec_lo
                                        ; implicit-def: $vgpr40
	s_delay_alu instid0(VALU_DEP_1)
	v_cmpx_gt_u64_e64 v[4:5], v[0:1]
	s_cbranch_execz .LBB129_364
; %bb.357:                              ;   in Loop: Header=BB129_31 Depth=1
	v_dual_mov_b32 v6, v23 :: v_dual_mov_b32 v7, v24
	v_dual_mov_b32 v9, v1 :: v_dual_mov_b32 v8, v0
	s_mov_b32 s9, 0
                                        ; implicit-def: $sgpr16
	s_set_inst_prefetch_distance 0x1
	s_branch .LBB129_359
	.p2align	6
.LBB129_358:                            ;   in Loop: Header=BB129_359 Depth=2
	s_or_b32 exec_lo, exec_lo, s7
	s_waitcnt lgkmcnt(0)
	s_barrier
	buffer_gl0_inv
	ds_load_u16 v12, v13 offset:3072
	v_add_co_u32 v8, vcc_lo, v8, s33
	v_add_co_ci_u32_e32 v9, vcc_lo, 0, v9, vcc_lo
	s_waitcnt lgkmcnt(0)
	s_barrier
	buffer_gl0_inv
	v_cmp_ge_u64_e32 vcc_lo, v[8:9], v[4:5]
	v_and_b32_e32 v25, 0xff, v12
	s_delay_alu instid0(VALU_DEP_1) | instskip(NEXT) | instid1(VALU_DEP_1)
	v_cmp_ne_u16_e64 s7, 0, v25
	s_or_b32 s17, vcc_lo, s7
	v_add_co_u32 v6, vcc_lo, v6, s75
	s_and_b32 s17, exec_lo, s17
	v_add_co_ci_u32_e32 v7, vcc_lo, s74, v7, vcc_lo
	s_or_b32 s9, s17, s9
	s_and_not1_b32 s16, s16, exec_lo
	s_and_b32 s7, s7, exec_lo
	s_delay_alu instid0(SALU_CYCLE_1)
	s_or_b32 s16, s16, s7
	s_and_not1_b32 exec_lo, exec_lo, s9
	s_cbranch_execz .LBB129_363
.LBB129_359:                            ;   Parent Loop BB129_31 Depth=1
                                        ; =>  This Inner Loop Header: Depth=2
	s_delay_alu instid0(VALU_DEP_1)
	v_cmp_gt_u64_e32 vcc_lo, s[36:37], v[8:9]
	v_mov_b32_e32 v12, 0
	s_and_saveexec_b32 s7, vcc_lo
	s_cbranch_execz .LBB129_361
; %bb.360:                              ;   in Loop: Header=BB129_359 Depth=2
	global_load_u8 v12, v[6:7], off
.LBB129_361:                            ;   in Loop: Header=BB129_359 Depth=2
	s_or_b32 exec_lo, exec_lo, s7
	s_waitcnt vmcnt(0)
	v_and_b32_e32 v25, v12, v38
	s_delay_alu instid0(VALU_DEP_1) | instskip(NEXT) | instid1(VALU_DEP_1)
	v_and_b32_e32 v25, 0xff, v25
	v_cmp_eq_u32_e64 s7, v25, v39
	s_delay_alu instid0(VALU_DEP_1) | instskip(NEXT) | instid1(SALU_CYCLE_1)
	s_and_b32 s17, vcc_lo, s7
	s_and_saveexec_b32 s7, s17
	s_cbranch_execz .LBB129_358
; %bb.362:                              ;   in Loop: Header=BB129_359 Depth=2
	v_lshlrev_b16 v12, 8, v12
	s_delay_alu instid0(VALU_DEP_1)
	v_or_b32_e32 v12, 1, v12
	ds_store_b16 v13, v12 offset:3072
	s_branch .LBB129_358
.LBB129_363:                            ;   in Loop: Header=BB129_31 Depth=1
	s_set_inst_prefetch_distance 0x2
	s_or_b32 exec_lo, exec_lo, s9
	v_lshrrev_b16 v40, 8, v12
	s_and_b32 s7, s16, exec_lo
.LBB129_364:                            ;   in Loop: Header=BB129_31 Depth=1
	s_or_b32 exec_lo, exec_lo, s8
	s_mov_b32 s17, 0
	s_mov_b32 s16, -1
	s_mov_b32 s65, 0
.LBB129_365:                            ;   in Loop: Header=BB129_31 Depth=1
	s_or_not1_b32 s7, s7, exec_lo
.LBB129_366:                            ;   in Loop: Header=BB129_31 Depth=1
	s_or_b32 exec_lo, exec_lo, s66
	s_mov_b32 s26, 0
                                        ; implicit-def: $vgpr6
	s_and_saveexec_b32 s66, s7
	s_cbranch_execz .LBB129_475
; %bb.367:                              ;   in Loop: Header=BB129_31 Depth=1
	v_mov_b32_e32 v4, 1
	v_dual_mov_b32 v5, 0 :: v_dual_mov_b32 v6, 1
	s_xor_b32 s8, s67, -1
	s_delay_alu instid0(SALU_CYCLE_1)
	s_and_saveexec_b32 s7, s8
	s_cbranch_execz .LBB129_377
; %bb.368:                              ;   in Loop: Header=BB129_31 Depth=1
	s_mov_b32 s9, exec_lo
                                        ; implicit-def: $sgpr26
                                        ; implicit-def: $sgpr8
	v_cmpx_ge_u64_e64 s[14:15], v[2:3]
	s_xor_b32 s9, exec_lo, s9
	s_cbranch_execz .LBB129_374
; %bb.369:                              ;   in Loop: Header=BB129_31 Depth=1
	ds_load_b64 v[4:5], v13 offset:5120
	s_waitcnt lgkmcnt(0)
	v_cmp_ne_u64_e32 vcc_lo, 0, v[4:5]
	s_cbranch_vccnz .LBB129_373
; %bb.370:                              ;   in Loop: Header=BB129_31 Depth=1
	s_and_saveexec_b32 s8, s5
	s_cbranch_execz .LBB129_372
; %bb.371:                              ;   in Loop: Header=BB129_31 Depth=1
	v_dual_mov_b32 v4, s14 :: v_dual_mov_b32 v5, s15
	ds_store_b64 v13, v[4:5] offset:5128
.LBB129_372:                            ;   in Loop: Header=BB129_31 Depth=1
	s_or_b32 exec_lo, exec_lo, s8
	s_waitcnt lgkmcnt(0)
	s_barrier
	buffer_gl0_inv
.LBB129_373:                            ;   in Loop: Header=BB129_31 Depth=1
	s_lshl_b32 s8, 2, s22
	v_or_b32_e32 v38, s20, v38
	v_and_or_b32 v39, v39, s21, s8
	s_mov_b32 s8, 0
	s_mov_b32 s26, 5
.LBB129_374:                            ;   in Loop: Header=BB129_31 Depth=1
	s_or_saveexec_b32 s9, s9
	v_mov_b32_e32 v6, s26
	s_xor_b32 exec_lo, exec_lo, s9
; %bb.375:                              ;   in Loop: Header=BB129_31 Depth=1
	v_sub_co_u32 v2, vcc_lo, v2, s14
	v_subrev_co_ci_u32_e32 v3, vcc_lo, s15, v3, vcc_lo
	v_mov_b32_e32 v6, 0
	s_or_b32 s8, s8, exec_lo
; %bb.376:                              ;   in Loop: Header=BB129_31 Depth=1
	s_or_b32 exec_lo, exec_lo, s9
	s_delay_alu instid0(VALU_DEP_2)
	v_dual_mov_b32 v5, v3 :: v_dual_mov_b32 v4, v2
	s_and_b32 s26, s8, exec_lo
.LBB129_377:                            ;   in Loop: Header=BB129_31 Depth=1
	s_or_b32 exec_lo, exec_lo, s7
	s_mov_b32 s7, -1
                                        ; implicit-def: $sgpr8
                                        ; implicit-def: $sgpr9
                                        ; implicit-def: $sgpr14
	s_and_saveexec_b32 s67, s26
	s_cbranch_execz .LBB129_474
; %bb.378:                              ;   in Loop: Header=BB129_31 Depth=1
	v_cmp_eq_u64_e32 vcc_lo, 1, v[4:5]
	s_cmp_eq_u64 s[12:13], 1
                                        ; implicit-def: $sgpr14
                                        ; implicit-def: $sgpr15
                                        ; implicit-def: $sgpr68
	s_cselect_b32 s7, -1, 0
	s_delay_alu instid0(SALU_CYCLE_1)
	s_and_b32 s70, s7, vcc_lo
	s_mov_b32 s7, -1
	s_and_saveexec_b32 s69, s70
	s_cbranch_execz .LBB129_410
; %bb.379:                              ;   in Loop: Header=BB129_31 Depth=1
	ds_load_b64 v[2:3], v13 offset:5120
	s_waitcnt lgkmcnt(0)
	s_barrier
	buffer_gl0_inv
	v_readfirstlane_b32 s8, v2
	v_readfirstlane_b32 s9, v3
	s_and_saveexec_b32 s7, s6
	s_cbranch_execz .LBB129_381
; %bb.380:                              ;   in Loop: Header=BB129_31 Depth=1
	ds_store_b8 v0, v13 offset:3072
.LBB129_381:                            ;   in Loop: Header=BB129_31 Depth=1
	s_or_b32 exec_lo, exec_lo, s7
	s_lshl_b32 s7, 1, s22
	v_or_b32_e32 v38, s20, v38
	v_and_or_b32 v39, v39, s21, s7
	s_cmp_eq_u64 s[8:9], 0
	s_waitcnt lgkmcnt(0)
	s_barrier
	buffer_gl0_inv
	s_cbranch_scc1 .LBB129_394
; %bb.382:                              ;   in Loop: Header=BB129_31 Depth=1
	s_add_u32 s26, s81, s8
	s_addc_u32 s15, s82, s9
	s_mov_b32 s14, s55
	s_delay_alu instid0(SALU_CYCLE_1)
	s_cmp_lg_u64 s[14:15], 0
	s_cbranch_scc0 .LBB129_428
; %bb.383:                              ;   in Loop: Header=BB129_31 Depth=1
	v_cvt_f32_u32_e32 v2, s33
	s_sub_u32 s48, 0, s33
	s_subb_u32 s49, 0, 0
	s_delay_alu instid0(VALU_DEP_1) | instskip(NEXT) | instid1(VALU_DEP_1)
	v_fmac_f32_e64 v2, 0, 0x4f800000
	v_rcp_f32_e32 v2, v2
	s_waitcnt_depctr 0xfff
	v_mul_f32_e32 v2, 0x5f7ffffc, v2
	s_delay_alu instid0(VALU_DEP_1) | instskip(NEXT) | instid1(VALU_DEP_1)
	v_mul_f32_e32 v3, 0x2f800000, v2
	v_trunc_f32_e32 v3, v3
	s_delay_alu instid0(VALU_DEP_1) | instskip(SKIP_1) | instid1(VALU_DEP_2)
	v_fmac_f32_e32 v2, 0xcf800000, v3
	v_cvt_u32_f32_e32 v3, v3
	v_cvt_u32_f32_e32 v2, v2
	s_delay_alu instid0(VALU_DEP_2) | instskip(NEXT) | instid1(VALU_DEP_2)
	v_readfirstlane_b32 s7, v3
	v_readfirstlane_b32 s14, v2
	s_delay_alu instid0(VALU_DEP_2) | instskip(NEXT) | instid1(VALU_DEP_1)
	s_mul_i32 s68, s48, s7
	s_mul_hi_u32 s72, s48, s14
	s_mul_i32 s71, s49, s14
	s_add_i32 s68, s72, s68
	s_mul_i32 s73, s48, s14
	s_add_i32 s68, s68, s71
	s_mul_hi_u32 s72, s14, s73
	s_mul_hi_u32 s102, s7, s73
	s_mul_i32 s71, s7, s73
	s_mul_hi_u32 s73, s14, s68
	s_mul_i32 s14, s14, s68
	s_mul_hi_u32 s103, s7, s68
	s_add_u32 s14, s72, s14
	s_addc_u32 s72, 0, s73
	s_add_u32 s14, s14, s71
	s_mul_i32 s68, s7, s68
	s_addc_u32 s14, s72, s102
	s_addc_u32 s71, s103, 0
	s_add_u32 s14, s14, s68
	s_addc_u32 s68, 0, s71
	v_add_co_u32 v2, s14, v2, s14
	s_delay_alu instid0(VALU_DEP_1) | instskip(SKIP_1) | instid1(VALU_DEP_1)
	s_cmp_lg_u32 s14, 0
	s_addc_u32 s7, s7, s68
	v_readfirstlane_b32 s14, v2
	s_mul_i32 s68, s48, s7
	s_delay_alu instid0(VALU_DEP_1)
	s_mul_hi_u32 s71, s48, s14
	s_mul_i32 s49, s49, s14
	s_add_i32 s68, s71, s68
	s_mul_i32 s48, s48, s14
	s_add_i32 s68, s68, s49
	s_mul_hi_u32 s71, s7, s48
	s_mul_i32 s72, s7, s48
	s_mul_hi_u32 s48, s14, s48
	s_mul_hi_u32 s73, s14, s68
	s_mul_i32 s14, s14, s68
	s_mul_hi_u32 s49, s7, s68
	s_add_u32 s14, s48, s14
	s_addc_u32 s48, 0, s73
	s_add_u32 s14, s14, s72
	s_mul_i32 s68, s7, s68
	s_addc_u32 s14, s48, s71
	s_addc_u32 s48, s49, 0
	s_add_u32 s14, s14, s68
	s_addc_u32 s48, 0, s48
	v_add_co_u32 v2, s14, v2, s14
	s_delay_alu instid0(VALU_DEP_1) | instskip(SKIP_1) | instid1(VALU_DEP_1)
	s_cmp_lg_u32 s14, 0
	s_addc_u32 s7, s7, s48
	v_readfirstlane_b32 s14, v2
	s_mul_i32 s49, s26, s7
	s_mul_hi_u32 s48, s26, s7
	s_mul_hi_u32 s68, s15, s7
	s_mul_i32 s7, s15, s7
	s_mul_hi_u32 s71, s26, s14
	s_mul_hi_u32 s72, s15, s14
	s_mul_i32 s14, s15, s14
	s_add_u32 s49, s71, s49
	s_addc_u32 s48, 0, s48
	s_add_u32 s14, s49, s14
	s_addc_u32 s14, s48, s72
	s_addc_u32 s48, s68, 0
	s_add_u32 s7, s14, s7
	s_addc_u32 s14, 0, s48
	s_mul_hi_u32 s48, s33, s7
	s_mul_i32 s7, s33, s7
	s_mul_i32 s14, s33, s14
	v_sub_co_u32 v2, s7, s26, s7
	s_add_i32 s48, s48, s14
	s_cmp_lg_u32 s7, 0
	s_delay_alu instid0(VALU_DEP_1) | instskip(SKIP_2) | instid1(VALU_DEP_1)
	v_sub_co_u32 v3, s7, v2, s33
	s_subb_u32 s14, s15, s48
	s_cmp_lg_u32 s7, 0
	v_cmp_le_u32_e32 vcc_lo, s33, v3
	v_sub_co_u32 v6, s7, v3, s33
	s_subb_u32 s48, s14, 0
	s_cmp_lg_u32 s7, 0
	v_cndmask_b32_e64 v7, 0, -1, vcc_lo
	s_subb_u32 s7, s48, 0
	s_cmp_eq_u32 s48, 0
	v_mov_b32_e32 v9, s7
	s_cselect_b32 vcc_lo, -1, 0
	s_cmp_eq_u32 s14, 0
	v_cndmask_b32_e32 v7, -1, v7, vcc_lo
	v_cmp_le_u32_e32 vcc_lo, s33, v2
	s_cselect_b32 s7, -1, 0
	v_cndmask_b32_e64 v8, 0, -1, vcc_lo
	s_delay_alu instid0(VALU_DEP_3) | instskip(NEXT) | instid1(VALU_DEP_2)
	v_cmp_ne_u32_e32 vcc_lo, 0, v7
	v_cndmask_b32_e64 v7, -1, v8, s7
	v_cndmask_b32_e32 v8, s48, v9, vcc_lo
	v_cndmask_b32_e32 v6, v3, v6, vcc_lo
	s_delay_alu instid0(VALU_DEP_3) | instskip(NEXT) | instid1(VALU_DEP_3)
	v_cmp_ne_u32_e32 vcc_lo, 0, v7
	v_cndmask_b32_e32 v3, s14, v8, vcc_lo
	s_delay_alu instid0(VALU_DEP_3)
	v_cndmask_b32_e32 v2, v2, v6, vcc_lo
	s_cbranch_execnz .LBB129_385
.LBB129_384:                            ;   in Loop: Header=BB129_31 Depth=1
	v_cvt_f32_u32_e32 v2, s33
	s_sub_i32 s7, 0, s33
	s_delay_alu instid0(VALU_DEP_1) | instskip(SKIP_2) | instid1(VALU_DEP_1)
	v_rcp_iflag_f32_e32 v2, v2
	s_waitcnt_depctr 0xfff
	v_mul_f32_e32 v2, 0x4f7ffffe, v2
	v_cvt_u32_f32_e32 v2, v2
	s_delay_alu instid0(VALU_DEP_1) | instskip(NEXT) | instid1(VALU_DEP_1)
	v_mul_lo_u32 v3, s7, v2
	v_mul_hi_u32 v3, v2, v3
	s_delay_alu instid0(VALU_DEP_1) | instskip(NEXT) | instid1(VALU_DEP_1)
	v_add_nc_u32_e32 v2, v2, v3
	v_mul_hi_u32 v2, s26, v2
	s_delay_alu instid0(VALU_DEP_1) | instskip(NEXT) | instid1(VALU_DEP_1)
	v_mul_lo_u32 v2, v2, s33
	v_sub_nc_u32_e32 v2, s26, v2
	s_delay_alu instid0(VALU_DEP_1) | instskip(SKIP_1) | instid1(VALU_DEP_2)
	v_subrev_nc_u32_e32 v3, s33, v2
	v_cmp_le_u32_e32 vcc_lo, s33, v2
	v_cndmask_b32_e32 v2, v2, v3, vcc_lo
	s_delay_alu instid0(VALU_DEP_1) | instskip(SKIP_1) | instid1(VALU_DEP_2)
	v_subrev_nc_u32_e32 v3, s33, v2
	v_cmp_le_u32_e32 vcc_lo, s33, v2
	v_cndmask_b32_e32 v12, v2, v3, vcc_lo
	s_delay_alu instid0(VALU_DEP_1)
	v_dual_mov_b32 v2, v12 :: v_dual_mov_b32 v3, v13
.LBB129_385:                            ;   in Loop: Header=BB129_31 Depth=1
	s_delay_alu instid0(VALU_DEP_1) | instskip(NEXT) | instid1(VALU_DEP_2)
	v_sub_co_u32 v2, vcc_lo, s26, v2
	v_sub_co_ci_u32_e32 v3, vcc_lo, s15, v3, vcc_lo
	s_mov_b32 s7, 0
	s_mov_b32 s14, exec_lo
                                        ; implicit-def: $vgpr40
	s_delay_alu instid0(VALU_DEP_1)
	v_cmpx_gt_u64_e64 v[2:3], v[0:1]
	s_cbranch_execz .LBB129_396
; %bb.386:                              ;   in Loop: Header=BB129_31 Depth=1
	v_dual_mov_b32 v8, v0 :: v_dual_mov_b32 v7, v1
	v_mov_b32_e32 v6, v0
	s_mov_b32 s15, 0
                                        ; implicit-def: $sgpr26
	s_set_inst_prefetch_distance 0x1
	s_branch .LBB129_388
	.p2align	6
.LBB129_387:                            ;   in Loop: Header=BB129_388 Depth=2
	s_or_b32 exec_lo, exec_lo, s7
	s_waitcnt lgkmcnt(0)
	s_barrier
	buffer_gl0_inv
	ds_load_u16 v9, v13 offset:3072
	v_add_co_u32 v6, vcc_lo, v6, s33
	v_add_co_ci_u32_e32 v7, vcc_lo, 0, v7, vcc_lo
	v_add_nc_u32_e32 v8, s33, v8
	s_waitcnt lgkmcnt(0)
	s_barrier
	s_delay_alu instid0(VALU_DEP_2) | instskip(SKIP_2) | instid1(VALU_DEP_1)
	v_cmp_ge_u64_e32 vcc_lo, v[6:7], v[2:3]
	buffer_gl0_inv
	v_and_b32_e32 v12, 0xff, v9
	v_cmp_ne_u16_e64 s7, 0, v12
	s_delay_alu instid0(VALU_DEP_1) | instskip(NEXT) | instid1(SALU_CYCLE_1)
	s_or_b32 s48, vcc_lo, s7
	s_and_b32 s48, exec_lo, s48
	s_delay_alu instid0(SALU_CYCLE_1) | instskip(SKIP_2) | instid1(SALU_CYCLE_1)
	s_or_b32 s15, s48, s15
	s_and_not1_b32 s26, s26, exec_lo
	s_and_b32 s7, s7, exec_lo
	s_or_b32 s26, s26, s7
	s_and_not1_b32 exec_lo, exec_lo, s15
	s_cbranch_execz .LBB129_395
.LBB129_388:                            ;   Parent Loop BB129_31 Depth=1
                                        ; =>  This Inner Loop Header: Depth=2
	s_delay_alu instid0(VALU_DEP_1)
	v_cmp_gt_u64_e32 vcc_lo, s[8:9], v[6:7]
	v_mov_b32_e32 v9, 0
	s_and_saveexec_b32 s7, vcc_lo
	s_cbranch_execz .LBB129_390
; %bb.389:                              ;   in Loop: Header=BB129_388 Depth=2
	ds_load_u8 v9, v8
.LBB129_390:                            ;   in Loop: Header=BB129_388 Depth=2
	s_or_b32 exec_lo, exec_lo, s7
	s_waitcnt lgkmcnt(0)
	v_and_b32_e32 v12, v9, v38
	s_delay_alu instid0(VALU_DEP_1) | instskip(NEXT) | instid1(VALU_DEP_1)
	v_and_b32_e32 v12, 0xff, v12
	v_cmp_eq_u32_e64 s7, v12, v39
	s_delay_alu instid0(VALU_DEP_1) | instskip(NEXT) | instid1(SALU_CYCLE_1)
	s_and_b32 s48, vcc_lo, s7
	s_and_saveexec_b32 s7, s48
	s_cbranch_execz .LBB129_387
; %bb.391:                              ;   in Loop: Header=BB129_388 Depth=2
	v_lshlrev_b16 v9, 8, v9
	s_delay_alu instid0(VALU_DEP_1)
	v_or_b32_e32 v9, 1, v9
	ds_store_b16 v13, v9 offset:3072
	s_branch .LBB129_387
.LBB129_392:                            ;   in Loop: Header=BB129_31 Depth=1
                                        ; implicit-def: $vgpr4_vgpr5
	s_branch .LBB129_340
.LBB129_393:                            ;   in Loop: Header=BB129_31 Depth=1
                                        ; implicit-def: $vgpr4_vgpr5
	s_branch .LBB129_355
.LBB129_394:                            ;   in Loop: Header=BB129_31 Depth=1
	s_mov_b32 s14, -1
	s_mov_b32 s7, 0
                                        ; implicit-def: $sgpr15
                                        ; implicit-def: $vgpr40
	s_mov_b32 s68, s14
	s_cbranch_execnz .LBB129_397
	s_branch .LBB129_409
.LBB129_395:                            ;   in Loop: Header=BB129_31 Depth=1
	s_set_inst_prefetch_distance 0x2
	s_or_b32 exec_lo, exec_lo, s15
	v_lshrrev_b16 v40, 8, v9
	s_and_b32 s7, s26, exec_lo
.LBB129_396:                            ;   in Loop: Header=BB129_31 Depth=1
	s_or_b32 exec_lo, exec_lo, s14
	s_mov_b32 s14, 0
	s_mov_b32 s15, -1
	s_mov_b32 s68, s14
	s_branch .LBB129_409
.LBB129_397:                            ;   in Loop: Header=BB129_31 Depth=1
	s_mov_b32 s26, s55
	s_delay_alu instid0(SALU_CYCLE_1)
	s_cmp_lg_u64 s[26:27], 0
	s_cbranch_scc0 .LBB129_429
; %bb.398:                              ;   in Loop: Header=BB129_31 Depth=1
	v_cvt_f32_u32_e32 v2, s33
	s_sub_u32 s9, 0, s33
	s_subb_u32 s14, 0, 0
	s_delay_alu instid0(VALU_DEP_1) | instskip(NEXT) | instid1(VALU_DEP_1)
	v_fmac_f32_e64 v2, 0, 0x4f800000
	v_rcp_f32_e32 v2, v2
	s_waitcnt_depctr 0xfff
	v_mul_f32_e32 v2, 0x5f7ffffc, v2
	s_delay_alu instid0(VALU_DEP_1) | instskip(NEXT) | instid1(VALU_DEP_1)
	v_mul_f32_e32 v3, 0x2f800000, v2
	v_trunc_f32_e32 v3, v3
	s_delay_alu instid0(VALU_DEP_1) | instskip(SKIP_1) | instid1(VALU_DEP_2)
	v_fmac_f32_e32 v2, 0xcf800000, v3
	v_cvt_u32_f32_e32 v3, v3
	v_cvt_u32_f32_e32 v2, v2
	s_delay_alu instid0(VALU_DEP_2) | instskip(NEXT) | instid1(VALU_DEP_2)
	v_readfirstlane_b32 s7, v3
	v_readfirstlane_b32 s8, v2
	s_delay_alu instid0(VALU_DEP_2) | instskip(NEXT) | instid1(VALU_DEP_1)
	s_mul_i32 s15, s9, s7
	s_mul_hi_u32 s48, s9, s8
	s_mul_i32 s26, s14, s8
	s_add_i32 s15, s48, s15
	s_mul_i32 s49, s9, s8
	s_add_i32 s15, s15, s26
	s_mul_hi_u32 s48, s8, s49
	s_mul_hi_u32 s68, s7, s49
	s_mul_i32 s26, s7, s49
	s_mul_hi_u32 s49, s8, s15
	s_mul_i32 s8, s8, s15
	s_mul_hi_u32 s71, s7, s15
	s_add_u32 s8, s48, s8
	s_addc_u32 s48, 0, s49
	s_add_u32 s8, s8, s26
	s_mul_i32 s15, s7, s15
	s_addc_u32 s8, s48, s68
	s_addc_u32 s26, s71, 0
	s_add_u32 s8, s8, s15
	s_addc_u32 s15, 0, s26
	v_add_co_u32 v2, s8, v2, s8
	s_delay_alu instid0(VALU_DEP_1) | instskip(SKIP_1) | instid1(VALU_DEP_1)
	s_cmp_lg_u32 s8, 0
	s_addc_u32 s7, s7, s15
	v_readfirstlane_b32 s8, v2
	s_mul_i32 s15, s9, s7
	s_delay_alu instid0(VALU_DEP_1)
	s_mul_hi_u32 s26, s9, s8
	s_mul_i32 s14, s14, s8
	s_add_i32 s15, s26, s15
	s_mul_i32 s9, s9, s8
	s_add_i32 s15, s15, s14
	s_mul_hi_u32 s26, s7, s9
	s_mul_i32 s48, s7, s9
	s_mul_hi_u32 s9, s8, s9
	s_mul_hi_u32 s49, s8, s15
	s_mul_i32 s8, s8, s15
	s_mul_hi_u32 s14, s7, s15
	s_add_u32 s8, s9, s8
	s_addc_u32 s9, 0, s49
	s_add_u32 s8, s8, s48
	s_mul_i32 s15, s7, s15
	s_addc_u32 s8, s9, s26
	s_addc_u32 s9, s14, 0
	s_add_u32 s8, s8, s15
	s_addc_u32 s9, 0, s9
	v_add_co_u32 v2, s8, v2, s8
	s_delay_alu instid0(VALU_DEP_1) | instskip(SKIP_1) | instid1(VALU_DEP_1)
	s_cmp_lg_u32 s8, 0
	s_addc_u32 s7, s7, s9
	v_readfirstlane_b32 s8, v2
	s_mul_i32 s14, s83, s7
	s_mul_hi_u32 s9, s83, s7
	s_mul_hi_u32 s15, s27, s7
	s_mul_i32 s7, s27, s7
	s_mul_hi_u32 s26, s83, s8
	s_mul_hi_u32 s48, s27, s8
	s_mul_i32 s8, s27, s8
	s_add_u32 s14, s26, s14
	s_addc_u32 s9, 0, s9
	s_add_u32 s8, s14, s8
	s_addc_u32 s8, s9, s48
	s_addc_u32 s9, s15, 0
	s_add_u32 s7, s8, s7
	s_addc_u32 s8, 0, s9
	s_mul_hi_u32 s9, s33, s7
	s_mul_i32 s7, s33, s7
	s_mul_i32 s8, s33, s8
	v_sub_co_u32 v2, s7, s83, s7
	s_add_i32 s9, s9, s8
	s_cmp_lg_u32 s7, 0
	s_delay_alu instid0(VALU_DEP_1) | instskip(SKIP_2) | instid1(VALU_DEP_1)
	v_sub_co_u32 v3, s7, v2, s33
	s_subb_u32 s8, s27, s9
	s_cmp_lg_u32 s7, 0
	v_cmp_le_u32_e32 vcc_lo, s33, v3
	v_sub_co_u32 v6, s7, v3, s33
	s_subb_u32 s9, s8, 0
	s_cmp_lg_u32 s7, 0
	v_cndmask_b32_e64 v7, 0, -1, vcc_lo
	s_subb_u32 s7, s9, 0
	s_cmp_eq_u32 s9, 0
	v_mov_b32_e32 v9, s7
	s_cselect_b32 vcc_lo, -1, 0
	s_cmp_eq_u32 s8, 0
	v_cndmask_b32_e32 v7, -1, v7, vcc_lo
	v_cmp_le_u32_e32 vcc_lo, s33, v2
	s_cselect_b32 s7, -1, 0
	v_cndmask_b32_e64 v8, 0, -1, vcc_lo
	s_delay_alu instid0(VALU_DEP_3) | instskip(NEXT) | instid1(VALU_DEP_2)
	v_cmp_ne_u32_e32 vcc_lo, 0, v7
	v_cndmask_b32_e64 v7, -1, v8, s7
	v_cndmask_b32_e32 v8, s9, v9, vcc_lo
	v_cndmask_b32_e32 v6, v3, v6, vcc_lo
	s_delay_alu instid0(VALU_DEP_3) | instskip(NEXT) | instid1(VALU_DEP_3)
	v_cmp_ne_u32_e32 vcc_lo, 0, v7
	v_cndmask_b32_e32 v3, s8, v8, vcc_lo
	s_delay_alu instid0(VALU_DEP_3)
	v_cndmask_b32_e32 v2, v2, v6, vcc_lo
	s_cbranch_execnz .LBB129_400
.LBB129_399:                            ;   in Loop: Header=BB129_31 Depth=1
	v_cvt_f32_u32_e32 v2, s33
	s_sub_i32 s7, 0, s33
	s_delay_alu instid0(VALU_DEP_1) | instskip(SKIP_2) | instid1(VALU_DEP_1)
	v_rcp_iflag_f32_e32 v2, v2
	s_waitcnt_depctr 0xfff
	v_mul_f32_e32 v2, 0x4f7ffffe, v2
	v_cvt_u32_f32_e32 v2, v2
	s_delay_alu instid0(VALU_DEP_1) | instskip(NEXT) | instid1(VALU_DEP_1)
	v_mul_lo_u32 v3, s7, v2
	v_mul_hi_u32 v3, v2, v3
	s_delay_alu instid0(VALU_DEP_1) | instskip(NEXT) | instid1(VALU_DEP_1)
	v_add_nc_u32_e32 v2, v2, v3
	v_mul_hi_u32 v2, s83, v2
	s_delay_alu instid0(VALU_DEP_1) | instskip(NEXT) | instid1(VALU_DEP_1)
	v_mul_lo_u32 v2, v2, s33
	v_sub_nc_u32_e32 v2, s83, v2
	s_delay_alu instid0(VALU_DEP_1) | instskip(SKIP_1) | instid1(VALU_DEP_2)
	v_subrev_nc_u32_e32 v3, s33, v2
	v_cmp_le_u32_e32 vcc_lo, s33, v2
	v_cndmask_b32_e32 v2, v2, v3, vcc_lo
	s_delay_alu instid0(VALU_DEP_1) | instskip(SKIP_1) | instid1(VALU_DEP_2)
	v_subrev_nc_u32_e32 v3, s33, v2
	v_cmp_le_u32_e32 vcc_lo, s33, v2
	v_cndmask_b32_e32 v12, v2, v3, vcc_lo
	s_delay_alu instid0(VALU_DEP_1)
	v_dual_mov_b32 v2, v12 :: v_dual_mov_b32 v3, v13
.LBB129_400:                            ;   in Loop: Header=BB129_31 Depth=1
	s_delay_alu instid0(VALU_DEP_1) | instskip(NEXT) | instid1(VALU_DEP_2)
	v_sub_co_u32 v2, vcc_lo, s83, v2
	v_sub_co_ci_u32_e32 v3, vcc_lo, s27, v3, vcc_lo
	s_mov_b32 s7, 0
	s_mov_b32 s8, exec_lo
                                        ; implicit-def: $vgpr40
	s_delay_alu instid0(VALU_DEP_1)
	v_cmpx_gt_u64_e64 v[2:3], v[0:1]
	s_cbranch_execz .LBB129_408
; %bb.401:                              ;   in Loop: Header=BB129_31 Depth=1
	v_dual_mov_b32 v6, v23 :: v_dual_mov_b32 v7, v24
	v_dual_mov_b32 v9, v1 :: v_dual_mov_b32 v8, v0
	s_mov_b32 s9, 0
                                        ; implicit-def: $sgpr14
	s_set_inst_prefetch_distance 0x1
	s_branch .LBB129_403
	.p2align	6
.LBB129_402:                            ;   in Loop: Header=BB129_403 Depth=2
	s_or_b32 exec_lo, exec_lo, s7
	s_waitcnt lgkmcnt(0)
	s_barrier
	buffer_gl0_inv
	ds_load_u16 v12, v13 offset:3072
	v_add_co_u32 v8, vcc_lo, v8, s33
	v_add_co_ci_u32_e32 v9, vcc_lo, 0, v9, vcc_lo
	s_waitcnt lgkmcnt(0)
	s_barrier
	buffer_gl0_inv
	v_cmp_ge_u64_e32 vcc_lo, v[8:9], v[2:3]
	v_and_b32_e32 v25, 0xff, v12
	s_delay_alu instid0(VALU_DEP_1) | instskip(NEXT) | instid1(VALU_DEP_1)
	v_cmp_ne_u16_e64 s7, 0, v25
	s_or_b32 s15, vcc_lo, s7
	v_add_co_u32 v6, vcc_lo, v6, s75
	s_and_b32 s15, exec_lo, s15
	v_add_co_ci_u32_e32 v7, vcc_lo, s74, v7, vcc_lo
	s_or_b32 s9, s15, s9
	s_and_not1_b32 s14, s14, exec_lo
	s_and_b32 s7, s7, exec_lo
	s_delay_alu instid0(SALU_CYCLE_1)
	s_or_b32 s14, s14, s7
	s_and_not1_b32 exec_lo, exec_lo, s9
	s_cbranch_execz .LBB129_407
.LBB129_403:                            ;   Parent Loop BB129_31 Depth=1
                                        ; =>  This Inner Loop Header: Depth=2
	s_delay_alu instid0(VALU_DEP_1)
	v_cmp_gt_u64_e32 vcc_lo, s[36:37], v[8:9]
	v_mov_b32_e32 v12, 0
	s_and_saveexec_b32 s7, vcc_lo
	s_cbranch_execz .LBB129_405
; %bb.404:                              ;   in Loop: Header=BB129_403 Depth=2
	global_load_u8 v12, v[6:7], off
.LBB129_405:                            ;   in Loop: Header=BB129_403 Depth=2
	s_or_b32 exec_lo, exec_lo, s7
	s_waitcnt vmcnt(0)
	v_and_b32_e32 v25, v12, v38
	s_delay_alu instid0(VALU_DEP_1) | instskip(NEXT) | instid1(VALU_DEP_1)
	v_and_b32_e32 v25, 0xff, v25
	v_cmp_eq_u32_e64 s7, v25, v39
	s_delay_alu instid0(VALU_DEP_1) | instskip(NEXT) | instid1(SALU_CYCLE_1)
	s_and_b32 s15, vcc_lo, s7
	s_and_saveexec_b32 s7, s15
	s_cbranch_execz .LBB129_402
; %bb.406:                              ;   in Loop: Header=BB129_403 Depth=2
	v_lshlrev_b16 v12, 8, v12
	s_delay_alu instid0(VALU_DEP_1)
	v_or_b32_e32 v12, 1, v12
	ds_store_b16 v13, v12 offset:3072
	s_branch .LBB129_402
.LBB129_407:                            ;   in Loop: Header=BB129_31 Depth=1
	s_set_inst_prefetch_distance 0x2
	s_or_b32 exec_lo, exec_lo, s9
	v_lshrrev_b16 v40, 8, v12
	s_and_b32 s7, s14, exec_lo
.LBB129_408:                            ;   in Loop: Header=BB129_31 Depth=1
	s_or_b32 exec_lo, exec_lo, s8
	s_mov_b32 s15, 0
	s_mov_b32 s14, -1
	s_mov_b32 s68, 0
.LBB129_409:                            ;   in Loop: Header=BB129_31 Depth=1
	s_or_not1_b32 s7, s7, exec_lo
.LBB129_410:                            ;   in Loop: Header=BB129_31 Depth=1
	s_or_b32 exec_lo, exec_lo, s69
	s_mov_b32 s26, 0
                                        ; implicit-def: $vgpr6
	s_and_saveexec_b32 s69, s7
	s_cbranch_execz .LBB129_473
; %bb.411:                              ;   in Loop: Header=BB129_31 Depth=1
	v_mov_b32_e32 v2, 1
	v_dual_mov_b32 v3, 0 :: v_dual_mov_b32 v6, 1
	s_xor_b32 s8, s70, -1
	s_delay_alu instid0(SALU_CYCLE_1)
	s_and_saveexec_b32 s7, s8
	s_cbranch_execz .LBB129_421
; %bb.412:                              ;   in Loop: Header=BB129_31 Depth=1
	s_mov_b32 s9, exec_lo
                                        ; implicit-def: $sgpr26
                                        ; implicit-def: $sgpr8
	v_cmpx_ge_u64_e64 s[12:13], v[4:5]
	s_xor_b32 s9, exec_lo, s9
	s_cbranch_execz .LBB129_418
; %bb.413:                              ;   in Loop: Header=BB129_31 Depth=1
	ds_load_b64 v[2:3], v13 offset:5120
	s_waitcnt lgkmcnt(0)
	v_cmp_ne_u64_e32 vcc_lo, 0, v[2:3]
	s_cbranch_vccnz .LBB129_417
; %bb.414:                              ;   in Loop: Header=BB129_31 Depth=1
	s_and_saveexec_b32 s8, s5
	s_cbranch_execz .LBB129_416
; %bb.415:                              ;   in Loop: Header=BB129_31 Depth=1
	v_dual_mov_b32 v2, s12 :: v_dual_mov_b32 v3, s13
	ds_store_b64 v13, v[2:3] offset:5128
.LBB129_416:                            ;   in Loop: Header=BB129_31 Depth=1
	s_or_b32 exec_lo, exec_lo, s8
	s_waitcnt lgkmcnt(0)
	s_barrier
	buffer_gl0_inv
.LBB129_417:                            ;   in Loop: Header=BB129_31 Depth=1
	s_lshl_b32 s8, 1, s22
	v_or_b32_e32 v38, s20, v38
	v_and_or_b32 v39, v39, s21, s8
	s_mov_b32 s8, 0
	s_mov_b32 s26, 5
.LBB129_418:                            ;   in Loop: Header=BB129_31 Depth=1
	s_or_saveexec_b32 s9, s9
	v_mov_b32_e32 v6, s26
	s_xor_b32 exec_lo, exec_lo, s9
; %bb.419:                              ;   in Loop: Header=BB129_31 Depth=1
	v_sub_co_u32 v4, vcc_lo, v4, s12
	v_subrev_co_ci_u32_e32 v5, vcc_lo, s13, v5, vcc_lo
	v_mov_b32_e32 v6, 0
	s_or_b32 s8, s8, exec_lo
; %bb.420:                              ;   in Loop: Header=BB129_31 Depth=1
	s_or_b32 exec_lo, exec_lo, s9
	s_delay_alu instid0(VALU_DEP_2)
	v_dual_mov_b32 v2, v4 :: v_dual_mov_b32 v3, v5
	s_and_b32 s26, s8, exec_lo
.LBB129_421:                            ;   in Loop: Header=BB129_31 Depth=1
	s_or_b32 exec_lo, exec_lo, s7
	s_mov_b32 s12, -1
                                        ; implicit-def: $sgpr7
                                        ; implicit-def: $sgpr8
                                        ; implicit-def: $sgpr9
	s_and_saveexec_b32 s22, s26
	s_cbranch_execz .LBB129_472
; %bb.422:                              ;   in Loop: Header=BB129_31 Depth=1
	v_cmp_eq_u64_e32 vcc_lo, 1, v[2:3]
	s_cmp_eq_u64 s[10:11], 1
	s_mov_b32 s13, -1
	s_cselect_b32 s7, -1, 0
                                        ; implicit-def: $sgpr8
                                        ; implicit-def: $sgpr9
	s_delay_alu instid0(SALU_CYCLE_1) | instskip(NEXT) | instid1(SALU_CYCLE_1)
	s_and_b32 s70, s7, vcc_lo
                                        ; implicit-def: $sgpr7
	s_and_saveexec_b32 s71, s70
	s_cbranch_execz .LBB129_459
; %bb.423:                              ;   in Loop: Header=BB129_31 Depth=1
	ds_load_b64 v[4:5], v13 offset:5120
	s_waitcnt lgkmcnt(0)
	s_barrier
	buffer_gl0_inv
	v_readfirstlane_b32 s8, v4
	v_readfirstlane_b32 s9, v5
	s_and_saveexec_b32 s7, s6
	s_cbranch_execz .LBB129_425
; %bb.424:                              ;   in Loop: Header=BB129_31 Depth=1
	ds_store_b8 v0, v13 offset:3072
.LBB129_425:                            ;   in Loop: Header=BB129_31 Depth=1
	s_or_b32 exec_lo, exec_lo, s7
	v_and_b32_e32 v39, s21, v39
	v_or_b32_e32 v38, s20, v38
	s_cmp_eq_u64 s[8:9], 0
	s_waitcnt lgkmcnt(0)
	s_barrier
	buffer_gl0_inv
	s_cbranch_scc1 .LBB129_430
; %bb.426:                              ;   in Loop: Header=BB129_31 Depth=1
	s_add_u32 s26, s81, s8
	s_addc_u32 s13, s82, s9
	s_mov_b32 s12, s55
	s_delay_alu instid0(SALU_CYCLE_1)
	s_cmp_lg_u64 s[12:13], 0
	s_cbranch_scc0 .LBB129_431
; %bb.427:                              ;   in Loop: Header=BB129_31 Depth=1
	v_cvt_f32_u32_e32 v4, s33
	s_sub_u32 s48, 0, s33
	s_subb_u32 s49, 0, 0
	s_delay_alu instid0(VALU_DEP_1) | instskip(NEXT) | instid1(VALU_DEP_1)
	v_fmac_f32_e64 v4, 0, 0x4f800000
	v_rcp_f32_e32 v4, v4
	s_waitcnt_depctr 0xfff
	v_mul_f32_e32 v4, 0x5f7ffffc, v4
	s_delay_alu instid0(VALU_DEP_1) | instskip(NEXT) | instid1(VALU_DEP_1)
	v_mul_f32_e32 v5, 0x2f800000, v4
	v_trunc_f32_e32 v5, v5
	s_delay_alu instid0(VALU_DEP_1) | instskip(SKIP_1) | instid1(VALU_DEP_2)
	v_fmac_f32_e32 v4, 0xcf800000, v5
	v_cvt_u32_f32_e32 v5, v5
	v_cvt_u32_f32_e32 v4, v4
	s_delay_alu instid0(VALU_DEP_2) | instskip(NEXT) | instid1(VALU_DEP_2)
	v_readfirstlane_b32 s7, v5
	v_readfirstlane_b32 s12, v4
	s_delay_alu instid0(VALU_DEP_2) | instskip(NEXT) | instid1(VALU_DEP_1)
	s_mul_i32 s72, s48, s7
	s_mul_hi_u32 s102, s48, s12
	s_mul_i32 s73, s49, s12
	s_add_i32 s72, s102, s72
	s_mul_i32 s103, s48, s12
	s_add_i32 s72, s72, s73
	s_mul_hi_u32 s102, s12, s103
	s_mul_hi_u32 s104, s7, s103
	s_mul_i32 s73, s7, s103
	s_mul_hi_u32 s103, s12, s72
	s_mul_i32 s12, s12, s72
	s_mul_hi_u32 vcc_lo, s7, s72
	s_add_u32 s12, s102, s12
	s_addc_u32 s102, 0, s103
	s_add_u32 s12, s12, s73
	s_mul_i32 s72, s7, s72
	s_addc_u32 s12, s102, s104
	s_addc_u32 s73, vcc_lo, 0
	s_add_u32 s12, s12, s72
	s_addc_u32 s72, 0, s73
	v_add_co_u32 v4, s12, v4, s12
	s_delay_alu instid0(VALU_DEP_1) | instskip(SKIP_1) | instid1(VALU_DEP_1)
	s_cmp_lg_u32 s12, 0
	s_addc_u32 s7, s7, s72
	v_readfirstlane_b32 s12, v4
	s_mul_i32 s72, s48, s7
	s_delay_alu instid0(VALU_DEP_1)
	s_mul_hi_u32 s73, s48, s12
	s_mul_i32 s49, s49, s12
	s_add_i32 s72, s73, s72
	s_mul_i32 s48, s48, s12
	s_add_i32 s72, s72, s49
	s_mul_hi_u32 s73, s7, s48
	s_mul_i32 s102, s7, s48
	s_mul_hi_u32 s48, s12, s48
	s_mul_hi_u32 s103, s12, s72
	s_mul_i32 s12, s12, s72
	s_mul_hi_u32 s49, s7, s72
	s_add_u32 s12, s48, s12
	s_addc_u32 s48, 0, s103
	s_add_u32 s12, s12, s102
	s_mul_i32 s72, s7, s72
	s_addc_u32 s12, s48, s73
	s_addc_u32 s48, s49, 0
	s_add_u32 s12, s12, s72
	s_addc_u32 s48, 0, s48
	v_add_co_u32 v4, s12, v4, s12
	s_delay_alu instid0(VALU_DEP_1) | instskip(SKIP_1) | instid1(VALU_DEP_1)
	s_cmp_lg_u32 s12, 0
	s_addc_u32 s7, s7, s48
	v_readfirstlane_b32 s12, v4
	s_mul_i32 s49, s26, s7
	s_mul_hi_u32 s48, s26, s7
	s_mul_hi_u32 s72, s13, s7
	s_mul_i32 s7, s13, s7
	s_mul_hi_u32 s73, s26, s12
	s_mul_hi_u32 s102, s13, s12
	s_mul_i32 s12, s13, s12
	s_add_u32 s49, s73, s49
	s_addc_u32 s48, 0, s48
	s_add_u32 s12, s49, s12
	s_addc_u32 s12, s48, s102
	s_addc_u32 s48, s72, 0
	s_add_u32 s7, s12, s7
	s_addc_u32 s12, 0, s48
	s_mul_hi_u32 s48, s33, s7
	s_mul_i32 s7, s33, s7
	s_mul_i32 s12, s33, s12
	v_sub_co_u32 v4, s7, s26, s7
	s_add_i32 s48, s48, s12
	s_cmp_lg_u32 s7, 0
	s_delay_alu instid0(VALU_DEP_1) | instskip(SKIP_3) | instid1(VALU_DEP_2)
	v_sub_co_u32 v5, s7, v4, s33
	s_subb_u32 s12, s13, s48
	s_cmp_lg_u32 s7, 0
	v_cmp_le_u32_e32 vcc_lo, s33, v4
	v_cmp_le_u32_e64 s7, s33, v5
	v_sub_co_u32 v6, s48, v5, s33
	s_subb_u32 s49, s12, 0
	s_cmp_lg_u32 s48, 0
	s_delay_alu instid0(VALU_DEP_2)
	v_cndmask_b32_e64 v7, 0, -1, s7
	s_subb_u32 s48, s49, 0
	s_cmp_eq_u32 s49, 0
	v_mov_b32_e32 v9, s48
	v_cndmask_b32_e64 v8, 0, -1, vcc_lo
	s_cselect_b32 vcc_lo, -1, 0
	s_cmp_eq_u32 s12, 0
	v_cndmask_b32_e32 v7, -1, v7, vcc_lo
	s_cselect_b32 vcc_lo, -1, 0
	v_cndmask_b32_e32 v8, -1, v8, vcc_lo
	s_delay_alu instid0(VALU_DEP_2) | instskip(NEXT) | instid1(VALU_DEP_2)
	v_cmp_ne_u32_e32 vcc_lo, 0, v7
	v_cmp_ne_u32_e64 s7, 0, v8
	v_cndmask_b32_e32 v7, s49, v9, vcc_lo
	v_cndmask_b32_e32 v6, v5, v6, vcc_lo
	s_delay_alu instid0(VALU_DEP_2) | instskip(NEXT) | instid1(VALU_DEP_2)
	v_cndmask_b32_e64 v5, s12, v7, s7
	v_cndmask_b32_e64 v4, v4, v6, s7
	s_mov_b32 s7, 0
	s_branch .LBB129_432
.LBB129_428:                            ;   in Loop: Header=BB129_31 Depth=1
                                        ; implicit-def: $vgpr2_vgpr3
	s_branch .LBB129_384
.LBB129_429:                            ;   in Loop: Header=BB129_31 Depth=1
                                        ; implicit-def: $vgpr2_vgpr3
	s_branch .LBB129_399
.LBB129_430:                            ;   in Loop: Header=BB129_31 Depth=1
	s_mov_b32 s7, -1
	s_mov_b32 s12, 0
                                        ; implicit-def: $sgpr8
                                        ; implicit-def: $vgpr40
	s_branch .LBB129_443
.LBB129_431:                            ;   in Loop: Header=BB129_31 Depth=1
	s_mov_b32 s7, -1
                                        ; implicit-def: $vgpr4_vgpr5
.LBB129_432:                            ;   in Loop: Header=BB129_31 Depth=1
	s_delay_alu instid0(SALU_CYCLE_1)
	s_and_not1_b32 vcc_lo, exec_lo, s7
	s_cbranch_vccnz .LBB129_434
; %bb.433:                              ;   in Loop: Header=BB129_31 Depth=1
	v_cvt_f32_u32_e32 v4, s33
	s_sub_i32 s7, 0, s33
	s_delay_alu instid0(VALU_DEP_1) | instskip(SKIP_2) | instid1(VALU_DEP_1)
	v_rcp_iflag_f32_e32 v4, v4
	s_waitcnt_depctr 0xfff
	v_mul_f32_e32 v4, 0x4f7ffffe, v4
	v_cvt_u32_f32_e32 v4, v4
	s_delay_alu instid0(VALU_DEP_1) | instskip(NEXT) | instid1(VALU_DEP_1)
	v_mul_lo_u32 v5, s7, v4
	v_mul_hi_u32 v5, v4, v5
	s_delay_alu instid0(VALU_DEP_1) | instskip(NEXT) | instid1(VALU_DEP_1)
	v_add_nc_u32_e32 v4, v4, v5
	v_mul_hi_u32 v4, s26, v4
	s_delay_alu instid0(VALU_DEP_1) | instskip(NEXT) | instid1(VALU_DEP_1)
	v_mul_lo_u32 v4, v4, s33
	v_sub_nc_u32_e32 v4, s26, v4
	s_delay_alu instid0(VALU_DEP_1) | instskip(SKIP_1) | instid1(VALU_DEP_2)
	v_subrev_nc_u32_e32 v5, s33, v4
	v_cmp_le_u32_e32 vcc_lo, s33, v4
	v_cndmask_b32_e32 v4, v4, v5, vcc_lo
	s_delay_alu instid0(VALU_DEP_1) | instskip(SKIP_1) | instid1(VALU_DEP_2)
	v_subrev_nc_u32_e32 v5, s33, v4
	v_cmp_le_u32_e32 vcc_lo, s33, v4
	v_cndmask_b32_e32 v12, v4, v5, vcc_lo
	s_delay_alu instid0(VALU_DEP_1)
	v_dual_mov_b32 v4, v12 :: v_dual_mov_b32 v5, v13
.LBB129_434:                            ;   in Loop: Header=BB129_31 Depth=1
	s_delay_alu instid0(VALU_DEP_1) | instskip(NEXT) | instid1(VALU_DEP_2)
	v_sub_co_u32 v4, vcc_lo, s26, v4
	v_sub_co_ci_u32_e32 v5, vcc_lo, s13, v5, vcc_lo
	s_mov_b32 s12, 0
	s_mov_b32 s13, exec_lo
                                        ; implicit-def: $vgpr40
	s_delay_alu instid0(VALU_DEP_1)
	v_cmpx_gt_u64_e64 v[4:5], v[0:1]
	s_cbranch_execz .LBB129_442
; %bb.435:                              ;   in Loop: Header=BB129_31 Depth=1
	v_dual_mov_b32 v8, v0 :: v_dual_mov_b32 v7, v1
	v_mov_b32_e32 v6, v0
                                        ; implicit-def: $sgpr26
	s_set_inst_prefetch_distance 0x1
	s_branch .LBB129_437
	.p2align	6
.LBB129_436:                            ;   in Loop: Header=BB129_437 Depth=2
	s_or_b32 exec_lo, exec_lo, s7
	s_waitcnt lgkmcnt(0)
	s_barrier
	buffer_gl0_inv
	ds_load_u16 v9, v13 offset:3072
	v_add_co_u32 v6, vcc_lo, v6, s33
	v_add_co_ci_u32_e32 v7, vcc_lo, 0, v7, vcc_lo
	v_add_nc_u32_e32 v8, s33, v8
	s_waitcnt lgkmcnt(0)
	s_barrier
	s_delay_alu instid0(VALU_DEP_2) | instskip(SKIP_2) | instid1(VALU_DEP_1)
	v_cmp_ge_u64_e32 vcc_lo, v[6:7], v[4:5]
	buffer_gl0_inv
	v_and_b32_e32 v12, 0xff, v9
	v_cmp_ne_u16_e64 s7, 0, v12
	s_delay_alu instid0(VALU_DEP_1) | instskip(NEXT) | instid1(SALU_CYCLE_1)
	s_or_b32 s48, vcc_lo, s7
	s_and_b32 s48, exec_lo, s48
	s_delay_alu instid0(SALU_CYCLE_1) | instskip(SKIP_2) | instid1(SALU_CYCLE_1)
	s_or_b32 s12, s48, s12
	s_and_not1_b32 s26, s26, exec_lo
	s_and_b32 s7, s7, exec_lo
	s_or_b32 s26, s26, s7
	s_and_not1_b32 exec_lo, exec_lo, s12
	s_cbranch_execz .LBB129_441
.LBB129_437:                            ;   Parent Loop BB129_31 Depth=1
                                        ; =>  This Inner Loop Header: Depth=2
	s_delay_alu instid0(VALU_DEP_1)
	v_cmp_gt_u64_e32 vcc_lo, s[8:9], v[6:7]
	v_mov_b32_e32 v9, 0
	s_and_saveexec_b32 s7, vcc_lo
	s_cbranch_execz .LBB129_439
; %bb.438:                              ;   in Loop: Header=BB129_437 Depth=2
	ds_load_u8 v9, v8
.LBB129_439:                            ;   in Loop: Header=BB129_437 Depth=2
	s_or_b32 exec_lo, exec_lo, s7
	s_waitcnt lgkmcnt(0)
	v_and_b32_e32 v12, v9, v38
	s_delay_alu instid0(VALU_DEP_1) | instskip(NEXT) | instid1(VALU_DEP_1)
	v_and_b32_e32 v12, 0xff, v12
	v_cmp_eq_u32_e64 s7, v12, v39
	s_delay_alu instid0(VALU_DEP_1) | instskip(NEXT) | instid1(SALU_CYCLE_1)
	s_and_b32 s48, vcc_lo, s7
	s_and_saveexec_b32 s7, s48
	s_cbranch_execz .LBB129_436
; %bb.440:                              ;   in Loop: Header=BB129_437 Depth=2
	v_lshlrev_b16 v9, 8, v9
	s_delay_alu instid0(VALU_DEP_1)
	v_or_b32_e32 v9, 1, v9
	ds_store_b16 v13, v9 offset:3072
	s_branch .LBB129_436
.LBB129_441:                            ;   in Loop: Header=BB129_31 Depth=1
	s_set_inst_prefetch_distance 0x2
	s_or_b32 exec_lo, exec_lo, s12
	v_lshrrev_b16 v40, 8, v9
	s_and_b32 s12, s26, exec_lo
.LBB129_442:                            ;   in Loop: Header=BB129_31 Depth=1
	s_or_b32 exec_lo, exec_lo, s13
	s_mov_b32 s7, 0
	s_mov_b32 s8, -1
.LBB129_443:                            ;   in Loop: Header=BB129_31 Depth=1
	s_and_b32 vcc_lo, exec_lo, s7
	s_mov_b32 s9, s7
	s_cbranch_vccz .LBB129_458
; %bb.444:                              ;   in Loop: Header=BB129_31 Depth=1
	s_mov_b32 s26, s55
	s_delay_alu instid0(SALU_CYCLE_1)
	s_cmp_lg_u64 s[26:27], 0
	s_cbranch_scc0 .LBB129_446
; %bb.445:                              ;   in Loop: Header=BB129_31 Depth=1
	v_cvt_f32_u32_e32 v4, s33
	s_sub_u32 s9, 0, s33
	s_subb_u32 s12, 0, 0
	s_delay_alu instid0(VALU_DEP_1) | instskip(NEXT) | instid1(VALU_DEP_1)
	v_fmac_f32_e64 v4, 0, 0x4f800000
	v_rcp_f32_e32 v4, v4
	s_waitcnt_depctr 0xfff
	v_mul_f32_e32 v4, 0x5f7ffffc, v4
	s_delay_alu instid0(VALU_DEP_1) | instskip(NEXT) | instid1(VALU_DEP_1)
	v_mul_f32_e32 v5, 0x2f800000, v4
	v_trunc_f32_e32 v5, v5
	s_delay_alu instid0(VALU_DEP_1) | instskip(SKIP_1) | instid1(VALU_DEP_2)
	v_fmac_f32_e32 v4, 0xcf800000, v5
	v_cvt_u32_f32_e32 v5, v5
	v_cvt_u32_f32_e32 v4, v4
	s_delay_alu instid0(VALU_DEP_2) | instskip(NEXT) | instid1(VALU_DEP_2)
	v_readfirstlane_b32 s7, v5
	v_readfirstlane_b32 s8, v4
	s_delay_alu instid0(VALU_DEP_2) | instskip(NEXT) | instid1(VALU_DEP_1)
	s_mul_i32 s13, s9, s7
	s_mul_hi_u32 s48, s9, s8
	s_mul_i32 s26, s12, s8
	s_add_i32 s13, s48, s13
	s_mul_i32 s49, s9, s8
	s_add_i32 s13, s13, s26
	s_mul_hi_u32 s48, s8, s49
	s_mul_hi_u32 s72, s7, s49
	s_mul_i32 s26, s7, s49
	s_mul_hi_u32 s49, s8, s13
	s_mul_i32 s8, s8, s13
	s_mul_hi_u32 s73, s7, s13
	s_add_u32 s8, s48, s8
	s_addc_u32 s48, 0, s49
	s_add_u32 s8, s8, s26
	s_mul_i32 s13, s7, s13
	s_addc_u32 s8, s48, s72
	s_addc_u32 s26, s73, 0
	s_add_u32 s8, s8, s13
	s_addc_u32 s13, 0, s26
	v_add_co_u32 v4, s8, v4, s8
	s_delay_alu instid0(VALU_DEP_1) | instskip(SKIP_1) | instid1(VALU_DEP_1)
	s_cmp_lg_u32 s8, 0
	s_addc_u32 s7, s7, s13
	v_readfirstlane_b32 s8, v4
	s_mul_i32 s13, s9, s7
	s_delay_alu instid0(VALU_DEP_1)
	s_mul_hi_u32 s26, s9, s8
	s_mul_i32 s12, s12, s8
	s_add_i32 s13, s26, s13
	s_mul_i32 s9, s9, s8
	s_add_i32 s13, s13, s12
	s_mul_hi_u32 s26, s7, s9
	s_mul_i32 s48, s7, s9
	s_mul_hi_u32 s9, s8, s9
	s_mul_hi_u32 s49, s8, s13
	s_mul_i32 s8, s8, s13
	s_mul_hi_u32 s12, s7, s13
	s_add_u32 s8, s9, s8
	s_addc_u32 s9, 0, s49
	s_add_u32 s8, s8, s48
	s_mul_i32 s13, s7, s13
	s_addc_u32 s8, s9, s26
	s_addc_u32 s9, s12, 0
	s_add_u32 s8, s8, s13
	s_addc_u32 s9, 0, s9
	v_add_co_u32 v4, s8, v4, s8
	s_delay_alu instid0(VALU_DEP_1) | instskip(SKIP_1) | instid1(VALU_DEP_1)
	s_cmp_lg_u32 s8, 0
	s_addc_u32 s7, s7, s9
	v_readfirstlane_b32 s8, v4
	s_mul_i32 s12, s83, s7
	s_mul_hi_u32 s9, s83, s7
	s_mul_hi_u32 s13, s27, s7
	s_mul_i32 s7, s27, s7
	s_mul_hi_u32 s26, s83, s8
	s_mul_hi_u32 s48, s27, s8
	s_mul_i32 s8, s27, s8
	s_add_u32 s12, s26, s12
	s_addc_u32 s9, 0, s9
	s_add_u32 s8, s12, s8
	s_addc_u32 s8, s9, s48
	s_addc_u32 s9, s13, 0
	s_add_u32 s7, s8, s7
	s_addc_u32 s8, 0, s9
	s_mul_hi_u32 s9, s33, s7
	s_mul_i32 s7, s33, s7
	s_mul_i32 s8, s33, s8
	v_sub_co_u32 v4, s7, s83, s7
	s_add_i32 s9, s9, s8
	s_cmp_lg_u32 s7, 0
	s_delay_alu instid0(VALU_DEP_1) | instskip(SKIP_2) | instid1(VALU_DEP_1)
	v_sub_co_u32 v5, s7, v4, s33
	s_subb_u32 s8, s27, s9
	s_cmp_lg_u32 s7, 0
	v_cmp_le_u32_e32 vcc_lo, s33, v5
	v_sub_co_u32 v6, s7, v5, s33
	s_subb_u32 s9, s8, 0
	s_cmp_lg_u32 s7, 0
	v_cndmask_b32_e64 v7, 0, -1, vcc_lo
	s_subb_u32 s7, s9, 0
	s_cmp_eq_u32 s9, 0
	v_mov_b32_e32 v9, s7
	s_cselect_b32 vcc_lo, -1, 0
	s_cmp_eq_u32 s8, 0
	v_cndmask_b32_e32 v7, -1, v7, vcc_lo
	v_cmp_le_u32_e32 vcc_lo, s33, v4
	s_cselect_b32 s7, -1, 0
	v_cndmask_b32_e64 v8, 0, -1, vcc_lo
	s_delay_alu instid0(VALU_DEP_3) | instskip(NEXT) | instid1(VALU_DEP_2)
	v_cmp_ne_u32_e32 vcc_lo, 0, v7
	v_cndmask_b32_e64 v7, -1, v8, s7
	v_cndmask_b32_e32 v8, s9, v9, vcc_lo
	v_cndmask_b32_e32 v6, v5, v6, vcc_lo
	s_mov_b32 s7, 0
	s_delay_alu instid0(VALU_DEP_3) | instskip(NEXT) | instid1(VALU_DEP_3)
	v_cmp_ne_u32_e32 vcc_lo, 0, v7
	v_cndmask_b32_e32 v5, s8, v8, vcc_lo
	s_delay_alu instid0(VALU_DEP_3)
	v_cndmask_b32_e32 v4, v4, v6, vcc_lo
	s_branch .LBB129_447
.LBB129_446:                            ;   in Loop: Header=BB129_31 Depth=1
	s_mov_b32 s7, -1
                                        ; implicit-def: $vgpr4_vgpr5
.LBB129_447:                            ;   in Loop: Header=BB129_31 Depth=1
	s_delay_alu instid0(SALU_CYCLE_1)
	s_and_not1_b32 vcc_lo, exec_lo, s7
	s_cbranch_vccnz .LBB129_449
; %bb.448:                              ;   in Loop: Header=BB129_31 Depth=1
	v_cvt_f32_u32_e32 v4, s33
	s_sub_i32 s7, 0, s33
	s_delay_alu instid0(VALU_DEP_1) | instskip(SKIP_2) | instid1(VALU_DEP_1)
	v_rcp_iflag_f32_e32 v4, v4
	s_waitcnt_depctr 0xfff
	v_mul_f32_e32 v4, 0x4f7ffffe, v4
	v_cvt_u32_f32_e32 v4, v4
	s_delay_alu instid0(VALU_DEP_1) | instskip(NEXT) | instid1(VALU_DEP_1)
	v_mul_lo_u32 v5, s7, v4
	v_mul_hi_u32 v5, v4, v5
	s_delay_alu instid0(VALU_DEP_1) | instskip(NEXT) | instid1(VALU_DEP_1)
	v_add_nc_u32_e32 v4, v4, v5
	v_mul_hi_u32 v4, s83, v4
	s_delay_alu instid0(VALU_DEP_1) | instskip(NEXT) | instid1(VALU_DEP_1)
	v_mul_lo_u32 v4, v4, s33
	v_sub_nc_u32_e32 v4, s83, v4
	s_delay_alu instid0(VALU_DEP_1) | instskip(SKIP_1) | instid1(VALU_DEP_2)
	v_subrev_nc_u32_e32 v5, s33, v4
	v_cmp_le_u32_e32 vcc_lo, s33, v4
	v_cndmask_b32_e32 v4, v4, v5, vcc_lo
	s_delay_alu instid0(VALU_DEP_1) | instskip(SKIP_1) | instid1(VALU_DEP_2)
	v_subrev_nc_u32_e32 v5, s33, v4
	v_cmp_le_u32_e32 vcc_lo, s33, v4
	v_cndmask_b32_e32 v12, v4, v5, vcc_lo
	s_delay_alu instid0(VALU_DEP_1)
	v_dual_mov_b32 v4, v12 :: v_dual_mov_b32 v5, v13
.LBB129_449:                            ;   in Loop: Header=BB129_31 Depth=1
	s_delay_alu instid0(VALU_DEP_1) | instskip(NEXT) | instid1(VALU_DEP_2)
	v_sub_co_u32 v4, vcc_lo, s83, v4
	v_sub_co_ci_u32_e32 v5, vcc_lo, s27, v5, vcc_lo
	s_mov_b32 s12, 0
	s_mov_b32 s8, exec_lo
                                        ; implicit-def: $vgpr40
	s_delay_alu instid0(VALU_DEP_1)
	v_cmpx_gt_u64_e64 v[4:5], v[0:1]
	s_cbranch_execz .LBB129_457
; %bb.450:                              ;   in Loop: Header=BB129_31 Depth=1
	v_dual_mov_b32 v6, v23 :: v_dual_mov_b32 v7, v24
	v_dual_mov_b32 v9, v1 :: v_dual_mov_b32 v8, v0
	s_mov_b32 s9, 0
                                        ; implicit-def: $sgpr12
	s_set_inst_prefetch_distance 0x1
	s_branch .LBB129_452
	.p2align	6
.LBB129_451:                            ;   in Loop: Header=BB129_452 Depth=2
	s_or_b32 exec_lo, exec_lo, s7
	s_waitcnt lgkmcnt(0)
	s_barrier
	buffer_gl0_inv
	ds_load_u16 v12, v13 offset:3072
	v_add_co_u32 v8, vcc_lo, v8, s33
	v_add_co_ci_u32_e32 v9, vcc_lo, 0, v9, vcc_lo
	s_waitcnt lgkmcnt(0)
	s_barrier
	buffer_gl0_inv
	v_cmp_ge_u64_e32 vcc_lo, v[8:9], v[4:5]
	v_and_b32_e32 v25, 0xff, v12
	s_delay_alu instid0(VALU_DEP_1) | instskip(NEXT) | instid1(VALU_DEP_1)
	v_cmp_ne_u16_e64 s7, 0, v25
	s_or_b32 s13, vcc_lo, s7
	v_add_co_u32 v6, vcc_lo, v6, s75
	s_and_b32 s13, exec_lo, s13
	v_add_co_ci_u32_e32 v7, vcc_lo, s74, v7, vcc_lo
	s_or_b32 s9, s13, s9
	s_and_not1_b32 s12, s12, exec_lo
	s_and_b32 s7, s7, exec_lo
	s_delay_alu instid0(SALU_CYCLE_1)
	s_or_b32 s12, s12, s7
	s_and_not1_b32 exec_lo, exec_lo, s9
	s_cbranch_execz .LBB129_456
.LBB129_452:                            ;   Parent Loop BB129_31 Depth=1
                                        ; =>  This Inner Loop Header: Depth=2
	s_delay_alu instid0(VALU_DEP_1)
	v_cmp_gt_u64_e32 vcc_lo, s[36:37], v[8:9]
	v_mov_b32_e32 v12, 0
	s_and_saveexec_b32 s7, vcc_lo
	s_cbranch_execz .LBB129_454
; %bb.453:                              ;   in Loop: Header=BB129_452 Depth=2
	global_load_u8 v12, v[6:7], off
.LBB129_454:                            ;   in Loop: Header=BB129_452 Depth=2
	s_or_b32 exec_lo, exec_lo, s7
	s_waitcnt vmcnt(0)
	v_and_b32_e32 v25, v12, v38
	s_delay_alu instid0(VALU_DEP_1) | instskip(NEXT) | instid1(VALU_DEP_1)
	v_and_b32_e32 v25, 0xff, v25
	v_cmp_eq_u32_e64 s7, v25, v39
	s_delay_alu instid0(VALU_DEP_1) | instskip(NEXT) | instid1(SALU_CYCLE_1)
	s_and_b32 s13, vcc_lo, s7
	s_and_saveexec_b32 s7, s13
	s_cbranch_execz .LBB129_451
; %bb.455:                              ;   in Loop: Header=BB129_452 Depth=2
	v_lshlrev_b16 v12, 8, v12
	s_delay_alu instid0(VALU_DEP_1)
	v_or_b32_e32 v12, 1, v12
	ds_store_b16 v13, v12 offset:3072
	s_branch .LBB129_451
.LBB129_456:                            ;   in Loop: Header=BB129_31 Depth=1
	s_set_inst_prefetch_distance 0x2
	s_or_b32 exec_lo, exec_lo, s9
	v_lshrrev_b16 v40, 8, v12
	s_and_b32 s12, s12, exec_lo
.LBB129_457:                            ;   in Loop: Header=BB129_31 Depth=1
	s_or_b32 exec_lo, exec_lo, s8
	s_mov_b32 s8, 0
	s_mov_b32 s7, -1
	s_mov_b32 s9, 0
.LBB129_458:                            ;   in Loop: Header=BB129_31 Depth=1
	s_or_not1_b32 s13, s12, exec_lo
.LBB129_459:                            ;   in Loop: Header=BB129_31 Depth=1
	s_or_b32 exec_lo, exec_lo, s71
	s_mov_b32 s26, 0
                                        ; implicit-def: $vgpr6
                                        ; implicit-def: $vgpr4_vgpr5
	s_and_saveexec_b32 s12, s13
	s_cbranch_execz .LBB129_471
; %bb.460:                              ;   in Loop: Header=BB129_31 Depth=1
	v_mov_b32_e32 v4, 1
	v_dual_mov_b32 v5, 0 :: v_dual_mov_b32 v6, 1
	s_xor_b32 s26, s70, -1
	s_delay_alu instid0(SALU_CYCLE_1)
	s_and_saveexec_b32 s13, s26
	s_cbranch_execz .LBB129_470
; %bb.461:                              ;   in Loop: Header=BB129_31 Depth=1
	s_mov_b32 s26, exec_lo
                                        ; implicit-def: $sgpr48
	v_cmpx_ge_u64_e64 s[10:11], v[2:3]
	s_xor_b32 s26, exec_lo, s26
	s_cbranch_execz .LBB129_467
; %bb.462:                              ;   in Loop: Header=BB129_31 Depth=1
	ds_load_b64 v[4:5], v13 offset:5120
	s_waitcnt lgkmcnt(0)
	v_cmp_ne_u64_e32 vcc_lo, 0, v[4:5]
	s_cbranch_vccnz .LBB129_466
; %bb.463:                              ;   in Loop: Header=BB129_31 Depth=1
	s_and_saveexec_b32 s48, s5
	s_cbranch_execz .LBB129_465
; %bb.464:                              ;   in Loop: Header=BB129_31 Depth=1
	v_dual_mov_b32 v4, s10 :: v_dual_mov_b32 v5, s11
	ds_store_b64 v13, v[4:5] offset:5128
.LBB129_465:                            ;   in Loop: Header=BB129_31 Depth=1
	s_or_b32 exec_lo, exec_lo, s48
	s_waitcnt lgkmcnt(0)
	s_barrier
	buffer_gl0_inv
.LBB129_466:                            ;   in Loop: Header=BB129_31 Depth=1
	v_and_b32_e32 v39, s21, v39
	v_or_b32_e32 v38, s20, v38
	s_mov_b32 s48, 5
.LBB129_467:                            ;   in Loop: Header=BB129_31 Depth=1
	s_or_saveexec_b32 s20, s26
	v_mov_b32_e32 v6, s48
	s_xor_b32 exec_lo, exec_lo, s20
; %bb.468:                              ;   in Loop: Header=BB129_31 Depth=1
	v_sub_co_u32 v2, vcc_lo, v2, s10
	v_subrev_co_ci_u32_e32 v3, vcc_lo, s11, v3, vcc_lo
	v_mov_b32_e32 v6, 5
; %bb.469:                              ;   in Loop: Header=BB129_31 Depth=1
	s_or_b32 exec_lo, exec_lo, s20
	s_delay_alu instid0(VALU_DEP_2)
	v_dual_mov_b32 v5, v3 :: v_dual_mov_b32 v4, v2
.LBB129_470:                            ;   in Loop: Header=BB129_31 Depth=1
	s_or_b32 exec_lo, exec_lo, s13
	s_delay_alu instid0(SALU_CYCLE_1)
	s_mov_b32 s26, exec_lo
.LBB129_471:                            ;   in Loop: Header=BB129_31 Depth=1
	s_or_b32 exec_lo, exec_lo, s12
	s_delay_alu instid0(VALU_DEP_1)
	v_dual_mov_b32 v2, v4 :: v_dual_mov_b32 v3, v5
	s_or_not1_b32 s12, s26, exec_lo
.LBB129_472:                            ;   in Loop: Header=BB129_31 Depth=1
	s_or_b32 exec_lo, exec_lo, s22
	s_delay_alu instid0(SALU_CYCLE_1)
	s_and_not1_b32 s10, s14, exec_lo
	s_and_b32 s7, s7, exec_lo
	s_and_b32 s8, s8, exec_lo
	s_or_b32 s14, s10, s7
	s_and_not1_b32 s7, s15, exec_lo
	s_and_not1_b32 s10, s68, exec_lo
	s_and_b32 s9, s9, exec_lo
	v_dual_mov_b32 v5, v3 :: v_dual_mov_b32 v4, v2
	s_or_b32 s15, s7, s8
	s_or_b32 s68, s10, s9
	s_and_b32 s26, s12, exec_lo
.LBB129_473:                            ;   in Loop: Header=BB129_31 Depth=1
	s_or_b32 exec_lo, exec_lo, s69
	s_delay_alu instid0(SALU_CYCLE_1)
	s_and_b32 s14, s14, exec_lo
	s_and_b32 s9, s15, exec_lo
	;; [unrolled: 1-line block ×3, first 2 shown]
	s_or_not1_b32 s7, s26, exec_lo
.LBB129_474:                            ;   in Loop: Header=BB129_31 Depth=1
	s_or_b32 exec_lo, exec_lo, s67
	s_delay_alu instid0(SALU_CYCLE_1)
	s_and_not1_b32 s10, s16, exec_lo
	s_and_b32 s11, s14, exec_lo
	s_and_b32 s9, s9, exec_lo
	s_or_b32 s16, s10, s11
	s_and_not1_b32 s10, s17, exec_lo
	s_and_not1_b32 s11, s65, exec_lo
	s_and_b32 s8, s8, exec_lo
	v_dual_mov_b32 v2, v4 :: v_dual_mov_b32 v3, v5
	s_or_b32 s17, s10, s9
	s_or_b32 s65, s11, s8
	s_and_b32 s26, s7, exec_lo
.LBB129_475:                            ;   in Loop: Header=BB129_31 Depth=1
	s_or_b32 exec_lo, exec_lo, s66
	s_delay_alu instid0(SALU_CYCLE_1)
	s_and_b32 s16, s16, exec_lo
	s_and_b32 s9, s17, exec_lo
	;; [unrolled: 1-line block ×3, first 2 shown]
	s_or_not1_b32 s17, s26, exec_lo
.LBB129_476:                            ;   in Loop: Header=BB129_31 Depth=1
	s_or_b32 exec_lo, exec_lo, s64
	s_mov_b32 s7, s25
	s_mov_b32 s10, s24
	s_and_saveexec_b32 s11, s17
; %bb.477:                              ;   in Loop: Header=BB129_31 Depth=1
	v_cmp_eq_u32_e32 vcc_lo, 5, v6
	v_cmp_ne_u32_e64 s7, 5, v6
	s_and_not1_b32 s10, s24, exec_lo
	s_and_not1_b32 s12, s25, exec_lo
	;; [unrolled: 1-line block ×3, first 2 shown]
	s_and_b32 s13, vcc_lo, exec_lo
	s_and_b32 s7, s7, exec_lo
	s_and_not1_b32 s9, s9, exec_lo
	s_and_not1_b32 s8, s8, exec_lo
	s_or_b32 s10, s10, s7
	s_or_b32 s7, s12, s13
; %bb.478:                              ;   in Loop: Header=BB129_31 Depth=1
	s_or_b32 exec_lo, exec_lo, s11
	s_delay_alu instid0(SALU_CYCLE_1)
	s_and_not1_b32 s11, s18, exec_lo
	s_and_b32 s12, s16, exec_lo
	s_and_b32 s9, s9, exec_lo
	s_or_b32 s18, s11, s12
	s_and_not1_b32 s11, s19, exec_lo
	s_and_not1_b32 s12, s23, exec_lo
	s_and_b32 s8, s8, exec_lo
	v_dual_mov_b32 v27, v39 :: v_dual_mov_b32 v28, v38
	v_mov_b32_e32 v29, v40
	s_or_b32 s19, s11, s9
	s_or_b32 s23, s12, s8
	s_and_not1_b32 s8, s24, exec_lo
	s_and_b32 s9, s10, exec_lo
	s_and_not1_b32 s10, s25, exec_lo
	s_and_b32 s7, s7, exec_lo
	s_or_b32 s24, s8, s9
	s_or_b32 s25, s10, s7
.LBB129_479:                            ;   in Loop: Header=BB129_31 Depth=1
	s_or_b32 exec_lo, exec_lo, s54
	s_mov_b32 s64, s23
	s_mov_b32 s54, s23
	s_and_saveexec_b32 s7, s25
.LBB129_480:                            ;   in Loop: Header=BB129_31 Depth=1
	v_mov_b32_e32 v6, 0
	s_and_not1_b32 s23, s23, exec_lo
	s_and_not1_b32 s18, s18, exec_lo
	;; [unrolled: 1-line block ×5, first 2 shown]
	s_or_b32 s24, s24, exec_lo
.LBB129_481:                            ;   in Loop: Header=BB129_31 Depth=1
	s_or_b32 exec_lo, exec_lo, s7
	s_delay_alu instid0(SALU_CYCLE_1)
	s_and_not1_b32 s7, s101, exec_lo
	s_and_b32 s9, s23, exec_lo
	s_and_not1_b32 s10, s98, exec_lo
	s_or_b32 s101, s7, s9
	s_and_not1_b32 s7, s100, exec_lo
	s_and_b32 s9, s18, exec_lo
	s_and_b32 s11, s19, exec_lo
	s_or_b32 s100, s7, s9
	s_or_b32 s98, s10, s11
	s_and_not1_b32 s7, s99, exec_lo
	s_and_b32 s9, s64, exec_lo
	s_and_not1_b32 s10, s97, exec_lo
	s_and_b32 s11, s54, exec_lo
	s_mov_b32 s8, -1
	s_or_b32 s99, s7, s9
	s_or_b32 s97, s10, s11
                                        ; implicit-def: $vgpr38
                                        ; implicit-def: $vgpr39
                                        ; implicit-def: $vgpr25_vgpr26
                                        ; implicit-def: $vgpr40
	s_and_saveexec_b32 s7, s24
	s_delay_alu instid0(SALU_CYCLE_1)
	s_xor_b32 s7, exec_lo, s7
	s_cbranch_execz .LBB129_30
; %bb.482:                              ;   in Loop: Header=BB129_31 Depth=1
	s_mov_b32 s9, -1
	s_mov_b32 s10, exec_lo
	v_cmpx_eq_u32_e32 0, v6
	s_cbranch_execz .LBB129_29
; %bb.483:                              ;   in Loop: Header=BB129_31 Depth=1
	s_xor_b32 s92, s92, 1
	s_add_i32 s11, s89, -2
	s_cmp_eq_u32 s89, 0
	s_mov_b32 s89, s11
	s_cselect_b32 s8, -1, 0
	s_xor_b32 s9, exec_lo, -1
	s_or_not1_b32 s8, s8, exec_lo
	s_branch .LBB129_29
.LBB129_484:
	s_or_b32 exec_lo, exec_lo, s90
	s_xor_b32 s7, s96, -1
	s_xor_b32 s9, s94, -1
	;; [unrolled: 1-line block ×5, first 2 shown]
	s_mov_b32 s8, 0
	s_and_saveexec_b32 s12, s11
	s_delay_alu instid0(SALU_CYCLE_1)
	s_xor_b32 s14, exec_lo, s12
	s_cbranch_execz .LBB129_541
; %bb.485:
	s_and_saveexec_b32 s11, s10
	s_delay_alu instid0(SALU_CYCLE_1)
	s_xor_b32 s15, exec_lo, s11
	s_cbranch_execz .LBB129_539
; %bb.486:
	;; [unrolled: 5-line block ×4, first 2 shown]
	s_and_saveexec_b32 s7, s6
	s_delay_alu instid0(SALU_CYCLE_1)
	s_xor_b32 s6, exec_lo, s7
; %bb.489:
	v_mov_b32_e32 v29, v27
; %bb.490:
	s_or_b32 exec_lo, exec_lo, s6
	s_and_saveexec_b32 s6, s5
	s_cbranch_execz .LBB129_492
; %bb.491:
	v_mov_b32_e32 v2, 0
	s_delay_alu instid0(VALU_DEP_1)
	v_mov_b32_e32 v3, v2
	ds_store_b64 v2, v[2:3] offset:5136
.LBB129_492:
	s_or_b32 exec_lo, exec_lo, s6
	v_mov_b32_e32 v18, 0
	s_waitcnt lgkmcnt(0)
	s_barrier
	buffer_gl0_inv
	s_and_saveexec_b32 s5, s3
	s_cbranch_execz .LBB129_494
; %bb.493:
	global_load_u8 v18, v[10:11], off
.LBB129_494:
	s_or_b32 exec_lo, exec_lo, s5
	s_load_b64 s[18:19], s[0:1], 0x440
	v_readlane_b32 s12, v45, 0
	v_readlane_b32 s13, v45, 1
	s_add_u32 s5, s36, 31
	s_addc_u32 s7, s37, 0
	s_and_b32 s6, s5, 0xffffffe0
	s_mul_i32 s8, s12, s35
	s_mul_hi_u32 s9, s12, s34
	s_mul_i32 s12, s12, s34
	s_add_i32 s5, s9, s8
	s_mul_i32 s8, s13, s34
	v_add_nc_u32_e32 v17, s33, v0
	s_add_i32 s5, s5, s8
	v_and_b32_e32 v16, 0xff, v29
	s_mov_b32 s20, exec_lo
	s_waitcnt lgkmcnt(0)
	s_mul_i32 s9, s18, s47
	s_mul_hi_u32 s10, s18, s46
	s_mul_i32 s18, s18, s46
	s_add_i32 s8, s10, s9
	s_mul_i32 s9, s19, s46
	s_delay_alu instid0(SALU_CYCLE_1)
	s_add_i32 s19, s8, s9
	s_clause 0x1
	s_load_b64 s[8:9], s[0:1], 0x368
	s_load_b64 s[10:11], s[0:1], 0x510
	v_readlane_b32 s0, v45, 2
	v_readlane_b32 s1, v45, 3
	s_delay_alu instid0(VALU_DEP_2) | instskip(NEXT) | instid1(VALU_DEP_1)
	s_add_u32 s0, s0, s12
	s_addc_u32 s1, s1, s5
	s_add_u32 s12, s0, s28
	s_addc_u32 s13, s1, s29
	s_lshl_b64 s[0:1], s[18:19], 3
	v_readlane_b32 s18, v45, 4
	v_readlane_b32 s19, v45, 5
	s_delay_alu instid0(VALU_DEP_2) | instskip(NEXT) | instid1(VALU_DEP_1)
	s_add_u32 s0, s18, s0
	s_addc_u32 s5, s19, s1
	s_lshl_b64 s[18:19], s[40:41], 3
	s_delay_alu instid0(SALU_CYCLE_1)
	s_add_u32 s1, s0, s18
	s_addc_u32 s5, s5, s19
	s_mov_b32 s0, -1
	s_mov_b32 s19, 0
	s_mov_b32 s18, 0
	v_cmpx_gt_u64_e64 s[6:7], v[0:1]
	s_cbranch_execz .LBB129_510
; %bb.495:
	s_add_u32 s22, s44, s76
	s_addc_u32 s23, s45, s77
	v_mov_b32_e32 v13, v1
	v_mad_u64_u32 v[2:3], null, s30, v17, s[22:23]
                                        ; implicit-def: $sgpr21
                                        ; implicit-def: $vgpr8_vgpr9
	v_mov_b32_e32 v12, v0
	s_delay_alu instid0(VALU_DEP_2) | instskip(SKIP_1) | instid1(VALU_DEP_2)
	v_mad_u64_u32 v[4:5], null, s31, v17, v[3:4]
	v_mov_b32_e32 v5, 0
	v_mov_b32_e32 v3, v4
	s_branch .LBB129_497
.LBB129_496:                            ;   in Loop: Header=BB129_497 Depth=1
	s_or_b32 exec_lo, exec_lo, s22
	s_xor_b32 s22, s24, -1
	s_and_b32 s0, exec_lo, s0
	v_mov_b32_e32 v18, v19
	s_or_b32 s18, s0, s18
	v_dual_mov_b32 v13, v7 :: v_dual_mov_b32 v12, v6
	s_and_not1_b32 s0, s21, exec_lo
	s_and_b32 s21, s22, exec_lo
	s_delay_alu instid0(SALU_CYCLE_1)
	s_or_b32 s21, s0, s21
	s_and_not1_b32 exec_lo, exec_lo, s18
	s_cbranch_execz .LBB129_509
.LBB129_497:                            ; =>This Inner Loop Header: Depth=1
	v_add_co_u32 v6, vcc_lo, v12, s33
	v_add_co_ci_u32_e32 v7, vcc_lo, 0, v13, vcc_lo
	v_mov_b32_e32 v19, 0
	s_mov_b32 s0, exec_lo
	s_delay_alu instid0(VALU_DEP_2)
	v_cmpx_gt_u64_e64 s[36:37], v[6:7]
	s_cbranch_execz .LBB129_499
; %bb.498:                              ;   in Loop: Header=BB129_497 Depth=1
	global_load_u8 v19, v[2:3], off
.LBB129_499:                            ;   in Loop: Header=BB129_497 Depth=1
	s_or_b32 exec_lo, exec_lo, s0
	s_waitcnt vmcnt(0)
	v_and_b32_e32 v4, 0xff, v18
	s_delay_alu instid0(VALU_DEP_1) | instskip(SKIP_4) | instid1(VALU_DEP_2)
	v_cmp_gt_u16_e32 vcc_lo, v4, v16
	v_cndmask_b32_e64 v14, 0, 1, vcc_lo
	v_cmp_lt_u16_e32 vcc_lo, v4, v16
	v_cndmask_b32_e64 v4, 0, 1, vcc_lo
	v_cmp_gt_u64_e32 vcc_lo, s[36:37], v[12:13]
	v_cndmask_b32_e64 v4, v4, v14, s4
	s_delay_alu instid0(VALU_DEP_1) | instskip(NEXT) | instid1(VALU_DEP_1)
	v_and_b32_e32 v4, 1, v4
	v_cmp_eq_u32_e64 s0, 1, v4
	s_delay_alu instid0(VALU_DEP_1) | instskip(NEXT) | instid1(SALU_CYCLE_1)
	s_and_b32 s22, vcc_lo, s0
	v_cndmask_b32_e64 v4, 0, 1, s22
	s_delay_alu instid0(VALU_DEP_1) | instskip(SKIP_2) | instid1(SALU_CYCLE_1)
	v_cmp_ne_u32_e32 vcc_lo, 0, v4
	s_cmp_lg_u32 vcc_lo, 0
	s_cselect_b32 s0, -1, 0
	s_and_b32 s0, s2, s0
	s_delay_alu instid0(SALU_CYCLE_1)
	s_and_saveexec_b32 s23, s0
	s_cbranch_execz .LBB129_503
; %bb.500:                              ;   in Loop: Header=BB129_497 Depth=1
	s_mov_b32 s26, exec_lo
	s_bcnt1_i32_b32 s24, vcc_lo
	v_mbcnt_lo_u32_b32 v14, s26, 0
	s_mov_b32 s25, exec_lo
                                        ; implicit-def: $vgpr8_vgpr9
	s_delay_alu instid0(VALU_DEP_1)
	v_cmpx_eq_u32_e32 0, v14
	s_cbranch_execz .LBB129_502
; %bb.501:                              ;   in Loop: Header=BB129_497 Depth=1
	s_bcnt1_i32_b32 s0, s26
	s_delay_alu instid0(SALU_CYCLE_1) | instskip(NEXT) | instid1(SALU_CYCLE_1)
	s_mul_i32 s0, s24, s0
	v_mov_b32_e32 v4, s0
	s_waitcnt lgkmcnt(0)
	ds_add_rtn_u64 v[8:9], v5, v[4:5] offset:5136
.LBB129_502:                            ;   in Loop: Header=BB129_497 Depth=1
	s_or_b32 exec_lo, exec_lo, s25
	s_waitcnt lgkmcnt(0)
	v_readfirstlane_b32 s27, v9
	v_readfirstlane_b32 s26, v8
	s_delay_alu instid0(VALU_DEP_1)
	v_mad_u64_u32 v[8:9], null, s24, v14, s[26:27]
.LBB129_503:                            ;   in Loop: Header=BB129_497 Depth=1
	s_or_b32 exec_lo, exec_lo, s23
	s_waitcnt lgkmcnt(0)
	ds_bpermute_b32 v8, v5, v8
	ds_bpermute_b32 v9, v5, v9
	s_mov_b32 s0, -1
	s_mov_b32 s25, -1
                                        ; implicit-def: $sgpr24
	s_and_saveexec_b32 s23, s22
	s_cbranch_execz .LBB129_507
; %bb.504:                              ;   in Loop: Header=BB129_497 Depth=1
	v_and_b32_e32 v4, vcc_lo, v33
	s_mov_b32 s22, 0
	s_mov_b32 s24, exec_lo
	s_delay_alu instid0(VALU_DEP_1) | instskip(SKIP_1) | instid1(VALU_DEP_1)
	v_bcnt_u32_b32 v4, v4, 0
	s_waitcnt lgkmcnt(0)
	v_add_co_u32 v14, vcc_lo, v8, v4
	v_add_co_ci_u32_e32 v15, vcc_lo, 0, v9, vcc_lo
	s_delay_alu instid0(VALU_DEP_1)
	v_cmpx_gt_u64_e64 s[38:39], v[14:15]
	s_cbranch_execz .LBB129_506
; %bb.505:                              ;   in Loop: Header=BB129_497 Depth=1
	v_mul_lo_u32 v4, v15, s10
	v_mul_lo_u32 v24, v14, s11
	v_mad_u64_u32 v[20:21], null, v14, s10, 0
	v_mad_u64_u32 v[22:23], null, v14, s8, s[12:13]
	v_mul_lo_u32 v25, v14, s9
	s_mov_b32 s22, exec_lo
	s_delay_alu instid0(VALU_DEP_3) | instskip(SKIP_1) | instid1(VALU_DEP_2)
	v_add3_u32 v21, v21, v24, v4
	v_mul_lo_u32 v4, v15, s8
	v_lshlrev_b64 v[14:15], 3, v[20:21]
	s_delay_alu instid0(VALU_DEP_2) | instskip(NEXT) | instid1(VALU_DEP_2)
	v_add3_u32 v23, v4, v23, v25
	v_add_co_u32 v14, vcc_lo, s1, v14
	s_delay_alu instid0(VALU_DEP_3)
	v_add_co_ci_u32_e32 v15, vcc_lo, s5, v15, vcc_lo
	global_store_b8 v[22:23], v18, off
	global_store_b64 v[14:15], v[12:13], off
.LBB129_506:                            ;   in Loop: Header=BB129_497 Depth=1
	s_or_b32 exec_lo, exec_lo, s24
	s_mov_b32 s24, -1
	s_or_not1_b32 s25, s22, exec_lo
.LBB129_507:                            ;   in Loop: Header=BB129_497 Depth=1
	s_or_b32 exec_lo, exec_lo, s23
	s_and_saveexec_b32 s22, s25
	s_cbranch_execz .LBB129_496
; %bb.508:                              ;   in Loop: Header=BB129_497 Depth=1
	v_cmp_le_u64_e32 vcc_lo, s[6:7], v[6:7]
	v_add_co_u32 v2, s0, v2, s75
	s_delay_alu instid0(VALU_DEP_1)
	v_add_co_ci_u32_e64 v3, s0, s74, v3, s0
	s_and_not1_b32 s24, s24, exec_lo
	s_or_not1_b32 s0, vcc_lo, exec_lo
	s_branch .LBB129_496
.LBB129_509:
	s_or_b32 exec_lo, exec_lo, s18
	s_delay_alu instid0(SALU_CYCLE_1)
	s_mov_b32 s18, exec_lo
	s_or_not1_b32 s0, s21, exec_lo
.LBB129_510:
	s_or_b32 exec_lo, exec_lo, s20
	s_and_saveexec_b32 s4, s0
	s_cbranch_execz .LBB129_533
; %bb.511:
	v_dual_mov_b32 v3, 0 :: v_dual_mov_b32 v12, 0
	s_waitcnt vmcnt(0) lgkmcnt(0)
	s_waitcnt_vscnt null, 0x0
	s_barrier
	buffer_gl0_inv
	s_and_saveexec_b32 s0, s3
	s_cbranch_execz .LBB129_513
; %bb.512:
	global_load_u8 v12, v[10:11], off
.LBB129_513:
	s_or_b32 exec_lo, exec_lo, s0
	s_add_u32 s20, s44, s76
	s_addc_u32 s21, s45, s77
	s_mov_b32 s3, 0
	v_mad_u64_u32 v[4:5], null, s30, v17, s[20:21]
                                        ; implicit-def: $sgpr19
                                        ; implicit-def: $sgpr20
                                        ; implicit-def: $sgpr21
	s_delay_alu instid0(VALU_DEP_1) | instskip(NEXT) | instid1(VALU_DEP_1)
	v_mov_b32_e32 v2, v5
	v_mad_u64_u32 v[5:6], null, s31, v17, v[2:3]
                                        ; implicit-def: $vgpr6_vgpr7
	s_branch .LBB129_516
.LBB129_514:                            ;   in Loop: Header=BB129_516 Depth=1
	s_or_b32 exec_lo, exec_lo, s24
	v_dual_mov_b32 v0, v8 :: v_dual_mov_b32 v1, v9
	s_and_not1_b32 s0, s21, exec_lo
	s_and_b32 s21, s26, exec_lo
	s_and_not1_b32 s20, s20, exec_lo
	s_and_b32 s23, s23, exec_lo
	s_or_b32 s21, s0, s21
	s_or_b32 s20, s20, s23
.LBB129_515:                            ;   in Loop: Header=BB129_516 Depth=1
	s_or_b32 exec_lo, exec_lo, s22
	s_xor_b32 s0, s21, -1
	s_and_b32 s22, exec_lo, s20
	s_delay_alu instid0(SALU_CYCLE_1) | instskip(SKIP_2) | instid1(SALU_CYCLE_1)
	s_or_b32 s3, s22, s3
	s_and_not1_b32 s19, s19, exec_lo
	s_and_b32 s0, s0, exec_lo
	s_or_b32 s19, s19, s0
	s_and_not1_b32 exec_lo, exec_lo, s3
	s_cbranch_execz .LBB129_531
.LBB129_516:                            ; =>This Inner Loop Header: Depth=1
	s_or_b32 s21, s21, exec_lo
	s_or_b32 s20, s20, exec_lo
	s_mov_b32 s22, exec_lo
	v_cmpx_gt_u64_e64 s[6:7], v[0:1]
	s_cbranch_execz .LBB129_515
; %bb.517:                              ;   in Loop: Header=BB129_516 Depth=1
	v_add_co_u32 v8, vcc_lo, v0, s33
	v_add_co_ci_u32_e32 v9, vcc_lo, 0, v1, vcc_lo
	v_mov_b32_e32 v13, 0
	s_mov_b32 s0, exec_lo
	s_delay_alu instid0(VALU_DEP_2)
	v_cmpx_gt_u64_e64 s[36:37], v[8:9]
	s_cbranch_execz .LBB129_519
; %bb.518:                              ;   in Loop: Header=BB129_516 Depth=1
	global_load_u8 v13, v[4:5], off
.LBB129_519:                            ;   in Loop: Header=BB129_516 Depth=1
	s_or_b32 exec_lo, exec_lo, s0
	s_waitcnt vmcnt(0)
	v_and_b32_e32 v2, 0xff, v12
	v_cmp_gt_u64_e32 vcc_lo, s[36:37], v[0:1]
	s_delay_alu instid0(VALU_DEP_2) | instskip(NEXT) | instid1(VALU_DEP_1)
	v_cmp_eq_u16_e64 s0, v2, v16
	s_and_b32 s24, vcc_lo, s0
	s_delay_alu instid0(SALU_CYCLE_1) | instskip(NEXT) | instid1(VALU_DEP_1)
	v_cndmask_b32_e64 v2, 0, 1, s24
	v_cmp_ne_u32_e32 vcc_lo, 0, v2
	s_cmp_lg_u32 vcc_lo, 0
	s_cselect_b32 s0, -1, 0
	s_delay_alu instid0(SALU_CYCLE_1) | instskip(NEXT) | instid1(SALU_CYCLE_1)
	s_and_b32 s0, s2, s0
	s_and_saveexec_b32 s23, s0
	s_cbranch_execz .LBB129_523
; %bb.520:                              ;   in Loop: Header=BB129_516 Depth=1
	s_mov_b32 s27, exec_lo
	s_bcnt1_i32_b32 s25, vcc_lo
	v_mbcnt_lo_u32_b32 v10, s27, 0
	s_mov_b32 s26, exec_lo
                                        ; implicit-def: $vgpr6_vgpr7
	s_delay_alu instid0(VALU_DEP_1)
	v_cmpx_eq_u32_e32 0, v10
	s_cbranch_execz .LBB129_522
; %bb.521:                              ;   in Loop: Header=BB129_516 Depth=1
	s_bcnt1_i32_b32 s0, s27
	s_delay_alu instid0(SALU_CYCLE_1) | instskip(NEXT) | instid1(SALU_CYCLE_1)
	s_mul_i32 s0, s25, s0
	v_mov_b32_e32 v2, s0
	ds_add_rtn_u64 v[6:7], v3, v[2:3] offset:5136
.LBB129_522:                            ;   in Loop: Header=BB129_516 Depth=1
	s_or_b32 exec_lo, exec_lo, s26
	s_waitcnt lgkmcnt(0)
	v_readfirstlane_b32 s27, v7
	v_readfirstlane_b32 s26, v6
	s_delay_alu instid0(VALU_DEP_1)
	v_mad_u64_u32 v[6:7], null, s25, v10, s[26:27]
.LBB129_523:                            ;   in Loop: Header=BB129_516 Depth=1
	s_or_b32 exec_lo, exec_lo, s23
	ds_bpermute_b32 v6, v3, v6
	ds_bpermute_b32 v7, v3, v7
	s_cmp_eq_u32 vcc_lo, 0
	s_mov_b32 s23, -1
	s_cselect_b32 s25, -1, 0
	s_mov_b32 s26, -1
	s_waitcnt lgkmcnt(0)
	v_cmp_gt_u64_e64 s0, s[38:39], v[6:7]
	s_delay_alu instid0(VALU_DEP_1) | instskip(SKIP_3) | instid1(SALU_CYCLE_1)
	s_or_b32 s0, s25, s0
	s_mov_b32 s25, -1
	v_cndmask_b32_e64 v12, v12, v13, s0
	s_and_b32 s27, s24, s0
	s_and_saveexec_b32 s24, s27
	s_cbranch_execz .LBB129_529
; %bb.524:                              ;   in Loop: Header=BB129_516 Depth=1
	v_and_b32_e32 v2, vcc_lo, v33
	v_sub_co_u32 v10, vcc_lo, s38, v6
	v_sub_co_ci_u32_e32 v11, vcc_lo, s39, v7, vcc_lo
	s_delay_alu instid0(VALU_DEP_3) | instskip(SKIP_2) | instid1(VALU_DEP_1)
	v_bcnt_u32_b32 v2, v2, 0
	s_mov_b32 s27, -1
	s_mov_b32 s26, exec_lo
	v_cmp_le_u64_e64 s25, v[10:11], v[2:3]
	v_cmpx_gt_u64_e64 v[10:11], v[2:3]
	s_cbranch_execz .LBB129_528
; %bb.525:                              ;   in Loop: Header=BB129_516 Depth=1
	v_add_co_u32 v10, vcc_lo, v6, v2
	v_add_co_ci_u32_e32 v11, vcc_lo, 0, v7, vcc_lo
	s_delay_alu instid0(VALU_DEP_4) | instskip(SKIP_1) | instid1(VALU_DEP_1)
	s_mov_b32 s28, s25
	s_mov_b32 s27, exec_lo
	v_cmpx_gt_u64_e64 s[38:39], v[10:11]
	s_cbranch_execz .LBB129_527
; %bb.526:                              ;   in Loop: Header=BB129_516 Depth=1
	v_mul_lo_u32 v2, v11, s10
	v_mul_lo_u32 v12, v10, s11
	v_mad_u64_u32 v[14:15], null, v10, s10, 0
	v_mad_u64_u32 v[17:18], null, v10, s8, s[12:13]
	v_mul_lo_u32 v19, v10, s9
	s_or_b32 s28, s25, exec_lo
	s_delay_alu instid0(VALU_DEP_3) | instskip(SKIP_1) | instid1(VALU_DEP_2)
	v_add3_u32 v15, v15, v12, v2
	v_mul_lo_u32 v2, v11, s8
	v_lshlrev_b64 v[10:11], 3, v[14:15]
	s_delay_alu instid0(VALU_DEP_2) | instskip(NEXT) | instid1(VALU_DEP_2)
	v_add3_u32 v18, v2, v18, v19
	v_add_co_u32 v10, vcc_lo, s1, v10
	s_delay_alu instid0(VALU_DEP_3)
	v_add_co_ci_u32_e32 v11, vcc_lo, s5, v11, vcc_lo
	global_store_b8 v[17:18], v29, off
	global_store_b64 v[10:11], v[0:1], off
.LBB129_527:                            ;   in Loop: Header=BB129_516 Depth=1
	s_or_b32 exec_lo, exec_lo, s27
	s_delay_alu instid0(SALU_CYCLE_1)
	s_and_not1_b32 s25, s25, exec_lo
	s_and_b32 s28, s28, exec_lo
	s_xor_b32 s27, exec_lo, -1
	s_or_b32 s25, s25, s28
.LBB129_528:                            ;   in Loop: Header=BB129_516 Depth=1
	s_or_b32 exec_lo, exec_lo, s26
	v_mov_b32_e32 v12, v13
	s_or_not1_b32 s26, s27, exec_lo
	s_or_b32 s0, s0, exec_lo
	s_or_not1_b32 s25, s25, exec_lo
.LBB129_529:                            ;   in Loop: Header=BB129_516 Depth=1
	s_or_b32 exec_lo, exec_lo, s24
	s_and_saveexec_b32 s24, s25
	s_cbranch_execz .LBB129_514
; %bb.530:                              ;   in Loop: Header=BB129_516 Depth=1
	v_add_co_u32 v4, vcc_lo, v4, s75
	v_add_co_ci_u32_e32 v5, vcc_lo, s74, v5, vcc_lo
	s_xor_b32 s0, s0, -1
	s_or_b32 s26, s26, exec_lo
	s_or_not1_b32 s23, s0, exec_lo
	s_branch .LBB129_514
.LBB129_531:
	s_or_b32 exec_lo, exec_lo, s3
	s_mov_b32 s0, 0
	s_and_saveexec_b32 s1, s19
	s_delay_alu instid0(SALU_CYCLE_1)
	s_xor_b32 s1, exec_lo, s1
	s_cbranch_execnz .LBB129_563
.LBB129_532:
	s_or_b32 exec_lo, exec_lo, s1
	s_delay_alu instid0(SALU_CYCLE_1)
	s_and_b32 s19, s0, exec_lo
	s_and_not1_b32 s18, s18, exec_lo
.LBB129_533:
	s_or_b32 exec_lo, exec_lo, s4
	s_and_saveexec_b32 s0, s18
	s_delay_alu instid0(SALU_CYCLE_1)
	s_xor_b32 s0, exec_lo, s0
	s_cbranch_execnz .LBB129_559
.LBB129_534:
	s_or_b32 exec_lo, exec_lo, s0
	s_waitcnt lgkmcnt(0)
	s_and_b32 s8, s19, exec_lo
.LBB129_535:
	s_and_not1_saveexec_b32 s0, s17
	s_cbranch_execnz .LBB129_555
.LBB129_536:
	s_or_b32 exec_lo, exec_lo, s0
	s_delay_alu instid0(SALU_CYCLE_1)
	s_and_b32 s8, s8, exec_lo
.LBB129_537:
	s_and_not1_saveexec_b32 s0, s16
	s_cbranch_execnz .LBB129_551
.LBB129_538:
	s_or_b32 exec_lo, exec_lo, s0
	s_delay_alu instid0(SALU_CYCLE_1)
	s_and_b32 s8, s8, exec_lo
.LBB129_539:
	s_and_not1_saveexec_b32 s0, s15
	s_cbranch_execnz .LBB129_547
.LBB129_540:
	s_or_b32 exec_lo, exec_lo, s0
	s_delay_alu instid0(SALU_CYCLE_1)
	s_and_b32 s8, s8, exec_lo
.LBB129_541:
	s_and_not1_saveexec_b32 s0, s14
	s_cbranch_execnz .LBB129_545
; %bb.542:
	s_or_b32 exec_lo, exec_lo, s0
	s_and_saveexec_b32 s0, s8
.LBB129_543:
	; divergent unreachable
.LBB129_544:
	s_nop 0
	s_sendmsg sendmsg(MSG_DEALLOC_VGPRS)
	s_endpgm
.LBB129_545:
	s_cbranch_execnz .LBB129_549
; %bb.546:
	s_or_b32 s8, s8, exec_lo
	s_or_b32 exec_lo, exec_lo, s0
	s_and_saveexec_b32 s0, s8
	s_cbranch_execnz .LBB129_543
	s_branch .LBB129_544
.LBB129_547:
	s_cbranch_execnz .LBB129_553
; %bb.548:
	s_or_b32 s8, s8, exec_lo
	s_branch .LBB129_540
.LBB129_549:
	s_trap 2
	s_sendmsg_rtn_b32 s0, sendmsg(MSG_RTN_GET_DOORBELL)
	s_mov_b32 ttmp2, m0
	s_waitcnt lgkmcnt(0)
	s_and_b32 s0, s0, 0x3ff
	s_delay_alu instid0(SALU_CYCLE_1) | instskip(NEXT) | instid1(SALU_CYCLE_1)
	s_bitset1_b32 s0, 10
	s_mov_b32 m0, s0
	s_sendmsg sendmsg(MSG_INTERRUPT)
	s_mov_b32 m0, ttmp2
.LBB129_550:                            ; =>This Inner Loop Header: Depth=1
	s_sethalt 5
	s_branch .LBB129_550
.LBB129_551:
	s_cbranch_execnz .LBB129_557
; %bb.552:
	s_or_b32 s8, s8, exec_lo
	s_branch .LBB129_538
.LBB129_553:
	s_trap 2
	s_sendmsg_rtn_b32 s0, sendmsg(MSG_RTN_GET_DOORBELL)
	s_mov_b32 ttmp2, m0
	s_waitcnt lgkmcnt(0)
	s_and_b32 s0, s0, 0x3ff
	s_delay_alu instid0(SALU_CYCLE_1) | instskip(NEXT) | instid1(SALU_CYCLE_1)
	s_bitset1_b32 s0, 10
	s_mov_b32 m0, s0
	s_sendmsg sendmsg(MSG_INTERRUPT)
	s_mov_b32 m0, ttmp2
.LBB129_554:                            ; =>This Inner Loop Header: Depth=1
	s_sethalt 5
	s_branch .LBB129_554
.LBB129_555:
	s_cbranch_execnz .LBB129_561
; %bb.556:
	s_or_b32 s8, s8, exec_lo
	s_branch .LBB129_536
.LBB129_557:
	s_trap 2
	s_sendmsg_rtn_b32 s0, sendmsg(MSG_RTN_GET_DOORBELL)
	s_mov_b32 ttmp2, m0
	s_waitcnt lgkmcnt(0)
	s_and_b32 s0, s0, 0x3ff
	s_delay_alu instid0(SALU_CYCLE_1) | instskip(NEXT) | instid1(SALU_CYCLE_1)
	s_bitset1_b32 s0, 10
	s_mov_b32 m0, s0
	s_sendmsg sendmsg(MSG_INTERRUPT)
	s_mov_b32 m0, ttmp2
.LBB129_558:                            ; =>This Inner Loop Header: Depth=1
	s_sethalt 5
	s_branch .LBB129_558
.LBB129_559:
	s_cbranch_execnz .LBB129_565
; %bb.560:
	s_or_b32 s19, s19, exec_lo
	s_branch .LBB129_534
.LBB129_561:
	s_trap 2
	s_sendmsg_rtn_b32 s0, sendmsg(MSG_RTN_GET_DOORBELL)
	s_mov_b32 ttmp2, m0
	s_waitcnt lgkmcnt(0)
	s_and_b32 s0, s0, 0x3ff
	s_delay_alu instid0(SALU_CYCLE_1) | instskip(NEXT) | instid1(SALU_CYCLE_1)
	s_bitset1_b32 s0, 10
	s_mov_b32 m0, s0
	s_sendmsg sendmsg(MSG_INTERRUPT)
	s_mov_b32 m0, ttmp2
.LBB129_562:                            ; =>This Inner Loop Header: Depth=1
	s_sethalt 5
	s_branch .LBB129_562
.LBB129_563:
	s_cbranch_execnz .LBB129_567
; %bb.564:
	s_mov_b32 s0, exec_lo
	s_branch .LBB129_532
.LBB129_565:
	s_trap 2
	s_sendmsg_rtn_b32 s0, sendmsg(MSG_RTN_GET_DOORBELL)
	s_mov_b32 ttmp2, m0
	s_waitcnt lgkmcnt(0)
	s_and_b32 s0, s0, 0x3ff
	s_delay_alu instid0(SALU_CYCLE_1) | instskip(NEXT) | instid1(SALU_CYCLE_1)
	s_bitset1_b32 s0, 10
	s_mov_b32 m0, s0
	s_sendmsg sendmsg(MSG_INTERRUPT)
	s_mov_b32 m0, ttmp2
.LBB129_566:                            ; =>This Inner Loop Header: Depth=1
	s_sethalt 5
	s_branch .LBB129_566
.LBB129_567:
	s_trap 2
	s_sendmsg_rtn_b32 s0, sendmsg(MSG_RTN_GET_DOORBELL)
	s_mov_b32 ttmp2, m0
	s_waitcnt lgkmcnt(0)
	s_and_b32 s0, s0, 0x3ff
	s_delay_alu instid0(SALU_CYCLE_1) | instskip(NEXT) | instid1(SALU_CYCLE_1)
	s_bitset1_b32 s0, 10
	s_mov_b32 m0, s0
	s_sendmsg sendmsg(MSG_INTERRUPT)
	s_mov_b32 m0, ttmp2
.LBB129_568:                            ; =>This Inner Loop Header: Depth=1
	s_sethalt 5
	s_branch .LBB129_568
	.section	.rodata,"a",@progbits
	.p2align	6, 0x0
	.amdhsa_kernel _ZN2at6native6sbtopk10gatherTopKIhmLin1ELb0EEEvNS_4cuda6detail10TensorInfoIKT_T0_EES8_S8_bS8_S8_NS5_IS6_S8_EES8_NS5_IlS8_EES8_PS6_
		.amdhsa_group_segment_fixed_size 5152
		.amdhsa_private_segment_fixed_size 0
		.amdhsa_kernarg_size 1568
		.amdhsa_user_sgpr_count 13
		.amdhsa_user_sgpr_dispatch_ptr 0
		.amdhsa_user_sgpr_queue_ptr 0
		.amdhsa_user_sgpr_kernarg_segment_ptr 1
		.amdhsa_user_sgpr_dispatch_id 0
		.amdhsa_user_sgpr_private_segment_size 0
		.amdhsa_wavefront_size32 1
		.amdhsa_uses_dynamic_stack 0
		.amdhsa_enable_private_segment 0
		.amdhsa_system_sgpr_workgroup_id_x 1
		.amdhsa_system_sgpr_workgroup_id_y 1
		.amdhsa_system_sgpr_workgroup_id_z 1
		.amdhsa_system_sgpr_workgroup_info 0
		.amdhsa_system_vgpr_workitem_id 0
		.amdhsa_next_free_vgpr 46
		.amdhsa_next_free_sgpr 105
		.amdhsa_reserve_vcc 1
		.amdhsa_float_round_mode_32 0
		.amdhsa_float_round_mode_16_64 0
		.amdhsa_float_denorm_mode_32 3
		.amdhsa_float_denorm_mode_16_64 3
		.amdhsa_dx10_clamp 1
		.amdhsa_ieee_mode 1
		.amdhsa_fp16_overflow 0
		.amdhsa_workgroup_processor_mode 1
		.amdhsa_memory_ordered 1
		.amdhsa_forward_progress 0
		.amdhsa_shared_vgpr_count 0
		.amdhsa_exception_fp_ieee_invalid_op 0
		.amdhsa_exception_fp_denorm_src 0
		.amdhsa_exception_fp_ieee_div_zero 0
		.amdhsa_exception_fp_ieee_overflow 0
		.amdhsa_exception_fp_ieee_underflow 0
		.amdhsa_exception_fp_ieee_inexact 0
		.amdhsa_exception_int_div_zero 0
	.end_amdhsa_kernel
	.section	.text._ZN2at6native6sbtopk10gatherTopKIhmLin1ELb0EEEvNS_4cuda6detail10TensorInfoIKT_T0_EES8_S8_bS8_S8_NS5_IS6_S8_EES8_NS5_IlS8_EES8_PS6_,"axG",@progbits,_ZN2at6native6sbtopk10gatherTopKIhmLin1ELb0EEEvNS_4cuda6detail10TensorInfoIKT_T0_EES8_S8_bS8_S8_NS5_IS6_S8_EES8_NS5_IlS8_EES8_PS6_,comdat
.Lfunc_end129:
	.size	_ZN2at6native6sbtopk10gatherTopKIhmLin1ELb0EEEvNS_4cuda6detail10TensorInfoIKT_T0_EES8_S8_bS8_S8_NS5_IS6_S8_EES8_NS5_IlS8_EES8_PS6_, .Lfunc_end129-_ZN2at6native6sbtopk10gatherTopKIhmLin1ELb0EEEvNS_4cuda6detail10TensorInfoIKT_T0_EES8_S8_bS8_S8_NS5_IS6_S8_EES8_NS5_IlS8_EES8_PS6_
                                        ; -- End function
	.section	.AMDGPU.csdata,"",@progbits
; Kernel info:
; codeLenInByte = 31168
; NumSgprs: 107
; NumVgprs: 46
; ScratchSize: 0
; MemoryBound: 0
; FloatMode: 240
; IeeeMode: 1
; LDSByteSize: 5152 bytes/workgroup (compile time only)
; SGPRBlocks: 13
; VGPRBlocks: 5
; NumSGPRsForWavesPerEU: 107
; NumVGPRsForWavesPerEU: 46
; Occupancy: 16
; WaveLimiterHint : 1
; COMPUTE_PGM_RSRC2:SCRATCH_EN: 0
; COMPUTE_PGM_RSRC2:USER_SGPR: 13
; COMPUTE_PGM_RSRC2:TRAP_HANDLER: 0
; COMPUTE_PGM_RSRC2:TGID_X_EN: 1
; COMPUTE_PGM_RSRC2:TGID_Y_EN: 1
; COMPUTE_PGM_RSRC2:TGID_Z_EN: 1
; COMPUTE_PGM_RSRC2:TIDIG_COMP_CNT: 0
	.section	.text._ZN2at6native6mbtopk23computeBlockDigitCountsIamjLi1EEEvNS_4cuda6detail10TensorInfoIKT_T0_EEjPjjS8_iijT1_PSB_Ps,"axG",@progbits,_ZN2at6native6mbtopk23computeBlockDigitCountsIamjLi1EEEvNS_4cuda6detail10TensorInfoIKT_T0_EEjPjjS8_iijT1_PSB_Ps,comdat
	.protected	_ZN2at6native6mbtopk23computeBlockDigitCountsIamjLi1EEEvNS_4cuda6detail10TensorInfoIKT_T0_EEjPjjS8_iijT1_PSB_Ps ; -- Begin function _ZN2at6native6mbtopk23computeBlockDigitCountsIamjLi1EEEvNS_4cuda6detail10TensorInfoIKT_T0_EEjPjjS8_iijT1_PSB_Ps
	.globl	_ZN2at6native6mbtopk23computeBlockDigitCountsIamjLi1EEEvNS_4cuda6detail10TensorInfoIKT_T0_EEjPjjS8_iijT1_PSB_Ps
	.p2align	8
	.type	_ZN2at6native6mbtopk23computeBlockDigitCountsIamjLi1EEEvNS_4cuda6detail10TensorInfoIKT_T0_EEjPjjS8_iijT1_PSB_Ps,@function
_ZN2at6native6mbtopk23computeBlockDigitCountsIamjLi1EEEvNS_4cuda6detail10TensorInfoIKT_T0_EEjPjjS8_iijT1_PSB_Ps: ; @_ZN2at6native6mbtopk23computeBlockDigitCountsIamjLi1EEEvNS_4cuda6detail10TensorInfoIKT_T0_EEjPjjS8_iijT1_PSB_Ps
; %bb.0:
	s_clause 0x2
	s_load_b128 s[8:11], s[0:1], 0x1c0
	s_load_b32 s5, s[0:1], 0x1b0
	s_load_b64 s[2:3], s[0:1], 0x1e0
	s_waitcnt lgkmcnt(0)
	v_cvt_f32_u32_e32 v1, s10
	s_sub_i32 s6, 0, s10
	s_mul_i32 s3, s3, s15
	s_delay_alu instid0(SALU_CYCLE_1) | instskip(NEXT) | instid1(VALU_DEP_1)
	s_add_i32 s3, s3, s14
	v_rcp_iflag_f32_e32 v1, v1
	s_mul_i32 s14, s3, s2
	s_delay_alu instid0(SALU_CYCLE_1) | instskip(SKIP_3) | instid1(VALU_DEP_1)
	s_add_i32 s14, s14, s13
	s_mov_b32 s13, 0
	s_waitcnt_depctr 0xfff
	v_mul_f32_e32 v1, 0x4f7ffffe, v1
	v_cvt_u32_f32_e32 v1, v1
	s_delay_alu instid0(VALU_DEP_1) | instskip(NEXT) | instid1(VALU_DEP_1)
	v_readfirstlane_b32 s4, v1
	s_mul_i32 s6, s6, s4
	s_delay_alu instid0(SALU_CYCLE_1) | instskip(NEXT) | instid1(SALU_CYCLE_1)
	s_mul_hi_u32 s2, s4, s6
	s_add_i32 s4, s4, s2
	s_delay_alu instid0(SALU_CYCLE_1) | instskip(NEXT) | instid1(SALU_CYCLE_1)
	s_mul_hi_u32 s2, s14, s4
	s_mul_i32 s3, s2, s10
	s_add_i32 s4, s2, 1
	s_sub_i32 s3, s14, s3
	s_delay_alu instid0(SALU_CYCLE_1)
	s_sub_i32 s6, s3, s10
	s_cmp_ge_u32 s3, s10
	s_cselect_b32 s2, s4, s2
	s_cselect_b32 s3, s6, s3
	s_add_i32 s4, s2, 1
	s_cmp_ge_u32 s3, s10
	s_cselect_b32 s12, s4, s2
	s_delay_alu instid0(SALU_CYCLE_1)
	s_cmp_ge_u32 s12, s5
	s_cbranch_scc1 .LBB130_23
; %bb.1:
	s_load_b128 s[4:7], s[0:1], 0x1d0
	s_lshl_b64 s[2:3], s[12:13], 2
	v_cmp_gt_u32_e32 vcc_lo, 0x100, v0
	v_lshlrev_b32_e32 v1, 2, v0
	s_waitcnt lgkmcnt(0)
	s_add_u32 s4, s4, s2
	s_addc_u32 s5, s5, s3
	s_and_saveexec_b32 s2, vcc_lo
	s_cbranch_execz .LBB130_3
; %bb.2:
	v_mov_b32_e32 v2, 0
	ds_store_b32 v1, v2
.LBB130_3:
	s_or_b32 exec_lo, exec_lo, s2
	s_load_b32 s13, s[0:1], 0x1a0
	s_mul_i32 s2, s12, s10
	s_waitcnt lgkmcnt(0)
	s_sub_i32 s2, s14, s2
	s_barrier
	s_mul_i32 s3, s9, s2
	s_add_i32 s2, s2, 1
	s_lshl_b32 s16, s3, 8
	buffer_gl0_inv
	s_sub_i32 s3, s13, s16
	s_delay_alu instid0(SALU_CYCLE_1) | instskip(SKIP_4) | instid1(VALU_DEP_1)
	s_add_u32 s3, s3, 0xff
	s_addc_u32 s15, 0, 0
	s_cmp_lt_u32 s2, s10
	v_alignbit_b32 v2, s15, s3, 8
	s_mov_b32 s15, 0
	v_readfirstlane_b32 s3, v2
	s_delay_alu instid0(VALU_DEP_1) | instskip(NEXT) | instid1(SALU_CYCLE_1)
	s_cselect_b32 s9, s9, s3
	s_cmp_lt_i32 s9, 1
	s_cbranch_scc1 .LBB130_19
; %bb.4:
	s_clause 0x2
	s_load_b64 s[18:19], s[0:1], 0xd0
	s_load_b64 s[2:3], s[0:1], 0x1b8
	;; [unrolled: 1-line block ×3, first 2 shown]
	s_load_b32 s10, s[4:5], 0x0
	v_add_nc_u32_e32 v2, s16, v0
	s_waitcnt lgkmcnt(0)
	s_mul_i32 s4, s19, s12
	s_mul_hi_u32 s5, s18, s12
	s_mul_i32 s12, s18, s12
	s_add_i32 s5, s5, s4
	s_add_u32 s4, s0, s12
	s_addc_u32 s5, s1, s5
	s_and_b32 s1, s8, 0xff
	s_cmp_eq_u32 s9, 1
	s_cbranch_scc1 .LBB130_14
; %bb.5:
	v_dual_mov_b32 v3, 1 :: v_dual_mov_b32 v4, v2
	s_and_b32 s8, s9, 0x7ffffffe
	s_mov_b32 s12, 0
	s_branch .LBB130_7
.LBB130_6:                              ;   in Loop: Header=BB130_7 Depth=1
	s_or_b32 exec_lo, exec_lo, s15
	v_add_nc_u32_e32 v4, 0x200, v4
	s_add_i32 s12, s12, 2
	s_delay_alu instid0(SALU_CYCLE_1)
	s_cmp_eq_u32 s8, s12
	s_cbranch_scc1 .LBB130_13
.LBB130_7:                              ; =>This Inner Loop Header: Depth=1
	s_mov_b32 s15, exec_lo
	v_cmpx_gt_u32_e64 s13, v4
	s_cbranch_execz .LBB130_10
; %bb.8:                                ;   in Loop: Header=BB130_7 Depth=1
	v_mad_u64_u32 v[5:6], null, v4, s2, s[4:5]
	s_delay_alu instid0(VALU_DEP_1) | instskip(NEXT) | instid1(VALU_DEP_1)
	v_mad_u64_u32 v[7:8], null, v4, s3, v[6:7]
	v_mov_b32_e32 v6, v7
	global_load_i8 v5, v[5:6], off
	s_waitcnt vmcnt(0)
	v_add_nc_u32_e32 v5, 0x80, v5
	s_delay_alu instid0(VALU_DEP_1) | instskip(NEXT) | instid1(VALU_DEP_1)
	v_xor_b32_e32 v6, s10, v5
	v_and_b32_e32 v6, s11, v6
	s_delay_alu instid0(VALU_DEP_1) | instskip(NEXT) | instid1(VALU_DEP_1)
	v_cmp_eq_u32_e64 s0, 0, v6
	s_and_b32 exec_lo, exec_lo, s0
	s_cbranch_execz .LBB130_10
; %bb.9:                                ;   in Loop: Header=BB130_7 Depth=1
	v_lshrrev_b32_e32 v5, s1, v5
	s_delay_alu instid0(VALU_DEP_1)
	v_lshlrev_b32_e32 v5, 2, v5
	ds_add_u32 v5, v3
.LBB130_10:                             ;   in Loop: Header=BB130_7 Depth=1
	s_or_b32 exec_lo, exec_lo, s15
	v_add_nc_u32_e32 v5, 0x100, v4
	s_mov_b32 s15, exec_lo
	s_delay_alu instid0(VALU_DEP_1)
	v_cmpx_gt_u32_e64 s13, v5
	s_cbranch_execz .LBB130_6
; %bb.11:                               ;   in Loop: Header=BB130_7 Depth=1
	v_mad_u64_u32 v[6:7], null, v5, s2, s[4:5]
	s_delay_alu instid0(VALU_DEP_1) | instskip(NEXT) | instid1(VALU_DEP_1)
	v_mad_u64_u32 v[8:9], null, v5, s3, v[7:8]
	v_mov_b32_e32 v7, v8
	global_load_i8 v5, v[6:7], off
	s_waitcnt vmcnt(0)
	v_add_nc_u32_e32 v5, 0x80, v5
	s_delay_alu instid0(VALU_DEP_1) | instskip(NEXT) | instid1(VALU_DEP_1)
	v_xor_b32_e32 v6, s10, v5
	v_and_b32_e32 v6, s11, v6
	s_delay_alu instid0(VALU_DEP_1) | instskip(NEXT) | instid1(VALU_DEP_1)
	v_cmp_eq_u32_e64 s0, 0, v6
	s_and_b32 exec_lo, exec_lo, s0
	s_cbranch_execz .LBB130_6
; %bb.12:                               ;   in Loop: Header=BB130_7 Depth=1
	v_lshrrev_b32_e32 v5, s1, v5
	s_delay_alu instid0(VALU_DEP_1)
	v_lshlrev_b32_e32 v5, 2, v5
	ds_add_u32 v5, v3
	s_branch .LBB130_6
.LBB130_13:
	s_lshl_b32 s15, s8, 8
.LBB130_14:
	s_bitcmp0_b32 s9, 0
	s_cbranch_scc1 .LBB130_19
; %bb.15:
	v_add_nc_u32_e32 v2, s15, v2
	s_mov_b32 s8, exec_lo
	s_delay_alu instid0(VALU_DEP_1)
	v_cmpx_gt_u32_e64 s13, v2
	s_cbranch_execz .LBB130_18
; %bb.16:
	v_mad_u64_u32 v[3:4], null, v2, s2, s[4:5]
	s_delay_alu instid0(VALU_DEP_1) | instskip(NEXT) | instid1(VALU_DEP_1)
	v_mad_u64_u32 v[5:6], null, v2, s3, v[4:5]
	v_mov_b32_e32 v4, v5
	global_load_i8 v2, v[3:4], off
	s_waitcnt vmcnt(0)
	v_add_nc_u32_e32 v2, 0x80, v2
	s_delay_alu instid0(VALU_DEP_1) | instskip(NEXT) | instid1(VALU_DEP_1)
	v_xor_b32_e32 v3, s10, v2
	v_and_b32_e32 v3, s11, v3
	s_delay_alu instid0(VALU_DEP_1) | instskip(NEXT) | instid1(VALU_DEP_1)
	v_cmp_eq_u32_e64 s0, 0, v3
	s_and_b32 exec_lo, exec_lo, s0
	s_cbranch_execz .LBB130_18
; %bb.17:
	v_lshrrev_b32_e32 v2, s1, v2
	s_delay_alu instid0(VALU_DEP_1)
	v_dual_mov_b32 v3, 1 :: v_dual_lshlrev_b32 v2, 2, v2
	ds_add_u32 v2, v3
.LBB130_18:
	s_or_b32 exec_lo, exec_lo, s8
.LBB130_19:
	v_mov_b32_e32 v2, 0
	s_waitcnt lgkmcnt(0)
	s_barrier
	buffer_gl0_inv
	s_and_saveexec_b32 s0, vcc_lo
	s_cbranch_execz .LBB130_21
; %bb.20:
	ds_load_b32 v2, v1
.LBB130_21:
	s_or_b32 exec_lo, exec_lo, s0
	s_and_saveexec_b32 s0, vcc_lo
	s_cbranch_execz .LBB130_23
; %bb.22:
	v_lshl_or_b32 v0, s14, 8, v0
	v_mov_b32_e32 v1, 0
	s_delay_alu instid0(VALU_DEP_1) | instskip(NEXT) | instid1(VALU_DEP_1)
	v_lshlrev_b64 v[0:1], 1, v[0:1]
	v_add_co_u32 v0, vcc_lo, s6, v0
	s_delay_alu instid0(VALU_DEP_2)
	v_add_co_ci_u32_e32 v1, vcc_lo, s7, v1, vcc_lo
	s_waitcnt lgkmcnt(0)
	global_store_b16 v[0:1], v2, off
.LBB130_23:
	s_nop 0
	s_sendmsg sendmsg(MSG_DEALLOC_VGPRS)
	s_endpgm
	.section	.rodata,"a",@progbits
	.p2align	6, 0x0
	.amdhsa_kernel _ZN2at6native6mbtopk23computeBlockDigitCountsIamjLi1EEEvNS_4cuda6detail10TensorInfoIKT_T0_EEjPjjS8_iijT1_PSB_Ps
		.amdhsa_group_segment_fixed_size 1024
		.amdhsa_private_segment_fixed_size 0
		.amdhsa_kernarg_size 736
		.amdhsa_user_sgpr_count 13
		.amdhsa_user_sgpr_dispatch_ptr 0
		.amdhsa_user_sgpr_queue_ptr 0
		.amdhsa_user_sgpr_kernarg_segment_ptr 1
		.amdhsa_user_sgpr_dispatch_id 0
		.amdhsa_user_sgpr_private_segment_size 0
		.amdhsa_wavefront_size32 1
		.amdhsa_uses_dynamic_stack 0
		.amdhsa_enable_private_segment 0
		.amdhsa_system_sgpr_workgroup_id_x 1
		.amdhsa_system_sgpr_workgroup_id_y 1
		.amdhsa_system_sgpr_workgroup_id_z 1
		.amdhsa_system_sgpr_workgroup_info 0
		.amdhsa_system_vgpr_workitem_id 0
		.amdhsa_next_free_vgpr 10
		.amdhsa_next_free_sgpr 20
		.amdhsa_reserve_vcc 1
		.amdhsa_float_round_mode_32 0
		.amdhsa_float_round_mode_16_64 0
		.amdhsa_float_denorm_mode_32 3
		.amdhsa_float_denorm_mode_16_64 3
		.amdhsa_dx10_clamp 1
		.amdhsa_ieee_mode 1
		.amdhsa_fp16_overflow 0
		.amdhsa_workgroup_processor_mode 1
		.amdhsa_memory_ordered 1
		.amdhsa_forward_progress 0
		.amdhsa_shared_vgpr_count 0
		.amdhsa_exception_fp_ieee_invalid_op 0
		.amdhsa_exception_fp_denorm_src 0
		.amdhsa_exception_fp_ieee_div_zero 0
		.amdhsa_exception_fp_ieee_overflow 0
		.amdhsa_exception_fp_ieee_underflow 0
		.amdhsa_exception_fp_ieee_inexact 0
		.amdhsa_exception_int_div_zero 0
	.end_amdhsa_kernel
	.section	.text._ZN2at6native6mbtopk23computeBlockDigitCountsIamjLi1EEEvNS_4cuda6detail10TensorInfoIKT_T0_EEjPjjS8_iijT1_PSB_Ps,"axG",@progbits,_ZN2at6native6mbtopk23computeBlockDigitCountsIamjLi1EEEvNS_4cuda6detail10TensorInfoIKT_T0_EEjPjjS8_iijT1_PSB_Ps,comdat
.Lfunc_end130:
	.size	_ZN2at6native6mbtopk23computeBlockDigitCountsIamjLi1EEEvNS_4cuda6detail10TensorInfoIKT_T0_EEjPjjS8_iijT1_PSB_Ps, .Lfunc_end130-_ZN2at6native6mbtopk23computeBlockDigitCountsIamjLi1EEEvNS_4cuda6detail10TensorInfoIKT_T0_EEjPjjS8_iijT1_PSB_Ps
                                        ; -- End function
	.section	.AMDGPU.csdata,"",@progbits
; Kernel info:
; codeLenInByte = 968
; NumSgprs: 22
; NumVgprs: 10
; ScratchSize: 0
; MemoryBound: 0
; FloatMode: 240
; IeeeMode: 1
; LDSByteSize: 1024 bytes/workgroup (compile time only)
; SGPRBlocks: 2
; VGPRBlocks: 1
; NumSGPRsForWavesPerEU: 22
; NumVGPRsForWavesPerEU: 10
; Occupancy: 16
; WaveLimiterHint : 1
; COMPUTE_PGM_RSRC2:SCRATCH_EN: 0
; COMPUTE_PGM_RSRC2:USER_SGPR: 13
; COMPUTE_PGM_RSRC2:TRAP_HANDLER: 0
; COMPUTE_PGM_RSRC2:TGID_X_EN: 1
; COMPUTE_PGM_RSRC2:TGID_Y_EN: 1
; COMPUTE_PGM_RSRC2:TGID_Z_EN: 1
; COMPUTE_PGM_RSRC2:TIDIG_COMP_CNT: 0
	.section	.text._ZN2at6native6mbtopk10gatherTopKIamLi1EEEvNS_4cuda6detail10TensorInfoIKT_T0_EES8_S8_bjS8_NS5_IS6_S8_EES8_NS5_IlS8_EES8_jjPS6_PjSD_j,"axG",@progbits,_ZN2at6native6mbtopk10gatherTopKIamLi1EEEvNS_4cuda6detail10TensorInfoIKT_T0_EES8_S8_bjS8_NS5_IS6_S8_EES8_NS5_IlS8_EES8_jjPS6_PjSD_j,comdat
	.protected	_ZN2at6native6mbtopk10gatherTopKIamLi1EEEvNS_4cuda6detail10TensorInfoIKT_T0_EES8_S8_bjS8_NS5_IS6_S8_EES8_NS5_IlS8_EES8_jjPS6_PjSD_j ; -- Begin function _ZN2at6native6mbtopk10gatherTopKIamLi1EEEvNS_4cuda6detail10TensorInfoIKT_T0_EES8_S8_bjS8_NS5_IS6_S8_EES8_NS5_IlS8_EES8_jjPS6_PjSD_j
	.globl	_ZN2at6native6mbtopk10gatherTopKIamLi1EEEvNS_4cuda6detail10TensorInfoIKT_T0_EES8_S8_bjS8_NS5_IS6_S8_EES8_NS5_IlS8_EES8_jjPS6_PjSD_j
	.p2align	8
	.type	_ZN2at6native6mbtopk10gatherTopKIamLi1EEEvNS_4cuda6detail10TensorInfoIKT_T0_EES8_S8_bjS8_NS5_IS6_S8_EES8_NS5_IlS8_EES8_jjPS6_PjSD_j,@function
_ZN2at6native6mbtopk10gatherTopKIamLi1EEEvNS_4cuda6detail10TensorInfoIKT_T0_EES8_S8_bjS8_NS5_IS6_S8_EES8_NS5_IlS8_EES8_jjPS6_PjSD_j: ; @_ZN2at6native6mbtopk10gatherTopKIamLi1EEEvNS_4cuda6detail10TensorInfoIKT_T0_EES8_S8_bjS8_NS5_IS6_S8_EES8_NS5_IlS8_EES8_jjPS6_PjSD_j
; %bb.0:
	s_clause 0x1
	s_load_b64 s[2:3], s[0:1], 0x538
	s_load_b32 s4, s[0:1], 0x530
	s_waitcnt lgkmcnt(0)
	s_mul_i32 s3, s3, s15
	s_delay_alu instid0(SALU_CYCLE_1) | instskip(NEXT) | instid1(SALU_CYCLE_1)
	s_add_i32 s3, s3, s14
	s_mul_i32 s2, s3, s2
	s_delay_alu instid0(SALU_CYCLE_1) | instskip(NEXT) | instid1(SALU_CYCLE_1)
	s_add_i32 s2, s2, s13
	s_cmp_ge_u32 s2, s4
	s_cbranch_scc1 .LBB131_42
; %bb.1:
	s_load_b64 s[16:17], s[0:1], 0x510
	s_waitcnt lgkmcnt(0)
	v_cvt_f32_u32_e32 v1, s17
	s_sub_i32 s4, 0, s17
	s_lshl_b32 s33, s16, 8
	s_delay_alu instid0(VALU_DEP_1) | instskip(SKIP_2) | instid1(VALU_DEP_1)
	v_rcp_iflag_f32_e32 v1, v1
	s_waitcnt_depctr 0xfff
	v_mul_f32_e32 v1, 0x4f7ffffe, v1
	v_cvt_u32_f32_e32 v1, v1
	s_delay_alu instid0(VALU_DEP_1) | instskip(NEXT) | instid1(VALU_DEP_1)
	v_readfirstlane_b32 s3, v1
	s_mul_i32 s4, s4, s3
	s_delay_alu instid0(SALU_CYCLE_1) | instskip(NEXT) | instid1(SALU_CYCLE_1)
	s_mul_hi_u32 s4, s3, s4
	s_add_i32 s3, s3, s4
	s_load_b128 s[4:7], s[0:1], 0x1a0
	s_mul_hi_u32 s3, s2, s3
	s_delay_alu instid0(SALU_CYCLE_1) | instskip(SKIP_2) | instid1(SALU_CYCLE_1)
	s_mul_i32 s8, s3, s17
	s_add_i32 s9, s3, 1
	s_sub_i32 s8, s2, s8
	s_sub_i32 s10, s8, s17
	s_cmp_ge_u32 s8, s17
	s_cselect_b32 s3, s9, s3
	s_cselect_b32 s8, s10, s8
	s_add_i32 s9, s3, 1
	s_cmp_ge_u32 s8, s17
	s_cselect_b32 s35, s9, s3
	s_delay_alu instid0(SALU_CYCLE_1) | instskip(NEXT) | instid1(SALU_CYCLE_1)
	s_mul_i32 s26, s35, s17
	s_sub_i32 s34, s2, s26
	s_delay_alu instid0(SALU_CYCLE_1) | instskip(NEXT) | instid1(SALU_CYCLE_1)
	s_add_i32 s2, s34, 1
	s_cmp_lt_u32 s2, s17
	s_cbranch_scc1 .LBB131_3
; %bb.2:
	s_mul_i32 s2, s34, s33
	s_waitcnt lgkmcnt(0)
	s_sub_u32 s2, s4, s2
	s_subb_u32 s3, s5, 0
	s_add_u32 s2, s2, 0xff
	s_addc_u32 s3, s3, 0
	s_delay_alu instid0(SALU_CYCLE_1) | instskip(NEXT) | instid1(SALU_CYCLE_1)
	s_ashr_i32 s8, s3, 31
	s_lshr_b32 s8, s8, 24
	s_delay_alu instid0(SALU_CYCLE_1) | instskip(SKIP_1) | instid1(SALU_CYCLE_1)
	s_add_u32 s2, s2, s8
	s_addc_u32 s3, s3, 0
	v_alignbit_b32 v1, s3, s2, 8
	s_delay_alu instid0(VALU_DEP_1)
	v_readfirstlane_b32 s16, v1
.LBB131_3:
	s_load_b128 s[8:11], s[0:1], 0x518
	v_mov_b32_e32 v1, s35
	v_cmp_ne_u32_e64 s2, 0, v0
	v_cmp_eq_u32_e64 s3, 0, v0
	s_waitcnt lgkmcnt(0)
	global_load_u8 v4, v1, s[8:9]
	s_clause 0x3
	s_load_b64 s[18:19], s[0:1], 0x0
	s_load_b64 s[24:25], s[0:1], 0xd0
	;; [unrolled: 1-line block ×4, first 2 shown]
	s_and_saveexec_b32 s36, s3
	s_cbranch_execz .LBB131_19
; %bb.4:
	s_load_b64 s[8:9], s[0:1], 0x528
	s_mov_b32 s27, 0
	s_mov_b32 s37, 0
	s_lshl_b64 s[28:29], s[26:27], 2
	s_mov_b32 s26, 0
	s_add_u32 s12, s10, s28
	s_addc_u32 s13, s11, s29
	s_waitcnt lgkmcnt(0)
	s_add_u32 s14, s8, s28
	s_addc_u32 s15, s9, s29
	s_cmp_lt_u32 s17, 4
	s_cbranch_scc1 .LBB131_16
; %bb.5:
	s_mov_b32 s38, 0
.LBB131_6:                              ; =>This Inner Loop Header: Depth=1
	s_add_u32 s12, s10, s28
	s_addc_u32 s13, s11, s29
	s_add_u32 s30, s8, s28
	s_load_b128 s[12:15], s[12:13], 0x0
	s_addc_u32 s31, s9, s29
	s_cmp_ge_u32 s38, s34
	s_cbranch_scc0 .LBB131_13
; %bb.7:                                ;   in Loop: Header=BB131_6 Depth=1
	s_add_i32 s39, s38, 1
	s_delay_alu instid0(SALU_CYCLE_1)
	s_cmp_ge_u32 s39, s34
	s_cbranch_scc0 .LBB131_14
.LBB131_8:                              ;   in Loop: Header=BB131_6 Depth=1
	s_add_i32 s39, s39, 1
	s_delay_alu instid0(SALU_CYCLE_1)
	s_cmp_ge_u32 s39, s34
	s_cbranch_scc0 .LBB131_15
.LBB131_9:                              ;   in Loop: Header=BB131_6 Depth=1
	s_add_i32 s39, s39, 1
	s_delay_alu instid0(SALU_CYCLE_1)
	s_cmp_ge_u32 s39, s34
	s_cbranch_scc1 .LBB131_11
.LBB131_10:                             ;   in Loop: Header=BB131_6 Depth=1
	s_load_b32 s30, s[30:31], 0xc
	s_waitcnt lgkmcnt(0)
	s_add_i32 s27, s27, s15
	s_add_i32 s26, s30, s26
.LBB131_11:                             ;   in Loop: Header=BB131_6 Depth=1
	s_waitcnt lgkmcnt(0)
	s_add_i32 s12, s12, s37
	s_delay_alu instid0(SALU_CYCLE_1) | instskip(NEXT) | instid1(SALU_CYCLE_1)
	s_add_i32 s12, s12, s13
	s_add_i32 s12, s12, s14
	s_delay_alu instid0(SALU_CYCLE_1)
	s_add_i32 s37, s12, s15
	s_add_u32 s10, s10, 16
	s_addc_u32 s11, s11, 0
	s_add_u32 s8, s8, 16
	s_addc_u32 s9, s9, 0
	s_add_i32 s31, s39, 4
	s_add_u32 s14, s8, s28
	s_addc_u32 s15, s9, s29
	s_add_u32 s12, s10, s28
	s_addc_u32 s13, s11, s29
	s_add_i32 s30, s39, 1
	s_cmp_ge_u32 s31, s17
	s_cbranch_scc1 .LBB131_17
; %bb.12:                               ;   in Loop: Header=BB131_6 Depth=1
	s_mov_b32 s38, s30
	s_branch .LBB131_6
.LBB131_13:                             ;   in Loop: Header=BB131_6 Depth=1
	s_load_b32 s39, s[30:31], 0x0
	s_waitcnt lgkmcnt(0)
	s_add_i32 s27, s12, s27
	s_add_i32 s26, s39, s26
	;; [unrolled: 1-line block ×3, first 2 shown]
	s_delay_alu instid0(SALU_CYCLE_1)
	s_cmp_ge_u32 s39, s34
	s_cbranch_scc1 .LBB131_8
.LBB131_14:                             ;   in Loop: Header=BB131_6 Depth=1
	s_load_b32 s40, s[30:31], 0x4
	s_waitcnt lgkmcnt(0)
	s_add_i32 s27, s27, s13
	s_add_i32 s26, s40, s26
	;; [unrolled: 1-line block ×3, first 2 shown]
	s_delay_alu instid0(SALU_CYCLE_1)
	s_cmp_ge_u32 s39, s34
	s_cbranch_scc1 .LBB131_9
.LBB131_15:                             ;   in Loop: Header=BB131_6 Depth=1
	s_load_b32 s40, s[30:31], 0x8
	s_waitcnt lgkmcnt(0)
	s_add_i32 s27, s27, s14
	s_add_i32 s26, s40, s26
	;; [unrolled: 1-line block ×3, first 2 shown]
	s_delay_alu instid0(SALU_CYCLE_1)
	s_cmp_ge_u32 s39, s34
	s_cbranch_scc0 .LBB131_10
	s_branch .LBB131_11
.LBB131_16:
	s_mov_b32 s8, 0
	s_delay_alu instid0(SALU_CYCLE_1)
	s_cmp_ge_u32 s8, s17
	s_cbranch_scc0 .LBB131_40
	s_branch .LBB131_18
.LBB131_17:
	s_add_i32 s8, s38, 4
	s_delay_alu instid0(SALU_CYCLE_1)
	s_cmp_ge_u32 s8, s17
	s_cbranch_scc0 .LBB131_40
.LBB131_18:
	v_dual_mov_b32 v1, s26 :: v_dual_mov_b32 v2, s37
	v_mov_b32_e32 v3, s27
	v_mov_b32_e32 v5, 0
	ds_store_b96 v5, v[1:3] offset:1056
.LBB131_19:
	s_or_b32 exec_lo, exec_lo, s36
	s_clause 0x1
	s_load_b128 s[8:11], s[0:1], 0x1b8
	s_load_b128 s[12:15], s[0:1], 0x360
	s_cmp_eq_u32 s16, 0
	s_waitcnt vmcnt(0) lgkmcnt(0)
	s_barrier
	buffer_gl0_inv
	s_cbranch_scc1 .LBB131_42
; %bb.20:
	v_bfe_i32 v6, v4, 0, 8
	v_mov_b32_e32 v5, 0
	s_mul_i32 s17, s25, s35
	s_mul_hi_u32 s25, s24, s35
	s_mul_i32 s23, s23, s35
	v_add_nc_u32_e32 v8, 0x80, v6
	ds_load_b96 v[1:3], v5 offset:1056
	s_add_i32 s25, s25, s17
	s_mul_i32 s17, s24, s35
	s_mul_hi_u32 s24, s22, s35
	s_mul_i32 s21, s21, s35
	s_add_i32 s24, s24, s23
	s_mul_hi_u32 s23, s20, s35
	s_mul_i32 s22, s22, s35
	s_add_i32 s21, s23, s21
	s_add_u32 s18, s18, s17
	s_mul_i32 s20, s20, s35
	s_addc_u32 s19, s19, s25
	s_add_u32 s10, s10, s22
	s_addc_u32 s11, s11, s24
	s_lshl_b64 s[20:21], s[20:21], 3
	v_lshrrev_b32_e32 v7, 5, v0
	s_add_u32 s17, s14, s20
	s_addc_u32 s20, s15, s21
	s_clause 0x1
	s_load_b32 s21, s[0:1], 0x1b0
	s_load_b64 s[14:15], s[0:1], 0x508
	s_waitcnt lgkmcnt(0)
	v_add_nc_u32_e32 v1, v1, v2
	v_add_lshl_u32 v9, v7, v0, 2
	v_lshlrev_b32_e32 v2, 3, v0
	v_lshrrev_b32_e32 v12, 2, v0
	v_mbcnt_lo_u32_b32 v10, -1, 0
	v_mad_u64_u32 v[6:7], null, s34, s33, v[0:1]
	v_add_nc_u32_e32 v11, -1, v0
	v_cmp_gt_u32_e64 s0, 32, v0
	v_add_lshl_u32 v0, v12, v2, 2
	v_and_b32_e32 v12, 0xff, v4
	v_bfe_i32 v14, v10, 4, 1
	v_dual_mov_b32 v4, v6 :: v_dual_add_nc_u32 v15, -1, v10
	v_lshrrev_b32_e32 v13, 5, v11
                                        ; implicit-def: $vgpr16
	s_bitcmp1_b32 s21, 0
	s_delay_alu instid0(VALU_DEP_1)
	v_add_lshl_u32 v11, v13, v11, 2
	v_and_b32_e32 v13, 15, v10
	s_cselect_b32 s1, -1, 0
	s_branch .LBB131_23
.LBB131_21:                             ;   in Loop: Header=BB131_23 Depth=1
	s_or_b32 exec_lo, exec_lo, s21
	v_add_nc_u32_e32 v1, v2, v1
.LBB131_22:                             ;   in Loop: Header=BB131_23 Depth=1
	v_add_nc_u32_e32 v3, v17, v3
	v_add_nc_u32_e32 v4, 0x100, v4
	s_add_i32 s16, s16, -1
	s_delay_alu instid0(SALU_CYCLE_1)
	s_cmp_lg_u32 s16, 0
	s_cbranch_scc0 .LBB131_42
.LBB131_23:                             ; =>This Inner Loop Header: Depth=1
	v_mov_b32_e32 v2, v5
	v_mov_b32_e32 v6, v5
	s_mov_b32 s21, exec_lo
	v_cmpx_gt_u64_e64 s[4:5], v[4:5]
	s_cbranch_execz .LBB131_25
; %bb.24:                               ;   in Loop: Header=BB131_23 Depth=1
	v_mad_u64_u32 v[6:7], null, v4, s8, s[18:19]
	s_delay_alu instid0(VALU_DEP_1) | instskip(NEXT) | instid1(VALU_DEP_1)
	v_mov_b32_e32 v2, v7
	v_mad_u64_u32 v[16:17], null, v4, s9, v[2:3]
	s_delay_alu instid0(VALU_DEP_1) | instskip(SKIP_3) | instid1(VALU_DEP_1)
	v_mov_b32_e32 v7, v16
	global_load_u8 v16, v[6:7], off
	s_waitcnt vmcnt(0)
	v_bfe_i32 v2, v16, 0, 8
	v_add_nc_u32_e32 v2, 0x80, v2
	s_delay_alu instid0(VALU_DEP_1) | instskip(SKIP_4) | instid1(VALU_DEP_2)
	v_cmp_gt_u32_e32 vcc_lo, v2, v8
	v_cndmask_b32_e64 v6, 0, 1, vcc_lo
	v_cmp_lt_u32_e32 vcc_lo, v2, v8
	v_cndmask_b32_e64 v2, 0, 1, vcc_lo
	v_cmp_eq_u16_e32 vcc_lo, v16, v12
	v_cndmask_b32_e64 v2, v2, v6, s1
	v_cndmask_b32_e64 v6, 0, 1, vcc_lo
	s_delay_alu instid0(VALU_DEP_2)
	v_and_b32_e32 v2, 1, v2
.LBB131_25:                             ;   in Loop: Header=BB131_23 Depth=1
	s_or_b32 exec_lo, exec_lo, s21
	ds_store_b32 v9, v2
	s_waitcnt lgkmcnt(0)
	s_waitcnt_vscnt null, 0x0
	s_barrier
	buffer_gl0_inv
	s_and_saveexec_b32 s21, s0
	s_cbranch_execz .LBB131_27
; %bb.26:                               ;   in Loop: Header=BB131_23 Depth=1
	ds_load_2addr_b32 v[17:18], v0 offset1:1
	ds_load_2addr_b32 v[19:20], v0 offset0:2 offset1:3
	ds_load_2addr_b32 v[21:22], v0 offset0:4 offset1:5
	;; [unrolled: 1-line block ×3, first 2 shown]
	v_cmp_ne_u32_e32 vcc_lo, 0, v13
	; wave barrier
	s_waitcnt lgkmcnt(3)
	v_add_nc_u32_e32 v7, v18, v17
	s_waitcnt lgkmcnt(2)
	s_delay_alu instid0(VALU_DEP_1) | instskip(SKIP_1) | instid1(VALU_DEP_1)
	v_add3_u32 v7, v7, v19, v20
	s_waitcnt lgkmcnt(1)
	v_add3_u32 v7, v7, v21, v22
	s_waitcnt lgkmcnt(0)
	s_delay_alu instid0(VALU_DEP_1) | instskip(NEXT) | instid1(VALU_DEP_1)
	v_add3_u32 v7, v7, v23, v24
	v_mov_b32_dpp v18, v7 row_shr:1 row_mask:0xf bank_mask:0xf
	s_delay_alu instid0(VALU_DEP_1) | instskip(SKIP_1) | instid1(VALU_DEP_2)
	v_cndmask_b32_e32 v18, 0, v18, vcc_lo
	v_cmp_lt_u32_e32 vcc_lo, 1, v13
	v_add_nc_u32_e32 v7, v18, v7
	s_delay_alu instid0(VALU_DEP_1) | instskip(NEXT) | instid1(VALU_DEP_1)
	v_mov_b32_dpp v18, v7 row_shr:2 row_mask:0xf bank_mask:0xf
	v_cndmask_b32_e32 v18, 0, v18, vcc_lo
	v_cmp_lt_u32_e32 vcc_lo, 3, v13
	s_delay_alu instid0(VALU_DEP_2) | instskip(NEXT) | instid1(VALU_DEP_1)
	v_add_nc_u32_e32 v7, v7, v18
	v_mov_b32_dpp v18, v7 row_shr:4 row_mask:0xf bank_mask:0xf
	s_delay_alu instid0(VALU_DEP_1) | instskip(SKIP_1) | instid1(VALU_DEP_2)
	v_cndmask_b32_e32 v18, 0, v18, vcc_lo
	v_cmp_lt_u32_e32 vcc_lo, 7, v13
	v_add_nc_u32_e32 v7, v7, v18
	s_delay_alu instid0(VALU_DEP_1) | instskip(NEXT) | instid1(VALU_DEP_1)
	v_mov_b32_dpp v18, v7 row_shr:8 row_mask:0xf bank_mask:0xf
	v_cndmask_b32_e32 v18, 0, v18, vcc_lo
	v_cmp_gt_i32_e32 vcc_lo, 0, v15
	s_delay_alu instid0(VALU_DEP_2)
	v_add_nc_u32_e32 v7, v7, v18
	v_cndmask_b32_e32 v19, v15, v10, vcc_lo
	ds_swizzle_b32 v18, v7 offset:swizzle(BROADCAST,32,15)
	v_lshlrev_b32_e32 v19, 2, v19
	s_waitcnt lgkmcnt(0)
	v_and_b32_e32 v18, v14, v18
	s_delay_alu instid0(VALU_DEP_1) | instskip(SKIP_3) | instid1(VALU_DEP_1)
	v_add_nc_u32_e32 v7, v7, v18
	ds_bpermute_b32 v7, v19, v7
	s_waitcnt lgkmcnt(0)
	v_add_nc_u32_e32 v7, v7, v17
	v_cndmask_b32_e64 v7, v7, v2, s3
	ds_store_b32 v0, v7
	; wave barrier
	ds_load_2addr_b32 v[17:18], v0 offset0:1 offset1:2
	ds_load_2addr_b32 v[19:20], v0 offset0:3 offset1:4
	;; [unrolled: 1-line block ×3, first 2 shown]
	ds_load_b32 v23, v0 offset:28
	s_waitcnt lgkmcnt(3)
	v_add_nc_u32_e32 v7, v17, v7
	s_delay_alu instid0(VALU_DEP_1) | instskip(SKIP_1) | instid1(VALU_DEP_1)
	v_add_nc_u32_e32 v17, v18, v7
	s_waitcnt lgkmcnt(2)
	v_add_nc_u32_e32 v18, v19, v17
	s_delay_alu instid0(VALU_DEP_1) | instskip(SKIP_1) | instid1(VALU_DEP_1)
	v_add_nc_u32_e32 v19, v20, v18
	;; [unrolled: 4-line block ×3, first 2 shown]
	s_waitcnt lgkmcnt(0)
	v_add_nc_u32_e32 v22, v23, v21
	ds_store_2addr_b32 v0, v7, v17 offset0:1 offset1:2
	ds_store_2addr_b32 v0, v18, v19 offset0:3 offset1:4
	;; [unrolled: 1-line block ×3, first 2 shown]
	ds_store_b32 v0, v22 offset:28
.LBB131_27:                             ;   in Loop: Header=BB131_23 Depth=1
	s_or_b32 exec_lo, exec_lo, s21
	v_mov_b32_e32 v7, 0
	s_waitcnt lgkmcnt(0)
	s_barrier
	buffer_gl0_inv
	s_and_saveexec_b32 s21, s2
	s_cbranch_execz .LBB131_29
; %bb.28:                               ;   in Loop: Header=BB131_23 Depth=1
	ds_load_b32 v7, v11
.LBB131_29:                             ;   in Loop: Header=BB131_23 Depth=1
	s_or_b32 exec_lo, exec_lo, s21
	ds_load_b32 v17, v5 offset:1048
	s_mov_b32 s21, exec_lo
	s_waitcnt lgkmcnt(0)
	s_barrier
	buffer_gl0_inv
	v_cmpx_ne_u32_e32 0, v2
	s_cbranch_execz .LBB131_31
; %bb.30:                               ;   in Loop: Header=BB131_23 Depth=1
	v_add_nc_u32_e32 v7, v7, v3
	s_delay_alu instid0(VALU_DEP_1) | instskip(SKIP_1) | instid1(VALU_DEP_2)
	v_mad_u64_u32 v[18:19], null, v7, s14, 0
	v_mad_u64_u32 v[20:21], null, v7, s12, s[10:11]
	v_mov_b32_e32 v2, v19
	s_delay_alu instid0(VALU_DEP_1) | instskip(NEXT) | instid1(VALU_DEP_1)
	v_mad_u64_u32 v[22:23], null, v7, s15, v[2:3]
	v_dual_mov_b32 v2, v21 :: v_dual_mov_b32 v19, v22
	s_delay_alu instid0(VALU_DEP_1) | instskip(NEXT) | instid1(VALU_DEP_2)
	v_mad_u64_u32 v[21:22], null, v7, s13, v[2:3]
	v_lshlrev_b64 v[18:19], 3, v[18:19]
	s_delay_alu instid0(VALU_DEP_1) | instskip(NEXT) | instid1(VALU_DEP_2)
	v_add_co_u32 v18, vcc_lo, s17, v18
	v_add_co_ci_u32_e32 v19, vcc_lo, s20, v19, vcc_lo
	global_store_b8 v[20:21], v16, off
	global_store_b64 v[18:19], v[4:5], off
.LBB131_31:                             ;   in Loop: Header=BB131_23 Depth=1
	s_or_b32 exec_lo, exec_lo, s21
	v_mov_b32_e32 v2, v5
	s_delay_alu instid0(VALU_DEP_1)
	v_cmp_le_u64_e32 vcc_lo, s[6:7], v[1:2]
	s_cbranch_vccnz .LBB131_22
; %bb.32:                               ;   in Loop: Header=BB131_23 Depth=1
	ds_store_b32 v9, v6
	s_waitcnt lgkmcnt(0)
	s_waitcnt_vscnt null, 0x0
	s_barrier
	buffer_gl0_inv
	s_and_saveexec_b32 s21, s0
	s_cbranch_execz .LBB131_34
; %bb.33:                               ;   in Loop: Header=BB131_23 Depth=1
	ds_load_2addr_b32 v[18:19], v0 offset1:1
	ds_load_2addr_b32 v[20:21], v0 offset0:2 offset1:3
	ds_load_2addr_b32 v[22:23], v0 offset0:4 offset1:5
	;; [unrolled: 1-line block ×3, first 2 shown]
	v_cmp_ne_u32_e32 vcc_lo, 0, v13
	; wave barrier
	s_waitcnt lgkmcnt(3)
	v_add_nc_u32_e32 v2, v19, v18
	s_waitcnt lgkmcnt(2)
	s_delay_alu instid0(VALU_DEP_1) | instskip(SKIP_1) | instid1(VALU_DEP_1)
	v_add3_u32 v2, v2, v20, v21
	s_waitcnt lgkmcnt(1)
	v_add3_u32 v2, v2, v22, v23
	s_waitcnt lgkmcnt(0)
	s_delay_alu instid0(VALU_DEP_1) | instskip(NEXT) | instid1(VALU_DEP_1)
	v_add3_u32 v2, v2, v24, v25
	v_mov_b32_dpp v7, v2 row_shr:1 row_mask:0xf bank_mask:0xf
	s_delay_alu instid0(VALU_DEP_1) | instskip(SKIP_1) | instid1(VALU_DEP_2)
	v_cndmask_b32_e32 v7, 0, v7, vcc_lo
	v_cmp_lt_u32_e32 vcc_lo, 1, v13
	v_add_nc_u32_e32 v2, v7, v2
	s_delay_alu instid0(VALU_DEP_1) | instskip(NEXT) | instid1(VALU_DEP_1)
	v_mov_b32_dpp v7, v2 row_shr:2 row_mask:0xf bank_mask:0xf
	v_cndmask_b32_e32 v7, 0, v7, vcc_lo
	v_cmp_lt_u32_e32 vcc_lo, 3, v13
	s_delay_alu instid0(VALU_DEP_2) | instskip(NEXT) | instid1(VALU_DEP_1)
	v_add_nc_u32_e32 v2, v2, v7
	v_mov_b32_dpp v7, v2 row_shr:4 row_mask:0xf bank_mask:0xf
	s_delay_alu instid0(VALU_DEP_1) | instskip(SKIP_1) | instid1(VALU_DEP_2)
	v_cndmask_b32_e32 v7, 0, v7, vcc_lo
	v_cmp_lt_u32_e32 vcc_lo, 7, v13
	v_add_nc_u32_e32 v2, v2, v7
	s_delay_alu instid0(VALU_DEP_1) | instskip(NEXT) | instid1(VALU_DEP_1)
	v_mov_b32_dpp v7, v2 row_shr:8 row_mask:0xf bank_mask:0xf
	v_cndmask_b32_e32 v7, 0, v7, vcc_lo
	v_cmp_gt_i32_e32 vcc_lo, 0, v15
	s_delay_alu instid0(VALU_DEP_2) | instskip(SKIP_4) | instid1(VALU_DEP_1)
	v_dual_cndmask_b32 v19, v15, v10 :: v_dual_add_nc_u32 v2, v2, v7
	ds_swizzle_b32 v7, v2 offset:swizzle(BROADCAST,32,15)
	v_lshlrev_b32_e32 v19, 2, v19
	s_waitcnt lgkmcnt(0)
	v_and_b32_e32 v7, v14, v7
	v_add_nc_u32_e32 v2, v2, v7
	ds_bpermute_b32 v2, v19, v2
	s_waitcnt lgkmcnt(0)
	v_add_nc_u32_e32 v2, v2, v18
	s_delay_alu instid0(VALU_DEP_1)
	v_cndmask_b32_e64 v2, v2, v6, s3
	ds_store_b32 v0, v2
	; wave barrier
	ds_load_2addr_b32 v[18:19], v0 offset0:1 offset1:2
	ds_load_2addr_b32 v[20:21], v0 offset0:3 offset1:4
	ds_load_2addr_b32 v[22:23], v0 offset0:5 offset1:6
	ds_load_b32 v7, v0 offset:28
	s_waitcnt lgkmcnt(3)
	v_add_nc_u32_e32 v2, v18, v2
	s_delay_alu instid0(VALU_DEP_1) | instskip(SKIP_1) | instid1(VALU_DEP_1)
	v_add_nc_u32_e32 v18, v19, v2
	s_waitcnt lgkmcnt(2)
	v_add_nc_u32_e32 v19, v20, v18
	s_delay_alu instid0(VALU_DEP_1) | instskip(SKIP_1) | instid1(VALU_DEP_1)
	v_add_nc_u32_e32 v20, v21, v19
	;; [unrolled: 4-line block ×3, first 2 shown]
	s_waitcnt lgkmcnt(0)
	v_add_nc_u32_e32 v7, v7, v22
	ds_store_2addr_b32 v0, v2, v18 offset0:1 offset1:2
	ds_store_2addr_b32 v0, v19, v20 offset0:3 offset1:4
	;; [unrolled: 1-line block ×3, first 2 shown]
	ds_store_b32 v0, v7 offset:28
.LBB131_34:                             ;   in Loop: Header=BB131_23 Depth=1
	s_or_b32 exec_lo, exec_lo, s21
	v_mov_b32_e32 v7, 0
	s_waitcnt lgkmcnt(0)
	s_barrier
	buffer_gl0_inv
	s_and_saveexec_b32 s21, s2
	s_cbranch_execz .LBB131_36
; %bb.35:                               ;   in Loop: Header=BB131_23 Depth=1
	ds_load_b32 v7, v11
.LBB131_36:                             ;   in Loop: Header=BB131_23 Depth=1
	s_or_b32 exec_lo, exec_lo, s21
	ds_load_b32 v2, v5 offset:1048
	s_mov_b32 s21, exec_lo
	s_waitcnt lgkmcnt(0)
	s_barrier
	buffer_gl0_inv
	v_cmpx_ne_u32_e32 0, v6
	s_cbranch_execz .LBB131_21
; %bb.37:                               ;   in Loop: Header=BB131_23 Depth=1
	v_dual_mov_b32 v7, v5 :: v_dual_add_nc_u32 v6, v7, v1
	s_delay_alu instid0(VALU_DEP_1)
	v_cmp_gt_u64_e32 vcc_lo, s[6:7], v[6:7]
	s_and_b32 exec_lo, exec_lo, vcc_lo
	s_cbranch_execz .LBB131_21
; %bb.38:                               ;   in Loop: Header=BB131_23 Depth=1
	v_mad_u64_u32 v[18:19], null, v6, s14, 0
	v_mad_u64_u32 v[20:21], null, v6, s12, s[10:11]
	s_delay_alu instid0(VALU_DEP_2) | instskip(NEXT) | instid1(VALU_DEP_1)
	v_mov_b32_e32 v7, v19
	v_mad_u64_u32 v[22:23], null, v6, s15, v[7:8]
	s_delay_alu instid0(VALU_DEP_3) | instskip(NEXT) | instid1(VALU_DEP_2)
	v_mov_b32_e32 v7, v21
	v_mov_b32_e32 v19, v22
	s_delay_alu instid0(VALU_DEP_2) | instskip(NEXT) | instid1(VALU_DEP_2)
	v_mad_u64_u32 v[21:22], null, v6, s13, v[7:8]
	v_lshlrev_b64 v[6:7], 3, v[18:19]
	s_delay_alu instid0(VALU_DEP_1) | instskip(NEXT) | instid1(VALU_DEP_2)
	v_add_co_u32 v6, vcc_lo, s17, v6
	v_add_co_ci_u32_e32 v7, vcc_lo, s20, v7, vcc_lo
	global_store_b8 v[20:21], v16, off
	global_store_b64 v[6:7], v[4:5], off
	s_branch .LBB131_21
	.p2align	6
.LBB131_39:                             ;   in Loop: Header=BB131_40 Depth=1
	s_add_u32 s12, s12, 4
	s_addc_u32 s13, s13, 0
	s_waitcnt lgkmcnt(0)
	s_add_i32 s37, s9, s37
	s_add_u32 s14, s14, 4
	s_addc_u32 s15, s15, 0
	s_add_i32 s8, s8, 1
	s_delay_alu instid0(SALU_CYCLE_1)
	s_cmp_lt_u32 s8, s17
	s_cbranch_scc0 .LBB131_18
.LBB131_40:                             ; =>This Inner Loop Header: Depth=1
	s_load_b32 s9, s[12:13], 0x0
	s_cmp_ge_u32 s8, s34
	s_cbranch_scc1 .LBB131_39
; %bb.41:                               ;   in Loop: Header=BB131_40 Depth=1
	s_load_b32 s10, s[14:15], 0x0
	s_waitcnt lgkmcnt(0)
	s_add_i32 s27, s9, s27
	s_add_i32 s26, s10, s26
	s_branch .LBB131_39
.LBB131_42:
	s_nop 0
	s_sendmsg sendmsg(MSG_DEALLOC_VGPRS)
	s_endpgm
	.section	.rodata,"a",@progbits
	.p2align	6, 0x0
	.amdhsa_kernel _ZN2at6native6mbtopk10gatherTopKIamLi1EEEvNS_4cuda6detail10TensorInfoIKT_T0_EES8_S8_bjS8_NS5_IS6_S8_EES8_NS5_IlS8_EES8_jjPS6_PjSD_j
		.amdhsa_group_segment_fixed_size 1068
		.amdhsa_private_segment_fixed_size 0
		.amdhsa_kernarg_size 1592
		.amdhsa_user_sgpr_count 13
		.amdhsa_user_sgpr_dispatch_ptr 0
		.amdhsa_user_sgpr_queue_ptr 0
		.amdhsa_user_sgpr_kernarg_segment_ptr 1
		.amdhsa_user_sgpr_dispatch_id 0
		.amdhsa_user_sgpr_private_segment_size 0
		.amdhsa_wavefront_size32 1
		.amdhsa_uses_dynamic_stack 0
		.amdhsa_enable_private_segment 0
		.amdhsa_system_sgpr_workgroup_id_x 1
		.amdhsa_system_sgpr_workgroup_id_y 1
		.amdhsa_system_sgpr_workgroup_id_z 1
		.amdhsa_system_sgpr_workgroup_info 0
		.amdhsa_system_vgpr_workitem_id 0
		.amdhsa_next_free_vgpr 26
		.amdhsa_next_free_sgpr 41
		.amdhsa_reserve_vcc 1
		.amdhsa_float_round_mode_32 0
		.amdhsa_float_round_mode_16_64 0
		.amdhsa_float_denorm_mode_32 3
		.amdhsa_float_denorm_mode_16_64 3
		.amdhsa_dx10_clamp 1
		.amdhsa_ieee_mode 1
		.amdhsa_fp16_overflow 0
		.amdhsa_workgroup_processor_mode 1
		.amdhsa_memory_ordered 1
		.amdhsa_forward_progress 0
		.amdhsa_shared_vgpr_count 0
		.amdhsa_exception_fp_ieee_invalid_op 0
		.amdhsa_exception_fp_denorm_src 0
		.amdhsa_exception_fp_ieee_div_zero 0
		.amdhsa_exception_fp_ieee_overflow 0
		.amdhsa_exception_fp_ieee_underflow 0
		.amdhsa_exception_fp_ieee_inexact 0
		.amdhsa_exception_int_div_zero 0
	.end_amdhsa_kernel
	.section	.text._ZN2at6native6mbtopk10gatherTopKIamLi1EEEvNS_4cuda6detail10TensorInfoIKT_T0_EES8_S8_bjS8_NS5_IS6_S8_EES8_NS5_IlS8_EES8_jjPS6_PjSD_j,"axG",@progbits,_ZN2at6native6mbtopk10gatherTopKIamLi1EEEvNS_4cuda6detail10TensorInfoIKT_T0_EES8_S8_bjS8_NS5_IS6_S8_EES8_NS5_IlS8_EES8_jjPS6_PjSD_j,comdat
.Lfunc_end131:
	.size	_ZN2at6native6mbtopk10gatherTopKIamLi1EEEvNS_4cuda6detail10TensorInfoIKT_T0_EES8_S8_bjS8_NS5_IS6_S8_EES8_NS5_IlS8_EES8_jjPS6_PjSD_j, .Lfunc_end131-_ZN2at6native6mbtopk10gatherTopKIamLi1EEEvNS_4cuda6detail10TensorInfoIKT_T0_EES8_S8_bjS8_NS5_IS6_S8_EES8_NS5_IlS8_EES8_jjPS6_PjSD_j
                                        ; -- End function
	.section	.AMDGPU.csdata,"",@progbits
; Kernel info:
; codeLenInByte = 2568
; NumSgprs: 43
; NumVgprs: 26
; ScratchSize: 0
; MemoryBound: 0
; FloatMode: 240
; IeeeMode: 1
; LDSByteSize: 1068 bytes/workgroup (compile time only)
; SGPRBlocks: 5
; VGPRBlocks: 3
; NumSGPRsForWavesPerEU: 43
; NumVGPRsForWavesPerEU: 26
; Occupancy: 16
; WaveLimiterHint : 1
; COMPUTE_PGM_RSRC2:SCRATCH_EN: 0
; COMPUTE_PGM_RSRC2:USER_SGPR: 13
; COMPUTE_PGM_RSRC2:TRAP_HANDLER: 0
; COMPUTE_PGM_RSRC2:TGID_X_EN: 1
; COMPUTE_PGM_RSRC2:TGID_Y_EN: 1
; COMPUTE_PGM_RSRC2:TGID_Z_EN: 1
; COMPUTE_PGM_RSRC2:TIDIG_COMP_CNT: 0
	.section	.text._ZN2at6native6sbtopk10gatherTopKIamLi1ELb0EEEvNS_4cuda6detail10TensorInfoIKT_T0_EES8_S8_bS8_S8_NS5_IS6_S8_EES8_NS5_IlS8_EES8_PS6_,"axG",@progbits,_ZN2at6native6sbtopk10gatherTopKIamLi1ELb0EEEvNS_4cuda6detail10TensorInfoIKT_T0_EES8_S8_bS8_S8_NS5_IS6_S8_EES8_NS5_IlS8_EES8_PS6_,comdat
	.protected	_ZN2at6native6sbtopk10gatherTopKIamLi1ELb0EEEvNS_4cuda6detail10TensorInfoIKT_T0_EES8_S8_bS8_S8_NS5_IS6_S8_EES8_NS5_IlS8_EES8_PS6_ ; -- Begin function _ZN2at6native6sbtopk10gatherTopKIamLi1ELb0EEEvNS_4cuda6detail10TensorInfoIKT_T0_EES8_S8_bS8_S8_NS5_IS6_S8_EES8_NS5_IlS8_EES8_PS6_
	.globl	_ZN2at6native6sbtopk10gatherTopKIamLi1ELb0EEEvNS_4cuda6detail10TensorInfoIKT_T0_EES8_S8_bS8_S8_NS5_IS6_S8_EES8_NS5_IlS8_EES8_PS6_
	.p2align	8
	.type	_ZN2at6native6sbtopk10gatherTopKIamLi1ELb0EEEvNS_4cuda6detail10TensorInfoIKT_T0_EES8_S8_bS8_S8_NS5_IS6_S8_EES8_NS5_IlS8_EES8_PS6_,@function
_ZN2at6native6sbtopk10gatherTopKIamLi1ELb0EEEvNS_4cuda6detail10TensorInfoIKT_T0_EES8_S8_bS8_S8_NS5_IS6_S8_EES8_NS5_IlS8_EES8_PS6_: ; @_ZN2at6native6sbtopk10gatherTopKIamLi1ELb0EEEvNS_4cuda6detail10TensorInfoIKT_T0_EES8_S8_bS8_S8_NS5_IS6_S8_EES8_NS5_IlS8_EES8_PS6_
; %bb.0:
	s_clause 0x1
	s_load_b64 s[10:11], s[0:1], 0x520
	s_load_b128 s[36:39], s[0:1], 0x1b8
	s_add_u32 s8, s0, 0x520
	s_addc_u32 s9, s1, 0
	s_mov_b32 s41, 0
	s_waitcnt lgkmcnt(0)
	s_mul_i32 s2, s11, s15
	s_delay_alu instid0(SALU_CYCLE_1) | instskip(NEXT) | instid1(SALU_CYCLE_1)
	s_add_i32 s2, s2, s14
	s_mul_i32 s2, s2, s10
	s_delay_alu instid0(SALU_CYCLE_1) | instskip(NEXT) | instid1(SALU_CYCLE_1)
	s_add_i32 s40, s2, s13
	v_cmp_ge_u64_e64 s2, s[40:41], s[36:37]
	s_delay_alu instid0(VALU_DEP_1)
	s_and_b32 vcc_lo, exec_lo, s2
	s_cbranch_vccnz .LBB132_535
; %bb.1:
	s_clause 0x6
	s_load_b64 s[42:43], s[0:1], 0x440
	s_load_b64 s[36:37], s[0:1], 0x370
	s_load_b64 s[46:47], s[0:1], 0x298
	s_load_b128 s[28:31], s[0:1], 0x1a0
	s_load_b64 s[44:45], s[0:1], 0x1c8
	s_load_b64 s[2:3], s[0:1], 0xd0
	;; [unrolled: 1-line block ×3, first 2 shown]
	v_cmp_eq_u32_e64 s5, 0, v0
	s_delay_alu instid0(VALU_DEP_1)
	s_and_saveexec_b32 s4, s5
	s_cbranch_execz .LBB132_3
; %bb.2:
	s_waitcnt lgkmcnt(0)
	v_dual_mov_b32 v1, 0 :: v_dual_mov_b32 v4, s29
	s_delay_alu instid0(VALU_DEP_1)
	v_dual_mov_b32 v3, s28 :: v_dual_mov_b32 v2, v1
	ds_store_b32 v1, v1 offset:5144
	ds_store_b128 v1, v[1:4] offset:5120
.LBB132_3:
	s_or_b32 exec_lo, exec_lo, s4
	v_dual_mov_b32 v13, 0 :: v_dual_lshlrev_b32 v14, 2, v0
	v_mad_u64_u32 v[2:3], null, v0, s38, 0
	s_load_b32 s4, s[0:1], 0x1b0
	s_waitcnt lgkmcnt(0)
	s_delay_alu instid0(VALU_DEP_2)
	v_or_b32_e32 v9, 3, v14
	s_barrier
	buffer_gl0_inv
	s_load_b32 s7, s[8:9], 0xc
	v_or_b32_e32 v12, 2, v14
	v_mad_u64_u32 v[16:17], null, s38, v9, 0
	v_mov_b32_e32 v1, v3
	v_mbcnt_lo_u32_b32 v30, -1, 0
	s_delay_alu instid0(VALU_DEP_4) | instskip(SKIP_1) | instid1(VALU_DEP_3)
	v_mad_u64_u32 v[18:19], null, s38, v12, 0
	s_mul_i32 s3, s3, s40
	v_mad_u64_u32 v[3:4], null, v0, s39, v[1:2]
	s_delay_alu instid0(VALU_DEP_3) | instskip(SKIP_3) | instid1(VALU_DEP_4)
	v_lshlrev_b64 v[4:5], v30, -1
	s_mul_hi_u32 s6, s2, s40
	s_mul_i32 s69, s2, s40
	v_mad_u64_u32 v[20:21], null, s38, v14, s[38:39]
	v_dual_mov_b32 v5, v19 :: v_dual_mov_b32 v36, 0
	s_delay_alu instid0(VALU_DEP_3)
	v_not_b32_e32 v29, v4
	v_mov_b32_e32 v4, v17
	s_add_i32 s70, s6, s3
	s_add_u32 s50, s34, s69
	v_cmp_gt_u32_e32 vcc_lo, 32, v0
	s_addc_u32 s51, s35, s70
	v_cmp_gt_i32_e64 s3, 4, v30
	v_lshrrev_b32_e32 v6, 3, v0
	s_bitcmp1_b32 s4, 0
	v_mad_u64_u32 v[7:8], null, s39, v9, v[4:5]
	s_cselect_b32 s4, -1, 0
	s_waitcnt lgkmcnt(0)
	s_and_b32 s33, s7, 0xffff
	s_xor_b32 s71, s4, -1
	s_and_b32 s72, vcc_lo, s3
	v_dual_mov_b32 v6, v21 :: v_dual_and_b32 v31, 0x7c, v6
	s_bfe_u32 s11, s7, 0xb0005
	s_add_u32 s75, s33, -1
	s_addc_u32 s76, 0, -1
	s_add_u32 s77, s75, s28
	s_addc_u32 s27, s76, s29
	s_cmp_lt_u32 s13, s10
	v_mad_u64_u32 v[8:9], null, s39, v12, v[5:6]
	v_mad_u64_u32 v[4:5], null, s39, v14, v[6:7]
	v_cmp_gt_u16_e64 s74, s7, 31
	s_cselect_b32 s7, 12, 18
	v_mov_b32_e32 v1, v13
	s_add_u32 s52, s8, s7
	s_addc_u32 s53, s9, 0
	s_add_i32 s7, s11, -1
	s_delay_alu instid0(VALU_DEP_3)
	v_mov_b32_e32 v32, v4
	s_bfe_u32 s78, s33, 0x30005
	v_add_co_u32 v10, vcc_lo, s50, v2
	s_cmp_gt_u32 s7, 6
	v_cmp_lt_u64_e64 s73, 0xc00, s[28:29]
	v_cmp_gt_u64_e64 s3, s[28:29], v[0:1]
	v_lshlrev_b64 v[21:22], 2, v[2:3]
	v_mov_b32_e32 v23, s30
	v_cmp_eq_u32_e64 s2, 0, v30
	v_add_co_ci_u32_e32 v11, vcc_lo, s51, v3, vcc_lo
	v_dual_mov_b32 v15, v13 :: v_dual_mov_b32 v24, s31
	v_cmp_gt_u32_e64 s6, 2, v0
	s_cselect_b32 s79, -1, 0
	s_and_b32 s80, s11, 0x7f8
	v_dual_mov_b32 v17, v7 :: v_dual_mov_b32 v34, 0
	v_mov_b32_e32 v19, v8
	v_lshl_or_b32 v33, v30, 3, 0xc00
	v_mov_b32_e32 v35, 0
	s_cmp_lg_u32 s78, 0
	s_mul_i32 s7, s39, s33
	s_mul_hi_u32 s8, s38, s33
	s_mov_b32 s49, 0
	s_mov_b32 s82, 6
	s_cselect_b32 s81, -1, 0
	s_lshl_b64 s[54:55], s[38:39], 2
	s_add_i32 s41, s8, s7
	s_mul_i32 s68, s38, s33
	s_mov_b32 s83, 0
	s_mov_b32 s85, 0
                                        ; implicit-def: $sgpr84
                                        ; implicit-def: $sgpr88
                                        ; implicit-def: $sgpr87
                                        ; implicit-def: $sgpr89
                                        ; implicit-def: $sgpr86
                                        ; implicit-def: $sgpr90
                                        ; implicit-def: $sgpr92
                                        ; implicit-def: $sgpr91
                                        ; implicit-def: $sgpr93
                                        ; implicit-def: $sgpr94
	s_branch .LBB132_6
.LBB132_4:                              ;   in Loop: Header=BB132_6 Depth=1
	s_or_b32 exec_lo, exec_lo, s10
	v_dual_mov_b32 v34, v26 :: v_dual_mov_b32 v35, v25
	v_dual_mov_b32 v24, v3 :: v_dual_mov_b32 v23, v2
	v_mov_b32_e32 v36, v27
	s_and_not1_b32 s10, s94, exec_lo
	s_and_b32 s9, s9, exec_lo
	s_and_not1_b32 s93, s93, exec_lo
	s_or_b32 s94, s10, s9
	s_and_not1_b32 s91, s91, exec_lo
	s_and_not1_b32 s92, s92, exec_lo
	;; [unrolled: 1-line block ×3, first 2 shown]
	s_or_not1_b32 s8, s8, exec_lo
.LBB132_5:                              ;   in Loop: Header=BB132_6 Depth=1
	s_or_b32 exec_lo, exec_lo, s7
	s_delay_alu instid0(SALU_CYCLE_1) | instskip(NEXT) | instid1(SALU_CYCLE_1)
	s_and_b32 s7, exec_lo, s8
	s_or_b32 s83, s7, s83
	s_and_not1_b32 s7, s86, exec_lo
	s_and_b32 s8, s94, exec_lo
	s_and_not1_b32 s9, s89, exec_lo
	s_or_b32 s86, s7, s8
	s_and_b32 s7, s93, exec_lo
	s_and_not1_b32 s8, s87, exec_lo
	s_and_b32 s10, s91, exec_lo
	s_or_b32 s89, s9, s7
	s_or_b32 s87, s8, s10
	s_and_not1_b32 s7, s88, exec_lo
	s_and_b32 s8, s92, exec_lo
	s_and_not1_b32 s9, s84, exec_lo
	s_and_b32 s10, s90, exec_lo
	s_or_b32 s88, s7, s8
	s_or_b32 s84, s9, s10
	s_and_not1_b32 exec_lo, exec_lo, s83
	s_cbranch_execz .LBB132_475
.LBB132_6:                              ; =>This Loop Header: Depth=1
                                        ;     Child Loop BB132_11 Depth 2
                                        ;     Child Loop BB132_29 Depth 2
	;; [unrolled: 1-line block ×24, first 2 shown]
	ds_load_b128 v[2:5], v13 offset:5120
	s_waitcnt lgkmcnt(0)
	v_readfirstlane_b32 s57, v3
	v_readfirstlane_b32 s56, v2
	s_delay_alu instid0(VALU_DEP_1)
	s_cmp_lg_u64 s[56:57], 0
	s_cbranch_scc1 .LBB132_36
; %bb.7:                                ;   in Loop: Header=BB132_6 Depth=1
	s_and_b32 vcc_lo, exec_lo, s73
	s_cbranch_vccz .LBB132_19
; %bb.8:                                ;   in Loop: Header=BB132_6 Depth=1
	v_cmp_gt_u64_e32 vcc_lo, 0xc01, v[4:5]
	s_mov_b32 s9, 0
	s_mov_b32 s7, 0
	s_cbranch_vccz .LBB132_20
; %bb.9:                                ;   in Loop: Header=BB132_6 Depth=1
	global_load_u16 v6, v13, s[52:53]
	global_load_u8 v7, v[10:11], off
	s_mov_b32 s11, 0
	s_waitcnt vmcnt(1)
	v_readfirstlane_b32 s7, v6
	v_and_b32_e32 v6, 0xffff, v6
	s_delay_alu instid0(VALU_DEP_2) | instskip(NEXT) | instid1(SALU_CYCLE_1)
	s_and_b32 s7, 0xffff, s7
	v_add_nc_u32_e32 v8, s7, v0
	s_mul_i32 s8, s39, s7
	s_mul_hi_u32 s10, s38, s7
	s_mul_i32 s12, s38, s7
	s_add_i32 s10, s10, s8
	v_mad_u64_u32 v[2:3], null, s38, v8, s[50:51]
	s_delay_alu instid0(VALU_DEP_1) | instskip(NEXT) | instid1(VALU_DEP_1)
	v_mad_u64_u32 v[4:5], null, s39, v8, v[3:4]
	v_mov_b32_e32 v3, v4
	v_dual_mov_b32 v5, v1 :: v_dual_mov_b32 v4, v0
	s_branch .LBB132_11
.LBB132_10:                             ;   in Loop: Header=BB132_11 Depth=2
	s_or_b32 exec_lo, exec_lo, s8
	v_add_co_u32 v2, vcc_lo, v2, s12
	v_add_co_ci_u32_e32 v3, vcc_lo, s10, v3, vcc_lo
	v_mov_b32_e32 v7, v8
	s_and_not1_b32 exec_lo, exec_lo, s11
	s_cbranch_execz .LBB132_21
.LBB132_11:                             ;   Parent Loop BB132_6 Depth=1
                                        ; =>  This Inner Loop Header: Depth=2
	s_delay_alu instid0(VALU_DEP_1) | instskip(NEXT) | instid1(VALU_DEP_2)
	v_add_co_u32 v4, vcc_lo, v4, v6
	v_add_co_ci_u32_e32 v5, vcc_lo, 0, v5, vcc_lo
	s_waitcnt lgkmcnt(0)
	v_dual_mov_b32 v9, 0 :: v_dual_mov_b32 v8, 0
	s_mov_b32 s8, exec_lo
	s_delay_alu instid0(VALU_DEP_2)
	v_cmp_le_u64_e32 vcc_lo, s[28:29], v[4:5]
	v_cmpx_gt_u64_e64 s[28:29], v[4:5]
	s_cbranch_execz .LBB132_13
; %bb.12:                               ;   in Loop: Header=BB132_11 Depth=2
	global_load_u8 v8, v[2:3], off
.LBB132_13:                             ;   in Loop: Header=BB132_11 Depth=2
	s_or_b32 exec_lo, exec_lo, s8
	s_waitcnt vmcnt(0)
	v_bfe_i32 v12, v7, 0, 8
	s_delay_alu instid0(VALU_DEP_1) | instskip(NEXT) | instid1(VALU_DEP_1)
	v_add_nc_u32_e32 v12, 0x80, v12
	v_and_b32_e32 v12, v12, v34
	s_delay_alu instid0(VALU_DEP_1) | instskip(NEXT) | instid1(VALU_DEP_1)
	v_cmp_eq_u32_e64 s7, v12, v35
	s_cmp_lg_u32 s7, 0
	s_cselect_b32 s8, -1, 0
	s_delay_alu instid0(SALU_CYCLE_1) | instskip(NEXT) | instid1(SALU_CYCLE_1)
	s_and_b32 s8, s2, s8
	s_and_saveexec_b32 s13, s8
	s_cbranch_execz .LBB132_17
; %bb.14:                               ;   in Loop: Header=BB132_11 Depth=2
	s_mov_b32 s16, exec_lo
	s_bcnt1_i32_b32 s14, s7
	v_mbcnt_lo_u32_b32 v9, s16, 0
	s_mov_b32 s15, exec_lo
                                        ; implicit-def: $vgpr12
	s_delay_alu instid0(VALU_DEP_1)
	v_cmpx_eq_u32_e32 0, v9
	s_cbranch_execz .LBB132_16
; %bb.15:                               ;   in Loop: Header=BB132_11 Depth=2
	s_bcnt1_i32_b32 s8, s16
	s_delay_alu instid0(SALU_CYCLE_1) | instskip(NEXT) | instid1(SALU_CYCLE_1)
	s_mul_i32 s8, s14, s8
	v_mov_b32_e32 v12, s8
	ds_add_rtn_u32 v12, v13, v12 offset:5144
.LBB132_16:                             ;   in Loop: Header=BB132_11 Depth=2
	s_or_b32 exec_lo, exec_lo, s15
	s_waitcnt lgkmcnt(0)
	v_readfirstlane_b32 s8, v12
	s_delay_alu instid0(VALU_DEP_1)
	v_mad_u32_u24 v9, s14, v9, s8
.LBB132_17:                             ;   in Loop: Header=BB132_11 Depth=2
	s_or_b32 exec_lo, exec_lo, s13
	ds_bpermute_b32 v9, v13, v9
	s_and_b32 s8, exec_lo, vcc_lo
	s_delay_alu instid0(SALU_CYCLE_1)
	s_or_b32 s11, s8, s11
	s_and_saveexec_b32 s8, s7
	s_cbranch_execz .LBB132_10
; %bb.18:                               ;   in Loop: Header=BB132_11 Depth=2
	v_and_b32_e32 v12, s7, v29
	s_waitcnt lgkmcnt(0)
	s_delay_alu instid0(VALU_DEP_1)
	v_bcnt_u32_b32 v9, v12, v9
	ds_store_b8 v9, v7
	s_branch .LBB132_10
.LBB132_19:                             ;   in Loop: Header=BB132_6 Depth=1
	s_mov_b32 s7, 0
                                        ; implicit-def: $sgpr56_sgpr57
	s_cbranch_execnz .LBB132_24
	s_branch .LBB132_34
.LBB132_20:                             ;   in Loop: Header=BB132_6 Depth=1
	s_mov_b64 s[56:57], 0
	s_and_b32 vcc_lo, exec_lo, s9
	s_cbranch_vccnz .LBB132_24
	s_branch .LBB132_34
.LBB132_21:                             ;   in Loop: Header=BB132_6 Depth=1
	s_or_b32 exec_lo, exec_lo, s11
	s_waitcnt lgkmcnt(0)
	s_barrier
	buffer_gl0_inv
	s_and_saveexec_b32 s7, s5
	s_cbranch_execz .LBB132_23
; %bb.22:                               ;   in Loop: Header=BB132_6 Depth=1
	ds_load_b32 v2, v13 offset:5144
	s_waitcnt lgkmcnt(0)
	v_ashrrev_i32_e32 v3, 31, v2
	ds_store_b64 v13, v[2:3] offset:5120
.LBB132_23:                             ;   in Loop: Header=BB132_6 Depth=1
	s_or_b32 exec_lo, exec_lo, s7
	s_waitcnt lgkmcnt(0)
	s_mov_b32 s7, -1
	s_barrier
	s_mov_b64 s[56:57], 0
	s_and_b32 vcc_lo, exec_lo, s9
	s_cbranch_vccz .LBB132_34
.LBB132_24:                             ;   in Loop: Header=BB132_6 Depth=1
	v_mov_b32_e32 v6, 0
	s_and_saveexec_b32 s7, s3
	s_cbranch_execz .LBB132_26
; %bb.25:                               ;   in Loop: Header=BB132_6 Depth=1
	global_load_u8 v6, v[10:11], off
.LBB132_26:                             ;   in Loop: Header=BB132_6 Depth=1
	s_or_b32 exec_lo, exec_lo, s7
	s_and_saveexec_b32 s8, s3
	s_cbranch_execz .LBB132_31
; %bb.27:                               ;   in Loop: Header=BB132_6 Depth=1
	global_load_u16 v8, v13, s[52:53]
	s_mov_b32 s12, 0
	s_waitcnt vmcnt(0)
	v_readfirstlane_b32 s7, v8
	v_and_b32_e32 v8, 0xffff, v8
	s_delay_alu instid0(VALU_DEP_2) | instskip(NEXT) | instid1(SALU_CYCLE_1)
	s_and_b32 s9, 0xffff, s7
	v_add_nc_u32_e32 v7, s9, v0
	s_mul_i32 s7, s39, s9
	s_mul_hi_u32 s10, s38, s9
	s_mul_i32 s11, s38, s9
	s_add_i32 s10, s10, s7
	v_mad_u64_u32 v[2:3], null, s38, v7, s[50:51]
	s_delay_alu instid0(VALU_DEP_1) | instskip(SKIP_1) | instid1(VALU_DEP_2)
	v_mad_u64_u32 v[4:5], null, s39, v7, v[3:4]
	v_mov_b32_e32 v7, v0
	v_mov_b32_e32 v3, v4
	v_dual_mov_b32 v5, v1 :: v_dual_mov_b32 v4, v0
	s_branch .LBB132_29
	.p2align	6
.LBB132_28:                             ;   in Loop: Header=BB132_29 Depth=2
	s_or_b32 exec_lo, exec_lo, s13
	s_delay_alu instid0(SALU_CYCLE_1)
	s_and_b32 s7, exec_lo, vcc_lo
	v_add_co_u32 v2, vcc_lo, v2, s11
	ds_store_b8 v7, v6
	s_waitcnt vmcnt(0)
	v_dual_mov_b32 v6, v9 :: v_dual_add_nc_u32 v7, s9, v7
	v_add_co_ci_u32_e32 v3, vcc_lo, s10, v3, vcc_lo
	s_or_b32 s12, s7, s12
	s_delay_alu instid0(SALU_CYCLE_1)
	s_and_not1_b32 exec_lo, exec_lo, s12
	s_cbranch_execz .LBB132_31
.LBB132_29:                             ;   Parent Loop BB132_6 Depth=1
                                        ; =>  This Inner Loop Header: Depth=2
	s_delay_alu instid0(VALU_DEP_1) | instskip(NEXT) | instid1(VALU_DEP_2)
	v_add_co_u32 v4, vcc_lo, v4, v8
	v_add_co_ci_u32_e32 v5, vcc_lo, 0, v5, vcc_lo
	v_mov_b32_e32 v9, 0
	s_mov_b32 s13, exec_lo
	s_delay_alu instid0(VALU_DEP_2)
	v_cmp_le_u64_e32 vcc_lo, s[28:29], v[4:5]
	v_cmpx_gt_u64_e64 s[28:29], v[4:5]
	s_cbranch_execz .LBB132_28
; %bb.30:                               ;   in Loop: Header=BB132_29 Depth=2
	global_load_u8 v9, v[2:3], off
	s_branch .LBB132_28
.LBB132_31:                             ;   in Loop: Header=BB132_6 Depth=1
	s_or_b32 exec_lo, exec_lo, s8
	s_waitcnt vmcnt(0) lgkmcnt(0)
	s_barrier
	buffer_gl0_inv
	s_and_saveexec_b32 s7, s5
	s_cbranch_execz .LBB132_33
; %bb.32:                               ;   in Loop: Header=BB132_6 Depth=1
	v_dual_mov_b32 v2, s28 :: v_dual_mov_b32 v3, s29
	ds_store_b64 v13, v[2:3] offset:5120
.LBB132_33:                             ;   in Loop: Header=BB132_6 Depth=1
	s_or_b32 exec_lo, exec_lo, s7
	s_mov_b32 s7, -1
	s_waitcnt lgkmcnt(0)
	s_barrier
                                        ; implicit-def: $sgpr56_sgpr57
.LBB132_34:                             ;   in Loop: Header=BB132_6 Depth=1
	s_and_b32 vcc_lo, exec_lo, s7
	s_cbranch_vccz .LBB132_36
; %bb.35:                               ;   in Loop: Header=BB132_6 Depth=1
	buffer_gl0_inv
	ds_load_b64 v[2:3], v13 offset:5120
	s_waitcnt lgkmcnt(0)
	v_readfirstlane_b32 s56, v2
.LBB132_36:                             ;   in Loop: Header=BB132_6 Depth=1
	s_delay_alu instid0(VALU_DEP_1)
	s_cmp_lt_i32 s56, 1
	s_cbranch_scc0 .LBB132_51
; %bb.37:                               ;   in Loop: Header=BB132_6 Depth=1
	global_load_u16 v2, v13, s[52:53]
	s_mov_b32 s8, s49
	s_mov_b32 s9, s29
	s_waitcnt vmcnt(0)
	v_readfirstlane_b32 s7, v2
	s_delay_alu instid0(VALU_DEP_1) | instskip(NEXT) | instid1(SALU_CYCLE_1)
	s_and_b32 s48, s7, 0xffff
	s_lshl_b32 s57, s48, 2
	s_cmp_lg_u64 s[8:9], 0
	s_cbranch_scc0 .LBB132_71
; %bb.38:                               ;   in Loop: Header=BB132_6 Depth=1
	v_cvt_f32_u32_e32 v2, s57
	s_sub_u32 s9, 0, s57
	s_subb_u32 s10, 0, 0
	s_delay_alu instid0(VALU_DEP_1) | instskip(NEXT) | instid1(VALU_DEP_1)
	v_fmac_f32_e64 v2, 0, 0x4f800000
	v_rcp_f32_e32 v2, v2
	s_waitcnt_depctr 0xfff
	v_mul_f32_e32 v2, 0x5f7ffffc, v2
	s_delay_alu instid0(VALU_DEP_1) | instskip(NEXT) | instid1(VALU_DEP_1)
	v_mul_f32_e32 v3, 0x2f800000, v2
	v_trunc_f32_e32 v3, v3
	s_delay_alu instid0(VALU_DEP_1) | instskip(SKIP_1) | instid1(VALU_DEP_2)
	v_fmac_f32_e32 v2, 0xcf800000, v3
	v_cvt_u32_f32_e32 v3, v3
	v_cvt_u32_f32_e32 v2, v2
	s_delay_alu instid0(VALU_DEP_2) | instskip(NEXT) | instid1(VALU_DEP_2)
	v_readfirstlane_b32 s7, v3
	v_readfirstlane_b32 s8, v2
	s_delay_alu instid0(VALU_DEP_2) | instskip(NEXT) | instid1(VALU_DEP_1)
	s_mul_i32 s11, s9, s7
	s_mul_hi_u32 s13, s9, s8
	s_mul_i32 s12, s10, s8
	s_add_i32 s11, s13, s11
	s_mul_i32 s14, s9, s8
	s_add_i32 s11, s11, s12
	s_mul_hi_u32 s13, s8, s14
	s_mul_hi_u32 s15, s7, s14
	s_mul_i32 s12, s7, s14
	s_mul_hi_u32 s14, s8, s11
	s_mul_i32 s8, s8, s11
	s_mul_hi_u32 s16, s7, s11
	s_add_u32 s8, s13, s8
	s_addc_u32 s13, 0, s14
	s_add_u32 s8, s8, s12
	s_mul_i32 s11, s7, s11
	s_addc_u32 s8, s13, s15
	s_addc_u32 s12, s16, 0
	s_add_u32 s8, s8, s11
	s_addc_u32 s11, 0, s12
	v_add_co_u32 v2, s8, v2, s8
	s_delay_alu instid0(VALU_DEP_1) | instskip(SKIP_1) | instid1(VALU_DEP_1)
	s_cmp_lg_u32 s8, 0
	s_addc_u32 s7, s7, s11
	v_readfirstlane_b32 s8, v2
	s_mul_i32 s11, s9, s7
	s_delay_alu instid0(VALU_DEP_1)
	s_mul_hi_u32 s12, s9, s8
	s_mul_i32 s10, s10, s8
	s_add_i32 s11, s12, s11
	s_mul_i32 s9, s9, s8
	s_add_i32 s11, s11, s10
	s_mul_hi_u32 s12, s7, s9
	s_mul_i32 s13, s7, s9
	s_mul_hi_u32 s9, s8, s9
	s_mul_hi_u32 s14, s8, s11
	s_mul_i32 s8, s8, s11
	s_mul_hi_u32 s10, s7, s11
	s_add_u32 s8, s9, s8
	s_addc_u32 s9, 0, s14
	s_add_u32 s8, s8, s13
	s_mul_i32 s11, s7, s11
	s_addc_u32 s8, s9, s12
	s_addc_u32 s9, s10, 0
	s_add_u32 s8, s8, s11
	s_addc_u32 s9, 0, s9
	v_add_co_u32 v2, s8, v2, s8
	s_delay_alu instid0(VALU_DEP_1) | instskip(SKIP_1) | instid1(VALU_DEP_1)
	s_cmp_lg_u32 s8, 0
	s_addc_u32 s7, s7, s9
	v_readfirstlane_b32 s8, v2
	s_mul_i32 s10, s28, s7
	s_mul_hi_u32 s9, s28, s7
	s_mul_hi_u32 s11, s29, s7
	s_mul_i32 s7, s29, s7
	s_mul_hi_u32 s12, s28, s8
	s_mul_hi_u32 s13, s29, s8
	s_mul_i32 s8, s29, s8
	s_add_u32 s10, s12, s10
	s_addc_u32 s9, 0, s9
	s_add_u32 s8, s10, s8
	s_addc_u32 s8, s9, s13
	s_addc_u32 s9, s11, 0
	s_add_u32 s7, s8, s7
	s_addc_u32 s8, 0, s9
	s_mul_hi_u32 s9, s57, s7
	s_mul_i32 s7, s57, s7
	s_mul_i32 s8, s57, s8
	v_sub_co_u32 v2, s7, s28, s7
	s_add_i32 s9, s9, s8
	s_cmp_lg_u32 s7, 0
	s_delay_alu instid0(VALU_DEP_1) | instskip(SKIP_2) | instid1(VALU_DEP_1)
	v_sub_co_u32 v3, s7, v2, s57
	s_subb_u32 s8, s29, s9
	s_cmp_lg_u32 s7, 0
	v_cmp_le_u32_e32 vcc_lo, s57, v3
	v_sub_co_u32 v4, s7, v3, s57
	s_subb_u32 s9, s8, 0
	s_cmp_lg_u32 s7, 0
	v_cndmask_b32_e64 v5, 0, -1, vcc_lo
	s_subb_u32 s7, s9, 0
	s_cmp_eq_u32 s9, 0
	v_mov_b32_e32 v7, s7
	s_cselect_b32 vcc_lo, -1, 0
	s_cmp_eq_u32 s8, 0
	v_cndmask_b32_e32 v5, -1, v5, vcc_lo
	v_cmp_le_u32_e32 vcc_lo, s57, v2
	s_cselect_b32 s7, -1, 0
	v_cndmask_b32_e64 v6, 0, -1, vcc_lo
	s_delay_alu instid0(VALU_DEP_3) | instskip(NEXT) | instid1(VALU_DEP_2)
	v_cmp_ne_u32_e32 vcc_lo, 0, v5
	v_cndmask_b32_e64 v5, -1, v6, s7
	v_cndmask_b32_e32 v6, s9, v7, vcc_lo
	v_cndmask_b32_e32 v4, v3, v4, vcc_lo
	s_delay_alu instid0(VALU_DEP_3) | instskip(NEXT) | instid1(VALU_DEP_3)
	v_cmp_ne_u32_e32 vcc_lo, 0, v5
	v_cndmask_b32_e32 v3, s8, v6, vcc_lo
	s_delay_alu instid0(VALU_DEP_3)
	v_cndmask_b32_e32 v2, v2, v4, vcc_lo
	s_cbranch_execnz .LBB132_40
.LBB132_39:                             ;   in Loop: Header=BB132_6 Depth=1
	v_cvt_f32_u32_e32 v2, s57
	s_sub_i32 s7, 0, s57
	s_delay_alu instid0(VALU_DEP_1) | instskip(SKIP_2) | instid1(VALU_DEP_1)
	v_rcp_iflag_f32_e32 v2, v2
	s_waitcnt_depctr 0xfff
	v_mul_f32_e32 v2, 0x4f7ffffe, v2
	v_cvt_u32_f32_e32 v2, v2
	s_delay_alu instid0(VALU_DEP_1) | instskip(NEXT) | instid1(VALU_DEP_1)
	v_mul_lo_u32 v3, s7, v2
	v_mul_hi_u32 v3, v2, v3
	s_delay_alu instid0(VALU_DEP_1) | instskip(NEXT) | instid1(VALU_DEP_1)
	v_add_nc_u32_e32 v2, v2, v3
	v_mul_hi_u32 v2, s28, v2
	s_delay_alu instid0(VALU_DEP_1) | instskip(NEXT) | instid1(VALU_DEP_1)
	v_mul_lo_u32 v2, v2, s57
	v_sub_nc_u32_e32 v2, s28, v2
	s_delay_alu instid0(VALU_DEP_1) | instskip(SKIP_1) | instid1(VALU_DEP_2)
	v_subrev_nc_u32_e32 v3, s57, v2
	v_cmp_le_u32_e32 vcc_lo, s57, v2
	v_cndmask_b32_e32 v2, v2, v3, vcc_lo
	s_delay_alu instid0(VALU_DEP_1) | instskip(SKIP_1) | instid1(VALU_DEP_2)
	v_subrev_nc_u32_e32 v3, s57, v2
	v_cmp_le_u32_e32 vcc_lo, s57, v2
	v_cndmask_b32_e32 v12, v2, v3, vcc_lo
	s_delay_alu instid0(VALU_DEP_1)
	v_dual_mov_b32 v2, v12 :: v_dual_mov_b32 v3, v13
.LBB132_40:                             ;   in Loop: Header=BB132_6 Depth=1
	s_delay_alu instid0(VALU_DEP_1) | instskip(NEXT) | instid1(VALU_DEP_2)
	v_sub_co_u32 v25, vcc_lo, s28, v2
	v_sub_co_ci_u32_e32 v26, vcc_lo, s29, v3, vcc_lo
	v_mov_b32_e32 v2, 0
	v_mov_b32_e32 v3, 0
	s_mov_b64 s[58:59], 0
	s_mov_b32 s95, exec_lo
	s_delay_alu instid0(VALU_DEP_1)
	v_dual_mov_b32 v5, v3 :: v_dual_mov_b32 v4, v2
	v_dual_mov_b32 v7, v3 :: v_dual_mov_b32 v6, v2
	;; [unrolled: 1-line block ×3, first 2 shown]
	v_cmpx_gt_u64_e64 v[25:26], v[14:15]
	s_cbranch_execz .LBB132_44
; %bb.41:                               ;   in Loop: Header=BB132_6 Depth=1
	v_dual_mov_b32 v28, v15 :: v_dual_mov_b32 v27, v14
	s_mul_i32 s7, s55, s48
	s_mul_hi_u32 s8, s54, s48
	s_and_b32 s96, s82, 0xfe
	s_add_i32 s97, s8, s7
	s_mul_i32 s98, s54, s48
	s_mov_b32 s99, 0
	s_mov_b64 s[60:61], s[50:51]
	s_mov_b64 s[62:63], 0
	;; [unrolled: 1-line block ×4, first 2 shown]
.LBB132_42:                             ;   Parent Loop BB132_6 Depth=1
                                        ; =>  This Inner Loop Header: Depth=2
	v_add_co_u32 v2, vcc_lo, s60, v21
	v_add_co_ci_u32_e32 v3, vcc_lo, s61, v22, vcc_lo
	v_add_co_u32 v4, vcc_lo, s60, v20
	v_add_co_ci_u32_e32 v5, vcc_lo, s61, v32, vcc_lo
	;; [unrolled: 2-line block ×4, first 2 shown]
	s_clause 0x3
	global_load_i8 v2, v[2:3], off
	global_load_i8 v3, v[4:5], off
	;; [unrolled: 1-line block ×4, first 2 shown]
	v_add_co_u32 v27, vcc_lo, v27, s57
	v_add_co_ci_u32_e32 v28, vcc_lo, 0, v28, vcc_lo
	s_delay_alu instid0(VALU_DEP_1)
	v_cmp_ge_u64_e32 vcc_lo, v[27:28], v[25:26]
	s_waitcnt vmcnt(3)
	v_add_nc_u32_e32 v2, 0x80, v2
	s_waitcnt vmcnt(2)
	v_add_nc_u32_e32 v3, 0x80, v3
	;; [unrolled: 2-line block ×4, first 2 shown]
	v_and_b32_e32 v6, v2, v34
	v_bfe_u32 v2, v2, s96, 2
	v_and_b32_e32 v7, v3, v34
	v_bfe_u32 v3, v3, s96, 2
	;; [unrolled: 2-line block ×3, first 2 shown]
	v_cmp_eq_u32_e64 s7, v6, v35
	v_cmp_eq_u32_e64 s11, 0, v2
	v_and_b32_e32 v9, v5, v34
	v_bfe_u32 v5, v5, s96, 2
	v_cmp_eq_u32_e64 s8, v7, v35
	v_cmp_eq_u32_e64 s12, 0, v3
	;; [unrolled: 1-line block ×4, first 2 shown]
	s_and_b32 s11, s7, s11
	v_cmp_eq_u32_e64 s10, v9, v35
	v_cmp_eq_u32_e64 s14, 0, v5
	;; [unrolled: 1-line block ×5, first 2 shown]
	v_cndmask_b32_e64 v2, 0, 1, s11
	s_and_b32 s11, s8, s12
	v_cmp_eq_u32_e64 s16, 1, v3
	v_cmp_eq_u32_e64 s20, 2, v3
	v_cmp_eq_u32_e64 s24, 3, v3
	v_cndmask_b32_e64 v3, 0, 1, s11
	s_and_b32 s11, s9, s13
	v_cmp_eq_u32_e64 s17, 1, v4
	v_cmp_eq_u32_e64 s21, 2, v4
	v_cmp_eq_u32_e64 s25, 3, v4
	;; [unrolled: 5-line block ×3, first 2 shown]
	v_cndmask_b32_e64 v5, 0, 1, s11
	v_cmp_ne_u32_e64 s11, 0, v2
	v_cmp_ne_u32_e64 s12, 0, v3
	;; [unrolled: 1-line block ×3, first 2 shown]
	s_delay_alu instid0(VALU_DEP_4) | instskip(NEXT) | instid1(VALU_DEP_4)
	v_cmp_ne_u32_e64 s14, 0, v5
	s_bcnt1_i32_b32 s11, s11
	s_delay_alu instid0(VALU_DEP_3) | instskip(NEXT) | instid1(VALU_DEP_2)
	s_bcnt1_i32_b32 s12, s12
	s_bcnt1_i32_b32 s13, s13
	s_add_i32 s11, s12, s11
	s_bcnt1_i32_b32 s14, s14
	s_add_i32 s11, s11, s13
	s_delay_alu instid0(SALU_CYCLE_1) | instskip(NEXT) | instid1(SALU_CYCLE_1)
	s_add_i32 s11, s11, s14
	s_add_u32 s66, s66, s11
	s_addc_u32 s67, s67, 0
	s_and_b32 s11, s7, s15
	v_mov_b32_e32 v2, s66
	v_cndmask_b32_e64 v4, 0, 1, s11
	s_and_b32 s11, s8, s16
	v_mov_b32_e32 v3, s67
	v_cndmask_b32_e64 v5, 0, 1, s11
	s_and_b32 s11, s9, s17
	s_delay_alu instid0(SALU_CYCLE_1) | instskip(SKIP_1) | instid1(VALU_DEP_2)
	v_cndmask_b32_e64 v6, 0, 1, s11
	s_and_b32 s11, s10, s18
	v_cmp_ne_u32_e64 s12, 0, v5
	v_cndmask_b32_e64 v7, 0, 1, s11
	v_cmp_ne_u32_e64 s11, 0, v4
	v_cmp_ne_u32_e64 s13, 0, v6
	s_delay_alu instid0(VALU_DEP_4) | instskip(NEXT) | instid1(VALU_DEP_3)
	s_bcnt1_i32_b32 s12, s12
	v_cmp_ne_u32_e64 s14, 0, v7
	s_delay_alu instid0(VALU_DEP_3) | instskip(NEXT) | instid1(VALU_DEP_2)
	s_bcnt1_i32_b32 s11, s11
	s_bcnt1_i32_b32 s13, s13
	s_add_i32 s11, s12, s11
	s_delay_alu instid0(VALU_DEP_1) | instskip(SKIP_1) | instid1(SALU_CYCLE_1)
	s_bcnt1_i32_b32 s14, s14
	s_add_i32 s11, s11, s13
	s_add_i32 s11, s11, s14
	s_delay_alu instid0(SALU_CYCLE_1) | instskip(SKIP_2) | instid1(SALU_CYCLE_1)
	s_add_u32 s64, s64, s11
	s_addc_u32 s65, s65, 0
	s_and_b32 s11, s7, s19
	v_cndmask_b32_e64 v4, 0, 1, s11
	s_and_b32 s11, s8, s20
	s_delay_alu instid0(SALU_CYCLE_1) | instskip(SKIP_1) | instid1(SALU_CYCLE_1)
	v_cndmask_b32_e64 v5, 0, 1, s11
	s_and_b32 s11, s9, s21
	v_cndmask_b32_e64 v6, 0, 1, s11
	s_and_b32 s11, s10, s22
	s_delay_alu instid0(VALU_DEP_2) | instskip(SKIP_3) | instid1(VALU_DEP_4)
	v_cmp_ne_u32_e64 s12, 0, v5
	v_cndmask_b32_e64 v7, 0, 1, s11
	v_cmp_ne_u32_e64 s11, 0, v4
	v_cmp_ne_u32_e64 s13, 0, v6
	s_bcnt1_i32_b32 s12, s12
	s_delay_alu instid0(VALU_DEP_3) | instskip(NEXT) | instid1(VALU_DEP_3)
	v_cmp_ne_u32_e64 s14, 0, v7
	s_bcnt1_i32_b32 s11, s11
	s_delay_alu instid0(VALU_DEP_2) | instskip(SKIP_1) | instid1(VALU_DEP_1)
	s_bcnt1_i32_b32 s13, s13
	s_add_i32 s11, s12, s11
	s_bcnt1_i32_b32 s14, s14
	s_add_i32 s11, s11, s13
	s_delay_alu instid0(SALU_CYCLE_1) | instskip(NEXT) | instid1(SALU_CYCLE_1)
	s_add_i32 s11, s11, s14
	s_add_u32 s62, s62, s11
	s_addc_u32 s63, s63, 0
	s_and_b32 s7, s7, s23
	s_delay_alu instid0(SALU_CYCLE_1) | instskip(SKIP_1) | instid1(SALU_CYCLE_1)
	v_cndmask_b32_e64 v4, 0, 1, s7
	s_and_b32 s7, s8, s24
	v_cndmask_b32_e64 v5, 0, 1, s7
	s_and_b32 s7, s9, s25
	s_delay_alu instid0(SALU_CYCLE_1) | instskip(SKIP_1) | instid1(VALU_DEP_2)
	v_cndmask_b32_e64 v6, 0, 1, s7
	s_and_b32 s7, s10, s26
	v_cmp_ne_u32_e64 s8, 0, v5
	v_cndmask_b32_e64 v7, 0, 1, s7
	v_cmp_ne_u32_e64 s7, 0, v4
	v_cmp_ne_u32_e64 s9, 0, v6
	v_mov_b32_e32 v4, s64
	s_bcnt1_i32_b32 s8, s8
	v_cmp_ne_u32_e64 s10, 0, v7
	v_mov_b32_e32 v6, s62
	s_bcnt1_i32_b32 s7, s7
	s_bcnt1_i32_b32 s9, s9
	s_add_i32 s7, s8, s7
	s_bcnt1_i32_b32 s8, s10
	s_add_i32 s7, s7, s9
	v_mov_b32_e32 v5, s65
	s_add_i32 s7, s7, s8
	v_mov_b32_e32 v7, s63
	s_add_u32 s58, s58, s7
	s_addc_u32 s59, s59, 0
	s_delay_alu instid0(SALU_CYCLE_1) | instskip(SKIP_3) | instid1(SALU_CYCLE_1)
	v_dual_mov_b32 v8, s58 :: v_dual_mov_b32 v9, s59
	s_add_u32 s60, s60, s98
	s_addc_u32 s61, s61, s97
	s_or_b32 s99, vcc_lo, s99
	s_and_not1_b32 exec_lo, exec_lo, s99
	s_cbranch_execnz .LBB132_42
; %bb.43:                               ;   in Loop: Header=BB132_6 Depth=1
	s_or_b32 exec_lo, exec_lo, s99
.LBB132_44:                             ;   in Loop: Header=BB132_6 Depth=1
	s_delay_alu instid0(SALU_CYCLE_1) | instskip(SKIP_3) | instid1(VALU_DEP_2)
	s_or_b32 exec_lo, exec_lo, s95
	v_add_co_u32 v25, vcc_lo, v25, v0
	v_add_co_ci_u32_e32 v26, vcc_lo, 0, v26, vcc_lo
	v_mov_b32_e32 v27, 0
	v_cmp_gt_u64_e32 vcc_lo, s[28:29], v[25:26]
	s_and_saveexec_b32 s7, vcc_lo
	s_cbranch_execz .LBB132_46
; %bb.45:                               ;   in Loop: Header=BB132_6 Depth=1
	v_mad_u64_u32 v[27:28], null, v25, s38, s[50:51]
	v_mul_lo_u32 v12, v25, s39
	v_mul_lo_u32 v37, v26, s38
	s_delay_alu instid0(VALU_DEP_1)
	v_add3_u32 v28, v37, v28, v12
	global_load_u8 v27, v[27:28], off
.LBB132_46:                             ;   in Loop: Header=BB132_6 Depth=1
	s_or_b32 exec_lo, exec_lo, s7
	s_and_saveexec_b32 s11, vcc_lo
	s_cbranch_execz .LBB132_53
; %bb.47:                               ;   in Loop: Header=BB132_6 Depth=1
	s_and_b32 s13, s82, 0xfe
	s_mov_b32 s12, 0
	s_branch .LBB132_49
.LBB132_48:                             ;   in Loop: Header=BB132_49 Depth=2
	s_or_b32 exec_lo, exec_lo, s8
	s_waitcnt vmcnt(0)
	v_bfe_i32 v27, v27, 0, 8
	s_and_b32 s9, exec_lo, vcc_lo
	s_delay_alu instid0(SALU_CYCLE_1) | instskip(NEXT) | instid1(VALU_DEP_1)
	s_or_b32 s12, s9, s12
	v_add_nc_u32_e32 v27, 0x80, v27
	s_delay_alu instid0(VALU_DEP_1) | instskip(SKIP_1) | instid1(VALU_DEP_2)
	v_and_b32_e32 v28, v27, v34
	v_bfe_u32 v27, v27, s13, 2
	v_cmp_eq_u32_e64 s7, v28, v35
	s_delay_alu instid0(VALU_DEP_2) | instskip(SKIP_2) | instid1(VALU_DEP_3)
	v_cmp_eq_u32_e64 s8, 0, v27
	v_cmp_eq_u32_e32 vcc_lo, 1, v27
	v_cmp_eq_u32_e64 s9, 2, v27
	s_and_b32 s8, s7, s8
	s_delay_alu instid0(SALU_CYCLE_1) | instskip(SKIP_4) | instid1(SALU_CYCLE_1)
	v_cndmask_b32_e64 v28, 0, 1, s8
	s_and_b32 s8, s7, vcc_lo
	v_cmp_eq_u32_e32 vcc_lo, 3, v27
	v_cndmask_b32_e64 v37, 0, 1, s8
	s_and_b32 s8, s7, s9
	v_cndmask_b32_e64 v38, 0, 1, s8
	v_cmp_ne_u32_e64 s8, 0, v28
	s_delay_alu instid0(VALU_DEP_3) | instskip(SKIP_1) | instid1(SALU_CYCLE_1)
	v_cmp_ne_u32_e64 s9, 0, v37
	s_and_b32 s7, s7, vcc_lo
	v_cndmask_b32_e64 v27, 0, 1, s7
	s_delay_alu instid0(VALU_DEP_3)
	s_bcnt1_i32_b32 s7, s8
	v_cmp_ne_u32_e64 s10, 0, v38
	v_add_co_u32 v2, vcc_lo, v2, s7
	s_bcnt1_i32_b32 s8, s9
	v_add_co_ci_u32_e32 v3, vcc_lo, 0, v3, vcc_lo
	v_add_co_u32 v4, vcc_lo, v4, s8
	v_add_co_ci_u32_e32 v5, vcc_lo, 0, v5, vcc_lo
	s_bcnt1_i32_b32 s9, s10
	v_cmp_ne_u32_e32 vcc_lo, 0, v27
	v_mov_b32_e32 v27, v12
	v_add_co_u32 v6, s7, v6, s9
	s_delay_alu instid0(VALU_DEP_1) | instskip(SKIP_1) | instid1(SALU_CYCLE_1)
	v_add_co_ci_u32_e64 v7, s7, 0, v7, s7
	s_bcnt1_i32_b32 s7, vcc_lo
	v_add_co_u32 v8, vcc_lo, v8, s7
	v_add_co_ci_u32_e32 v9, vcc_lo, 0, v9, vcc_lo
	s_and_not1_b32 exec_lo, exec_lo, s12
	s_cbranch_execz .LBB132_52
.LBB132_49:                             ;   Parent Loop BB132_6 Depth=1
                                        ; =>  This Inner Loop Header: Depth=2
	v_add_co_u32 v25, vcc_lo, v25, s48
	v_add_co_ci_u32_e32 v26, vcc_lo, 0, v26, vcc_lo
	v_mov_b32_e32 v12, 0
	s_mov_b32 s8, exec_lo
	s_delay_alu instid0(VALU_DEP_2)
	v_cmp_le_u64_e32 vcc_lo, s[28:29], v[25:26]
	v_cmpx_gt_u64_e64 s[28:29], v[25:26]
	s_cbranch_execz .LBB132_48
; %bb.50:                               ;   in Loop: Header=BB132_49 Depth=2
	v_mad_u64_u32 v[37:38], null, v25, s38, s[50:51]
	v_mul_lo_u32 v12, v25, s39
	v_mul_lo_u32 v28, v26, s38
	s_delay_alu instid0(VALU_DEP_1)
	v_add3_u32 v38, v28, v38, v12
	global_load_u8 v12, v[37:38], off
	s_branch .LBB132_48
.LBB132_51:                             ;   in Loop: Header=BB132_6 Depth=1
                                        ; implicit-def: $vgpr8_vgpr9
                                        ; implicit-def: $vgpr4_vgpr5
	s_cbranch_execnz .LBB132_54
	s_branch .LBB132_63
.LBB132_52:                             ;   in Loop: Header=BB132_6 Depth=1
	s_or_b32 exec_lo, exec_lo, s12
.LBB132_53:                             ;   in Loop: Header=BB132_6 Depth=1
	s_delay_alu instid0(SALU_CYCLE_1)
	s_or_b32 exec_lo, exec_lo, s11
	s_branch .LBB132_63
.LBB132_54:                             ;   in Loop: Header=BB132_6 Depth=1
	global_load_u16 v12, v13, s[52:53]
	s_mov_b64 s[58:59], 0
	s_mov_b32 s66, exec_lo
	s_waitcnt vmcnt(0)
	v_readfirstlane_b32 s7, v12
	s_delay_alu instid0(VALU_DEP_1) | instskip(NEXT) | instid1(SALU_CYCLE_1)
	s_and_b32 s7, 0xffff, s7
	s_lshl_b32 s57, s7, 2
	s_delay_alu instid0(SALU_CYCLE_1) | instskip(SKIP_1) | instid1(VALU_DEP_1)
	v_cvt_f32_u32_e32 v2, s57
	s_sub_i32 s8, 0, s57
	v_rcp_iflag_f32_e32 v2, v2
	s_waitcnt_depctr 0xfff
	v_mul_f32_e32 v2, 0x4f7ffffe, v2
	s_delay_alu instid0(VALU_DEP_1) | instskip(NEXT) | instid1(VALU_DEP_1)
	v_cvt_u32_f32_e32 v2, v2
	v_readfirstlane_b32 s7, v2
	v_mov_b32_e32 v2, 0
	v_mov_b32_e32 v3, 0
	s_delay_alu instid0(VALU_DEP_3) | instskip(NEXT) | instid1(VALU_DEP_1)
	s_mul_i32 s8, s8, s7
	v_dual_mov_b32 v5, v3 :: v_dual_mov_b32 v4, v2
	s_mul_hi_u32 s8, s7, s8
	v_dual_mov_b32 v7, v3 :: v_dual_mov_b32 v6, v2
	s_add_i32 s7, s7, s8
	v_dual_mov_b32 v9, v3 :: v_dual_mov_b32 v8, v2
	s_mul_hi_u32 s7, s56, s7
	s_delay_alu instid0(SALU_CYCLE_1) | instskip(NEXT) | instid1(SALU_CYCLE_1)
	s_mul_i32 s7, s7, s57
	s_sub_i32 s7, s56, s7
	s_delay_alu instid0(SALU_CYCLE_1) | instskip(SKIP_2) | instid1(SALU_CYCLE_1)
	s_sub_i32 s8, s7, s57
	s_cmp_ge_u32 s7, s57
	s_cselect_b32 s7, s8, s7
	s_sub_i32 s8, s7, s57
	s_cmp_ge_u32 s7, s57
	s_cselect_b32 s7, s8, s7
	s_delay_alu instid0(SALU_CYCLE_1) | instskip(NEXT) | instid1(SALU_CYCLE_1)
	s_sub_i32 s48, s56, s7
	v_cmpx_gt_u32_e64 s48, v14
	s_cbranch_execz .LBB132_58
; %bb.55:                               ;   in Loop: Header=BB132_6 Depth=1
	v_dual_mov_b32 v27, v14 :: v_dual_mov_b32 v26, v15
	v_mov_b32_e32 v25, v14
	s_and_b32 s95, s82, 0xfe
	s_mov_b32 s67, 0
	s_mov_b64 s[60:61], 0
	s_mov_b64 s[62:63], 0
	;; [unrolled: 1-line block ×3, first 2 shown]
.LBB132_56:                             ;   Parent Loop BB132_6 Depth=1
                                        ; =>  This Inner Loop Header: Depth=2
	ds_load_b32 v2, v27
	v_add_co_u32 v25, vcc_lo, v25, s57
	v_add_co_ci_u32_e32 v26, vcc_lo, 0, v26, vcc_lo
	s_delay_alu instid0(VALU_DEP_1)
	v_cmp_le_u64_e32 vcc_lo, s[48:49], v[25:26]
	s_waitcnt lgkmcnt(0)
	v_bfe_i32 v3, v2, 0, 8
	v_bfe_i32 v4, v2, 8, 8
	;; [unrolled: 1-line block ×3, first 2 shown]
	v_ashrrev_i32_e32 v2, 24, v2
	s_delay_alu instid0(VALU_DEP_4) | instskip(NEXT) | instid1(VALU_DEP_4)
	v_add_nc_u32_e32 v3, 0x80, v3
	v_add_nc_u32_e32 v4, 0x80, v4
	s_delay_alu instid0(VALU_DEP_4) | instskip(NEXT) | instid1(VALU_DEP_4)
	v_add_nc_u32_e32 v5, 0x80, v5
	v_add_nc_u32_e32 v2, 0x80, v2
	s_delay_alu instid0(VALU_DEP_4)
	v_and_b32_e32 v6, v3, v34
	v_bfe_u32 v3, v3, s95, 2
	v_and_b32_e32 v7, v4, v34
	v_bfe_u32 v4, v4, s95, 2
	;; [unrolled: 2-line block ×3, first 2 shown]
	v_cmp_eq_u32_e64 s7, v6, v35
	v_cmp_eq_u32_e64 s11, 0, v3
	v_and_b32_e32 v9, v2, v34
	v_bfe_u32 v2, v2, s95, 2
	v_cmp_eq_u32_e64 s8, v7, v35
	v_cmp_eq_u32_e64 s12, 0, v4
	;; [unrolled: 1-line block ×4, first 2 shown]
	s_and_b32 s11, s7, s11
	v_cmp_eq_u32_e64 s10, v9, v35
	v_cmp_eq_u32_e64 s14, 0, v2
	;; [unrolled: 1-line block ×5, first 2 shown]
	v_cndmask_b32_e64 v2, 0, 1, s11
	s_and_b32 s11, s8, s12
	v_cmp_eq_u32_e64 s15, 1, v3
	v_cmp_eq_u32_e64 s19, 2, v3
	v_cmp_eq_u32_e64 s23, 3, v3
	v_cndmask_b32_e64 v3, 0, 1, s11
	s_and_b32 s11, s9, s13
	v_cmp_eq_u32_e64 s16, 1, v4
	v_cmp_eq_u32_e64 s20, 2, v4
	v_cmp_eq_u32_e64 s24, 3, v4
	v_cndmask_b32_e64 v4, 0, 1, s11
	s_and_b32 s11, s10, s14
	v_cmp_eq_u32_e64 s17, 1, v5
	v_cmp_eq_u32_e64 s21, 2, v5
	v_cmp_eq_u32_e64 s25, 3, v5
	v_cndmask_b32_e64 v5, 0, 1, s11
	v_cmp_ne_u32_e64 s11, 0, v2
	v_cmp_ne_u32_e64 s12, 0, v3
	;; [unrolled: 1-line block ×3, first 2 shown]
	s_delay_alu instid0(VALU_DEP_4) | instskip(NEXT) | instid1(VALU_DEP_4)
	v_cmp_ne_u32_e64 s14, 0, v5
	s_bcnt1_i32_b32 s11, s11
	s_delay_alu instid0(VALU_DEP_3) | instskip(NEXT) | instid1(VALU_DEP_2)
	s_bcnt1_i32_b32 s12, s12
	s_bcnt1_i32_b32 s13, s13
	s_add_i32 s11, s12, s11
	s_bcnt1_i32_b32 s14, s14
	s_add_i32 s11, s11, s13
	s_delay_alu instid0(SALU_CYCLE_1) | instskip(NEXT) | instid1(SALU_CYCLE_1)
	s_add_i32 s11, s11, s14
	s_add_u32 s64, s64, s11
	s_addc_u32 s65, s65, 0
	s_and_b32 s11, s7, s15
	v_add_nc_u32_e32 v27, s57, v27
	v_cndmask_b32_e64 v2, 0, 1, s11
	s_and_b32 s11, s8, s16
	s_delay_alu instid0(SALU_CYCLE_1) | instskip(SKIP_1) | instid1(SALU_CYCLE_1)
	v_cndmask_b32_e64 v3, 0, 1, s11
	s_and_b32 s11, s9, s17
	v_cndmask_b32_e64 v4, 0, 1, s11
	s_and_b32 s11, s10, s18
	s_delay_alu instid0(VALU_DEP_2) | instskip(SKIP_3) | instid1(VALU_DEP_4)
	v_cmp_ne_u32_e64 s12, 0, v3
	v_cndmask_b32_e64 v5, 0, 1, s11
	v_cmp_ne_u32_e64 s11, 0, v2
	v_cmp_ne_u32_e64 s13, 0, v4
	s_bcnt1_i32_b32 s12, s12
	s_delay_alu instid0(VALU_DEP_3) | instskip(NEXT) | instid1(VALU_DEP_3)
	v_cmp_ne_u32_e64 s14, 0, v5
	s_bcnt1_i32_b32 s11, s11
	s_delay_alu instid0(VALU_DEP_2) | instskip(SKIP_1) | instid1(VALU_DEP_1)
	s_bcnt1_i32_b32 s13, s13
	s_add_i32 s11, s12, s11
	s_bcnt1_i32_b32 s14, s14
	s_add_i32 s11, s11, s13
	s_delay_alu instid0(SALU_CYCLE_1) | instskip(NEXT) | instid1(SALU_CYCLE_1)
	s_add_i32 s11, s11, s14
	s_add_u32 s62, s62, s11
	s_addc_u32 s63, s63, 0
	s_and_b32 s11, s7, s19
	s_delay_alu instid0(SALU_CYCLE_1) | instskip(SKIP_1) | instid1(SALU_CYCLE_1)
	v_cndmask_b32_e64 v2, 0, 1, s11
	s_and_b32 s11, s8, s20
	v_cndmask_b32_e64 v3, 0, 1, s11
	s_and_b32 s11, s9, s21
	s_delay_alu instid0(SALU_CYCLE_1) | instskip(SKIP_1) | instid1(VALU_DEP_2)
	v_cndmask_b32_e64 v4, 0, 1, s11
	s_and_b32 s11, s10, s22
	v_cmp_ne_u32_e64 s12, 0, v3
	v_cndmask_b32_e64 v5, 0, 1, s11
	v_cmp_ne_u32_e64 s11, 0, v2
	v_cmp_ne_u32_e64 s13, 0, v4
	s_delay_alu instid0(VALU_DEP_4) | instskip(NEXT) | instid1(VALU_DEP_3)
	s_bcnt1_i32_b32 s12, s12
	v_cmp_ne_u32_e64 s14, 0, v5
	s_delay_alu instid0(VALU_DEP_3) | instskip(NEXT) | instid1(VALU_DEP_2)
	s_bcnt1_i32_b32 s11, s11
	s_bcnt1_i32_b32 s13, s13
	s_add_i32 s11, s12, s11
	s_delay_alu instid0(VALU_DEP_1) | instskip(SKIP_1) | instid1(SALU_CYCLE_1)
	s_bcnt1_i32_b32 s14, s14
	s_add_i32 s11, s11, s13
	s_add_i32 s11, s11, s14
	s_delay_alu instid0(SALU_CYCLE_1)
	s_add_u32 s60, s60, s11
	s_addc_u32 s61, s61, 0
	s_and_b32 s7, s7, s23
	v_mov_b32_e32 v6, s60
	v_cndmask_b32_e64 v2, 0, 1, s7
	s_and_b32 s7, s8, s24
	v_mov_b32_e32 v7, s61
	v_cndmask_b32_e64 v3, 0, 1, s7
	s_and_b32 s7, s9, s25
	s_delay_alu instid0(SALU_CYCLE_1) | instskip(SKIP_1) | instid1(VALU_DEP_2)
	v_cndmask_b32_e64 v4, 0, 1, s7
	s_and_b32 s7, s10, s26
	v_cmp_ne_u32_e64 s8, 0, v3
	v_cndmask_b32_e64 v5, 0, 1, s7
	v_cmp_ne_u32_e64 s7, 0, v2
	v_mov_b32_e32 v2, s64
	v_cmp_ne_u32_e64 s9, 0, v4
	s_bcnt1_i32_b32 s8, s8
	v_cmp_ne_u32_e64 s10, 0, v5
	s_bcnt1_i32_b32 s7, s7
	v_mov_b32_e32 v4, s62
	s_bcnt1_i32_b32 s9, s9
	s_add_i32 s7, s8, s7
	s_bcnt1_i32_b32 s8, s10
	s_add_i32 s7, s7, s9
	v_mov_b32_e32 v3, s65
	s_add_i32 s7, s7, s8
	v_mov_b32_e32 v5, s63
	s_add_u32 s58, s58, s7
	s_addc_u32 s59, s59, 0
	s_delay_alu instid0(SALU_CYCLE_1) | instskip(SKIP_1) | instid1(SALU_CYCLE_1)
	v_dual_mov_b32 v8, s58 :: v_dual_mov_b32 v9, s59
	s_or_b32 s67, vcc_lo, s67
	s_and_not1_b32 exec_lo, exec_lo, s67
	s_cbranch_execnz .LBB132_56
; %bb.57:                               ;   in Loop: Header=BB132_6 Depth=1
	s_or_b32 exec_lo, exec_lo, s67
.LBB132_58:                             ;   in Loop: Header=BB132_6 Depth=1
	s_delay_alu instid0(SALU_CYCLE_1) | instskip(SKIP_3) | instid1(VALU_DEP_1)
	s_or_b32 exec_lo, exec_lo, s66
	v_and_b32_e32 v27, 0xffff, v12
	v_add_nc_u32_e32 v12, s48, v0
	s_mov_b32 s14, exec_lo
	v_cmpx_gt_u32_e64 s56, v12
	s_cbranch_execz .LBB132_62
; %bb.59:                               ;   in Loop: Header=BB132_6 Depth=1
	v_dual_mov_b32 v26, v13 :: v_dual_mov_b32 v25, v12
	s_mov_b32 s13, 0
	s_and_b32 s12, s56, 0x7fffffff
	s_and_b32 s16, s82, 0xfe
	s_mov_b32 s15, s13
.LBB132_60:                             ;   Parent Loop BB132_6 Depth=1
                                        ; =>  This Inner Loop Header: Depth=2
	ds_load_i8 v28, v12
	v_add_co_u32 v25, vcc_lo, v25, v27
	v_add_co_ci_u32_e32 v26, vcc_lo, 0, v26, vcc_lo
	v_add_nc_u32_e32 v12, v12, v27
	s_delay_alu instid0(VALU_DEP_2) | instskip(SKIP_2) | instid1(VALU_DEP_1)
	v_cmp_le_u64_e32 vcc_lo, s[12:13], v[25:26]
	s_waitcnt lgkmcnt(0)
	v_add_nc_u32_e32 v28, 0x80, v28
	v_and_b32_e32 v37, v28, v34
	v_bfe_u32 v28, v28, s16, 2
	s_delay_alu instid0(VALU_DEP_2) | instskip(NEXT) | instid1(VALU_DEP_2)
	v_cmp_eq_u32_e64 s7, v37, v35
	v_cmp_eq_u32_e64 s8, 0, v28
	;; [unrolled: 1-line block ×5, first 2 shown]
	s_delay_alu instid0(VALU_DEP_4) | instskip(NEXT) | instid1(SALU_CYCLE_1)
	s_and_b32 s8, s7, s8
	v_cndmask_b32_e64 v28, 0, 1, s8
	s_and_b32 s8, s7, s9
	s_delay_alu instid0(SALU_CYCLE_1)
	v_cndmask_b32_e64 v37, 0, 1, s8
	s_and_b32 s8, s7, s10
	s_and_b32 s7, s7, s11
	v_cndmask_b32_e64 v38, 0, 1, s8
	v_cndmask_b32_e64 v39, 0, 1, s7
	v_cmp_ne_u32_e64 s7, 0, v28
	v_cmp_ne_u32_e64 s8, 0, v37
	s_delay_alu instid0(VALU_DEP_4) | instskip(NEXT) | instid1(VALU_DEP_4)
	v_cmp_ne_u32_e64 s9, 0, v38
	v_cmp_ne_u32_e64 s10, 0, v39
	s_delay_alu instid0(VALU_DEP_4) | instskip(NEXT) | instid1(VALU_DEP_3)
	s_bcnt1_i32_b32 s7, s7
	s_bcnt1_i32_b32 s8, s8
	v_add_co_u32 v2, s7, v2, s7
	s_delay_alu instid0(VALU_DEP_1)
	v_add_co_ci_u32_e64 v3, s7, 0, v3, s7
	v_add_co_u32 v4, s7, v4, s8
	s_bcnt1_i32_b32 s9, s9
	v_add_co_ci_u32_e64 v5, s7, 0, v5, s7
	v_add_co_u32 v6, s7, v6, s9
	s_bcnt1_i32_b32 s10, s10
	v_add_co_ci_u32_e64 v7, s7, 0, v7, s7
	v_add_co_u32 v8, s7, v8, s10
	s_delay_alu instid0(VALU_DEP_1) | instskip(SKIP_1) | instid1(SALU_CYCLE_1)
	v_add_co_ci_u32_e64 v9, s7, 0, v9, s7
	s_or_b32 s15, vcc_lo, s15
	s_and_not1_b32 exec_lo, exec_lo, s15
	s_cbranch_execnz .LBB132_60
; %bb.61:                               ;   in Loop: Header=BB132_6 Depth=1
	s_or_b32 exec_lo, exec_lo, s15
.LBB132_62:                             ;   in Loop: Header=BB132_6 Depth=1
	s_delay_alu instid0(SALU_CYCLE_1)
	s_or_b32 exec_lo, exec_lo, s14
.LBB132_63:                             ;   in Loop: Header=BB132_6 Depth=1
	s_lshl_b32 s7, s85, 7
	s_and_saveexec_b32 s8, s2
	s_cbranch_execz .LBB132_65
; %bb.64:                               ;   in Loop: Header=BB132_6 Depth=1
	v_or_b32_e32 v12, s7, v31
	s_delay_alu instid0(VALU_DEP_1)
	v_lshlrev_b32_e32 v12, 3, v12
	ds_store_b128 v12, v[2:5] offset:3072
	ds_store_b128 v12, v[6:9] offset:3088
.LBB132_65:                             ;   in Loop: Header=BB132_6 Depth=1
	s_or_b32 exec_lo, exec_lo, s8
	s_waitcnt vmcnt(0) lgkmcnt(0)
	s_barrier
	buffer_gl0_inv
	s_and_saveexec_b32 s8, s72
	s_cbranch_execz .LBB132_76
; %bb.66:                               ;   in Loop: Header=BB132_6 Depth=1
	v_mov_b32_e32 v2, 0
	v_mov_b32_e32 v3, 0
	s_and_not1_b32 vcc_lo, exec_lo, s74
	s_cbranch_vccnz .LBB132_75
; %bb.67:                               ;   in Loop: Header=BB132_6 Depth=1
	v_mov_b32_e32 v2, 0
	v_mov_b32_e32 v3, 0
	s_and_not1_b32 vcc_lo, exec_lo, s79
	s_cbranch_vccnz .LBB132_72
; %bb.68:                               ;   in Loop: Header=BB132_6 Depth=1
	v_lshl_add_u32 v4, s85, 10, v33
	s_mov_b32 s9, 0
	s_set_inst_prefetch_distance 0x1
	.p2align	6
.LBB132_69:                             ;   Parent Loop BB132_6 Depth=1
                                        ; =>  This Inner Loop Header: Depth=2
	ds_load_2addr_b64 v[5:8], v4 offset1:4
	ds_load_2addr_b64 v[25:28], v4 offset0:8 offset1:12
	ds_load_2addr_b64 v[37:40], v4 offset0:16 offset1:20
	s_add_i32 s9, s9, 8
	s_delay_alu instid0(SALU_CYCLE_1) | instskip(SKIP_3) | instid1(VALU_DEP_2)
	s_cmp_eq_u32 s80, s9
	s_waitcnt lgkmcnt(2)
	v_add_co_u32 v2, vcc_lo, v5, v2
	v_add_co_ci_u32_e32 v3, vcc_lo, v6, v3, vcc_lo
	v_add_co_u32 v2, vcc_lo, v7, v2
	s_delay_alu instid0(VALU_DEP_2)
	v_add_co_ci_u32_e32 v3, vcc_lo, v8, v3, vcc_lo
	ds_load_2addr_b64 v[5:8], v4 offset0:24 offset1:28
	s_waitcnt lgkmcnt(2)
	v_add_co_u32 v2, vcc_lo, v25, v2
	v_add_co_ci_u32_e32 v3, vcc_lo, v26, v3, vcc_lo
	v_add_nc_u32_e32 v4, 0x100, v4
	s_delay_alu instid0(VALU_DEP_3) | instskip(NEXT) | instid1(VALU_DEP_3)
	v_add_co_u32 v2, vcc_lo, v27, v2
	v_add_co_ci_u32_e32 v3, vcc_lo, v28, v3, vcc_lo
	s_waitcnt lgkmcnt(1)
	s_delay_alu instid0(VALU_DEP_2) | instskip(NEXT) | instid1(VALU_DEP_2)
	v_add_co_u32 v2, vcc_lo, v37, v2
	v_add_co_ci_u32_e32 v3, vcc_lo, v38, v3, vcc_lo
	s_delay_alu instid0(VALU_DEP_2) | instskip(NEXT) | instid1(VALU_DEP_2)
	v_add_co_u32 v2, vcc_lo, v39, v2
	v_add_co_ci_u32_e32 v3, vcc_lo, v40, v3, vcc_lo
	s_waitcnt lgkmcnt(0)
	s_delay_alu instid0(VALU_DEP_2) | instskip(NEXT) | instid1(VALU_DEP_2)
	v_add_co_u32 v2, vcc_lo, v5, v2
	v_add_co_ci_u32_e32 v3, vcc_lo, v6, v3, vcc_lo
	s_delay_alu instid0(VALU_DEP_2) | instskip(NEXT) | instid1(VALU_DEP_2)
	v_add_co_u32 v2, vcc_lo, v7, v2
	v_add_co_ci_u32_e32 v3, vcc_lo, v8, v3, vcc_lo
	s_cbranch_scc0 .LBB132_69
; %bb.70:                               ;   in Loop: Header=BB132_6 Depth=1
	s_set_inst_prefetch_distance 0x2
	s_mov_b32 s9, s80
	s_and_not1_b32 vcc_lo, exec_lo, s81
	s_cbranch_vccz .LBB132_73
	s_branch .LBB132_75
.LBB132_71:                             ;   in Loop: Header=BB132_6 Depth=1
                                        ; implicit-def: $vgpr2_vgpr3
	s_branch .LBB132_39
.LBB132_72:                             ;   in Loop: Header=BB132_6 Depth=1
	s_mov_b32 s9, 0
	s_and_not1_b32 vcc_lo, exec_lo, s81
	s_cbranch_vccnz .LBB132_75
.LBB132_73:                             ;   in Loop: Header=BB132_6 Depth=1
	s_lshl_b32 s10, s85, 10
	s_lshl_b32 s9, s9, 5
	s_delay_alu instid0(SALU_CYCLE_1)
	v_add3_u32 v4, s10, s9, v33
	s_mov_b32 s9, s78
.LBB132_74:                             ;   Parent Loop BB132_6 Depth=1
                                        ; =>  This Inner Loop Header: Depth=2
	ds_load_b64 v[5:6], v4
	v_add_nc_u32_e32 v4, 32, v4
	s_add_i32 s9, s9, -1
	s_delay_alu instid0(SALU_CYCLE_1)
	s_cmp_lg_u32 s9, 0
	s_waitcnt lgkmcnt(0)
	v_add_co_u32 v2, vcc_lo, v5, v2
	v_add_co_ci_u32_e32 v3, vcc_lo, v6, v3, vcc_lo
	s_cbranch_scc1 .LBB132_74
.LBB132_75:                             ;   in Loop: Header=BB132_6 Depth=1
	v_add_lshl_u32 v4, s7, v30, 3
	ds_store_b64 v4, v[2:3] offset:3072
.LBB132_76:                             ;   in Loop: Header=BB132_6 Depth=1
	s_or_b32 exec_lo, exec_lo, s8
	s_lshl_b32 s7, s7, 3
	s_waitcnt lgkmcnt(0)
	v_mov_b32_e32 v6, s7
	s_barrier
	buffer_gl0_inv
	s_and_b32 s22, s82, 0xfe
	v_cmp_eq_u64_e64 s7, 1, v[23:24]
	ds_load_b128 v[2:5], v6 offset:3072
	ds_load_b128 v[6:9], v6 offset:3088
	s_lshl_b32 s20, 3, s22
	s_and_not1_b32 vcc_lo, exec_lo, s71
	s_not_b32 s21, s20
	s_waitcnt lgkmcnt(1)
	v_readfirstlane_b32 s11, v3
	v_readfirstlane_b32 s10, v2
	;; [unrolled: 1-line block ×4, first 2 shown]
	s_waitcnt lgkmcnt(0)
	v_readfirstlane_b32 s15, v7
	v_readfirstlane_b32 s14, v6
	v_readfirstlane_b32 s17, v9
	v_readfirstlane_b32 s16, v8
	s_cbranch_vccnz .LBB132_92
; %bb.77:                               ;   in Loop: Header=BB132_6 Depth=1
	s_cmp_eq_u64 s[10:11], 1
	v_dual_mov_b32 v25, v35 :: v_dual_mov_b32 v26, v34
	v_mov_b32_e32 v27, v36
	s_cselect_b32 s8, -1, 0
                                        ; implicit-def: $sgpr23
                                        ; implicit-def: $sgpr56
                                        ; implicit-def: $sgpr48
	s_delay_alu instid0(SALU_CYCLE_1)
	s_and_b32 s59, s8, s7
	s_mov_b32 s8, -1
	s_and_saveexec_b32 s24, s59
	s_cbranch_execz .LBB132_111
; %bb.78:                               ;   in Loop: Header=BB132_6 Depth=1
	ds_load_b64 v[2:3], v13 offset:5120
	s_waitcnt lgkmcnt(0)
	s_barrier
	buffer_gl0_inv
	v_readfirstlane_b32 s18, v2
	v_readfirstlane_b32 s19, v3
	s_and_saveexec_b32 s8, s6
	s_cbranch_execz .LBB132_80
; %bb.79:                               ;   in Loop: Header=BB132_6 Depth=1
	ds_store_b8 v0, v13 offset:3072
.LBB132_80:                             ;   in Loop: Header=BB132_6 Depth=1
	s_or_b32 exec_lo, exec_lo, s8
	v_and_b32_e32 v25, s21, v35
	v_or_b32_e32 v26, s20, v34
	s_cmp_eq_u64 s[18:19], 0
	s_waitcnt lgkmcnt(0)
	s_barrier
	buffer_gl0_inv
	s_cbranch_scc1 .LBB132_94
; %bb.81:                               ;   in Loop: Header=BB132_6 Depth=1
	s_add_u32 s23, s75, s18
	s_addc_u32 s9, s76, s19
	s_mov_b32 s8, s49
	s_delay_alu instid0(SALU_CYCLE_1)
	s_cmp_lg_u64 s[8:9], 0
	s_cbranch_scc0 .LBB132_138
; %bb.82:                               ;   in Loop: Header=BB132_6 Depth=1
	v_cvt_f32_u32_e32 v2, s33
	s_sub_u32 s26, 0, s33
	s_subb_u32 s48, 0, 0
	s_delay_alu instid0(VALU_DEP_1) | instskip(NEXT) | instid1(VALU_DEP_1)
	v_fmac_f32_e64 v2, 0, 0x4f800000
	v_rcp_f32_e32 v2, v2
	s_waitcnt_depctr 0xfff
	v_mul_f32_e32 v2, 0x5f7ffffc, v2
	s_delay_alu instid0(VALU_DEP_1) | instskip(NEXT) | instid1(VALU_DEP_1)
	v_mul_f32_e32 v3, 0x2f800000, v2
	v_trunc_f32_e32 v3, v3
	s_delay_alu instid0(VALU_DEP_1) | instskip(SKIP_1) | instid1(VALU_DEP_2)
	v_fmac_f32_e32 v2, 0xcf800000, v3
	v_cvt_u32_f32_e32 v3, v3
	v_cvt_u32_f32_e32 v2, v2
	s_delay_alu instid0(VALU_DEP_2) | instskip(NEXT) | instid1(VALU_DEP_2)
	v_readfirstlane_b32 s8, v3
	v_readfirstlane_b32 s25, v2
	s_delay_alu instid0(VALU_DEP_2) | instskip(NEXT) | instid1(VALU_DEP_1)
	s_mul_i32 s56, s26, s8
	s_mul_hi_u32 s58, s26, s25
	s_mul_i32 s57, s48, s25
	s_add_i32 s56, s58, s56
	s_mul_i32 s60, s26, s25
	s_add_i32 s56, s56, s57
	s_mul_hi_u32 s58, s25, s60
	s_mul_hi_u32 s61, s8, s60
	s_mul_i32 s57, s8, s60
	s_mul_hi_u32 s60, s25, s56
	s_mul_i32 s25, s25, s56
	s_mul_hi_u32 s62, s8, s56
	s_add_u32 s25, s58, s25
	s_addc_u32 s58, 0, s60
	s_add_u32 s25, s25, s57
	s_mul_i32 s56, s8, s56
	s_addc_u32 s25, s58, s61
	s_addc_u32 s57, s62, 0
	s_add_u32 s25, s25, s56
	s_addc_u32 s56, 0, s57
	v_add_co_u32 v2, s25, v2, s25
	s_delay_alu instid0(VALU_DEP_1) | instskip(SKIP_1) | instid1(VALU_DEP_1)
	s_cmp_lg_u32 s25, 0
	s_addc_u32 s8, s8, s56
	v_readfirstlane_b32 s25, v2
	s_mul_i32 s56, s26, s8
	s_delay_alu instid0(VALU_DEP_1)
	s_mul_hi_u32 s57, s26, s25
	s_mul_i32 s48, s48, s25
	s_add_i32 s56, s57, s56
	s_mul_i32 s26, s26, s25
	s_add_i32 s56, s56, s48
	s_mul_hi_u32 s57, s8, s26
	s_mul_i32 s58, s8, s26
	s_mul_hi_u32 s26, s25, s26
	s_mul_hi_u32 s60, s25, s56
	s_mul_i32 s25, s25, s56
	s_mul_hi_u32 s48, s8, s56
	s_add_u32 s25, s26, s25
	s_addc_u32 s26, 0, s60
	s_add_u32 s25, s25, s58
	s_mul_i32 s56, s8, s56
	s_addc_u32 s25, s26, s57
	s_addc_u32 s26, s48, 0
	s_add_u32 s25, s25, s56
	s_addc_u32 s26, 0, s26
	v_add_co_u32 v2, s25, v2, s25
	s_delay_alu instid0(VALU_DEP_1) | instskip(SKIP_1) | instid1(VALU_DEP_1)
	s_cmp_lg_u32 s25, 0
	s_addc_u32 s8, s8, s26
	v_readfirstlane_b32 s25, v2
	s_mul_i32 s48, s23, s8
	s_mul_hi_u32 s26, s23, s8
	s_mul_hi_u32 s56, s9, s8
	s_mul_i32 s8, s9, s8
	s_mul_hi_u32 s57, s23, s25
	s_mul_hi_u32 s58, s9, s25
	s_mul_i32 s25, s9, s25
	s_add_u32 s48, s57, s48
	s_addc_u32 s26, 0, s26
	s_add_u32 s25, s48, s25
	s_addc_u32 s25, s26, s58
	s_addc_u32 s26, s56, 0
	s_add_u32 s8, s25, s8
	s_addc_u32 s25, 0, s26
	s_mul_hi_u32 s26, s33, s8
	s_mul_i32 s8, s33, s8
	s_mul_i32 s25, s33, s25
	v_sub_co_u32 v2, s8, s23, s8
	s_add_i32 s26, s26, s25
	s_cmp_lg_u32 s8, 0
	s_delay_alu instid0(VALU_DEP_1) | instskip(SKIP_2) | instid1(VALU_DEP_1)
	v_sub_co_u32 v3, s8, v2, s33
	s_subb_u32 s25, s9, s26
	s_cmp_lg_u32 s8, 0
	v_cmp_le_u32_e32 vcc_lo, s33, v3
	v_sub_co_u32 v4, s8, v3, s33
	s_subb_u32 s26, s25, 0
	s_cmp_lg_u32 s8, 0
	v_cndmask_b32_e64 v5, 0, -1, vcc_lo
	s_subb_u32 s8, s26, 0
	s_cmp_eq_u32 s26, 0
	v_mov_b32_e32 v7, s8
	s_cselect_b32 vcc_lo, -1, 0
	s_cmp_eq_u32 s25, 0
	v_cndmask_b32_e32 v5, -1, v5, vcc_lo
	v_cmp_le_u32_e32 vcc_lo, s33, v2
	s_cselect_b32 s8, -1, 0
	v_cndmask_b32_e64 v6, 0, -1, vcc_lo
	s_delay_alu instid0(VALU_DEP_3) | instskip(NEXT) | instid1(VALU_DEP_2)
	v_cmp_ne_u32_e32 vcc_lo, 0, v5
	v_cndmask_b32_e64 v5, -1, v6, s8
	v_cndmask_b32_e32 v6, s26, v7, vcc_lo
	v_cndmask_b32_e32 v4, v3, v4, vcc_lo
	s_delay_alu instid0(VALU_DEP_3) | instskip(NEXT) | instid1(VALU_DEP_3)
	v_cmp_ne_u32_e32 vcc_lo, 0, v5
	v_cndmask_b32_e32 v3, s25, v6, vcc_lo
	s_delay_alu instid0(VALU_DEP_3)
	v_cndmask_b32_e32 v2, v2, v4, vcc_lo
	s_cbranch_execnz .LBB132_84
.LBB132_83:                             ;   in Loop: Header=BB132_6 Depth=1
	v_cvt_f32_u32_e32 v2, s33
	s_sub_i32 s8, 0, s33
	s_delay_alu instid0(VALU_DEP_1) | instskip(SKIP_2) | instid1(VALU_DEP_1)
	v_rcp_iflag_f32_e32 v2, v2
	s_waitcnt_depctr 0xfff
	v_mul_f32_e32 v2, 0x4f7ffffe, v2
	v_cvt_u32_f32_e32 v2, v2
	s_delay_alu instid0(VALU_DEP_1) | instskip(NEXT) | instid1(VALU_DEP_1)
	v_mul_lo_u32 v3, s8, v2
	v_mul_hi_u32 v3, v2, v3
	s_delay_alu instid0(VALU_DEP_1) | instskip(NEXT) | instid1(VALU_DEP_1)
	v_add_nc_u32_e32 v2, v2, v3
	v_mul_hi_u32 v2, s23, v2
	s_delay_alu instid0(VALU_DEP_1) | instskip(NEXT) | instid1(VALU_DEP_1)
	v_mul_lo_u32 v2, v2, s33
	v_sub_nc_u32_e32 v2, s23, v2
	s_delay_alu instid0(VALU_DEP_1) | instskip(SKIP_1) | instid1(VALU_DEP_2)
	v_subrev_nc_u32_e32 v3, s33, v2
	v_cmp_le_u32_e32 vcc_lo, s33, v2
	v_cndmask_b32_e32 v2, v2, v3, vcc_lo
	s_delay_alu instid0(VALU_DEP_1) | instskip(SKIP_1) | instid1(VALU_DEP_2)
	v_subrev_nc_u32_e32 v3, s33, v2
	v_cmp_le_u32_e32 vcc_lo, s33, v2
	v_cndmask_b32_e32 v12, v2, v3, vcc_lo
	s_delay_alu instid0(VALU_DEP_1)
	v_dual_mov_b32 v2, v12 :: v_dual_mov_b32 v3, v13
.LBB132_84:                             ;   in Loop: Header=BB132_6 Depth=1
	s_delay_alu instid0(VALU_DEP_1) | instskip(NEXT) | instid1(VALU_DEP_2)
	v_sub_co_u32 v2, vcc_lo, s23, v2
	v_sub_co_ci_u32_e32 v3, vcc_lo, s9, v3, vcc_lo
	s_mov_b32 s8, 0
	s_mov_b32 s9, exec_lo
                                        ; implicit-def: $vgpr27
	s_delay_alu instid0(VALU_DEP_1)
	v_cmpx_gt_u64_e64 v[2:3], v[0:1]
	s_cbranch_execz .LBB132_96
; %bb.85:                               ;   in Loop: Header=BB132_6 Depth=1
	v_dual_mov_b32 v6, v0 :: v_dual_mov_b32 v5, v1
	v_mov_b32_e32 v4, v0
	s_mov_b32 s23, 0
                                        ; implicit-def: $sgpr25
	s_set_inst_prefetch_distance 0x1
	s_branch .LBB132_87
	.p2align	6
.LBB132_86:                             ;   in Loop: Header=BB132_87 Depth=2
	s_or_b32 exec_lo, exec_lo, s8
	s_waitcnt lgkmcnt(0)
	s_barrier
	buffer_gl0_inv
	ds_load_u16 v7, v13 offset:3072
	v_add_co_u32 v4, vcc_lo, v4, s33
	v_add_co_ci_u32_e32 v5, vcc_lo, 0, v5, vcc_lo
	v_add_nc_u32_e32 v6, s33, v6
	s_waitcnt lgkmcnt(0)
	s_barrier
	s_delay_alu instid0(VALU_DEP_2) | instskip(SKIP_2) | instid1(VALU_DEP_1)
	v_cmp_ge_u64_e32 vcc_lo, v[4:5], v[2:3]
	buffer_gl0_inv
	v_and_b32_e32 v8, 0xff, v7
	v_cmp_ne_u16_e64 s8, 0, v8
	s_delay_alu instid0(VALU_DEP_1) | instskip(NEXT) | instid1(SALU_CYCLE_1)
	s_or_b32 s26, vcc_lo, s8
	s_and_b32 s26, exec_lo, s26
	s_delay_alu instid0(SALU_CYCLE_1) | instskip(SKIP_2) | instid1(SALU_CYCLE_1)
	s_or_b32 s23, s26, s23
	s_and_not1_b32 s25, s25, exec_lo
	s_and_b32 s8, s8, exec_lo
	s_or_b32 s25, s25, s8
	s_and_not1_b32 exec_lo, exec_lo, s23
	s_cbranch_execz .LBB132_95
.LBB132_87:                             ;   Parent Loop BB132_6 Depth=1
                                        ; =>  This Inner Loop Header: Depth=2
	s_delay_alu instid0(VALU_DEP_1)
	v_cmp_gt_u64_e32 vcc_lo, s[18:19], v[4:5]
	v_mov_b32_e32 v7, 0
	s_and_saveexec_b32 s8, vcc_lo
	s_cbranch_execz .LBB132_89
; %bb.88:                               ;   in Loop: Header=BB132_87 Depth=2
	ds_load_u8 v7, v6
.LBB132_89:                             ;   in Loop: Header=BB132_87 Depth=2
	s_or_b32 exec_lo, exec_lo, s8
	s_and_saveexec_b32 s8, vcc_lo
	s_cbranch_execz .LBB132_86
; %bb.90:                               ;   in Loop: Header=BB132_87 Depth=2
	s_waitcnt lgkmcnt(0)
	v_bfe_i32 v8, v7, 0, 8
	s_delay_alu instid0(VALU_DEP_1) | instskip(NEXT) | instid1(VALU_DEP_1)
	v_add_nc_u32_e32 v8, 0x80, v8
	v_and_b32_e32 v8, v8, v26
	s_delay_alu instid0(VALU_DEP_1)
	v_cmp_eq_u32_e32 vcc_lo, v8, v25
	s_and_b32 exec_lo, exec_lo, vcc_lo
	s_cbranch_execz .LBB132_86
; %bb.91:                               ;   in Loop: Header=BB132_87 Depth=2
	v_lshlrev_b16 v7, 8, v7
	s_delay_alu instid0(VALU_DEP_1)
	v_or_b32_e32 v7, 1, v7
	ds_store_b16 v13, v7 offset:3072
	s_branch .LBB132_86
.LBB132_92:                             ;   in Loop: Header=BB132_6 Depth=1
	s_mov_b32 s25, 0
	s_mov_b32 s24, 0
                                        ; implicit-def: $sgpr48
                                        ; implicit-def: $sgpr56
                                        ; implicit-def: $sgpr23
                                        ; implicit-def: $vgpr6
                                        ; implicit-def: $vgpr2_vgpr3
                                        ; implicit-def: $vgpr25
                                        ; implicit-def: $vgpr26
                                        ; implicit-def: $vgpr27
	s_cbranch_execnz .LBB132_275
.LBB132_93:                             ;   in Loop: Header=BB132_6 Depth=1
	s_mov_b32 s18, s23
	s_mov_b32 s19, s23
	s_and_saveexec_b32 s7, s25
	s_cbranch_execnz .LBB132_471
	s_branch .LBB132_472
.LBB132_94:                             ;   in Loop: Header=BB132_6 Depth=1
	s_mov_b32 s23, -1
	s_mov_b32 s8, 0
                                        ; implicit-def: $sgpr48
                                        ; implicit-def: $vgpr27
	s_mov_b32 s56, s23
	s_cbranch_execnz .LBB132_97
	s_branch .LBB132_110
.LBB132_95:                             ;   in Loop: Header=BB132_6 Depth=1
	s_set_inst_prefetch_distance 0x2
	s_or_b32 exec_lo, exec_lo, s23
	v_lshrrev_b16 v27, 8, v7
	s_and_b32 s8, s25, exec_lo
.LBB132_96:                             ;   in Loop: Header=BB132_6 Depth=1
	s_or_b32 exec_lo, exec_lo, s9
	s_mov_b32 s48, -1
	s_mov_b32 s23, 0
	s_delay_alu instid0(SALU_CYCLE_1)
	s_mov_b32 s56, s23
	s_branch .LBB132_110
.LBB132_97:                             ;   in Loop: Header=BB132_6 Depth=1
	s_mov_b32 s26, s49
	s_delay_alu instid0(SALU_CYCLE_1)
	s_cmp_lg_u64 s[26:27], 0
	s_cbranch_scc0 .LBB132_139
; %bb.98:                               ;   in Loop: Header=BB132_6 Depth=1
	v_cvt_f32_u32_e32 v2, s33
	s_sub_u32 s18, 0, s33
	s_subb_u32 s19, 0, 0
	s_delay_alu instid0(VALU_DEP_1) | instskip(NEXT) | instid1(VALU_DEP_1)
	v_fmac_f32_e64 v2, 0, 0x4f800000
	v_rcp_f32_e32 v2, v2
	s_waitcnt_depctr 0xfff
	v_mul_f32_e32 v2, 0x5f7ffffc, v2
	s_delay_alu instid0(VALU_DEP_1) | instskip(NEXT) | instid1(VALU_DEP_1)
	v_mul_f32_e32 v3, 0x2f800000, v2
	v_trunc_f32_e32 v3, v3
	s_delay_alu instid0(VALU_DEP_1) | instskip(SKIP_1) | instid1(VALU_DEP_2)
	v_fmac_f32_e32 v2, 0xcf800000, v3
	v_cvt_u32_f32_e32 v3, v3
	v_cvt_u32_f32_e32 v2, v2
	s_delay_alu instid0(VALU_DEP_2) | instskip(NEXT) | instid1(VALU_DEP_2)
	v_readfirstlane_b32 s8, v3
	v_readfirstlane_b32 s9, v2
	s_delay_alu instid0(VALU_DEP_2) | instskip(NEXT) | instid1(VALU_DEP_1)
	s_mul_i32 s23, s18, s8
	s_mul_hi_u32 s26, s18, s9
	s_mul_i32 s25, s19, s9
	s_add_i32 s23, s26, s23
	s_mul_i32 s48, s18, s9
	s_add_i32 s23, s23, s25
	s_mul_hi_u32 s26, s9, s48
	s_mul_hi_u32 s56, s8, s48
	s_mul_i32 s25, s8, s48
	s_mul_hi_u32 s48, s9, s23
	s_mul_i32 s9, s9, s23
	s_mul_hi_u32 s57, s8, s23
	s_add_u32 s9, s26, s9
	s_addc_u32 s26, 0, s48
	s_add_u32 s9, s9, s25
	s_mul_i32 s23, s8, s23
	s_addc_u32 s9, s26, s56
	s_addc_u32 s25, s57, 0
	s_add_u32 s9, s9, s23
	s_addc_u32 s23, 0, s25
	v_add_co_u32 v2, s9, v2, s9
	s_delay_alu instid0(VALU_DEP_1) | instskip(SKIP_1) | instid1(VALU_DEP_1)
	s_cmp_lg_u32 s9, 0
	s_addc_u32 s8, s8, s23
	v_readfirstlane_b32 s9, v2
	s_mul_i32 s23, s18, s8
	s_delay_alu instid0(VALU_DEP_1)
	s_mul_hi_u32 s25, s18, s9
	s_mul_i32 s19, s19, s9
	s_add_i32 s23, s25, s23
	s_mul_i32 s18, s18, s9
	s_add_i32 s23, s23, s19
	s_mul_hi_u32 s25, s8, s18
	s_mul_i32 s26, s8, s18
	s_mul_hi_u32 s18, s9, s18
	s_mul_hi_u32 s48, s9, s23
	s_mul_i32 s9, s9, s23
	s_mul_hi_u32 s19, s8, s23
	s_add_u32 s9, s18, s9
	s_addc_u32 s18, 0, s48
	s_add_u32 s9, s9, s26
	s_mul_i32 s23, s8, s23
	s_addc_u32 s9, s18, s25
	s_addc_u32 s18, s19, 0
	s_add_u32 s9, s9, s23
	s_addc_u32 s18, 0, s18
	v_add_co_u32 v2, s9, v2, s9
	s_delay_alu instid0(VALU_DEP_1) | instskip(SKIP_1) | instid1(VALU_DEP_1)
	s_cmp_lg_u32 s9, 0
	s_addc_u32 s8, s8, s18
	v_readfirstlane_b32 s9, v2
	s_mul_i32 s19, s77, s8
	s_mul_hi_u32 s18, s77, s8
	s_mul_hi_u32 s23, s27, s8
	s_mul_i32 s8, s27, s8
	s_mul_hi_u32 s25, s77, s9
	s_mul_hi_u32 s26, s27, s9
	s_mul_i32 s9, s27, s9
	s_add_u32 s19, s25, s19
	s_addc_u32 s18, 0, s18
	s_add_u32 s9, s19, s9
	s_addc_u32 s9, s18, s26
	s_addc_u32 s18, s23, 0
	s_add_u32 s8, s9, s8
	s_addc_u32 s9, 0, s18
	s_mul_hi_u32 s18, s33, s8
	s_mul_i32 s8, s33, s8
	s_mul_i32 s9, s33, s9
	v_sub_co_u32 v2, s8, s77, s8
	s_add_i32 s18, s18, s9
	s_cmp_lg_u32 s8, 0
	s_delay_alu instid0(VALU_DEP_1) | instskip(SKIP_2) | instid1(VALU_DEP_1)
	v_sub_co_u32 v3, s8, v2, s33
	s_subb_u32 s9, s27, s18
	s_cmp_lg_u32 s8, 0
	v_cmp_le_u32_e32 vcc_lo, s33, v3
	v_sub_co_u32 v4, s8, v3, s33
	s_subb_u32 s18, s9, 0
	s_cmp_lg_u32 s8, 0
	v_cndmask_b32_e64 v5, 0, -1, vcc_lo
	s_subb_u32 s8, s18, 0
	s_cmp_eq_u32 s18, 0
	v_mov_b32_e32 v7, s8
	s_cselect_b32 vcc_lo, -1, 0
	s_cmp_eq_u32 s9, 0
	v_cndmask_b32_e32 v5, -1, v5, vcc_lo
	v_cmp_le_u32_e32 vcc_lo, s33, v2
	s_cselect_b32 s8, -1, 0
	v_cndmask_b32_e64 v6, 0, -1, vcc_lo
	s_delay_alu instid0(VALU_DEP_3) | instskip(NEXT) | instid1(VALU_DEP_2)
	v_cmp_ne_u32_e32 vcc_lo, 0, v5
	v_cndmask_b32_e64 v5, -1, v6, s8
	v_cndmask_b32_e32 v6, s18, v7, vcc_lo
	v_cndmask_b32_e32 v4, v3, v4, vcc_lo
	s_delay_alu instid0(VALU_DEP_3) | instskip(NEXT) | instid1(VALU_DEP_3)
	v_cmp_ne_u32_e32 vcc_lo, 0, v5
	v_cndmask_b32_e32 v3, s9, v6, vcc_lo
	s_delay_alu instid0(VALU_DEP_3)
	v_cndmask_b32_e32 v2, v2, v4, vcc_lo
	s_cbranch_execnz .LBB132_100
.LBB132_99:                             ;   in Loop: Header=BB132_6 Depth=1
	v_cvt_f32_u32_e32 v2, s33
	s_sub_i32 s8, 0, s33
	s_delay_alu instid0(VALU_DEP_1) | instskip(SKIP_2) | instid1(VALU_DEP_1)
	v_rcp_iflag_f32_e32 v2, v2
	s_waitcnt_depctr 0xfff
	v_mul_f32_e32 v2, 0x4f7ffffe, v2
	v_cvt_u32_f32_e32 v2, v2
	s_delay_alu instid0(VALU_DEP_1) | instskip(NEXT) | instid1(VALU_DEP_1)
	v_mul_lo_u32 v3, s8, v2
	v_mul_hi_u32 v3, v2, v3
	s_delay_alu instid0(VALU_DEP_1) | instskip(NEXT) | instid1(VALU_DEP_1)
	v_add_nc_u32_e32 v2, v2, v3
	v_mul_hi_u32 v2, s77, v2
	s_delay_alu instid0(VALU_DEP_1) | instskip(NEXT) | instid1(VALU_DEP_1)
	v_mul_lo_u32 v2, v2, s33
	v_sub_nc_u32_e32 v2, s77, v2
	s_delay_alu instid0(VALU_DEP_1) | instskip(SKIP_1) | instid1(VALU_DEP_2)
	v_subrev_nc_u32_e32 v3, s33, v2
	v_cmp_le_u32_e32 vcc_lo, s33, v2
	v_cndmask_b32_e32 v2, v2, v3, vcc_lo
	s_delay_alu instid0(VALU_DEP_1) | instskip(SKIP_1) | instid1(VALU_DEP_2)
	v_subrev_nc_u32_e32 v3, s33, v2
	v_cmp_le_u32_e32 vcc_lo, s33, v2
	v_cndmask_b32_e32 v12, v2, v3, vcc_lo
	s_delay_alu instid0(VALU_DEP_1)
	v_dual_mov_b32 v2, v12 :: v_dual_mov_b32 v3, v13
.LBB132_100:                            ;   in Loop: Header=BB132_6 Depth=1
	s_delay_alu instid0(VALU_DEP_1) | instskip(NEXT) | instid1(VALU_DEP_2)
	v_sub_co_u32 v2, vcc_lo, s77, v2
	v_sub_co_ci_u32_e32 v3, vcc_lo, s27, v3, vcc_lo
	s_mov_b32 s8, 0
	s_mov_b32 s9, exec_lo
                                        ; implicit-def: $vgpr27
	s_delay_alu instid0(VALU_DEP_1)
	v_cmpx_gt_u64_e64 v[2:3], v[0:1]
	s_cbranch_execz .LBB132_109
; %bb.101:                              ;   in Loop: Header=BB132_6 Depth=1
	v_dual_mov_b32 v4, v10 :: v_dual_mov_b32 v5, v11
	v_dual_mov_b32 v7, v1 :: v_dual_mov_b32 v6, v0
	s_mov_b32 s18, 0
                                        ; implicit-def: $sgpr19
	s_set_inst_prefetch_distance 0x1
	s_branch .LBB132_103
	.p2align	6
.LBB132_102:                            ;   in Loop: Header=BB132_103 Depth=2
	s_or_b32 exec_lo, exec_lo, s8
	s_waitcnt vmcnt(0) lgkmcnt(0)
	s_barrier
	buffer_gl0_inv
	ds_load_u16 v8, v13 offset:3072
	v_add_co_u32 v6, vcc_lo, v6, s33
	v_add_co_ci_u32_e32 v7, vcc_lo, 0, v7, vcc_lo
	s_waitcnt lgkmcnt(0)
	s_barrier
	buffer_gl0_inv
	v_cmp_ge_u64_e32 vcc_lo, v[6:7], v[2:3]
	v_and_b32_e32 v9, 0xff, v8
	s_delay_alu instid0(VALU_DEP_1) | instskip(NEXT) | instid1(VALU_DEP_1)
	v_cmp_ne_u16_e64 s8, 0, v9
	s_or_b32 s23, vcc_lo, s8
	v_add_co_u32 v4, vcc_lo, v4, s68
	s_and_b32 s23, exec_lo, s23
	v_add_co_ci_u32_e32 v5, vcc_lo, s41, v5, vcc_lo
	s_or_b32 s18, s23, s18
	s_and_not1_b32 s19, s19, exec_lo
	s_and_b32 s8, s8, exec_lo
	s_delay_alu instid0(SALU_CYCLE_1)
	s_or_b32 s19, s19, s8
	s_and_not1_b32 exec_lo, exec_lo, s18
	s_cbranch_execz .LBB132_108
.LBB132_103:                            ;   Parent Loop BB132_6 Depth=1
                                        ; =>  This Inner Loop Header: Depth=2
	s_delay_alu instid0(VALU_DEP_1)
	v_cmp_gt_u64_e32 vcc_lo, s[28:29], v[6:7]
	v_mov_b32_e32 v8, 0
	s_and_saveexec_b32 s8, vcc_lo
	s_cbranch_execz .LBB132_105
; %bb.104:                              ;   in Loop: Header=BB132_103 Depth=2
	global_load_u8 v8, v[4:5], off
.LBB132_105:                            ;   in Loop: Header=BB132_103 Depth=2
	s_or_b32 exec_lo, exec_lo, s8
	s_and_saveexec_b32 s8, vcc_lo
	s_cbranch_execz .LBB132_102
; %bb.106:                              ;   in Loop: Header=BB132_103 Depth=2
	s_waitcnt vmcnt(0)
	v_bfe_i32 v9, v8, 0, 8
	s_delay_alu instid0(VALU_DEP_1) | instskip(NEXT) | instid1(VALU_DEP_1)
	v_add_nc_u32_e32 v9, 0x80, v9
	v_and_b32_e32 v9, v9, v26
	s_delay_alu instid0(VALU_DEP_1)
	v_cmp_eq_u32_e32 vcc_lo, v9, v25
	s_and_b32 exec_lo, exec_lo, vcc_lo
	s_cbranch_execz .LBB132_102
; %bb.107:                              ;   in Loop: Header=BB132_103 Depth=2
	v_lshlrev_b16 v8, 8, v8
	s_delay_alu instid0(VALU_DEP_1)
	v_or_b32_e32 v8, 1, v8
	ds_store_b16 v13, v8 offset:3072
	s_branch .LBB132_102
.LBB132_108:                            ;   in Loop: Header=BB132_6 Depth=1
	s_set_inst_prefetch_distance 0x2
	s_or_b32 exec_lo, exec_lo, s18
	v_lshrrev_b16 v27, 8, v8
	s_and_b32 s8, s19, exec_lo
.LBB132_109:                            ;   in Loop: Header=BB132_6 Depth=1
	s_or_b32 exec_lo, exec_lo, s9
	s_mov_b32 s56, -1
	s_mov_b32 s23, 0
	s_mov_b32 s48, 0
.LBB132_110:                            ;   in Loop: Header=BB132_6 Depth=1
	s_or_not1_b32 s8, s8, exec_lo
.LBB132_111:                            ;   in Loop: Header=BB132_6 Depth=1
	s_or_b32 exec_lo, exec_lo, s24
	s_mov_b32 s57, 0
	s_mov_b32 s25, 0
	s_mov_b32 s24, 0
                                        ; implicit-def: $vgpr6
                                        ; implicit-def: $vgpr2_vgpr3
	s_and_saveexec_b32 s58, s8
	s_cbranch_execz .LBB132_274
; %bb.112:                              ;   in Loop: Header=BB132_6 Depth=1
	v_mov_b32_e32 v2, 1
	v_dual_mov_b32 v3, 0 :: v_dual_mov_b32 v6, 1
	s_xor_b32 s9, s59, -1
	s_delay_alu instid0(SALU_CYCLE_1)
	s_and_saveexec_b32 s8, s9
	s_cbranch_execz .LBB132_122
; %bb.113:                              ;   in Loop: Header=BB132_6 Depth=1
	s_mov_b32 s18, exec_lo
                                        ; implicit-def: $sgpr19
                                        ; implicit-def: $sgpr9
	v_cmpx_ge_u64_e64 s[10:11], v[23:24]
	s_xor_b32 s18, exec_lo, s18
	s_cbranch_execz .LBB132_119
; %bb.114:                              ;   in Loop: Header=BB132_6 Depth=1
	ds_load_b64 v[2:3], v13 offset:5120
	s_waitcnt lgkmcnt(0)
	v_cmp_ne_u64_e32 vcc_lo, 0, v[2:3]
	s_cbranch_vccnz .LBB132_118
; %bb.115:                              ;   in Loop: Header=BB132_6 Depth=1
	s_and_saveexec_b32 s9, s5
	s_cbranch_execz .LBB132_117
; %bb.116:                              ;   in Loop: Header=BB132_6 Depth=1
	v_dual_mov_b32 v2, s10 :: v_dual_mov_b32 v3, s11
	ds_store_b64 v13, v[2:3] offset:5128
.LBB132_117:                            ;   in Loop: Header=BB132_6 Depth=1
	s_or_b32 exec_lo, exec_lo, s9
	s_waitcnt lgkmcnt(0)
	s_barrier
	buffer_gl0_inv
.LBB132_118:                            ;   in Loop: Header=BB132_6 Depth=1
	v_and_b32_e32 v25, s21, v25
	v_or_b32_e32 v26, s20, v26
	s_mov_b32 s9, 0
	s_mov_b32 s19, 8
.LBB132_119:                            ;   in Loop: Header=BB132_6 Depth=1
	s_or_saveexec_b32 s18, s18
	v_mov_b32_e32 v2, v23
	v_dual_mov_b32 v6, s19 :: v_dual_mov_b32 v3, v24
	s_xor_b32 exec_lo, exec_lo, s18
; %bb.120:                              ;   in Loop: Header=BB132_6 Depth=1
	v_sub_co_u32 v2, vcc_lo, v23, s10
	v_subrev_co_ci_u32_e32 v3, vcc_lo, s11, v24, vcc_lo
	v_mov_b32_e32 v6, 0
	s_or_b32 s9, s9, exec_lo
; %bb.121:                              ;   in Loop: Header=BB132_6 Depth=1
	s_or_b32 exec_lo, exec_lo, s18
	s_delay_alu instid0(SALU_CYCLE_1)
	s_and_b32 s24, s9, exec_lo
.LBB132_122:                            ;   in Loop: Header=BB132_6 Depth=1
	s_or_b32 exec_lo, exec_lo, s8
	s_mov_b32 s25, -1
                                        ; implicit-def: $sgpr9
                                        ; implicit-def: $sgpr18
                                        ; implicit-def: $sgpr19
	s_and_saveexec_b32 s8, s24
	s_delay_alu instid0(SALU_CYCLE_1)
	s_xor_b32 s24, exec_lo, s8
	s_cbranch_execz .LBB132_271
; %bb.123:                              ;   in Loop: Header=BB132_6 Depth=1
	v_cmp_eq_u64_e32 vcc_lo, 1, v[2:3]
	s_cmp_eq_u64 s[12:13], 1
                                        ; implicit-def: $sgpr25
                                        ; implicit-def: $sgpr60
                                        ; implicit-def: $sgpr59
	s_cselect_b32 s8, -1, 0
	s_delay_alu instid0(SALU_CYCLE_1)
	s_and_b32 s62, s8, vcc_lo
	s_mov_b32 s8, -1
	s_and_saveexec_b32 s61, s62
	s_cbranch_execz .LBB132_157
; %bb.124:                              ;   in Loop: Header=BB132_6 Depth=1
	ds_load_b64 v[4:5], v13 offset:5120
	s_waitcnt lgkmcnt(0)
	s_barrier
	buffer_gl0_inv
	v_readfirstlane_b32 s18, v4
	v_readfirstlane_b32 s19, v5
	s_and_saveexec_b32 s8, s6
	s_cbranch_execz .LBB132_126
; %bb.125:                              ;   in Loop: Header=BB132_6 Depth=1
	ds_store_b8 v0, v13 offset:3072
.LBB132_126:                            ;   in Loop: Header=BB132_6 Depth=1
	s_or_b32 exec_lo, exec_lo, s8
	s_lshl_b32 s8, 1, s22
	v_or_b32_e32 v26, s20, v26
	v_and_or_b32 v25, v25, s21, s8
	s_cmp_eq_u64 s[18:19], 0
	s_waitcnt lgkmcnt(0)
	s_barrier
	buffer_gl0_inv
	s_cbranch_scc1 .LBB132_140
; %bb.127:                              ;   in Loop: Header=BB132_6 Depth=1
	s_add_u32 s25, s75, s18
	s_addc_u32 s9, s76, s19
	s_mov_b32 s8, s49
	s_delay_alu instid0(SALU_CYCLE_1)
	s_cmp_lg_u64 s[8:9], 0
	s_cbranch_scc0 .LBB132_184
; %bb.128:                              ;   in Loop: Header=BB132_6 Depth=1
	v_cvt_f32_u32_e32 v4, s33
	s_sub_u32 s59, 0, s33
	s_subb_u32 s60, 0, 0
	s_delay_alu instid0(VALU_DEP_1) | instskip(NEXT) | instid1(VALU_DEP_1)
	v_fmac_f32_e64 v4, 0, 0x4f800000
	v_rcp_f32_e32 v4, v4
	s_waitcnt_depctr 0xfff
	v_mul_f32_e32 v4, 0x5f7ffffc, v4
	s_delay_alu instid0(VALU_DEP_1) | instskip(NEXT) | instid1(VALU_DEP_1)
	v_mul_f32_e32 v5, 0x2f800000, v4
	v_trunc_f32_e32 v5, v5
	s_delay_alu instid0(VALU_DEP_1) | instskip(SKIP_1) | instid1(VALU_DEP_2)
	v_fmac_f32_e32 v4, 0xcf800000, v5
	v_cvt_u32_f32_e32 v5, v5
	v_cvt_u32_f32_e32 v4, v4
	s_delay_alu instid0(VALU_DEP_2) | instskip(NEXT) | instid1(VALU_DEP_2)
	v_readfirstlane_b32 s8, v5
	v_readfirstlane_b32 s26, v4
	s_delay_alu instid0(VALU_DEP_2) | instskip(NEXT) | instid1(VALU_DEP_1)
	s_mul_i32 s63, s59, s8
	s_mul_hi_u32 s65, s59, s26
	s_mul_i32 s64, s60, s26
	s_add_i32 s63, s65, s63
	s_mul_i32 s66, s59, s26
	s_add_i32 s63, s63, s64
	s_mul_hi_u32 s65, s26, s66
	s_mul_hi_u32 s67, s8, s66
	s_mul_i32 s64, s8, s66
	s_mul_hi_u32 s66, s26, s63
	s_mul_i32 s26, s26, s63
	s_mul_hi_u32 s95, s8, s63
	s_add_u32 s26, s65, s26
	s_addc_u32 s65, 0, s66
	s_add_u32 s26, s26, s64
	s_mul_i32 s63, s8, s63
	s_addc_u32 s26, s65, s67
	s_addc_u32 s64, s95, 0
	s_add_u32 s26, s26, s63
	s_addc_u32 s63, 0, s64
	v_add_co_u32 v4, s26, v4, s26
	s_delay_alu instid0(VALU_DEP_1) | instskip(SKIP_1) | instid1(VALU_DEP_1)
	s_cmp_lg_u32 s26, 0
	s_addc_u32 s8, s8, s63
	v_readfirstlane_b32 s26, v4
	s_mul_i32 s63, s59, s8
	s_delay_alu instid0(VALU_DEP_1)
	s_mul_hi_u32 s64, s59, s26
	s_mul_i32 s60, s60, s26
	s_add_i32 s63, s64, s63
	s_mul_i32 s59, s59, s26
	s_add_i32 s63, s63, s60
	s_mul_hi_u32 s64, s8, s59
	s_mul_i32 s65, s8, s59
	s_mul_hi_u32 s59, s26, s59
	s_mul_hi_u32 s66, s26, s63
	s_mul_i32 s26, s26, s63
	s_mul_hi_u32 s60, s8, s63
	s_add_u32 s26, s59, s26
	s_addc_u32 s59, 0, s66
	s_add_u32 s26, s26, s65
	s_mul_i32 s63, s8, s63
	s_addc_u32 s26, s59, s64
	s_addc_u32 s59, s60, 0
	s_add_u32 s26, s26, s63
	s_addc_u32 s59, 0, s59
	v_add_co_u32 v4, s26, v4, s26
	s_delay_alu instid0(VALU_DEP_1) | instskip(SKIP_1) | instid1(VALU_DEP_1)
	s_cmp_lg_u32 s26, 0
	s_addc_u32 s8, s8, s59
	v_readfirstlane_b32 s26, v4
	s_mul_i32 s60, s25, s8
	s_mul_hi_u32 s59, s25, s8
	s_mul_hi_u32 s63, s9, s8
	s_mul_i32 s8, s9, s8
	s_mul_hi_u32 s64, s25, s26
	s_mul_hi_u32 s65, s9, s26
	s_mul_i32 s26, s9, s26
	s_add_u32 s60, s64, s60
	s_addc_u32 s59, 0, s59
	s_add_u32 s26, s60, s26
	s_addc_u32 s26, s59, s65
	s_addc_u32 s59, s63, 0
	s_add_u32 s8, s26, s8
	s_addc_u32 s26, 0, s59
	s_mul_hi_u32 s59, s33, s8
	s_mul_i32 s8, s33, s8
	s_mul_i32 s26, s33, s26
	v_sub_co_u32 v4, s8, s25, s8
	s_add_i32 s59, s59, s26
	s_cmp_lg_u32 s8, 0
	s_delay_alu instid0(VALU_DEP_1) | instskip(SKIP_2) | instid1(VALU_DEP_1)
	v_sub_co_u32 v5, s8, v4, s33
	s_subb_u32 s26, s9, s59
	s_cmp_lg_u32 s8, 0
	v_cmp_le_u32_e32 vcc_lo, s33, v5
	v_sub_co_u32 v6, s8, v5, s33
	s_subb_u32 s59, s26, 0
	s_cmp_lg_u32 s8, 0
	v_cndmask_b32_e64 v7, 0, -1, vcc_lo
	s_subb_u32 s8, s59, 0
	s_cmp_eq_u32 s59, 0
	v_mov_b32_e32 v9, s8
	s_cselect_b32 vcc_lo, -1, 0
	s_cmp_eq_u32 s26, 0
	v_cndmask_b32_e32 v7, -1, v7, vcc_lo
	v_cmp_le_u32_e32 vcc_lo, s33, v4
	s_cselect_b32 s8, -1, 0
	v_cndmask_b32_e64 v8, 0, -1, vcc_lo
	s_delay_alu instid0(VALU_DEP_3) | instskip(NEXT) | instid1(VALU_DEP_2)
	v_cmp_ne_u32_e32 vcc_lo, 0, v7
	v_cndmask_b32_e64 v7, -1, v8, s8
	v_cndmask_b32_e32 v8, s59, v9, vcc_lo
	v_cndmask_b32_e32 v6, v5, v6, vcc_lo
	s_delay_alu instid0(VALU_DEP_3) | instskip(NEXT) | instid1(VALU_DEP_3)
	v_cmp_ne_u32_e32 vcc_lo, 0, v7
	v_cndmask_b32_e32 v5, s26, v8, vcc_lo
	s_delay_alu instid0(VALU_DEP_3)
	v_cndmask_b32_e32 v4, v4, v6, vcc_lo
	s_cbranch_execnz .LBB132_130
.LBB132_129:                            ;   in Loop: Header=BB132_6 Depth=1
	v_cvt_f32_u32_e32 v4, s33
	s_sub_i32 s8, 0, s33
	s_delay_alu instid0(VALU_DEP_1) | instskip(SKIP_2) | instid1(VALU_DEP_1)
	v_rcp_iflag_f32_e32 v4, v4
	s_waitcnt_depctr 0xfff
	v_mul_f32_e32 v4, 0x4f7ffffe, v4
	v_cvt_u32_f32_e32 v4, v4
	s_delay_alu instid0(VALU_DEP_1) | instskip(NEXT) | instid1(VALU_DEP_1)
	v_mul_lo_u32 v5, s8, v4
	v_mul_hi_u32 v5, v4, v5
	s_delay_alu instid0(VALU_DEP_1) | instskip(NEXT) | instid1(VALU_DEP_1)
	v_add_nc_u32_e32 v4, v4, v5
	v_mul_hi_u32 v4, s25, v4
	s_delay_alu instid0(VALU_DEP_1) | instskip(NEXT) | instid1(VALU_DEP_1)
	v_mul_lo_u32 v4, v4, s33
	v_sub_nc_u32_e32 v4, s25, v4
	s_delay_alu instid0(VALU_DEP_1) | instskip(SKIP_1) | instid1(VALU_DEP_2)
	v_subrev_nc_u32_e32 v5, s33, v4
	v_cmp_le_u32_e32 vcc_lo, s33, v4
	v_cndmask_b32_e32 v4, v4, v5, vcc_lo
	s_delay_alu instid0(VALU_DEP_1) | instskip(SKIP_1) | instid1(VALU_DEP_2)
	v_subrev_nc_u32_e32 v5, s33, v4
	v_cmp_le_u32_e32 vcc_lo, s33, v4
	v_cndmask_b32_e32 v12, v4, v5, vcc_lo
	s_delay_alu instid0(VALU_DEP_1)
	v_dual_mov_b32 v4, v12 :: v_dual_mov_b32 v5, v13
.LBB132_130:                            ;   in Loop: Header=BB132_6 Depth=1
	s_delay_alu instid0(VALU_DEP_1) | instskip(NEXT) | instid1(VALU_DEP_2)
	v_sub_co_u32 v4, vcc_lo, s25, v4
	v_sub_co_ci_u32_e32 v5, vcc_lo, s9, v5, vcc_lo
	s_mov_b32 s8, 0
	s_mov_b32 s9, exec_lo
                                        ; implicit-def: $vgpr27
	s_delay_alu instid0(VALU_DEP_1)
	v_cmpx_gt_u64_e64 v[4:5], v[0:1]
	s_cbranch_execz .LBB132_142
; %bb.131:                              ;   in Loop: Header=BB132_6 Depth=1
	v_dual_mov_b32 v8, v0 :: v_dual_mov_b32 v7, v1
	v_mov_b32_e32 v6, v0
	s_mov_b32 s25, 0
                                        ; implicit-def: $sgpr26
	s_set_inst_prefetch_distance 0x1
	s_branch .LBB132_133
	.p2align	6
.LBB132_132:                            ;   in Loop: Header=BB132_133 Depth=2
	s_or_b32 exec_lo, exec_lo, s8
	s_waitcnt lgkmcnt(0)
	s_barrier
	buffer_gl0_inv
	ds_load_u16 v9, v13 offset:3072
	v_add_co_u32 v6, vcc_lo, v6, s33
	v_add_co_ci_u32_e32 v7, vcc_lo, 0, v7, vcc_lo
	v_add_nc_u32_e32 v8, s33, v8
	s_waitcnt lgkmcnt(0)
	s_barrier
	s_delay_alu instid0(VALU_DEP_2) | instskip(SKIP_2) | instid1(VALU_DEP_1)
	v_cmp_ge_u64_e32 vcc_lo, v[6:7], v[4:5]
	buffer_gl0_inv
	v_and_b32_e32 v12, 0xff, v9
	v_cmp_ne_u16_e64 s8, 0, v12
	s_delay_alu instid0(VALU_DEP_1) | instskip(NEXT) | instid1(SALU_CYCLE_1)
	s_or_b32 s59, vcc_lo, s8
	s_and_b32 s59, exec_lo, s59
	s_delay_alu instid0(SALU_CYCLE_1) | instskip(SKIP_2) | instid1(SALU_CYCLE_1)
	s_or_b32 s25, s59, s25
	s_and_not1_b32 s26, s26, exec_lo
	s_and_b32 s8, s8, exec_lo
	s_or_b32 s26, s26, s8
	s_and_not1_b32 exec_lo, exec_lo, s25
	s_cbranch_execz .LBB132_141
.LBB132_133:                            ;   Parent Loop BB132_6 Depth=1
                                        ; =>  This Inner Loop Header: Depth=2
	s_delay_alu instid0(VALU_DEP_1)
	v_cmp_gt_u64_e32 vcc_lo, s[18:19], v[6:7]
	v_mov_b32_e32 v9, 0
	s_and_saveexec_b32 s8, vcc_lo
	s_cbranch_execz .LBB132_135
; %bb.134:                              ;   in Loop: Header=BB132_133 Depth=2
	ds_load_u8 v9, v8
.LBB132_135:                            ;   in Loop: Header=BB132_133 Depth=2
	s_or_b32 exec_lo, exec_lo, s8
	s_and_saveexec_b32 s8, vcc_lo
	s_cbranch_execz .LBB132_132
; %bb.136:                              ;   in Loop: Header=BB132_133 Depth=2
	s_waitcnt lgkmcnt(0)
	v_bfe_i32 v12, v9, 0, 8
	s_delay_alu instid0(VALU_DEP_1) | instskip(NEXT) | instid1(VALU_DEP_1)
	v_add_nc_u32_e32 v12, 0x80, v12
	v_and_b32_e32 v12, v12, v26
	s_delay_alu instid0(VALU_DEP_1)
	v_cmp_eq_u32_e32 vcc_lo, v12, v25
	s_and_b32 exec_lo, exec_lo, vcc_lo
	s_cbranch_execz .LBB132_132
; %bb.137:                              ;   in Loop: Header=BB132_133 Depth=2
	v_lshlrev_b16 v9, 8, v9
	s_delay_alu instid0(VALU_DEP_1)
	v_or_b32_e32 v9, 1, v9
	ds_store_b16 v13, v9 offset:3072
	s_branch .LBB132_132
.LBB132_138:                            ;   in Loop: Header=BB132_6 Depth=1
                                        ; implicit-def: $vgpr2_vgpr3
	s_branch .LBB132_83
.LBB132_139:                            ;   in Loop: Header=BB132_6 Depth=1
                                        ; implicit-def: $vgpr2_vgpr3
	s_branch .LBB132_99
.LBB132_140:                            ;   in Loop: Header=BB132_6 Depth=1
	s_mov_b32 s25, -1
	s_mov_b32 s8, 0
                                        ; implicit-def: $sgpr59
                                        ; implicit-def: $vgpr27
	s_mov_b32 s60, s25
	s_cbranch_execnz .LBB132_143
	s_branch .LBB132_156
.LBB132_141:                            ;   in Loop: Header=BB132_6 Depth=1
	s_set_inst_prefetch_distance 0x2
	s_or_b32 exec_lo, exec_lo, s25
	v_lshrrev_b16 v27, 8, v9
	s_and_b32 s8, s26, exec_lo
.LBB132_142:                            ;   in Loop: Header=BB132_6 Depth=1
	s_or_b32 exec_lo, exec_lo, s9
	s_mov_b32 s59, -1
	s_mov_b32 s25, 0
	s_delay_alu instid0(SALU_CYCLE_1)
	s_mov_b32 s60, s25
	s_branch .LBB132_156
.LBB132_143:                            ;   in Loop: Header=BB132_6 Depth=1
	s_mov_b32 s26, s49
	s_delay_alu instid0(SALU_CYCLE_1)
	s_cmp_lg_u64 s[26:27], 0
	s_cbranch_scc0 .LBB132_185
; %bb.144:                              ;   in Loop: Header=BB132_6 Depth=1
	v_cvt_f32_u32_e32 v4, s33
	s_sub_u32 s18, 0, s33
	s_subb_u32 s19, 0, 0
	s_delay_alu instid0(VALU_DEP_1) | instskip(NEXT) | instid1(VALU_DEP_1)
	v_fmac_f32_e64 v4, 0, 0x4f800000
	v_rcp_f32_e32 v4, v4
	s_waitcnt_depctr 0xfff
	v_mul_f32_e32 v4, 0x5f7ffffc, v4
	s_delay_alu instid0(VALU_DEP_1) | instskip(NEXT) | instid1(VALU_DEP_1)
	v_mul_f32_e32 v5, 0x2f800000, v4
	v_trunc_f32_e32 v5, v5
	s_delay_alu instid0(VALU_DEP_1) | instskip(SKIP_1) | instid1(VALU_DEP_2)
	v_fmac_f32_e32 v4, 0xcf800000, v5
	v_cvt_u32_f32_e32 v5, v5
	v_cvt_u32_f32_e32 v4, v4
	s_delay_alu instid0(VALU_DEP_2) | instskip(NEXT) | instid1(VALU_DEP_2)
	v_readfirstlane_b32 s8, v5
	v_readfirstlane_b32 s9, v4
	s_delay_alu instid0(VALU_DEP_2) | instskip(NEXT) | instid1(VALU_DEP_1)
	s_mul_i32 s25, s18, s8
	s_mul_hi_u32 s59, s18, s9
	s_mul_i32 s26, s19, s9
	s_add_i32 s25, s59, s25
	s_mul_i32 s60, s18, s9
	s_add_i32 s25, s25, s26
	s_mul_hi_u32 s59, s9, s60
	s_mul_hi_u32 s63, s8, s60
	s_mul_i32 s26, s8, s60
	s_mul_hi_u32 s60, s9, s25
	s_mul_i32 s9, s9, s25
	s_mul_hi_u32 s64, s8, s25
	s_add_u32 s9, s59, s9
	s_addc_u32 s59, 0, s60
	s_add_u32 s9, s9, s26
	s_mul_i32 s25, s8, s25
	s_addc_u32 s9, s59, s63
	s_addc_u32 s26, s64, 0
	s_add_u32 s9, s9, s25
	s_addc_u32 s25, 0, s26
	v_add_co_u32 v4, s9, v4, s9
	s_delay_alu instid0(VALU_DEP_1) | instskip(SKIP_1) | instid1(VALU_DEP_1)
	s_cmp_lg_u32 s9, 0
	s_addc_u32 s8, s8, s25
	v_readfirstlane_b32 s9, v4
	s_mul_i32 s25, s18, s8
	s_delay_alu instid0(VALU_DEP_1)
	s_mul_hi_u32 s26, s18, s9
	s_mul_i32 s19, s19, s9
	s_add_i32 s25, s26, s25
	s_mul_i32 s18, s18, s9
	s_add_i32 s25, s25, s19
	s_mul_hi_u32 s26, s8, s18
	s_mul_i32 s59, s8, s18
	s_mul_hi_u32 s18, s9, s18
	s_mul_hi_u32 s60, s9, s25
	s_mul_i32 s9, s9, s25
	s_mul_hi_u32 s19, s8, s25
	s_add_u32 s9, s18, s9
	s_addc_u32 s18, 0, s60
	s_add_u32 s9, s9, s59
	s_mul_i32 s25, s8, s25
	s_addc_u32 s9, s18, s26
	s_addc_u32 s18, s19, 0
	s_add_u32 s9, s9, s25
	s_addc_u32 s18, 0, s18
	v_add_co_u32 v4, s9, v4, s9
	s_delay_alu instid0(VALU_DEP_1) | instskip(SKIP_1) | instid1(VALU_DEP_1)
	s_cmp_lg_u32 s9, 0
	s_addc_u32 s8, s8, s18
	v_readfirstlane_b32 s9, v4
	s_mul_i32 s19, s77, s8
	s_mul_hi_u32 s18, s77, s8
	s_mul_hi_u32 s25, s27, s8
	s_mul_i32 s8, s27, s8
	s_mul_hi_u32 s26, s77, s9
	s_mul_hi_u32 s59, s27, s9
	s_mul_i32 s9, s27, s9
	s_add_u32 s19, s26, s19
	s_addc_u32 s18, 0, s18
	s_add_u32 s9, s19, s9
	s_addc_u32 s9, s18, s59
	s_addc_u32 s18, s25, 0
	s_add_u32 s8, s9, s8
	s_addc_u32 s9, 0, s18
	s_mul_hi_u32 s18, s33, s8
	s_mul_i32 s8, s33, s8
	s_mul_i32 s9, s33, s9
	v_sub_co_u32 v4, s8, s77, s8
	s_add_i32 s18, s18, s9
	s_cmp_lg_u32 s8, 0
	s_delay_alu instid0(VALU_DEP_1) | instskip(SKIP_2) | instid1(VALU_DEP_1)
	v_sub_co_u32 v5, s8, v4, s33
	s_subb_u32 s9, s27, s18
	s_cmp_lg_u32 s8, 0
	v_cmp_le_u32_e32 vcc_lo, s33, v5
	v_sub_co_u32 v6, s8, v5, s33
	s_subb_u32 s18, s9, 0
	s_cmp_lg_u32 s8, 0
	v_cndmask_b32_e64 v7, 0, -1, vcc_lo
	s_subb_u32 s8, s18, 0
	s_cmp_eq_u32 s18, 0
	v_mov_b32_e32 v9, s8
	s_cselect_b32 vcc_lo, -1, 0
	s_cmp_eq_u32 s9, 0
	v_cndmask_b32_e32 v7, -1, v7, vcc_lo
	v_cmp_le_u32_e32 vcc_lo, s33, v4
	s_cselect_b32 s8, -1, 0
	v_cndmask_b32_e64 v8, 0, -1, vcc_lo
	s_delay_alu instid0(VALU_DEP_3) | instskip(NEXT) | instid1(VALU_DEP_2)
	v_cmp_ne_u32_e32 vcc_lo, 0, v7
	v_cndmask_b32_e64 v7, -1, v8, s8
	v_cndmask_b32_e32 v8, s18, v9, vcc_lo
	v_cndmask_b32_e32 v6, v5, v6, vcc_lo
	s_delay_alu instid0(VALU_DEP_3) | instskip(NEXT) | instid1(VALU_DEP_3)
	v_cmp_ne_u32_e32 vcc_lo, 0, v7
	v_cndmask_b32_e32 v5, s9, v8, vcc_lo
	s_delay_alu instid0(VALU_DEP_3)
	v_cndmask_b32_e32 v4, v4, v6, vcc_lo
	s_cbranch_execnz .LBB132_146
.LBB132_145:                            ;   in Loop: Header=BB132_6 Depth=1
	v_cvt_f32_u32_e32 v4, s33
	s_sub_i32 s8, 0, s33
	s_delay_alu instid0(VALU_DEP_1) | instskip(SKIP_2) | instid1(VALU_DEP_1)
	v_rcp_iflag_f32_e32 v4, v4
	s_waitcnt_depctr 0xfff
	v_mul_f32_e32 v4, 0x4f7ffffe, v4
	v_cvt_u32_f32_e32 v4, v4
	s_delay_alu instid0(VALU_DEP_1) | instskip(NEXT) | instid1(VALU_DEP_1)
	v_mul_lo_u32 v5, s8, v4
	v_mul_hi_u32 v5, v4, v5
	s_delay_alu instid0(VALU_DEP_1) | instskip(NEXT) | instid1(VALU_DEP_1)
	v_add_nc_u32_e32 v4, v4, v5
	v_mul_hi_u32 v4, s77, v4
	s_delay_alu instid0(VALU_DEP_1) | instskip(NEXT) | instid1(VALU_DEP_1)
	v_mul_lo_u32 v4, v4, s33
	v_sub_nc_u32_e32 v4, s77, v4
	s_delay_alu instid0(VALU_DEP_1) | instskip(SKIP_1) | instid1(VALU_DEP_2)
	v_subrev_nc_u32_e32 v5, s33, v4
	v_cmp_le_u32_e32 vcc_lo, s33, v4
	v_cndmask_b32_e32 v4, v4, v5, vcc_lo
	s_delay_alu instid0(VALU_DEP_1) | instskip(SKIP_1) | instid1(VALU_DEP_2)
	v_subrev_nc_u32_e32 v5, s33, v4
	v_cmp_le_u32_e32 vcc_lo, s33, v4
	v_cndmask_b32_e32 v12, v4, v5, vcc_lo
	s_delay_alu instid0(VALU_DEP_1)
	v_dual_mov_b32 v4, v12 :: v_dual_mov_b32 v5, v13
.LBB132_146:                            ;   in Loop: Header=BB132_6 Depth=1
	s_delay_alu instid0(VALU_DEP_1) | instskip(NEXT) | instid1(VALU_DEP_2)
	v_sub_co_u32 v4, vcc_lo, s77, v4
	v_sub_co_ci_u32_e32 v5, vcc_lo, s27, v5, vcc_lo
	s_mov_b32 s8, 0
	s_mov_b32 s9, exec_lo
                                        ; implicit-def: $vgpr27
	s_delay_alu instid0(VALU_DEP_1)
	v_cmpx_gt_u64_e64 v[4:5], v[0:1]
	s_cbranch_execz .LBB132_155
; %bb.147:                              ;   in Loop: Header=BB132_6 Depth=1
	v_dual_mov_b32 v6, v10 :: v_dual_mov_b32 v7, v11
	v_dual_mov_b32 v9, v1 :: v_dual_mov_b32 v8, v0
	s_mov_b32 s18, 0
                                        ; implicit-def: $sgpr19
	s_set_inst_prefetch_distance 0x1
	s_branch .LBB132_149
	.p2align	6
.LBB132_148:                            ;   in Loop: Header=BB132_149 Depth=2
	s_or_b32 exec_lo, exec_lo, s8
	s_waitcnt vmcnt(0) lgkmcnt(0)
	s_barrier
	buffer_gl0_inv
	ds_load_u16 v12, v13 offset:3072
	v_add_co_u32 v8, vcc_lo, v8, s33
	v_add_co_ci_u32_e32 v9, vcc_lo, 0, v9, vcc_lo
	s_waitcnt lgkmcnt(0)
	s_barrier
	buffer_gl0_inv
	v_cmp_ge_u64_e32 vcc_lo, v[8:9], v[4:5]
	v_and_b32_e32 v27, 0xff, v12
	s_delay_alu instid0(VALU_DEP_1) | instskip(NEXT) | instid1(VALU_DEP_1)
	v_cmp_ne_u16_e64 s8, 0, v27
	s_or_b32 s25, vcc_lo, s8
	v_add_co_u32 v6, vcc_lo, v6, s68
	s_and_b32 s25, exec_lo, s25
	v_add_co_ci_u32_e32 v7, vcc_lo, s41, v7, vcc_lo
	s_or_b32 s18, s25, s18
	s_and_not1_b32 s19, s19, exec_lo
	s_and_b32 s8, s8, exec_lo
	s_delay_alu instid0(SALU_CYCLE_1)
	s_or_b32 s19, s19, s8
	s_and_not1_b32 exec_lo, exec_lo, s18
	s_cbranch_execz .LBB132_154
.LBB132_149:                            ;   Parent Loop BB132_6 Depth=1
                                        ; =>  This Inner Loop Header: Depth=2
	s_delay_alu instid0(VALU_DEP_1)
	v_cmp_gt_u64_e32 vcc_lo, s[28:29], v[8:9]
	v_mov_b32_e32 v12, 0
	s_and_saveexec_b32 s8, vcc_lo
	s_cbranch_execz .LBB132_151
; %bb.150:                              ;   in Loop: Header=BB132_149 Depth=2
	global_load_u8 v12, v[6:7], off
.LBB132_151:                            ;   in Loop: Header=BB132_149 Depth=2
	s_or_b32 exec_lo, exec_lo, s8
	s_and_saveexec_b32 s8, vcc_lo
	s_cbranch_execz .LBB132_148
; %bb.152:                              ;   in Loop: Header=BB132_149 Depth=2
	s_waitcnt vmcnt(0)
	v_bfe_i32 v27, v12, 0, 8
	s_delay_alu instid0(VALU_DEP_1) | instskip(NEXT) | instid1(VALU_DEP_1)
	v_add_nc_u32_e32 v27, 0x80, v27
	v_and_b32_e32 v27, v27, v26
	s_delay_alu instid0(VALU_DEP_1)
	v_cmp_eq_u32_e32 vcc_lo, v27, v25
	s_and_b32 exec_lo, exec_lo, vcc_lo
	s_cbranch_execz .LBB132_148
; %bb.153:                              ;   in Loop: Header=BB132_149 Depth=2
	v_lshlrev_b16 v12, 8, v12
	s_delay_alu instid0(VALU_DEP_1)
	v_or_b32_e32 v12, 1, v12
	ds_store_b16 v13, v12 offset:3072
	s_branch .LBB132_148
.LBB132_154:                            ;   in Loop: Header=BB132_6 Depth=1
	s_set_inst_prefetch_distance 0x2
	s_or_b32 exec_lo, exec_lo, s18
	v_lshrrev_b16 v27, 8, v12
	s_and_b32 s8, s19, exec_lo
.LBB132_155:                            ;   in Loop: Header=BB132_6 Depth=1
	s_or_b32 exec_lo, exec_lo, s9
	s_mov_b32 s60, -1
	s_mov_b32 s25, 0
	s_mov_b32 s59, 0
.LBB132_156:                            ;   in Loop: Header=BB132_6 Depth=1
	s_or_not1_b32 s8, s8, exec_lo
.LBB132_157:                            ;   in Loop: Header=BB132_6 Depth=1
	s_or_b32 exec_lo, exec_lo, s61
	s_mov_b32 s26, 0
                                        ; implicit-def: $vgpr6
	s_and_saveexec_b32 s61, s8
	s_cbranch_execz .LBB132_270
; %bb.158:                              ;   in Loop: Header=BB132_6 Depth=1
	v_mov_b32_e32 v4, 1
	v_dual_mov_b32 v5, 0 :: v_dual_mov_b32 v6, 1
	s_xor_b32 s9, s62, -1
	s_delay_alu instid0(SALU_CYCLE_1)
	s_and_saveexec_b32 s8, s9
	s_cbranch_execz .LBB132_168
; %bb.159:                              ;   in Loop: Header=BB132_6 Depth=1
	s_mov_b32 s18, exec_lo
                                        ; implicit-def: $sgpr19
                                        ; implicit-def: $sgpr9
	v_cmpx_ge_u64_e64 s[12:13], v[2:3]
	s_xor_b32 s18, exec_lo, s18
	s_cbranch_execz .LBB132_165
; %bb.160:                              ;   in Loop: Header=BB132_6 Depth=1
	ds_load_b64 v[4:5], v13 offset:5120
	s_waitcnt lgkmcnt(0)
	v_cmp_ne_u64_e32 vcc_lo, 0, v[4:5]
	s_cbranch_vccnz .LBB132_164
; %bb.161:                              ;   in Loop: Header=BB132_6 Depth=1
	s_and_saveexec_b32 s9, s5
	s_cbranch_execz .LBB132_163
; %bb.162:                              ;   in Loop: Header=BB132_6 Depth=1
	v_dual_mov_b32 v4, s12 :: v_dual_mov_b32 v5, s13
	ds_store_b64 v13, v[4:5] offset:5128
.LBB132_163:                            ;   in Loop: Header=BB132_6 Depth=1
	s_or_b32 exec_lo, exec_lo, s9
	s_waitcnt lgkmcnt(0)
	s_barrier
	buffer_gl0_inv
.LBB132_164:                            ;   in Loop: Header=BB132_6 Depth=1
	s_lshl_b32 s9, 1, s22
	v_or_b32_e32 v26, s20, v26
	v_and_or_b32 v25, v25, s21, s9
	s_mov_b32 s9, 0
	s_mov_b32 s19, 8
.LBB132_165:                            ;   in Loop: Header=BB132_6 Depth=1
	s_or_saveexec_b32 s18, s18
	v_mov_b32_e32 v6, s19
	s_xor_b32 exec_lo, exec_lo, s18
; %bb.166:                              ;   in Loop: Header=BB132_6 Depth=1
	v_sub_co_u32 v2, vcc_lo, v2, s12
	v_subrev_co_ci_u32_e32 v3, vcc_lo, s13, v3, vcc_lo
	v_mov_b32_e32 v6, 0
	s_or_b32 s9, s9, exec_lo
; %bb.167:                              ;   in Loop: Header=BB132_6 Depth=1
	s_or_b32 exec_lo, exec_lo, s18
	s_delay_alu instid0(VALU_DEP_2)
	v_dual_mov_b32 v5, v3 :: v_dual_mov_b32 v4, v2
	s_and_b32 s26, s9, exec_lo
.LBB132_168:                            ;   in Loop: Header=BB132_6 Depth=1
	s_or_b32 exec_lo, exec_lo, s8
	s_mov_b32 s8, -1
                                        ; implicit-def: $sgpr9
                                        ; implicit-def: $sgpr18
                                        ; implicit-def: $sgpr19
	s_and_saveexec_b32 s62, s26
	s_cbranch_execz .LBB132_269
; %bb.169:                              ;   in Loop: Header=BB132_6 Depth=1
	v_cmp_eq_u64_e32 vcc_lo, 1, v[4:5]
	s_cmp_eq_u64 s[14:15], 1
                                        ; implicit-def: $sgpr63
                                        ; implicit-def: $sgpr65
                                        ; implicit-def: $sgpr64
	s_cselect_b32 s8, -1, 0
	s_delay_alu instid0(SALU_CYCLE_1)
	s_and_b32 s67, s8, vcc_lo
	s_mov_b32 s8, -1
	s_and_saveexec_b32 s66, s67
	s_cbranch_execz .LBB132_203
; %bb.170:                              ;   in Loop: Header=BB132_6 Depth=1
	ds_load_b64 v[2:3], v13 offset:5120
	s_waitcnt lgkmcnt(0)
	s_barrier
	buffer_gl0_inv
	v_readfirstlane_b32 s18, v2
	v_readfirstlane_b32 s19, v3
	s_and_saveexec_b32 s8, s6
	s_cbranch_execz .LBB132_172
; %bb.171:                              ;   in Loop: Header=BB132_6 Depth=1
	ds_store_b8 v0, v13 offset:3072
.LBB132_172:                            ;   in Loop: Header=BB132_6 Depth=1
	s_or_b32 exec_lo, exec_lo, s8
	s_lshl_b32 s8, 2, s22
	v_or_b32_e32 v26, s20, v26
	v_and_or_b32 v25, v25, s21, s8
	s_cmp_eq_u64 s[18:19], 0
	s_waitcnt lgkmcnt(0)
	s_barrier
	buffer_gl0_inv
	s_cbranch_scc1 .LBB132_186
; %bb.173:                              ;   in Loop: Header=BB132_6 Depth=1
	s_add_u32 s26, s75, s18
	s_addc_u32 s9, s76, s19
	s_mov_b32 s8, s49
	s_delay_alu instid0(SALU_CYCLE_1)
	s_cmp_lg_u64 s[8:9], 0
	s_cbranch_scc0 .LBB132_221
; %bb.174:                              ;   in Loop: Header=BB132_6 Depth=1
	v_cvt_f32_u32_e32 v2, s33
	s_sub_u32 s64, 0, s33
	s_subb_u32 s65, 0, 0
	s_delay_alu instid0(VALU_DEP_1) | instskip(NEXT) | instid1(VALU_DEP_1)
	v_fmac_f32_e64 v2, 0, 0x4f800000
	v_rcp_f32_e32 v2, v2
	s_waitcnt_depctr 0xfff
	v_mul_f32_e32 v2, 0x5f7ffffc, v2
	s_delay_alu instid0(VALU_DEP_1) | instskip(NEXT) | instid1(VALU_DEP_1)
	v_mul_f32_e32 v3, 0x2f800000, v2
	v_trunc_f32_e32 v3, v3
	s_delay_alu instid0(VALU_DEP_1) | instskip(SKIP_1) | instid1(VALU_DEP_2)
	v_fmac_f32_e32 v2, 0xcf800000, v3
	v_cvt_u32_f32_e32 v3, v3
	v_cvt_u32_f32_e32 v2, v2
	s_delay_alu instid0(VALU_DEP_2) | instskip(NEXT) | instid1(VALU_DEP_2)
	v_readfirstlane_b32 s8, v3
	v_readfirstlane_b32 s63, v2
	s_delay_alu instid0(VALU_DEP_2) | instskip(NEXT) | instid1(VALU_DEP_1)
	s_mul_i32 s95, s64, s8
	s_mul_hi_u32 s97, s64, s63
	s_mul_i32 s96, s65, s63
	s_add_i32 s95, s97, s95
	s_mul_i32 s98, s64, s63
	s_add_i32 s95, s95, s96
	s_mul_hi_u32 s97, s63, s98
	s_mul_hi_u32 s99, s8, s98
	s_mul_i32 s96, s8, s98
	s_mul_hi_u32 s98, s63, s95
	s_mul_i32 s63, s63, s95
	s_mul_hi_u32 s100, s8, s95
	s_add_u32 s63, s97, s63
	s_addc_u32 s97, 0, s98
	s_add_u32 s63, s63, s96
	s_mul_i32 s95, s8, s95
	s_addc_u32 s63, s97, s99
	s_addc_u32 s96, s100, 0
	s_add_u32 s63, s63, s95
	s_addc_u32 s95, 0, s96
	v_add_co_u32 v2, s63, v2, s63
	s_delay_alu instid0(VALU_DEP_1) | instskip(SKIP_1) | instid1(VALU_DEP_1)
	s_cmp_lg_u32 s63, 0
	s_addc_u32 s8, s8, s95
	v_readfirstlane_b32 s63, v2
	s_mul_i32 s95, s64, s8
	s_delay_alu instid0(VALU_DEP_1)
	s_mul_hi_u32 s96, s64, s63
	s_mul_i32 s65, s65, s63
	s_add_i32 s95, s96, s95
	s_mul_i32 s64, s64, s63
	s_add_i32 s95, s95, s65
	s_mul_hi_u32 s96, s8, s64
	s_mul_i32 s97, s8, s64
	s_mul_hi_u32 s64, s63, s64
	s_mul_hi_u32 s98, s63, s95
	s_mul_i32 s63, s63, s95
	s_mul_hi_u32 s65, s8, s95
	s_add_u32 s63, s64, s63
	s_addc_u32 s64, 0, s98
	s_add_u32 s63, s63, s97
	s_mul_i32 s95, s8, s95
	s_addc_u32 s63, s64, s96
	s_addc_u32 s64, s65, 0
	s_add_u32 s63, s63, s95
	s_addc_u32 s64, 0, s64
	v_add_co_u32 v2, s63, v2, s63
	s_delay_alu instid0(VALU_DEP_1) | instskip(SKIP_1) | instid1(VALU_DEP_1)
	s_cmp_lg_u32 s63, 0
	s_addc_u32 s8, s8, s64
	v_readfirstlane_b32 s63, v2
	s_mul_i32 s65, s26, s8
	s_mul_hi_u32 s64, s26, s8
	s_mul_hi_u32 s95, s9, s8
	s_mul_i32 s8, s9, s8
	s_mul_hi_u32 s96, s26, s63
	s_mul_hi_u32 s97, s9, s63
	s_mul_i32 s63, s9, s63
	s_add_u32 s65, s96, s65
	s_addc_u32 s64, 0, s64
	s_add_u32 s63, s65, s63
	s_addc_u32 s63, s64, s97
	s_addc_u32 s64, s95, 0
	s_add_u32 s8, s63, s8
	s_addc_u32 s63, 0, s64
	s_mul_hi_u32 s64, s33, s8
	s_mul_i32 s8, s33, s8
	s_mul_i32 s63, s33, s63
	v_sub_co_u32 v2, s8, s26, s8
	s_add_i32 s64, s64, s63
	s_cmp_lg_u32 s8, 0
	s_delay_alu instid0(VALU_DEP_1) | instskip(SKIP_2) | instid1(VALU_DEP_1)
	v_sub_co_u32 v3, s8, v2, s33
	s_subb_u32 s63, s9, s64
	s_cmp_lg_u32 s8, 0
	v_cmp_le_u32_e32 vcc_lo, s33, v3
	v_sub_co_u32 v6, s8, v3, s33
	s_subb_u32 s64, s63, 0
	s_cmp_lg_u32 s8, 0
	v_cndmask_b32_e64 v7, 0, -1, vcc_lo
	s_subb_u32 s8, s64, 0
	s_cmp_eq_u32 s64, 0
	v_mov_b32_e32 v9, s8
	s_cselect_b32 vcc_lo, -1, 0
	s_cmp_eq_u32 s63, 0
	v_cndmask_b32_e32 v7, -1, v7, vcc_lo
	v_cmp_le_u32_e32 vcc_lo, s33, v2
	s_cselect_b32 s8, -1, 0
	v_cndmask_b32_e64 v8, 0, -1, vcc_lo
	s_delay_alu instid0(VALU_DEP_3) | instskip(NEXT) | instid1(VALU_DEP_2)
	v_cmp_ne_u32_e32 vcc_lo, 0, v7
	v_cndmask_b32_e64 v7, -1, v8, s8
	v_cndmask_b32_e32 v8, s64, v9, vcc_lo
	v_cndmask_b32_e32 v6, v3, v6, vcc_lo
	s_delay_alu instid0(VALU_DEP_3) | instskip(NEXT) | instid1(VALU_DEP_3)
	v_cmp_ne_u32_e32 vcc_lo, 0, v7
	v_cndmask_b32_e32 v3, s63, v8, vcc_lo
	s_delay_alu instid0(VALU_DEP_3)
	v_cndmask_b32_e32 v2, v2, v6, vcc_lo
	s_cbranch_execnz .LBB132_176
.LBB132_175:                            ;   in Loop: Header=BB132_6 Depth=1
	v_cvt_f32_u32_e32 v2, s33
	s_sub_i32 s8, 0, s33
	s_delay_alu instid0(VALU_DEP_1) | instskip(SKIP_2) | instid1(VALU_DEP_1)
	v_rcp_iflag_f32_e32 v2, v2
	s_waitcnt_depctr 0xfff
	v_mul_f32_e32 v2, 0x4f7ffffe, v2
	v_cvt_u32_f32_e32 v2, v2
	s_delay_alu instid0(VALU_DEP_1) | instskip(NEXT) | instid1(VALU_DEP_1)
	v_mul_lo_u32 v3, s8, v2
	v_mul_hi_u32 v3, v2, v3
	s_delay_alu instid0(VALU_DEP_1) | instskip(NEXT) | instid1(VALU_DEP_1)
	v_add_nc_u32_e32 v2, v2, v3
	v_mul_hi_u32 v2, s26, v2
	s_delay_alu instid0(VALU_DEP_1) | instskip(NEXT) | instid1(VALU_DEP_1)
	v_mul_lo_u32 v2, v2, s33
	v_sub_nc_u32_e32 v2, s26, v2
	s_delay_alu instid0(VALU_DEP_1) | instskip(SKIP_1) | instid1(VALU_DEP_2)
	v_subrev_nc_u32_e32 v3, s33, v2
	v_cmp_le_u32_e32 vcc_lo, s33, v2
	v_cndmask_b32_e32 v2, v2, v3, vcc_lo
	s_delay_alu instid0(VALU_DEP_1) | instskip(SKIP_1) | instid1(VALU_DEP_2)
	v_subrev_nc_u32_e32 v3, s33, v2
	v_cmp_le_u32_e32 vcc_lo, s33, v2
	v_cndmask_b32_e32 v12, v2, v3, vcc_lo
	s_delay_alu instid0(VALU_DEP_1)
	v_dual_mov_b32 v2, v12 :: v_dual_mov_b32 v3, v13
.LBB132_176:                            ;   in Loop: Header=BB132_6 Depth=1
	s_delay_alu instid0(VALU_DEP_1) | instskip(NEXT) | instid1(VALU_DEP_2)
	v_sub_co_u32 v2, vcc_lo, s26, v2
	v_sub_co_ci_u32_e32 v3, vcc_lo, s9, v3, vcc_lo
	s_mov_b32 s8, 0
	s_mov_b32 s9, exec_lo
                                        ; implicit-def: $vgpr27
	s_delay_alu instid0(VALU_DEP_1)
	v_cmpx_gt_u64_e64 v[2:3], v[0:1]
	s_cbranch_execz .LBB132_188
; %bb.177:                              ;   in Loop: Header=BB132_6 Depth=1
	v_dual_mov_b32 v8, v0 :: v_dual_mov_b32 v7, v1
	v_mov_b32_e32 v6, v0
	s_mov_b32 s26, 0
                                        ; implicit-def: $sgpr63
	s_set_inst_prefetch_distance 0x1
	s_branch .LBB132_179
	.p2align	6
.LBB132_178:                            ;   in Loop: Header=BB132_179 Depth=2
	s_or_b32 exec_lo, exec_lo, s8
	s_waitcnt lgkmcnt(0)
	s_barrier
	buffer_gl0_inv
	ds_load_u16 v9, v13 offset:3072
	v_add_co_u32 v6, vcc_lo, v6, s33
	v_add_co_ci_u32_e32 v7, vcc_lo, 0, v7, vcc_lo
	v_add_nc_u32_e32 v8, s33, v8
	s_waitcnt lgkmcnt(0)
	s_barrier
	s_delay_alu instid0(VALU_DEP_2) | instskip(SKIP_2) | instid1(VALU_DEP_1)
	v_cmp_ge_u64_e32 vcc_lo, v[6:7], v[2:3]
	buffer_gl0_inv
	v_and_b32_e32 v12, 0xff, v9
	v_cmp_ne_u16_e64 s8, 0, v12
	s_delay_alu instid0(VALU_DEP_1) | instskip(NEXT) | instid1(SALU_CYCLE_1)
	s_or_b32 s64, vcc_lo, s8
	s_and_b32 s64, exec_lo, s64
	s_delay_alu instid0(SALU_CYCLE_1) | instskip(SKIP_2) | instid1(SALU_CYCLE_1)
	s_or_b32 s26, s64, s26
	s_and_not1_b32 s63, s63, exec_lo
	s_and_b32 s8, s8, exec_lo
	s_or_b32 s63, s63, s8
	s_and_not1_b32 exec_lo, exec_lo, s26
	s_cbranch_execz .LBB132_187
.LBB132_179:                            ;   Parent Loop BB132_6 Depth=1
                                        ; =>  This Inner Loop Header: Depth=2
	s_delay_alu instid0(VALU_DEP_1)
	v_cmp_gt_u64_e32 vcc_lo, s[18:19], v[6:7]
	v_mov_b32_e32 v9, 0
	s_and_saveexec_b32 s8, vcc_lo
	s_cbranch_execz .LBB132_181
; %bb.180:                              ;   in Loop: Header=BB132_179 Depth=2
	ds_load_u8 v9, v8
.LBB132_181:                            ;   in Loop: Header=BB132_179 Depth=2
	s_or_b32 exec_lo, exec_lo, s8
	s_and_saveexec_b32 s8, vcc_lo
	s_cbranch_execz .LBB132_178
; %bb.182:                              ;   in Loop: Header=BB132_179 Depth=2
	s_waitcnt lgkmcnt(0)
	v_bfe_i32 v12, v9, 0, 8
	s_delay_alu instid0(VALU_DEP_1) | instskip(NEXT) | instid1(VALU_DEP_1)
	v_add_nc_u32_e32 v12, 0x80, v12
	v_and_b32_e32 v12, v12, v26
	s_delay_alu instid0(VALU_DEP_1)
	v_cmp_eq_u32_e32 vcc_lo, v12, v25
	s_and_b32 exec_lo, exec_lo, vcc_lo
	s_cbranch_execz .LBB132_178
; %bb.183:                              ;   in Loop: Header=BB132_179 Depth=2
	v_lshlrev_b16 v9, 8, v9
	s_delay_alu instid0(VALU_DEP_1)
	v_or_b32_e32 v9, 1, v9
	ds_store_b16 v13, v9 offset:3072
	s_branch .LBB132_178
.LBB132_184:                            ;   in Loop: Header=BB132_6 Depth=1
                                        ; implicit-def: $vgpr4_vgpr5
	s_branch .LBB132_129
.LBB132_185:                            ;   in Loop: Header=BB132_6 Depth=1
                                        ; implicit-def: $vgpr4_vgpr5
	s_branch .LBB132_145
.LBB132_186:                            ;   in Loop: Header=BB132_6 Depth=1
	s_mov_b32 s63, -1
	s_mov_b32 s8, 0
                                        ; implicit-def: $sgpr64
                                        ; implicit-def: $vgpr27
	s_mov_b32 s65, s63
	s_cbranch_execnz .LBB132_189
	s_branch .LBB132_202
.LBB132_187:                            ;   in Loop: Header=BB132_6 Depth=1
	s_set_inst_prefetch_distance 0x2
	s_or_b32 exec_lo, exec_lo, s26
	v_lshrrev_b16 v27, 8, v9
	s_and_b32 s8, s63, exec_lo
.LBB132_188:                            ;   in Loop: Header=BB132_6 Depth=1
	s_or_b32 exec_lo, exec_lo, s9
	s_mov_b32 s64, -1
	s_mov_b32 s63, 0
	s_delay_alu instid0(SALU_CYCLE_1)
	s_mov_b32 s65, s63
	s_branch .LBB132_202
.LBB132_189:                            ;   in Loop: Header=BB132_6 Depth=1
	s_mov_b32 s26, s49
	s_delay_alu instid0(SALU_CYCLE_1)
	s_cmp_lg_u64 s[26:27], 0
	s_cbranch_scc0 .LBB132_222
; %bb.190:                              ;   in Loop: Header=BB132_6 Depth=1
	v_cvt_f32_u32_e32 v2, s33
	s_sub_u32 s18, 0, s33
	s_subb_u32 s19, 0, 0
	s_delay_alu instid0(VALU_DEP_1) | instskip(NEXT) | instid1(VALU_DEP_1)
	v_fmac_f32_e64 v2, 0, 0x4f800000
	v_rcp_f32_e32 v2, v2
	s_waitcnt_depctr 0xfff
	v_mul_f32_e32 v2, 0x5f7ffffc, v2
	s_delay_alu instid0(VALU_DEP_1) | instskip(NEXT) | instid1(VALU_DEP_1)
	v_mul_f32_e32 v3, 0x2f800000, v2
	v_trunc_f32_e32 v3, v3
	s_delay_alu instid0(VALU_DEP_1) | instskip(SKIP_1) | instid1(VALU_DEP_2)
	v_fmac_f32_e32 v2, 0xcf800000, v3
	v_cvt_u32_f32_e32 v3, v3
	v_cvt_u32_f32_e32 v2, v2
	s_delay_alu instid0(VALU_DEP_2) | instskip(NEXT) | instid1(VALU_DEP_2)
	v_readfirstlane_b32 s8, v3
	v_readfirstlane_b32 s9, v2
	s_delay_alu instid0(VALU_DEP_2) | instskip(NEXT) | instid1(VALU_DEP_1)
	s_mul_i32 s26, s18, s8
	s_mul_hi_u32 s64, s18, s9
	s_mul_i32 s63, s19, s9
	s_add_i32 s26, s64, s26
	s_mul_i32 s65, s18, s9
	s_add_i32 s26, s26, s63
	s_mul_hi_u32 s64, s9, s65
	s_mul_hi_u32 s95, s8, s65
	s_mul_i32 s63, s8, s65
	s_mul_hi_u32 s65, s9, s26
	s_mul_i32 s9, s9, s26
	s_mul_hi_u32 s96, s8, s26
	s_add_u32 s9, s64, s9
	s_addc_u32 s64, 0, s65
	s_add_u32 s9, s9, s63
	s_mul_i32 s26, s8, s26
	s_addc_u32 s9, s64, s95
	s_addc_u32 s63, s96, 0
	s_add_u32 s9, s9, s26
	s_addc_u32 s26, 0, s63
	v_add_co_u32 v2, s9, v2, s9
	s_delay_alu instid0(VALU_DEP_1) | instskip(SKIP_1) | instid1(VALU_DEP_1)
	s_cmp_lg_u32 s9, 0
	s_addc_u32 s8, s8, s26
	v_readfirstlane_b32 s9, v2
	s_mul_i32 s26, s18, s8
	s_delay_alu instid0(VALU_DEP_1)
	s_mul_hi_u32 s63, s18, s9
	s_mul_i32 s19, s19, s9
	s_add_i32 s26, s63, s26
	s_mul_i32 s18, s18, s9
	s_add_i32 s26, s26, s19
	s_mul_hi_u32 s63, s8, s18
	s_mul_i32 s64, s8, s18
	s_mul_hi_u32 s18, s9, s18
	s_mul_hi_u32 s65, s9, s26
	s_mul_i32 s9, s9, s26
	s_mul_hi_u32 s19, s8, s26
	s_add_u32 s9, s18, s9
	s_addc_u32 s18, 0, s65
	s_add_u32 s9, s9, s64
	s_mul_i32 s26, s8, s26
	s_addc_u32 s9, s18, s63
	s_addc_u32 s18, s19, 0
	s_add_u32 s9, s9, s26
	s_addc_u32 s18, 0, s18
	v_add_co_u32 v2, s9, v2, s9
	s_delay_alu instid0(VALU_DEP_1) | instskip(SKIP_1) | instid1(VALU_DEP_1)
	s_cmp_lg_u32 s9, 0
	s_addc_u32 s8, s8, s18
	v_readfirstlane_b32 s9, v2
	s_mul_i32 s19, s77, s8
	s_mul_hi_u32 s18, s77, s8
	s_mul_hi_u32 s26, s27, s8
	s_mul_i32 s8, s27, s8
	s_mul_hi_u32 s63, s77, s9
	s_mul_hi_u32 s64, s27, s9
	s_mul_i32 s9, s27, s9
	s_add_u32 s19, s63, s19
	s_addc_u32 s18, 0, s18
	s_add_u32 s9, s19, s9
	s_addc_u32 s9, s18, s64
	s_addc_u32 s18, s26, 0
	s_add_u32 s8, s9, s8
	s_addc_u32 s9, 0, s18
	s_mul_hi_u32 s18, s33, s8
	s_mul_i32 s8, s33, s8
	s_mul_i32 s9, s33, s9
	v_sub_co_u32 v2, s8, s77, s8
	s_add_i32 s18, s18, s9
	s_cmp_lg_u32 s8, 0
	s_delay_alu instid0(VALU_DEP_1) | instskip(SKIP_2) | instid1(VALU_DEP_1)
	v_sub_co_u32 v3, s8, v2, s33
	s_subb_u32 s9, s27, s18
	s_cmp_lg_u32 s8, 0
	v_cmp_le_u32_e32 vcc_lo, s33, v3
	v_sub_co_u32 v6, s8, v3, s33
	s_subb_u32 s18, s9, 0
	s_cmp_lg_u32 s8, 0
	v_cndmask_b32_e64 v7, 0, -1, vcc_lo
	s_subb_u32 s8, s18, 0
	s_cmp_eq_u32 s18, 0
	v_mov_b32_e32 v9, s8
	s_cselect_b32 vcc_lo, -1, 0
	s_cmp_eq_u32 s9, 0
	v_cndmask_b32_e32 v7, -1, v7, vcc_lo
	v_cmp_le_u32_e32 vcc_lo, s33, v2
	s_cselect_b32 s8, -1, 0
	v_cndmask_b32_e64 v8, 0, -1, vcc_lo
	s_delay_alu instid0(VALU_DEP_3) | instskip(NEXT) | instid1(VALU_DEP_2)
	v_cmp_ne_u32_e32 vcc_lo, 0, v7
	v_cndmask_b32_e64 v7, -1, v8, s8
	v_cndmask_b32_e32 v8, s18, v9, vcc_lo
	v_cndmask_b32_e32 v6, v3, v6, vcc_lo
	s_delay_alu instid0(VALU_DEP_3) | instskip(NEXT) | instid1(VALU_DEP_3)
	v_cmp_ne_u32_e32 vcc_lo, 0, v7
	v_cndmask_b32_e32 v3, s9, v8, vcc_lo
	s_delay_alu instid0(VALU_DEP_3)
	v_cndmask_b32_e32 v2, v2, v6, vcc_lo
	s_cbranch_execnz .LBB132_192
.LBB132_191:                            ;   in Loop: Header=BB132_6 Depth=1
	v_cvt_f32_u32_e32 v2, s33
	s_sub_i32 s8, 0, s33
	s_delay_alu instid0(VALU_DEP_1) | instskip(SKIP_2) | instid1(VALU_DEP_1)
	v_rcp_iflag_f32_e32 v2, v2
	s_waitcnt_depctr 0xfff
	v_mul_f32_e32 v2, 0x4f7ffffe, v2
	v_cvt_u32_f32_e32 v2, v2
	s_delay_alu instid0(VALU_DEP_1) | instskip(NEXT) | instid1(VALU_DEP_1)
	v_mul_lo_u32 v3, s8, v2
	v_mul_hi_u32 v3, v2, v3
	s_delay_alu instid0(VALU_DEP_1) | instskip(NEXT) | instid1(VALU_DEP_1)
	v_add_nc_u32_e32 v2, v2, v3
	v_mul_hi_u32 v2, s77, v2
	s_delay_alu instid0(VALU_DEP_1) | instskip(NEXT) | instid1(VALU_DEP_1)
	v_mul_lo_u32 v2, v2, s33
	v_sub_nc_u32_e32 v2, s77, v2
	s_delay_alu instid0(VALU_DEP_1) | instskip(SKIP_1) | instid1(VALU_DEP_2)
	v_subrev_nc_u32_e32 v3, s33, v2
	v_cmp_le_u32_e32 vcc_lo, s33, v2
	v_cndmask_b32_e32 v2, v2, v3, vcc_lo
	s_delay_alu instid0(VALU_DEP_1) | instskip(SKIP_1) | instid1(VALU_DEP_2)
	v_subrev_nc_u32_e32 v3, s33, v2
	v_cmp_le_u32_e32 vcc_lo, s33, v2
	v_cndmask_b32_e32 v12, v2, v3, vcc_lo
	s_delay_alu instid0(VALU_DEP_1)
	v_dual_mov_b32 v2, v12 :: v_dual_mov_b32 v3, v13
.LBB132_192:                            ;   in Loop: Header=BB132_6 Depth=1
	s_delay_alu instid0(VALU_DEP_1) | instskip(NEXT) | instid1(VALU_DEP_2)
	v_sub_co_u32 v2, vcc_lo, s77, v2
	v_sub_co_ci_u32_e32 v3, vcc_lo, s27, v3, vcc_lo
	s_mov_b32 s8, 0
	s_mov_b32 s9, exec_lo
                                        ; implicit-def: $vgpr27
	s_delay_alu instid0(VALU_DEP_1)
	v_cmpx_gt_u64_e64 v[2:3], v[0:1]
	s_cbranch_execz .LBB132_201
; %bb.193:                              ;   in Loop: Header=BB132_6 Depth=1
	v_dual_mov_b32 v6, v10 :: v_dual_mov_b32 v7, v11
	v_dual_mov_b32 v9, v1 :: v_dual_mov_b32 v8, v0
	s_mov_b32 s18, 0
                                        ; implicit-def: $sgpr19
	s_set_inst_prefetch_distance 0x1
	s_branch .LBB132_195
	.p2align	6
.LBB132_194:                            ;   in Loop: Header=BB132_195 Depth=2
	s_or_b32 exec_lo, exec_lo, s8
	s_waitcnt vmcnt(0) lgkmcnt(0)
	s_barrier
	buffer_gl0_inv
	ds_load_u16 v12, v13 offset:3072
	v_add_co_u32 v8, vcc_lo, v8, s33
	v_add_co_ci_u32_e32 v9, vcc_lo, 0, v9, vcc_lo
	s_waitcnt lgkmcnt(0)
	s_barrier
	buffer_gl0_inv
	v_cmp_ge_u64_e32 vcc_lo, v[8:9], v[2:3]
	v_and_b32_e32 v27, 0xff, v12
	s_delay_alu instid0(VALU_DEP_1) | instskip(NEXT) | instid1(VALU_DEP_1)
	v_cmp_ne_u16_e64 s8, 0, v27
	s_or_b32 s26, vcc_lo, s8
	v_add_co_u32 v6, vcc_lo, v6, s68
	s_and_b32 s26, exec_lo, s26
	v_add_co_ci_u32_e32 v7, vcc_lo, s41, v7, vcc_lo
	s_or_b32 s18, s26, s18
	s_and_not1_b32 s19, s19, exec_lo
	s_and_b32 s8, s8, exec_lo
	s_delay_alu instid0(SALU_CYCLE_1)
	s_or_b32 s19, s19, s8
	s_and_not1_b32 exec_lo, exec_lo, s18
	s_cbranch_execz .LBB132_200
.LBB132_195:                            ;   Parent Loop BB132_6 Depth=1
                                        ; =>  This Inner Loop Header: Depth=2
	s_delay_alu instid0(VALU_DEP_1)
	v_cmp_gt_u64_e32 vcc_lo, s[28:29], v[8:9]
	v_mov_b32_e32 v12, 0
	s_and_saveexec_b32 s8, vcc_lo
	s_cbranch_execz .LBB132_197
; %bb.196:                              ;   in Loop: Header=BB132_195 Depth=2
	global_load_u8 v12, v[6:7], off
.LBB132_197:                            ;   in Loop: Header=BB132_195 Depth=2
	s_or_b32 exec_lo, exec_lo, s8
	s_and_saveexec_b32 s8, vcc_lo
	s_cbranch_execz .LBB132_194
; %bb.198:                              ;   in Loop: Header=BB132_195 Depth=2
	s_waitcnt vmcnt(0)
	v_bfe_i32 v27, v12, 0, 8
	s_delay_alu instid0(VALU_DEP_1) | instskip(NEXT) | instid1(VALU_DEP_1)
	v_add_nc_u32_e32 v27, 0x80, v27
	v_and_b32_e32 v27, v27, v26
	s_delay_alu instid0(VALU_DEP_1)
	v_cmp_eq_u32_e32 vcc_lo, v27, v25
	s_and_b32 exec_lo, exec_lo, vcc_lo
	s_cbranch_execz .LBB132_194
; %bb.199:                              ;   in Loop: Header=BB132_195 Depth=2
	v_lshlrev_b16 v12, 8, v12
	s_delay_alu instid0(VALU_DEP_1)
	v_or_b32_e32 v12, 1, v12
	ds_store_b16 v13, v12 offset:3072
	s_branch .LBB132_194
.LBB132_200:                            ;   in Loop: Header=BB132_6 Depth=1
	s_set_inst_prefetch_distance 0x2
	s_or_b32 exec_lo, exec_lo, s18
	v_lshrrev_b16 v27, 8, v12
	s_and_b32 s8, s19, exec_lo
.LBB132_201:                            ;   in Loop: Header=BB132_6 Depth=1
	s_or_b32 exec_lo, exec_lo, s9
	s_mov_b32 s65, -1
	s_mov_b32 s63, 0
	s_mov_b32 s64, 0
.LBB132_202:                            ;   in Loop: Header=BB132_6 Depth=1
	s_or_not1_b32 s8, s8, exec_lo
.LBB132_203:                            ;   in Loop: Header=BB132_6 Depth=1
	s_or_b32 exec_lo, exec_lo, s66
	s_mov_b32 s26, 0
                                        ; implicit-def: $vgpr6
	s_and_saveexec_b32 s66, s8
	s_cbranch_execz .LBB132_268
; %bb.204:                              ;   in Loop: Header=BB132_6 Depth=1
	v_mov_b32_e32 v2, 1
	v_dual_mov_b32 v3, 0 :: v_dual_mov_b32 v6, 1
	s_xor_b32 s9, s67, -1
	s_delay_alu instid0(SALU_CYCLE_1)
	s_and_saveexec_b32 s8, s9
	s_cbranch_execz .LBB132_214
; %bb.205:                              ;   in Loop: Header=BB132_6 Depth=1
	s_mov_b32 s18, exec_lo
                                        ; implicit-def: $sgpr19
                                        ; implicit-def: $sgpr9
	v_cmpx_ge_u64_e64 s[14:15], v[4:5]
	s_xor_b32 s18, exec_lo, s18
	s_cbranch_execz .LBB132_211
; %bb.206:                              ;   in Loop: Header=BB132_6 Depth=1
	ds_load_b64 v[2:3], v13 offset:5120
	s_waitcnt lgkmcnt(0)
	v_cmp_ne_u64_e32 vcc_lo, 0, v[2:3]
	s_cbranch_vccnz .LBB132_210
; %bb.207:                              ;   in Loop: Header=BB132_6 Depth=1
	s_and_saveexec_b32 s9, s5
	s_cbranch_execz .LBB132_209
; %bb.208:                              ;   in Loop: Header=BB132_6 Depth=1
	v_dual_mov_b32 v2, s14 :: v_dual_mov_b32 v3, s15
	ds_store_b64 v13, v[2:3] offset:5128
.LBB132_209:                            ;   in Loop: Header=BB132_6 Depth=1
	s_or_b32 exec_lo, exec_lo, s9
	s_waitcnt lgkmcnt(0)
	s_barrier
	buffer_gl0_inv
.LBB132_210:                            ;   in Loop: Header=BB132_6 Depth=1
	s_lshl_b32 s9, 2, s22
	v_or_b32_e32 v26, s20, v26
	v_and_or_b32 v25, v25, s21, s9
	s_mov_b32 s9, 0
	s_mov_b32 s19, 8
.LBB132_211:                            ;   in Loop: Header=BB132_6 Depth=1
	s_or_saveexec_b32 s18, s18
	v_mov_b32_e32 v6, s19
	s_xor_b32 exec_lo, exec_lo, s18
; %bb.212:                              ;   in Loop: Header=BB132_6 Depth=1
	v_sub_co_u32 v4, vcc_lo, v4, s14
	v_subrev_co_ci_u32_e32 v5, vcc_lo, s15, v5, vcc_lo
	v_mov_b32_e32 v6, 0
	s_or_b32 s9, s9, exec_lo
; %bb.213:                              ;   in Loop: Header=BB132_6 Depth=1
	s_or_b32 exec_lo, exec_lo, s18
	s_delay_alu instid0(VALU_DEP_2)
	v_dual_mov_b32 v2, v4 :: v_dual_mov_b32 v3, v5
	s_and_b32 s26, s9, exec_lo
.LBB132_214:                            ;   in Loop: Header=BB132_6 Depth=1
	s_or_b32 exec_lo, exec_lo, s8
	s_mov_b32 s19, -1
                                        ; implicit-def: $sgpr8
                                        ; implicit-def: $sgpr18
                                        ; implicit-def: $sgpr9
	s_and_saveexec_b32 s67, s26
	s_cbranch_execz .LBB132_267
; %bb.215:                              ;   in Loop: Header=BB132_6 Depth=1
	v_cmp_eq_u64_e32 vcc_lo, 1, v[2:3]
	s_cmp_eq_u64 s[16:17], 1
	s_mov_b32 s26, -1
	s_cselect_b32 s8, -1, 0
                                        ; implicit-def: $sgpr18
                                        ; implicit-def: $sgpr9
	s_delay_alu instid0(SALU_CYCLE_1) | instskip(NEXT) | instid1(SALU_CYCLE_1)
	s_and_b32 s95, s8, vcc_lo
                                        ; implicit-def: $sgpr8
	s_and_saveexec_b32 s96, s95
	s_cbranch_execz .LBB132_254
; %bb.216:                              ;   in Loop: Header=BB132_6 Depth=1
	ds_load_b64 v[4:5], v13 offset:5120
	s_waitcnt lgkmcnt(0)
	s_barrier
	buffer_gl0_inv
	v_readfirstlane_b32 s18, v4
	v_readfirstlane_b32 s19, v5
	s_and_saveexec_b32 s8, s6
	s_cbranch_execz .LBB132_218
; %bb.217:                              ;   in Loop: Header=BB132_6 Depth=1
	ds_store_b8 v0, v13 offset:3072
.LBB132_218:                            ;   in Loop: Header=BB132_6 Depth=1
	s_or_b32 exec_lo, exec_lo, s8
	v_or_b32_e32 v25, s20, v25
	v_or_b32_e32 v26, s20, v26
	s_cmp_eq_u64 s[18:19], 0
	s_waitcnt lgkmcnt(0)
	s_barrier
	buffer_gl0_inv
	s_cbranch_scc1 .LBB132_223
; %bb.219:                              ;   in Loop: Header=BB132_6 Depth=1
	s_add_u32 s26, s75, s18
	s_addc_u32 s9, s76, s19
	s_mov_b32 s8, s49
	s_delay_alu instid0(SALU_CYCLE_1)
	s_cmp_lg_u64 s[8:9], 0
	s_cbranch_scc0 .LBB132_224
; %bb.220:                              ;   in Loop: Header=BB132_6 Depth=1
	v_cvt_f32_u32_e32 v4, s33
	s_sub_u32 s98, 0, s33
	s_subb_u32 s99, 0, 0
	s_delay_alu instid0(VALU_DEP_1) | instskip(NEXT) | instid1(VALU_DEP_1)
	v_fmac_f32_e64 v4, 0, 0x4f800000
	v_rcp_f32_e32 v4, v4
	s_waitcnt_depctr 0xfff
	v_mul_f32_e32 v4, 0x5f7ffffc, v4
	s_delay_alu instid0(VALU_DEP_1) | instskip(NEXT) | instid1(VALU_DEP_1)
	v_mul_f32_e32 v5, 0x2f800000, v4
	v_trunc_f32_e32 v5, v5
	s_delay_alu instid0(VALU_DEP_1) | instskip(SKIP_1) | instid1(VALU_DEP_2)
	v_fmac_f32_e32 v4, 0xcf800000, v5
	v_cvt_u32_f32_e32 v5, v5
	v_cvt_u32_f32_e32 v4, v4
	s_delay_alu instid0(VALU_DEP_2) | instskip(NEXT) | instid1(VALU_DEP_2)
	v_readfirstlane_b32 s8, v5
	v_readfirstlane_b32 s97, v4
	s_delay_alu instid0(VALU_DEP_2) | instskip(NEXT) | instid1(VALU_DEP_1)
	s_mul_i32 s100, s98, s8
	s_mul_hi_u32 s102, s98, s97
	s_mul_i32 s101, s99, s97
	s_add_i32 s100, s102, s100
	s_mul_i32 s103, s98, s97
	s_add_i32 s100, s100, s101
	s_mul_hi_u32 s102, s97, s103
	s_mul_hi_u32 s104, s8, s103
	s_mul_i32 s101, s8, s103
	s_mul_hi_u32 s103, s97, s100
	s_mul_i32 s97, s97, s100
	s_mul_hi_u32 vcc_lo, s8, s100
	s_add_u32 s97, s102, s97
	s_addc_u32 s102, 0, s103
	s_add_u32 s97, s97, s101
	s_mul_i32 s100, s8, s100
	s_addc_u32 s97, s102, s104
	s_addc_u32 s101, vcc_lo, 0
	s_add_u32 s97, s97, s100
	s_addc_u32 s100, 0, s101
	v_add_co_u32 v4, s97, v4, s97
	s_delay_alu instid0(VALU_DEP_1) | instskip(SKIP_1) | instid1(VALU_DEP_1)
	s_cmp_lg_u32 s97, 0
	s_addc_u32 s8, s8, s100
	v_readfirstlane_b32 s97, v4
	s_mul_i32 s100, s98, s8
	s_delay_alu instid0(VALU_DEP_1)
	s_mul_hi_u32 s101, s98, s97
	s_mul_i32 s99, s99, s97
	s_add_i32 s100, s101, s100
	s_mul_i32 s98, s98, s97
	s_add_i32 s100, s100, s99
	s_mul_hi_u32 s101, s8, s98
	s_mul_i32 s102, s8, s98
	s_mul_hi_u32 s98, s97, s98
	s_mul_hi_u32 s103, s97, s100
	s_mul_i32 s97, s97, s100
	s_mul_hi_u32 s99, s8, s100
	s_add_u32 s97, s98, s97
	s_addc_u32 s98, 0, s103
	s_add_u32 s97, s97, s102
	s_mul_i32 s100, s8, s100
	s_addc_u32 s97, s98, s101
	s_addc_u32 s98, s99, 0
	s_add_u32 s97, s97, s100
	s_addc_u32 s98, 0, s98
	v_add_co_u32 v4, s97, v4, s97
	s_delay_alu instid0(VALU_DEP_1) | instskip(SKIP_1) | instid1(VALU_DEP_1)
	s_cmp_lg_u32 s97, 0
	s_addc_u32 s8, s8, s98
	v_readfirstlane_b32 s97, v4
	s_mul_i32 s99, s26, s8
	s_mul_hi_u32 s98, s26, s8
	s_mul_hi_u32 s100, s9, s8
	s_mul_i32 s8, s9, s8
	s_mul_hi_u32 s101, s26, s97
	s_mul_hi_u32 s102, s9, s97
	s_mul_i32 s97, s9, s97
	s_add_u32 s99, s101, s99
	s_addc_u32 s98, 0, s98
	s_add_u32 s97, s99, s97
	s_addc_u32 s97, s98, s102
	s_addc_u32 s98, s100, 0
	s_add_u32 s8, s97, s8
	s_addc_u32 s97, 0, s98
	s_mul_hi_u32 s98, s33, s8
	s_mul_i32 s8, s33, s8
	s_mul_i32 s97, s33, s97
	v_sub_co_u32 v4, s8, s26, s8
	s_add_i32 s98, s98, s97
	s_cmp_lg_u32 s8, 0
	s_delay_alu instid0(VALU_DEP_1) | instskip(SKIP_2) | instid1(VALU_DEP_1)
	v_sub_co_u32 v5, s8, v4, s33
	s_subb_u32 s97, s9, s98
	s_cmp_lg_u32 s8, 0
	v_cmp_le_u32_e32 vcc_lo, s33, v5
	v_sub_co_u32 v6, s8, v5, s33
	s_subb_u32 s98, s97, 0
	s_cmp_lg_u32 s8, 0
	v_cndmask_b32_e64 v7, 0, -1, vcc_lo
	s_subb_u32 s8, s98, 0
	s_cmp_eq_u32 s98, 0
	v_mov_b32_e32 v9, s8
	s_cselect_b32 vcc_lo, -1, 0
	s_cmp_eq_u32 s97, 0
	v_cndmask_b32_e32 v7, -1, v7, vcc_lo
	v_cmp_le_u32_e32 vcc_lo, s33, v4
	s_cselect_b32 s8, -1, 0
	v_cndmask_b32_e64 v8, 0, -1, vcc_lo
	s_delay_alu instid0(VALU_DEP_3) | instskip(NEXT) | instid1(VALU_DEP_2)
	v_cmp_ne_u32_e32 vcc_lo, 0, v7
	v_cndmask_b32_e64 v7, -1, v8, s8
	v_cndmask_b32_e32 v8, s98, v9, vcc_lo
	v_cndmask_b32_e32 v6, v5, v6, vcc_lo
	s_mov_b32 s8, 0
	s_delay_alu instid0(VALU_DEP_3) | instskip(NEXT) | instid1(VALU_DEP_3)
	v_cmp_ne_u32_e32 vcc_lo, 0, v7
	v_cndmask_b32_e32 v5, s97, v8, vcc_lo
	s_delay_alu instid0(VALU_DEP_3)
	v_cndmask_b32_e32 v4, v4, v6, vcc_lo
	s_branch .LBB132_225
.LBB132_221:                            ;   in Loop: Header=BB132_6 Depth=1
                                        ; implicit-def: $vgpr2_vgpr3
	s_branch .LBB132_175
.LBB132_222:                            ;   in Loop: Header=BB132_6 Depth=1
                                        ; implicit-def: $vgpr2_vgpr3
	s_branch .LBB132_191
.LBB132_223:                            ;   in Loop: Header=BB132_6 Depth=1
	s_mov_b32 s8, -1
	s_mov_b32 s26, 0
                                        ; implicit-def: $sgpr9
                                        ; implicit-def: $vgpr27
	s_branch .LBB132_237
.LBB132_224:                            ;   in Loop: Header=BB132_6 Depth=1
	s_mov_b32 s8, -1
                                        ; implicit-def: $vgpr4_vgpr5
.LBB132_225:                            ;   in Loop: Header=BB132_6 Depth=1
	s_delay_alu instid0(SALU_CYCLE_1)
	s_and_not1_b32 vcc_lo, exec_lo, s8
	s_cbranch_vccnz .LBB132_227
; %bb.226:                              ;   in Loop: Header=BB132_6 Depth=1
	v_cvt_f32_u32_e32 v4, s33
	s_sub_i32 s8, 0, s33
	s_delay_alu instid0(VALU_DEP_1) | instskip(SKIP_2) | instid1(VALU_DEP_1)
	v_rcp_iflag_f32_e32 v4, v4
	s_waitcnt_depctr 0xfff
	v_mul_f32_e32 v4, 0x4f7ffffe, v4
	v_cvt_u32_f32_e32 v4, v4
	s_delay_alu instid0(VALU_DEP_1) | instskip(NEXT) | instid1(VALU_DEP_1)
	v_mul_lo_u32 v5, s8, v4
	v_mul_hi_u32 v5, v4, v5
	s_delay_alu instid0(VALU_DEP_1) | instskip(NEXT) | instid1(VALU_DEP_1)
	v_add_nc_u32_e32 v4, v4, v5
	v_mul_hi_u32 v4, s26, v4
	s_delay_alu instid0(VALU_DEP_1) | instskip(NEXT) | instid1(VALU_DEP_1)
	v_mul_lo_u32 v4, v4, s33
	v_sub_nc_u32_e32 v4, s26, v4
	s_delay_alu instid0(VALU_DEP_1) | instskip(SKIP_1) | instid1(VALU_DEP_2)
	v_subrev_nc_u32_e32 v5, s33, v4
	v_cmp_le_u32_e32 vcc_lo, s33, v4
	v_cndmask_b32_e32 v4, v4, v5, vcc_lo
	s_delay_alu instid0(VALU_DEP_1) | instskip(SKIP_1) | instid1(VALU_DEP_2)
	v_subrev_nc_u32_e32 v5, s33, v4
	v_cmp_le_u32_e32 vcc_lo, s33, v4
	v_cndmask_b32_e32 v12, v4, v5, vcc_lo
	s_delay_alu instid0(VALU_DEP_1)
	v_dual_mov_b32 v4, v12 :: v_dual_mov_b32 v5, v13
.LBB132_227:                            ;   in Loop: Header=BB132_6 Depth=1
	s_delay_alu instid0(VALU_DEP_1) | instskip(NEXT) | instid1(VALU_DEP_2)
	v_sub_co_u32 v4, vcc_lo, s26, v4
	v_sub_co_ci_u32_e32 v5, vcc_lo, s9, v5, vcc_lo
	s_mov_b32 s26, 0
	s_mov_b32 s9, exec_lo
                                        ; implicit-def: $vgpr27
	s_delay_alu instid0(VALU_DEP_1)
	v_cmpx_gt_u64_e64 v[4:5], v[0:1]
	s_cbranch_execz .LBB132_236
; %bb.228:                              ;   in Loop: Header=BB132_6 Depth=1
	v_dual_mov_b32 v8, v0 :: v_dual_mov_b32 v7, v1
	v_mov_b32_e32 v6, v0
                                        ; implicit-def: $sgpr97
	s_set_inst_prefetch_distance 0x1
	s_branch .LBB132_230
	.p2align	6
.LBB132_229:                            ;   in Loop: Header=BB132_230 Depth=2
	s_or_b32 exec_lo, exec_lo, s8
	s_waitcnt lgkmcnt(0)
	s_barrier
	buffer_gl0_inv
	ds_load_u16 v9, v13 offset:3072
	v_add_co_u32 v6, vcc_lo, v6, s33
	v_add_co_ci_u32_e32 v7, vcc_lo, 0, v7, vcc_lo
	v_add_nc_u32_e32 v8, s33, v8
	s_waitcnt lgkmcnt(0)
	s_barrier
	s_delay_alu instid0(VALU_DEP_2) | instskip(SKIP_2) | instid1(VALU_DEP_1)
	v_cmp_ge_u64_e32 vcc_lo, v[6:7], v[4:5]
	buffer_gl0_inv
	v_and_b32_e32 v12, 0xff, v9
	v_cmp_ne_u16_e64 s8, 0, v12
	s_delay_alu instid0(VALU_DEP_1) | instskip(NEXT) | instid1(SALU_CYCLE_1)
	s_or_b32 s98, vcc_lo, s8
	s_and_b32 s98, exec_lo, s98
	s_delay_alu instid0(SALU_CYCLE_1) | instskip(SKIP_2) | instid1(SALU_CYCLE_1)
	s_or_b32 s26, s98, s26
	s_and_not1_b32 s97, s97, exec_lo
	s_and_b32 s8, s8, exec_lo
	s_or_b32 s97, s97, s8
	s_and_not1_b32 exec_lo, exec_lo, s26
	s_cbranch_execz .LBB132_235
.LBB132_230:                            ;   Parent Loop BB132_6 Depth=1
                                        ; =>  This Inner Loop Header: Depth=2
	s_delay_alu instid0(VALU_DEP_1)
	v_cmp_gt_u64_e32 vcc_lo, s[18:19], v[6:7]
	v_mov_b32_e32 v9, 0
	s_and_saveexec_b32 s8, vcc_lo
	s_cbranch_execz .LBB132_232
; %bb.231:                              ;   in Loop: Header=BB132_230 Depth=2
	ds_load_u8 v9, v8
.LBB132_232:                            ;   in Loop: Header=BB132_230 Depth=2
	s_or_b32 exec_lo, exec_lo, s8
	s_and_saveexec_b32 s8, vcc_lo
	s_cbranch_execz .LBB132_229
; %bb.233:                              ;   in Loop: Header=BB132_230 Depth=2
	s_waitcnt lgkmcnt(0)
	v_bfe_i32 v12, v9, 0, 8
	s_delay_alu instid0(VALU_DEP_1) | instskip(NEXT) | instid1(VALU_DEP_1)
	v_add_nc_u32_e32 v12, 0x80, v12
	v_and_b32_e32 v12, v12, v26
	s_delay_alu instid0(VALU_DEP_1)
	v_cmp_eq_u32_e32 vcc_lo, v12, v25
	s_and_b32 exec_lo, exec_lo, vcc_lo
	s_cbranch_execz .LBB132_229
; %bb.234:                              ;   in Loop: Header=BB132_230 Depth=2
	v_lshlrev_b16 v9, 8, v9
	s_delay_alu instid0(VALU_DEP_1)
	v_or_b32_e32 v9, 1, v9
	ds_store_b16 v13, v9 offset:3072
	s_branch .LBB132_229
.LBB132_235:                            ;   in Loop: Header=BB132_6 Depth=1
	s_set_inst_prefetch_distance 0x2
	s_or_b32 exec_lo, exec_lo, s26
	v_lshrrev_b16 v27, 8, v9
	s_and_b32 s26, s97, exec_lo
.LBB132_236:                            ;   in Loop: Header=BB132_6 Depth=1
	s_or_b32 exec_lo, exec_lo, s9
	s_mov_b32 s9, -1
	s_mov_b32 s8, 0
.LBB132_237:                            ;   in Loop: Header=BB132_6 Depth=1
	s_delay_alu instid0(SALU_CYCLE_1)
	s_and_b32 vcc_lo, exec_lo, s8
	s_mov_b32 s18, s8
	s_cbranch_vccz .LBB132_253
; %bb.238:                              ;   in Loop: Header=BB132_6 Depth=1
	s_mov_b32 s26, s49
	s_delay_alu instid0(SALU_CYCLE_1)
	s_cmp_lg_u64 s[26:27], 0
	s_cbranch_scc0 .LBB132_240
; %bb.239:                              ;   in Loop: Header=BB132_6 Depth=1
	v_cvt_f32_u32_e32 v4, s33
	s_sub_u32 s18, 0, s33
	s_subb_u32 s19, 0, 0
	s_delay_alu instid0(VALU_DEP_1) | instskip(NEXT) | instid1(VALU_DEP_1)
	v_fmac_f32_e64 v4, 0, 0x4f800000
	v_rcp_f32_e32 v4, v4
	s_waitcnt_depctr 0xfff
	v_mul_f32_e32 v4, 0x5f7ffffc, v4
	s_delay_alu instid0(VALU_DEP_1) | instskip(NEXT) | instid1(VALU_DEP_1)
	v_mul_f32_e32 v5, 0x2f800000, v4
	v_trunc_f32_e32 v5, v5
	s_delay_alu instid0(VALU_DEP_1) | instskip(SKIP_1) | instid1(VALU_DEP_2)
	v_fmac_f32_e32 v4, 0xcf800000, v5
	v_cvt_u32_f32_e32 v5, v5
	v_cvt_u32_f32_e32 v4, v4
	s_delay_alu instid0(VALU_DEP_2) | instskip(NEXT) | instid1(VALU_DEP_2)
	v_readfirstlane_b32 s8, v5
	v_readfirstlane_b32 s9, v4
	s_delay_alu instid0(VALU_DEP_2) | instskip(NEXT) | instid1(VALU_DEP_1)
	s_mul_i32 s26, s18, s8
	s_mul_hi_u32 s98, s18, s9
	s_mul_i32 s97, s19, s9
	s_add_i32 s26, s98, s26
	s_mul_i32 s99, s18, s9
	s_add_i32 s26, s26, s97
	s_mul_hi_u32 s98, s9, s99
	s_mul_hi_u32 s100, s8, s99
	s_mul_i32 s97, s8, s99
	s_mul_hi_u32 s99, s9, s26
	s_mul_i32 s9, s9, s26
	s_mul_hi_u32 s101, s8, s26
	s_add_u32 s9, s98, s9
	s_addc_u32 s98, 0, s99
	s_add_u32 s9, s9, s97
	s_mul_i32 s26, s8, s26
	s_addc_u32 s9, s98, s100
	s_addc_u32 s97, s101, 0
	s_add_u32 s9, s9, s26
	s_addc_u32 s26, 0, s97
	v_add_co_u32 v4, s9, v4, s9
	s_delay_alu instid0(VALU_DEP_1) | instskip(SKIP_1) | instid1(VALU_DEP_1)
	s_cmp_lg_u32 s9, 0
	s_addc_u32 s8, s8, s26
	v_readfirstlane_b32 s9, v4
	s_mul_i32 s26, s18, s8
	s_delay_alu instid0(VALU_DEP_1)
	s_mul_hi_u32 s97, s18, s9
	s_mul_i32 s19, s19, s9
	s_add_i32 s26, s97, s26
	s_mul_i32 s18, s18, s9
	s_add_i32 s26, s26, s19
	s_mul_hi_u32 s97, s8, s18
	s_mul_i32 s98, s8, s18
	s_mul_hi_u32 s18, s9, s18
	s_mul_hi_u32 s99, s9, s26
	s_mul_i32 s9, s9, s26
	s_mul_hi_u32 s19, s8, s26
	s_add_u32 s9, s18, s9
	s_addc_u32 s18, 0, s99
	s_add_u32 s9, s9, s98
	s_mul_i32 s26, s8, s26
	s_addc_u32 s9, s18, s97
	s_addc_u32 s18, s19, 0
	s_add_u32 s9, s9, s26
	s_addc_u32 s18, 0, s18
	v_add_co_u32 v4, s9, v4, s9
	s_delay_alu instid0(VALU_DEP_1) | instskip(SKIP_1) | instid1(VALU_DEP_1)
	s_cmp_lg_u32 s9, 0
	s_addc_u32 s8, s8, s18
	v_readfirstlane_b32 s9, v4
	s_mul_i32 s19, s77, s8
	s_mul_hi_u32 s18, s77, s8
	s_mul_hi_u32 s26, s27, s8
	s_mul_i32 s8, s27, s8
	s_mul_hi_u32 s97, s77, s9
	s_mul_hi_u32 s98, s27, s9
	s_mul_i32 s9, s27, s9
	s_add_u32 s19, s97, s19
	s_addc_u32 s18, 0, s18
	s_add_u32 s9, s19, s9
	s_addc_u32 s9, s18, s98
	s_addc_u32 s18, s26, 0
	s_add_u32 s8, s9, s8
	s_addc_u32 s9, 0, s18
	s_mul_hi_u32 s18, s33, s8
	s_mul_i32 s8, s33, s8
	s_mul_i32 s9, s33, s9
	v_sub_co_u32 v4, s8, s77, s8
	s_add_i32 s18, s18, s9
	s_cmp_lg_u32 s8, 0
	s_delay_alu instid0(VALU_DEP_1) | instskip(SKIP_2) | instid1(VALU_DEP_1)
	v_sub_co_u32 v5, s8, v4, s33
	s_subb_u32 s9, s27, s18
	s_cmp_lg_u32 s8, 0
	v_cmp_le_u32_e32 vcc_lo, s33, v5
	v_sub_co_u32 v6, s8, v5, s33
	s_subb_u32 s18, s9, 0
	s_cmp_lg_u32 s8, 0
	v_cndmask_b32_e64 v7, 0, -1, vcc_lo
	s_subb_u32 s8, s18, 0
	s_cmp_eq_u32 s18, 0
	v_mov_b32_e32 v9, s8
	s_cselect_b32 vcc_lo, -1, 0
	s_cmp_eq_u32 s9, 0
	v_cndmask_b32_e32 v7, -1, v7, vcc_lo
	v_cmp_le_u32_e32 vcc_lo, s33, v4
	s_cselect_b32 s8, -1, 0
	v_cndmask_b32_e64 v8, 0, -1, vcc_lo
	s_delay_alu instid0(VALU_DEP_3) | instskip(NEXT) | instid1(VALU_DEP_2)
	v_cmp_ne_u32_e32 vcc_lo, 0, v7
	v_cndmask_b32_e64 v7, -1, v8, s8
	v_cndmask_b32_e32 v8, s18, v9, vcc_lo
	v_cndmask_b32_e32 v6, v5, v6, vcc_lo
	s_mov_b32 s8, 0
	s_delay_alu instid0(VALU_DEP_3) | instskip(NEXT) | instid1(VALU_DEP_3)
	v_cmp_ne_u32_e32 vcc_lo, 0, v7
	v_cndmask_b32_e32 v5, s9, v8, vcc_lo
	s_delay_alu instid0(VALU_DEP_3)
	v_cndmask_b32_e32 v4, v4, v6, vcc_lo
	s_branch .LBB132_241
.LBB132_240:                            ;   in Loop: Header=BB132_6 Depth=1
	s_mov_b32 s8, -1
                                        ; implicit-def: $vgpr4_vgpr5
.LBB132_241:                            ;   in Loop: Header=BB132_6 Depth=1
	s_delay_alu instid0(SALU_CYCLE_1)
	s_and_not1_b32 vcc_lo, exec_lo, s8
	s_cbranch_vccnz .LBB132_243
; %bb.242:                              ;   in Loop: Header=BB132_6 Depth=1
	v_cvt_f32_u32_e32 v4, s33
	s_sub_i32 s8, 0, s33
	s_delay_alu instid0(VALU_DEP_1) | instskip(SKIP_2) | instid1(VALU_DEP_1)
	v_rcp_iflag_f32_e32 v4, v4
	s_waitcnt_depctr 0xfff
	v_mul_f32_e32 v4, 0x4f7ffffe, v4
	v_cvt_u32_f32_e32 v4, v4
	s_delay_alu instid0(VALU_DEP_1) | instskip(NEXT) | instid1(VALU_DEP_1)
	v_mul_lo_u32 v5, s8, v4
	v_mul_hi_u32 v5, v4, v5
	s_delay_alu instid0(VALU_DEP_1) | instskip(NEXT) | instid1(VALU_DEP_1)
	v_add_nc_u32_e32 v4, v4, v5
	v_mul_hi_u32 v4, s77, v4
	s_delay_alu instid0(VALU_DEP_1) | instskip(NEXT) | instid1(VALU_DEP_1)
	v_mul_lo_u32 v4, v4, s33
	v_sub_nc_u32_e32 v4, s77, v4
	s_delay_alu instid0(VALU_DEP_1) | instskip(SKIP_1) | instid1(VALU_DEP_2)
	v_subrev_nc_u32_e32 v5, s33, v4
	v_cmp_le_u32_e32 vcc_lo, s33, v4
	v_cndmask_b32_e32 v4, v4, v5, vcc_lo
	s_delay_alu instid0(VALU_DEP_1) | instskip(SKIP_1) | instid1(VALU_DEP_2)
	v_subrev_nc_u32_e32 v5, s33, v4
	v_cmp_le_u32_e32 vcc_lo, s33, v4
	v_cndmask_b32_e32 v12, v4, v5, vcc_lo
	s_delay_alu instid0(VALU_DEP_1)
	v_dual_mov_b32 v4, v12 :: v_dual_mov_b32 v5, v13
.LBB132_243:                            ;   in Loop: Header=BB132_6 Depth=1
	s_delay_alu instid0(VALU_DEP_1) | instskip(NEXT) | instid1(VALU_DEP_2)
	v_sub_co_u32 v4, vcc_lo, s77, v4
	v_sub_co_ci_u32_e32 v5, vcc_lo, s27, v5, vcc_lo
	s_mov_b32 s26, 0
	s_mov_b32 s9, exec_lo
                                        ; implicit-def: $vgpr27
	s_delay_alu instid0(VALU_DEP_1)
	v_cmpx_gt_u64_e64 v[4:5], v[0:1]
	s_cbranch_execz .LBB132_252
; %bb.244:                              ;   in Loop: Header=BB132_6 Depth=1
	v_dual_mov_b32 v6, v10 :: v_dual_mov_b32 v7, v11
	v_dual_mov_b32 v9, v1 :: v_dual_mov_b32 v8, v0
	s_mov_b32 s18, 0
                                        ; implicit-def: $sgpr19
	s_set_inst_prefetch_distance 0x1
	s_branch .LBB132_246
	.p2align	6
.LBB132_245:                            ;   in Loop: Header=BB132_246 Depth=2
	s_or_b32 exec_lo, exec_lo, s8
	s_waitcnt vmcnt(0) lgkmcnt(0)
	s_barrier
	buffer_gl0_inv
	ds_load_u16 v12, v13 offset:3072
	v_add_co_u32 v8, vcc_lo, v8, s33
	v_add_co_ci_u32_e32 v9, vcc_lo, 0, v9, vcc_lo
	s_waitcnt lgkmcnt(0)
	s_barrier
	buffer_gl0_inv
	v_cmp_ge_u64_e32 vcc_lo, v[8:9], v[4:5]
	v_and_b32_e32 v27, 0xff, v12
	s_delay_alu instid0(VALU_DEP_1) | instskip(NEXT) | instid1(VALU_DEP_1)
	v_cmp_ne_u16_e64 s8, 0, v27
	s_or_b32 s26, vcc_lo, s8
	v_add_co_u32 v6, vcc_lo, v6, s68
	s_and_b32 s26, exec_lo, s26
	v_add_co_ci_u32_e32 v7, vcc_lo, s41, v7, vcc_lo
	s_or_b32 s18, s26, s18
	s_and_not1_b32 s19, s19, exec_lo
	s_and_b32 s8, s8, exec_lo
	s_delay_alu instid0(SALU_CYCLE_1)
	s_or_b32 s19, s19, s8
	s_and_not1_b32 exec_lo, exec_lo, s18
	s_cbranch_execz .LBB132_251
.LBB132_246:                            ;   Parent Loop BB132_6 Depth=1
                                        ; =>  This Inner Loop Header: Depth=2
	s_delay_alu instid0(VALU_DEP_1)
	v_cmp_gt_u64_e32 vcc_lo, s[28:29], v[8:9]
	v_mov_b32_e32 v12, 0
	s_and_saveexec_b32 s8, vcc_lo
	s_cbranch_execz .LBB132_248
; %bb.247:                              ;   in Loop: Header=BB132_246 Depth=2
	global_load_u8 v12, v[6:7], off
.LBB132_248:                            ;   in Loop: Header=BB132_246 Depth=2
	s_or_b32 exec_lo, exec_lo, s8
	s_and_saveexec_b32 s8, vcc_lo
	s_cbranch_execz .LBB132_245
; %bb.249:                              ;   in Loop: Header=BB132_246 Depth=2
	s_waitcnt vmcnt(0)
	v_bfe_i32 v27, v12, 0, 8
	s_delay_alu instid0(VALU_DEP_1) | instskip(NEXT) | instid1(VALU_DEP_1)
	v_add_nc_u32_e32 v27, 0x80, v27
	v_and_b32_e32 v27, v27, v26
	s_delay_alu instid0(VALU_DEP_1)
	v_cmp_eq_u32_e32 vcc_lo, v27, v25
	s_and_b32 exec_lo, exec_lo, vcc_lo
	s_cbranch_execz .LBB132_245
; %bb.250:                              ;   in Loop: Header=BB132_246 Depth=2
	v_lshlrev_b16 v12, 8, v12
	s_delay_alu instid0(VALU_DEP_1)
	v_or_b32_e32 v12, 1, v12
	ds_store_b16 v13, v12 offset:3072
	s_branch .LBB132_245
.LBB132_251:                            ;   in Loop: Header=BB132_6 Depth=1
	s_set_inst_prefetch_distance 0x2
	s_or_b32 exec_lo, exec_lo, s18
	v_lshrrev_b16 v27, 8, v12
	s_and_b32 s26, s19, exec_lo
.LBB132_252:                            ;   in Loop: Header=BB132_6 Depth=1
	s_or_b32 exec_lo, exec_lo, s9
	s_mov_b32 s18, -1
	s_mov_b32 s8, 0
	s_mov_b32 s9, 0
.LBB132_253:                            ;   in Loop: Header=BB132_6 Depth=1
	s_or_not1_b32 s26, s26, exec_lo
.LBB132_254:                            ;   in Loop: Header=BB132_6 Depth=1
	s_or_b32 exec_lo, exec_lo, s96
	s_mov_b32 s96, 0
                                        ; implicit-def: $vgpr6
                                        ; implicit-def: $vgpr4_vgpr5
	s_and_saveexec_b32 s19, s26
	s_cbranch_execz .LBB132_266
; %bb.255:                              ;   in Loop: Header=BB132_6 Depth=1
	v_mov_b32_e32 v4, 1
	v_dual_mov_b32 v5, 0 :: v_dual_mov_b32 v6, 1
	s_xor_b32 s95, s95, -1
	s_delay_alu instid0(SALU_CYCLE_1)
	s_and_saveexec_b32 s26, s95
	s_cbranch_execz .LBB132_265
; %bb.256:                              ;   in Loop: Header=BB132_6 Depth=1
	s_mov_b32 s95, exec_lo
                                        ; implicit-def: $sgpr96
	v_cmpx_ge_u64_e64 s[16:17], v[2:3]
	s_xor_b32 s95, exec_lo, s95
	s_cbranch_execz .LBB132_262
; %bb.257:                              ;   in Loop: Header=BB132_6 Depth=1
	ds_load_b64 v[4:5], v13 offset:5120
	s_waitcnt lgkmcnt(0)
	v_cmp_ne_u64_e32 vcc_lo, 0, v[4:5]
	s_cbranch_vccnz .LBB132_261
; %bb.258:                              ;   in Loop: Header=BB132_6 Depth=1
	s_and_saveexec_b32 s96, s5
	s_cbranch_execz .LBB132_260
; %bb.259:                              ;   in Loop: Header=BB132_6 Depth=1
	v_dual_mov_b32 v4, s16 :: v_dual_mov_b32 v5, s17
	ds_store_b64 v13, v[4:5] offset:5128
.LBB132_260:                            ;   in Loop: Header=BB132_6 Depth=1
	s_or_b32 exec_lo, exec_lo, s96
	s_waitcnt lgkmcnt(0)
	s_barrier
	buffer_gl0_inv
.LBB132_261:                            ;   in Loop: Header=BB132_6 Depth=1
	v_or_b32_e32 v25, s20, v25
	v_or_b32_e32 v26, s20, v26
	s_mov_b32 s96, 8
.LBB132_262:                            ;   in Loop: Header=BB132_6 Depth=1
	s_or_saveexec_b32 s95, s95
	v_mov_b32_e32 v6, s96
	s_xor_b32 exec_lo, exec_lo, s95
; %bb.263:                              ;   in Loop: Header=BB132_6 Depth=1
	v_sub_co_u32 v2, vcc_lo, v2, s16
	v_subrev_co_ci_u32_e32 v3, vcc_lo, s17, v3, vcc_lo
	v_mov_b32_e32 v6, 8
; %bb.264:                              ;   in Loop: Header=BB132_6 Depth=1
	s_or_b32 exec_lo, exec_lo, s95
	s_delay_alu instid0(VALU_DEP_2)
	v_dual_mov_b32 v5, v3 :: v_dual_mov_b32 v4, v2
.LBB132_265:                            ;   in Loop: Header=BB132_6 Depth=1
	s_or_b32 exec_lo, exec_lo, s26
	s_delay_alu instid0(SALU_CYCLE_1)
	s_mov_b32 s96, exec_lo
.LBB132_266:                            ;   in Loop: Header=BB132_6 Depth=1
	s_or_b32 exec_lo, exec_lo, s19
	s_delay_alu instid0(VALU_DEP_1)
	v_dual_mov_b32 v2, v4 :: v_dual_mov_b32 v3, v5
	s_or_not1_b32 s19, s96, exec_lo
.LBB132_267:                            ;   in Loop: Header=BB132_6 Depth=1
	s_or_b32 exec_lo, exec_lo, s67
	s_delay_alu instid0(SALU_CYCLE_1)
	s_and_not1_b32 s26, s63, exec_lo
	s_and_b32 s8, s8, exec_lo
	v_dual_mov_b32 v5, v3 :: v_dual_mov_b32 v4, v2
	s_or_b32 s63, s26, s8
	s_and_not1_b32 s8, s65, exec_lo
	s_and_b32 s18, s18, exec_lo
	s_and_not1_b32 s26, s64, exec_lo
	s_and_b32 s9, s9, exec_lo
	s_or_b32 s65, s8, s18
	s_or_b32 s64, s26, s9
	s_and_b32 s26, s19, exec_lo
.LBB132_268:                            ;   in Loop: Header=BB132_6 Depth=1
	s_or_b32 exec_lo, exec_lo, s66
	s_delay_alu instid0(SALU_CYCLE_1)
	s_and_b32 s19, s63, exec_lo
	s_and_b32 s18, s65, exec_lo
	;; [unrolled: 1-line block ×3, first 2 shown]
	s_or_not1_b32 s8, s26, exec_lo
.LBB132_269:                            ;   in Loop: Header=BB132_6 Depth=1
	s_or_b32 exec_lo, exec_lo, s62
	s_delay_alu instid0(SALU_CYCLE_1)
	s_and_not1_b32 s25, s25, exec_lo
	s_and_b32 s19, s19, exec_lo
	v_dual_mov_b32 v2, v4 :: v_dual_mov_b32 v3, v5
	s_or_b32 s25, s25, s19
	s_and_not1_b32 s19, s60, exec_lo
	s_and_b32 s18, s18, exec_lo
	s_and_not1_b32 s26, s59, exec_lo
	s_and_b32 s9, s9, exec_lo
	s_or_b32 s60, s19, s18
	s_or_b32 s59, s26, s9
	s_and_b32 s26, s8, exec_lo
.LBB132_270:                            ;   in Loop: Header=BB132_6 Depth=1
	s_or_b32 exec_lo, exec_lo, s61
	s_delay_alu instid0(SALU_CYCLE_1)
	s_and_b32 s19, s25, exec_lo
	s_and_b32 s18, s60, exec_lo
	;; [unrolled: 1-line block ×3, first 2 shown]
	s_or_not1_b32 s25, s26, exec_lo
.LBB132_271:                            ;   in Loop: Header=BB132_6 Depth=1
	s_or_b32 exec_lo, exec_lo, s24
	s_mov_b32 s8, 0
	s_mov_b32 s24, 0
	s_and_saveexec_b32 s26, s25
	s_delay_alu instid0(SALU_CYCLE_1)
	s_xor_b32 s25, exec_lo, s26
; %bb.272:                              ;   in Loop: Header=BB132_6 Depth=1
	v_cmp_ne_u32_e32 vcc_lo, 8, v6
	v_cmp_eq_u32_e64 s8, 8, v6
	s_and_not1_b32 s19, s19, exec_lo
	s_and_not1_b32 s18, s18, exec_lo
	;; [unrolled: 1-line block ×3, first 2 shown]
	s_and_b32 s24, vcc_lo, exec_lo
	s_and_b32 s8, s8, exec_lo
; %bb.273:                              ;   in Loop: Header=BB132_6 Depth=1
	s_or_b32 exec_lo, exec_lo, s25
	s_delay_alu instid0(SALU_CYCLE_1)
	s_and_not1_b32 s23, s23, exec_lo
	s_and_b32 s19, s19, exec_lo
	s_and_b32 s18, s18, exec_lo
	s_or_b32 s23, s23, s19
	s_and_not1_b32 s19, s56, exec_lo
	s_and_not1_b32 s25, s48, exec_lo
	s_and_b32 s9, s9, exec_lo
	s_or_b32 s56, s19, s18
	s_or_b32 s48, s25, s9
	s_and_b32 s24, s24, exec_lo
	s_and_b32 s25, s8, exec_lo
.LBB132_274:                            ;   in Loop: Header=BB132_6 Depth=1
	s_or_b32 exec_lo, exec_lo, s58
	s_delay_alu instid0(SALU_CYCLE_1)
	s_and_b32 vcc_lo, exec_lo, s57
	s_cbranch_vccz .LBB132_93
.LBB132_275:                            ;   in Loop: Header=BB132_6 Depth=1
	s_cmp_eq_u64 s[16:17], 1
                                        ; implicit-def: $sgpr18
                                        ; implicit-def: $sgpr19
                                        ; implicit-def: $sgpr23
	s_cselect_b32 s8, -1, 0
	s_delay_alu instid0(SALU_CYCLE_1)
	s_and_b32 s56, s8, s7
	s_mov_b32 s7, -1
	s_and_saveexec_b32 s48, s56
	s_cbranch_execz .LBB132_307
; %bb.276:                              ;   in Loop: Header=BB132_6 Depth=1
	ds_load_b64 v[2:3], v13 offset:5120
	s_waitcnt lgkmcnt(0)
	s_barrier
	buffer_gl0_inv
	v_readfirstlane_b32 s8, v2
	v_readfirstlane_b32 s9, v3
	s_and_saveexec_b32 s7, s6
	s_cbranch_execz .LBB132_278
; %bb.277:                              ;   in Loop: Header=BB132_6 Depth=1
	ds_store_b8 v0, v13 offset:3072
.LBB132_278:                            ;   in Loop: Header=BB132_6 Depth=1
	s_or_b32 exec_lo, exec_lo, s7
	v_or_b32_e32 v35, s20, v35
	v_or_b32_e32 v34, s20, v34
	s_cmp_eq_u64 s[8:9], 0
	s_waitcnt lgkmcnt(0)
	s_barrier
	buffer_gl0_inv
	s_cbranch_scc1 .LBB132_290
; %bb.279:                              ;   in Loop: Header=BB132_6 Depth=1
	s_add_u32 s23, s75, s8
	s_addc_u32 s19, s76, s9
	s_mov_b32 s18, s49
	s_delay_alu instid0(SALU_CYCLE_1)
	s_cmp_lg_u64 s[18:19], 0
	s_cbranch_scc0 .LBB132_334
; %bb.280:                              ;   in Loop: Header=BB132_6 Depth=1
	v_cvt_f32_u32_e32 v2, s33
	s_sub_u32 s26, 0, s33
	s_subb_u32 s57, 0, 0
	s_delay_alu instid0(VALU_DEP_1) | instskip(NEXT) | instid1(VALU_DEP_1)
	v_fmac_f32_e64 v2, 0, 0x4f800000
	v_rcp_f32_e32 v2, v2
	s_waitcnt_depctr 0xfff
	v_mul_f32_e32 v2, 0x5f7ffffc, v2
	s_delay_alu instid0(VALU_DEP_1) | instskip(NEXT) | instid1(VALU_DEP_1)
	v_mul_f32_e32 v3, 0x2f800000, v2
	v_trunc_f32_e32 v3, v3
	s_delay_alu instid0(VALU_DEP_1) | instskip(SKIP_1) | instid1(VALU_DEP_2)
	v_fmac_f32_e32 v2, 0xcf800000, v3
	v_cvt_u32_f32_e32 v3, v3
	v_cvt_u32_f32_e32 v2, v2
	s_delay_alu instid0(VALU_DEP_2) | instskip(NEXT) | instid1(VALU_DEP_2)
	v_readfirstlane_b32 s7, v3
	v_readfirstlane_b32 s18, v2
	s_delay_alu instid0(VALU_DEP_2) | instskip(NEXT) | instid1(VALU_DEP_1)
	s_mul_i32 s58, s26, s7
	s_mul_hi_u32 s60, s26, s18
	s_mul_i32 s59, s57, s18
	s_add_i32 s58, s60, s58
	s_mul_i32 s61, s26, s18
	s_add_i32 s58, s58, s59
	s_mul_hi_u32 s60, s18, s61
	s_mul_hi_u32 s62, s7, s61
	s_mul_i32 s59, s7, s61
	s_mul_hi_u32 s61, s18, s58
	s_mul_i32 s18, s18, s58
	s_mul_hi_u32 s63, s7, s58
	s_add_u32 s18, s60, s18
	s_addc_u32 s60, 0, s61
	s_add_u32 s18, s18, s59
	s_mul_i32 s58, s7, s58
	s_addc_u32 s18, s60, s62
	s_addc_u32 s59, s63, 0
	s_add_u32 s18, s18, s58
	s_addc_u32 s58, 0, s59
	v_add_co_u32 v2, s18, v2, s18
	s_delay_alu instid0(VALU_DEP_1) | instskip(SKIP_1) | instid1(VALU_DEP_1)
	s_cmp_lg_u32 s18, 0
	s_addc_u32 s7, s7, s58
	v_readfirstlane_b32 s18, v2
	s_mul_i32 s58, s26, s7
	s_delay_alu instid0(VALU_DEP_1)
	s_mul_hi_u32 s59, s26, s18
	s_mul_i32 s57, s57, s18
	s_add_i32 s58, s59, s58
	s_mul_i32 s26, s26, s18
	s_add_i32 s58, s58, s57
	s_mul_hi_u32 s59, s7, s26
	s_mul_i32 s60, s7, s26
	s_mul_hi_u32 s26, s18, s26
	s_mul_hi_u32 s61, s18, s58
	s_mul_i32 s18, s18, s58
	s_mul_hi_u32 s57, s7, s58
	s_add_u32 s18, s26, s18
	s_addc_u32 s26, 0, s61
	s_add_u32 s18, s18, s60
	s_mul_i32 s58, s7, s58
	s_addc_u32 s18, s26, s59
	s_addc_u32 s26, s57, 0
	s_add_u32 s18, s18, s58
	s_addc_u32 s26, 0, s26
	v_add_co_u32 v2, s18, v2, s18
	s_delay_alu instid0(VALU_DEP_1) | instskip(SKIP_1) | instid1(VALU_DEP_1)
	s_cmp_lg_u32 s18, 0
	s_addc_u32 s7, s7, s26
	v_readfirstlane_b32 s18, v2
	s_mul_i32 s57, s23, s7
	s_mul_hi_u32 s26, s23, s7
	s_mul_hi_u32 s58, s19, s7
	s_mul_i32 s7, s19, s7
	s_mul_hi_u32 s59, s23, s18
	s_mul_hi_u32 s60, s19, s18
	s_mul_i32 s18, s19, s18
	s_add_u32 s57, s59, s57
	s_addc_u32 s26, 0, s26
	s_add_u32 s18, s57, s18
	s_addc_u32 s18, s26, s60
	s_addc_u32 s26, s58, 0
	s_add_u32 s7, s18, s7
	s_addc_u32 s18, 0, s26
	s_mul_hi_u32 s26, s33, s7
	s_mul_i32 s7, s33, s7
	s_mul_i32 s18, s33, s18
	v_sub_co_u32 v2, s7, s23, s7
	s_add_i32 s26, s26, s18
	s_cmp_lg_u32 s7, 0
	s_delay_alu instid0(VALU_DEP_1) | instskip(SKIP_2) | instid1(VALU_DEP_1)
	v_sub_co_u32 v3, s7, v2, s33
	s_subb_u32 s18, s19, s26
	s_cmp_lg_u32 s7, 0
	v_cmp_le_u32_e32 vcc_lo, s33, v3
	v_sub_co_u32 v4, s7, v3, s33
	s_subb_u32 s26, s18, 0
	s_cmp_lg_u32 s7, 0
	v_cndmask_b32_e64 v5, 0, -1, vcc_lo
	s_subb_u32 s7, s26, 0
	s_cmp_eq_u32 s26, 0
	v_mov_b32_e32 v7, s7
	s_cselect_b32 vcc_lo, -1, 0
	s_cmp_eq_u32 s18, 0
	v_cndmask_b32_e32 v5, -1, v5, vcc_lo
	v_cmp_le_u32_e32 vcc_lo, s33, v2
	s_cselect_b32 s7, -1, 0
	v_cndmask_b32_e64 v6, 0, -1, vcc_lo
	s_delay_alu instid0(VALU_DEP_3) | instskip(NEXT) | instid1(VALU_DEP_2)
	v_cmp_ne_u32_e32 vcc_lo, 0, v5
	v_cndmask_b32_e64 v5, -1, v6, s7
	v_cndmask_b32_e32 v6, s26, v7, vcc_lo
	v_cndmask_b32_e32 v4, v3, v4, vcc_lo
	s_delay_alu instid0(VALU_DEP_3) | instskip(NEXT) | instid1(VALU_DEP_3)
	v_cmp_ne_u32_e32 vcc_lo, 0, v5
	v_cndmask_b32_e32 v3, s18, v6, vcc_lo
	s_delay_alu instid0(VALU_DEP_3)
	v_cndmask_b32_e32 v2, v2, v4, vcc_lo
	s_cbranch_execnz .LBB132_282
.LBB132_281:                            ;   in Loop: Header=BB132_6 Depth=1
	v_cvt_f32_u32_e32 v2, s33
	s_sub_i32 s7, 0, s33
	s_delay_alu instid0(VALU_DEP_1) | instskip(SKIP_2) | instid1(VALU_DEP_1)
	v_rcp_iflag_f32_e32 v2, v2
	s_waitcnt_depctr 0xfff
	v_mul_f32_e32 v2, 0x4f7ffffe, v2
	v_cvt_u32_f32_e32 v2, v2
	s_delay_alu instid0(VALU_DEP_1) | instskip(NEXT) | instid1(VALU_DEP_1)
	v_mul_lo_u32 v3, s7, v2
	v_mul_hi_u32 v3, v2, v3
	s_delay_alu instid0(VALU_DEP_1) | instskip(NEXT) | instid1(VALU_DEP_1)
	v_add_nc_u32_e32 v2, v2, v3
	v_mul_hi_u32 v2, s23, v2
	s_delay_alu instid0(VALU_DEP_1) | instskip(NEXT) | instid1(VALU_DEP_1)
	v_mul_lo_u32 v2, v2, s33
	v_sub_nc_u32_e32 v2, s23, v2
	s_delay_alu instid0(VALU_DEP_1) | instskip(SKIP_1) | instid1(VALU_DEP_2)
	v_subrev_nc_u32_e32 v3, s33, v2
	v_cmp_le_u32_e32 vcc_lo, s33, v2
	v_cndmask_b32_e32 v2, v2, v3, vcc_lo
	s_delay_alu instid0(VALU_DEP_1) | instskip(SKIP_1) | instid1(VALU_DEP_2)
	v_subrev_nc_u32_e32 v3, s33, v2
	v_cmp_le_u32_e32 vcc_lo, s33, v2
	v_cndmask_b32_e32 v12, v2, v3, vcc_lo
	s_delay_alu instid0(VALU_DEP_1)
	v_dual_mov_b32 v2, v12 :: v_dual_mov_b32 v3, v13
.LBB132_282:                            ;   in Loop: Header=BB132_6 Depth=1
	s_delay_alu instid0(VALU_DEP_1) | instskip(NEXT) | instid1(VALU_DEP_2)
	v_sub_co_u32 v2, vcc_lo, s23, v2
	v_sub_co_ci_u32_e32 v3, vcc_lo, s19, v3, vcc_lo
	s_mov_b32 s7, 0
	s_mov_b32 s18, exec_lo
                                        ; implicit-def: $vgpr36
	s_delay_alu instid0(VALU_DEP_1)
	v_cmpx_gt_u64_e64 v[2:3], v[0:1]
	s_cbranch_execz .LBB132_292
; %bb.283:                              ;   in Loop: Header=BB132_6 Depth=1
	v_dual_mov_b32 v6, v0 :: v_dual_mov_b32 v5, v1
	v_mov_b32_e32 v4, v0
	s_mov_b32 s19, 0
                                        ; implicit-def: $sgpr23
	s_set_inst_prefetch_distance 0x1
	s_branch .LBB132_285
	.p2align	6
.LBB132_284:                            ;   in Loop: Header=BB132_285 Depth=2
	s_or_b32 exec_lo, exec_lo, s7
	s_waitcnt lgkmcnt(0)
	s_barrier
	buffer_gl0_inv
	ds_load_u16 v7, v13 offset:3072
	v_add_co_u32 v4, vcc_lo, v4, s33
	v_add_co_ci_u32_e32 v5, vcc_lo, 0, v5, vcc_lo
	v_add_nc_u32_e32 v6, s33, v6
	s_waitcnt lgkmcnt(0)
	s_barrier
	s_delay_alu instid0(VALU_DEP_2) | instskip(SKIP_2) | instid1(VALU_DEP_1)
	v_cmp_ge_u64_e32 vcc_lo, v[4:5], v[2:3]
	buffer_gl0_inv
	v_and_b32_e32 v8, 0xff, v7
	v_cmp_ne_u16_e64 s7, 0, v8
	s_delay_alu instid0(VALU_DEP_1) | instskip(NEXT) | instid1(SALU_CYCLE_1)
	s_or_b32 s26, vcc_lo, s7
	s_and_b32 s26, exec_lo, s26
	s_delay_alu instid0(SALU_CYCLE_1) | instskip(SKIP_2) | instid1(SALU_CYCLE_1)
	s_or_b32 s19, s26, s19
	s_and_not1_b32 s23, s23, exec_lo
	s_and_b32 s7, s7, exec_lo
	s_or_b32 s23, s23, s7
	s_and_not1_b32 exec_lo, exec_lo, s19
	s_cbranch_execz .LBB132_291
.LBB132_285:                            ;   Parent Loop BB132_6 Depth=1
                                        ; =>  This Inner Loop Header: Depth=2
	s_delay_alu instid0(VALU_DEP_1)
	v_cmp_gt_u64_e32 vcc_lo, s[8:9], v[4:5]
	v_mov_b32_e32 v7, 0
	s_and_saveexec_b32 s7, vcc_lo
	s_cbranch_execz .LBB132_287
; %bb.286:                              ;   in Loop: Header=BB132_285 Depth=2
	ds_load_u8 v7, v6
.LBB132_287:                            ;   in Loop: Header=BB132_285 Depth=2
	s_or_b32 exec_lo, exec_lo, s7
	s_and_saveexec_b32 s7, vcc_lo
	s_cbranch_execz .LBB132_284
; %bb.288:                              ;   in Loop: Header=BB132_285 Depth=2
	s_waitcnt lgkmcnt(0)
	v_bfe_i32 v8, v7, 0, 8
	s_delay_alu instid0(VALU_DEP_1) | instskip(NEXT) | instid1(VALU_DEP_1)
	v_add_nc_u32_e32 v8, 0x80, v8
	v_and_b32_e32 v8, v8, v34
	s_delay_alu instid0(VALU_DEP_1)
	v_cmp_eq_u32_e32 vcc_lo, v8, v35
	s_and_b32 exec_lo, exec_lo, vcc_lo
	s_cbranch_execz .LBB132_284
; %bb.289:                              ;   in Loop: Header=BB132_285 Depth=2
	v_lshlrev_b16 v7, 8, v7
	s_delay_alu instid0(VALU_DEP_1)
	v_or_b32_e32 v7, 1, v7
	ds_store_b16 v13, v7 offset:3072
	s_branch .LBB132_284
.LBB132_290:                            ;   in Loop: Header=BB132_6 Depth=1
	s_mov_b32 s18, -1
	s_mov_b32 s7, 0
                                        ; implicit-def: $sgpr19
                                        ; implicit-def: $vgpr36
	s_mov_b32 s23, s18
	s_cbranch_execnz .LBB132_293
	s_branch .LBB132_306
.LBB132_291:                            ;   in Loop: Header=BB132_6 Depth=1
	s_set_inst_prefetch_distance 0x2
	s_or_b32 exec_lo, exec_lo, s19
	v_lshrrev_b16 v36, 8, v7
	s_and_b32 s7, s23, exec_lo
.LBB132_292:                            ;   in Loop: Header=BB132_6 Depth=1
	s_or_b32 exec_lo, exec_lo, s18
	s_mov_b32 s18, 0
	s_mov_b32 s19, -1
	s_mov_b32 s23, s18
	s_branch .LBB132_306
.LBB132_293:                            ;   in Loop: Header=BB132_6 Depth=1
	s_mov_b32 s26, s49
	s_delay_alu instid0(SALU_CYCLE_1)
	s_cmp_lg_u64 s[26:27], 0
	s_cbranch_scc0 .LBB132_335
; %bb.294:                              ;   in Loop: Header=BB132_6 Depth=1
	v_cvt_f32_u32_e32 v2, s33
	s_sub_u32 s9, 0, s33
	s_subb_u32 s18, 0, 0
	s_delay_alu instid0(VALU_DEP_1) | instskip(NEXT) | instid1(VALU_DEP_1)
	v_fmac_f32_e64 v2, 0, 0x4f800000
	v_rcp_f32_e32 v2, v2
	s_waitcnt_depctr 0xfff
	v_mul_f32_e32 v2, 0x5f7ffffc, v2
	s_delay_alu instid0(VALU_DEP_1) | instskip(NEXT) | instid1(VALU_DEP_1)
	v_mul_f32_e32 v3, 0x2f800000, v2
	v_trunc_f32_e32 v3, v3
	s_delay_alu instid0(VALU_DEP_1) | instskip(SKIP_1) | instid1(VALU_DEP_2)
	v_fmac_f32_e32 v2, 0xcf800000, v3
	v_cvt_u32_f32_e32 v3, v3
	v_cvt_u32_f32_e32 v2, v2
	s_delay_alu instid0(VALU_DEP_2) | instskip(NEXT) | instid1(VALU_DEP_2)
	v_readfirstlane_b32 s7, v3
	v_readfirstlane_b32 s8, v2
	s_delay_alu instid0(VALU_DEP_2) | instskip(NEXT) | instid1(VALU_DEP_1)
	s_mul_i32 s19, s9, s7
	s_mul_hi_u32 s26, s9, s8
	s_mul_i32 s23, s18, s8
	s_add_i32 s19, s26, s19
	s_mul_i32 s57, s9, s8
	s_add_i32 s19, s19, s23
	s_mul_hi_u32 s26, s8, s57
	s_mul_hi_u32 s58, s7, s57
	s_mul_i32 s23, s7, s57
	s_mul_hi_u32 s57, s8, s19
	s_mul_i32 s8, s8, s19
	s_mul_hi_u32 s59, s7, s19
	s_add_u32 s8, s26, s8
	s_addc_u32 s26, 0, s57
	s_add_u32 s8, s8, s23
	s_mul_i32 s19, s7, s19
	s_addc_u32 s8, s26, s58
	s_addc_u32 s23, s59, 0
	s_add_u32 s8, s8, s19
	s_addc_u32 s19, 0, s23
	v_add_co_u32 v2, s8, v2, s8
	s_delay_alu instid0(VALU_DEP_1) | instskip(SKIP_1) | instid1(VALU_DEP_1)
	s_cmp_lg_u32 s8, 0
	s_addc_u32 s7, s7, s19
	v_readfirstlane_b32 s8, v2
	s_mul_i32 s19, s9, s7
	s_delay_alu instid0(VALU_DEP_1)
	s_mul_hi_u32 s23, s9, s8
	s_mul_i32 s18, s18, s8
	s_add_i32 s19, s23, s19
	s_mul_i32 s9, s9, s8
	s_add_i32 s19, s19, s18
	s_mul_hi_u32 s23, s7, s9
	s_mul_i32 s26, s7, s9
	s_mul_hi_u32 s9, s8, s9
	s_mul_hi_u32 s57, s8, s19
	s_mul_i32 s8, s8, s19
	s_mul_hi_u32 s18, s7, s19
	s_add_u32 s8, s9, s8
	s_addc_u32 s9, 0, s57
	s_add_u32 s8, s8, s26
	s_mul_i32 s19, s7, s19
	s_addc_u32 s8, s9, s23
	s_addc_u32 s9, s18, 0
	s_add_u32 s8, s8, s19
	s_addc_u32 s9, 0, s9
	v_add_co_u32 v2, s8, v2, s8
	s_delay_alu instid0(VALU_DEP_1) | instskip(SKIP_1) | instid1(VALU_DEP_1)
	s_cmp_lg_u32 s8, 0
	s_addc_u32 s7, s7, s9
	v_readfirstlane_b32 s8, v2
	s_mul_i32 s18, s77, s7
	s_mul_hi_u32 s9, s77, s7
	s_mul_hi_u32 s19, s27, s7
	s_mul_i32 s7, s27, s7
	s_mul_hi_u32 s23, s77, s8
	s_mul_hi_u32 s26, s27, s8
	s_mul_i32 s8, s27, s8
	s_add_u32 s18, s23, s18
	s_addc_u32 s9, 0, s9
	s_add_u32 s8, s18, s8
	s_addc_u32 s8, s9, s26
	s_addc_u32 s9, s19, 0
	s_add_u32 s7, s8, s7
	s_addc_u32 s8, 0, s9
	s_mul_hi_u32 s9, s33, s7
	s_mul_i32 s7, s33, s7
	s_mul_i32 s8, s33, s8
	v_sub_co_u32 v2, s7, s77, s7
	s_add_i32 s9, s9, s8
	s_cmp_lg_u32 s7, 0
	s_delay_alu instid0(VALU_DEP_1) | instskip(SKIP_2) | instid1(VALU_DEP_1)
	v_sub_co_u32 v3, s7, v2, s33
	s_subb_u32 s8, s27, s9
	s_cmp_lg_u32 s7, 0
	v_cmp_le_u32_e32 vcc_lo, s33, v3
	v_sub_co_u32 v4, s7, v3, s33
	s_subb_u32 s9, s8, 0
	s_cmp_lg_u32 s7, 0
	v_cndmask_b32_e64 v5, 0, -1, vcc_lo
	s_subb_u32 s7, s9, 0
	s_cmp_eq_u32 s9, 0
	v_mov_b32_e32 v7, s7
	s_cselect_b32 vcc_lo, -1, 0
	s_cmp_eq_u32 s8, 0
	v_cndmask_b32_e32 v5, -1, v5, vcc_lo
	v_cmp_le_u32_e32 vcc_lo, s33, v2
	s_cselect_b32 s7, -1, 0
	v_cndmask_b32_e64 v6, 0, -1, vcc_lo
	s_delay_alu instid0(VALU_DEP_3) | instskip(NEXT) | instid1(VALU_DEP_2)
	v_cmp_ne_u32_e32 vcc_lo, 0, v5
	v_cndmask_b32_e64 v5, -1, v6, s7
	v_cndmask_b32_e32 v6, s9, v7, vcc_lo
	v_cndmask_b32_e32 v4, v3, v4, vcc_lo
	s_delay_alu instid0(VALU_DEP_3) | instskip(NEXT) | instid1(VALU_DEP_3)
	v_cmp_ne_u32_e32 vcc_lo, 0, v5
	v_cndmask_b32_e32 v3, s8, v6, vcc_lo
	s_delay_alu instid0(VALU_DEP_3)
	v_cndmask_b32_e32 v2, v2, v4, vcc_lo
	s_cbranch_execnz .LBB132_296
.LBB132_295:                            ;   in Loop: Header=BB132_6 Depth=1
	v_cvt_f32_u32_e32 v2, s33
	s_sub_i32 s7, 0, s33
	s_delay_alu instid0(VALU_DEP_1) | instskip(SKIP_2) | instid1(VALU_DEP_1)
	v_rcp_iflag_f32_e32 v2, v2
	s_waitcnt_depctr 0xfff
	v_mul_f32_e32 v2, 0x4f7ffffe, v2
	v_cvt_u32_f32_e32 v2, v2
	s_delay_alu instid0(VALU_DEP_1) | instskip(NEXT) | instid1(VALU_DEP_1)
	v_mul_lo_u32 v3, s7, v2
	v_mul_hi_u32 v3, v2, v3
	s_delay_alu instid0(VALU_DEP_1) | instskip(NEXT) | instid1(VALU_DEP_1)
	v_add_nc_u32_e32 v2, v2, v3
	v_mul_hi_u32 v2, s77, v2
	s_delay_alu instid0(VALU_DEP_1) | instskip(NEXT) | instid1(VALU_DEP_1)
	v_mul_lo_u32 v2, v2, s33
	v_sub_nc_u32_e32 v2, s77, v2
	s_delay_alu instid0(VALU_DEP_1) | instskip(SKIP_1) | instid1(VALU_DEP_2)
	v_subrev_nc_u32_e32 v3, s33, v2
	v_cmp_le_u32_e32 vcc_lo, s33, v2
	v_cndmask_b32_e32 v2, v2, v3, vcc_lo
	s_delay_alu instid0(VALU_DEP_1) | instskip(SKIP_1) | instid1(VALU_DEP_2)
	v_subrev_nc_u32_e32 v3, s33, v2
	v_cmp_le_u32_e32 vcc_lo, s33, v2
	v_cndmask_b32_e32 v12, v2, v3, vcc_lo
	s_delay_alu instid0(VALU_DEP_1)
	v_dual_mov_b32 v2, v12 :: v_dual_mov_b32 v3, v13
.LBB132_296:                            ;   in Loop: Header=BB132_6 Depth=1
	s_delay_alu instid0(VALU_DEP_1) | instskip(NEXT) | instid1(VALU_DEP_2)
	v_sub_co_u32 v2, vcc_lo, s77, v2
	v_sub_co_ci_u32_e32 v3, vcc_lo, s27, v3, vcc_lo
	s_mov_b32 s7, 0
	s_mov_b32 s8, exec_lo
                                        ; implicit-def: $vgpr36
	s_delay_alu instid0(VALU_DEP_1)
	v_cmpx_gt_u64_e64 v[2:3], v[0:1]
	s_cbranch_execz .LBB132_305
; %bb.297:                              ;   in Loop: Header=BB132_6 Depth=1
	v_dual_mov_b32 v4, v10 :: v_dual_mov_b32 v5, v11
	v_dual_mov_b32 v7, v1 :: v_dual_mov_b32 v6, v0
	s_mov_b32 s9, 0
                                        ; implicit-def: $sgpr18
	s_set_inst_prefetch_distance 0x1
	s_branch .LBB132_299
	.p2align	6
.LBB132_298:                            ;   in Loop: Header=BB132_299 Depth=2
	s_or_b32 exec_lo, exec_lo, s7
	s_waitcnt vmcnt(0) lgkmcnt(0)
	s_barrier
	buffer_gl0_inv
	ds_load_u16 v8, v13 offset:3072
	v_add_co_u32 v6, vcc_lo, v6, s33
	v_add_co_ci_u32_e32 v7, vcc_lo, 0, v7, vcc_lo
	s_waitcnt lgkmcnt(0)
	s_barrier
	buffer_gl0_inv
	v_cmp_ge_u64_e32 vcc_lo, v[6:7], v[2:3]
	v_and_b32_e32 v9, 0xff, v8
	s_delay_alu instid0(VALU_DEP_1) | instskip(NEXT) | instid1(VALU_DEP_1)
	v_cmp_ne_u16_e64 s7, 0, v9
	s_or_b32 s19, vcc_lo, s7
	v_add_co_u32 v4, vcc_lo, v4, s68
	s_and_b32 s19, exec_lo, s19
	v_add_co_ci_u32_e32 v5, vcc_lo, s41, v5, vcc_lo
	s_or_b32 s9, s19, s9
	s_and_not1_b32 s18, s18, exec_lo
	s_and_b32 s7, s7, exec_lo
	s_delay_alu instid0(SALU_CYCLE_1)
	s_or_b32 s18, s18, s7
	s_and_not1_b32 exec_lo, exec_lo, s9
	s_cbranch_execz .LBB132_304
.LBB132_299:                            ;   Parent Loop BB132_6 Depth=1
                                        ; =>  This Inner Loop Header: Depth=2
	s_delay_alu instid0(VALU_DEP_1)
	v_cmp_gt_u64_e32 vcc_lo, s[28:29], v[6:7]
	v_mov_b32_e32 v8, 0
	s_and_saveexec_b32 s7, vcc_lo
	s_cbranch_execz .LBB132_301
; %bb.300:                              ;   in Loop: Header=BB132_299 Depth=2
	global_load_u8 v8, v[4:5], off
.LBB132_301:                            ;   in Loop: Header=BB132_299 Depth=2
	s_or_b32 exec_lo, exec_lo, s7
	s_and_saveexec_b32 s7, vcc_lo
	s_cbranch_execz .LBB132_298
; %bb.302:                              ;   in Loop: Header=BB132_299 Depth=2
	s_waitcnt vmcnt(0)
	v_bfe_i32 v9, v8, 0, 8
	s_delay_alu instid0(VALU_DEP_1) | instskip(NEXT) | instid1(VALU_DEP_1)
	v_add_nc_u32_e32 v9, 0x80, v9
	v_and_b32_e32 v9, v9, v34
	s_delay_alu instid0(VALU_DEP_1)
	v_cmp_eq_u32_e32 vcc_lo, v9, v35
	s_and_b32 exec_lo, exec_lo, vcc_lo
	s_cbranch_execz .LBB132_298
; %bb.303:                              ;   in Loop: Header=BB132_299 Depth=2
	v_lshlrev_b16 v8, 8, v8
	s_delay_alu instid0(VALU_DEP_1)
	v_or_b32_e32 v8, 1, v8
	ds_store_b16 v13, v8 offset:3072
	s_branch .LBB132_298
.LBB132_304:                            ;   in Loop: Header=BB132_6 Depth=1
	s_set_inst_prefetch_distance 0x2
	s_or_b32 exec_lo, exec_lo, s9
	v_lshrrev_b16 v36, 8, v8
	s_and_b32 s7, s18, exec_lo
.LBB132_305:                            ;   in Loop: Header=BB132_6 Depth=1
	s_or_b32 exec_lo, exec_lo, s8
	s_mov_b32 s19, 0
	s_mov_b32 s18, -1
	s_mov_b32 s23, 0
.LBB132_306:                            ;   in Loop: Header=BB132_6 Depth=1
	s_or_not1_b32 s7, s7, exec_lo
.LBB132_307:                            ;   in Loop: Header=BB132_6 Depth=1
	s_or_b32 exec_lo, exec_lo, s48
                                        ; implicit-def: $vgpr6
                                        ; implicit-def: $vgpr2_vgpr3
                                        ; implicit-def: $vgpr25
                                        ; implicit-def: $vgpr26
                                        ; implicit-def: $vgpr27
	s_and_saveexec_b32 s48, s7
	s_cbranch_execz .LBB132_470
; %bb.308:                              ;   in Loop: Header=BB132_6 Depth=1
	v_mov_b32_e32 v2, 1
	v_dual_mov_b32 v3, 0 :: v_dual_mov_b32 v6, 1
	s_xor_b32 s8, s56, -1
	s_mov_b32 s26, 0
	s_and_saveexec_b32 s7, s8
	s_cbranch_execz .LBB132_318
; %bb.309:                              ;   in Loop: Header=BB132_6 Depth=1
	s_mov_b32 s9, exec_lo
                                        ; implicit-def: $sgpr26
                                        ; implicit-def: $sgpr8
	v_cmpx_ge_u64_e64 s[16:17], v[23:24]
	s_xor_b32 s9, exec_lo, s9
	s_cbranch_execz .LBB132_315
; %bb.310:                              ;   in Loop: Header=BB132_6 Depth=1
	ds_load_b64 v[2:3], v13 offset:5120
	s_waitcnt lgkmcnt(0)
	v_cmp_ne_u64_e32 vcc_lo, 0, v[2:3]
	s_cbranch_vccnz .LBB132_314
; %bb.311:                              ;   in Loop: Header=BB132_6 Depth=1
	s_and_saveexec_b32 s8, s5
	s_cbranch_execz .LBB132_313
; %bb.312:                              ;   in Loop: Header=BB132_6 Depth=1
	v_dual_mov_b32 v2, s16 :: v_dual_mov_b32 v3, s17
	ds_store_b64 v13, v[2:3] offset:5128
.LBB132_313:                            ;   in Loop: Header=BB132_6 Depth=1
	s_or_b32 exec_lo, exec_lo, s8
	s_waitcnt lgkmcnt(0)
	s_barrier
	buffer_gl0_inv
.LBB132_314:                            ;   in Loop: Header=BB132_6 Depth=1
	v_or_b32_e32 v35, s20, v35
	v_or_b32_e32 v34, s20, v34
	s_mov_b32 s8, 0
	s_mov_b32 s26, 5
.LBB132_315:                            ;   in Loop: Header=BB132_6 Depth=1
	s_or_saveexec_b32 s9, s9
	v_mov_b32_e32 v6, s26
	s_xor_b32 exec_lo, exec_lo, s9
; %bb.316:                              ;   in Loop: Header=BB132_6 Depth=1
	v_sub_co_u32 v23, vcc_lo, v23, s16
	v_subrev_co_ci_u32_e32 v24, vcc_lo, s17, v24, vcc_lo
	v_mov_b32_e32 v6, 0
	s_or_b32 s8, s8, exec_lo
; %bb.317:                              ;   in Loop: Header=BB132_6 Depth=1
	s_or_b32 exec_lo, exec_lo, s9
	s_delay_alu instid0(VALU_DEP_2)
	v_dual_mov_b32 v2, v23 :: v_dual_mov_b32 v3, v24
	s_and_b32 s26, s8, exec_lo
.LBB132_318:                            ;   in Loop: Header=BB132_6 Depth=1
	s_or_b32 exec_lo, exec_lo, s7
	s_mov_b32 s17, -1
                                        ; implicit-def: $sgpr8
                                        ; implicit-def: $sgpr9
                                        ; implicit-def: $sgpr16
	s_and_saveexec_b32 s7, s26
	s_delay_alu instid0(SALU_CYCLE_1)
	s_xor_b32 s56, exec_lo, s7
	s_cbranch_execz .LBB132_467
; %bb.319:                              ;   in Loop: Header=BB132_6 Depth=1
	v_cmp_eq_u64_e32 vcc_lo, 1, v[2:3]
	s_cmp_eq_u64 s[14:15], 1
                                        ; implicit-def: $sgpr16
                                        ; implicit-def: $sgpr17
                                        ; implicit-def: $sgpr57
	s_cselect_b32 s7, -1, 0
	s_delay_alu instid0(SALU_CYCLE_1)
	s_and_b32 s59, s7, vcc_lo
	s_mov_b32 s7, -1
	s_and_saveexec_b32 s58, s59
	s_cbranch_execz .LBB132_353
; %bb.320:                              ;   in Loop: Header=BB132_6 Depth=1
	ds_load_b64 v[4:5], v13 offset:5120
	s_waitcnt lgkmcnt(0)
	s_barrier
	buffer_gl0_inv
	v_readfirstlane_b32 s8, v4
	v_readfirstlane_b32 s9, v5
	s_and_saveexec_b32 s7, s6
	s_cbranch_execz .LBB132_322
; %bb.321:                              ;   in Loop: Header=BB132_6 Depth=1
	ds_store_b8 v0, v13 offset:3072
.LBB132_322:                            ;   in Loop: Header=BB132_6 Depth=1
	s_or_b32 exec_lo, exec_lo, s7
	s_lshl_b32 s7, 2, s22
	v_or_b32_e32 v34, s20, v34
	v_and_or_b32 v35, v35, s21, s7
	s_cmp_eq_u64 s[8:9], 0
	s_waitcnt lgkmcnt(0)
	s_barrier
	buffer_gl0_inv
	s_cbranch_scc1 .LBB132_336
; %bb.323:                              ;   in Loop: Header=BB132_6 Depth=1
	s_add_u32 s26, s75, s8
	s_addc_u32 s17, s76, s9
	s_mov_b32 s16, s49
	s_delay_alu instid0(SALU_CYCLE_1)
	s_cmp_lg_u64 s[16:17], 0
	s_cbranch_scc0 .LBB132_380
; %bb.324:                              ;   in Loop: Header=BB132_6 Depth=1
	v_cvt_f32_u32_e32 v4, s33
	s_sub_u32 s57, 0, s33
	s_subb_u32 s60, 0, 0
	s_delay_alu instid0(VALU_DEP_1) | instskip(NEXT) | instid1(VALU_DEP_1)
	v_fmac_f32_e64 v4, 0, 0x4f800000
	v_rcp_f32_e32 v4, v4
	s_waitcnt_depctr 0xfff
	v_mul_f32_e32 v4, 0x5f7ffffc, v4
	s_delay_alu instid0(VALU_DEP_1) | instskip(NEXT) | instid1(VALU_DEP_1)
	v_mul_f32_e32 v5, 0x2f800000, v4
	v_trunc_f32_e32 v5, v5
	s_delay_alu instid0(VALU_DEP_1) | instskip(SKIP_1) | instid1(VALU_DEP_2)
	v_fmac_f32_e32 v4, 0xcf800000, v5
	v_cvt_u32_f32_e32 v5, v5
	v_cvt_u32_f32_e32 v4, v4
	s_delay_alu instid0(VALU_DEP_2) | instskip(NEXT) | instid1(VALU_DEP_2)
	v_readfirstlane_b32 s7, v5
	v_readfirstlane_b32 s16, v4
	s_delay_alu instid0(VALU_DEP_2) | instskip(NEXT) | instid1(VALU_DEP_1)
	s_mul_i32 s61, s57, s7
	s_mul_hi_u32 s63, s57, s16
	s_mul_i32 s62, s60, s16
	s_add_i32 s61, s63, s61
	s_mul_i32 s64, s57, s16
	s_add_i32 s61, s61, s62
	s_mul_hi_u32 s63, s16, s64
	s_mul_hi_u32 s65, s7, s64
	s_mul_i32 s62, s7, s64
	s_mul_hi_u32 s64, s16, s61
	s_mul_i32 s16, s16, s61
	s_mul_hi_u32 s66, s7, s61
	s_add_u32 s16, s63, s16
	s_addc_u32 s63, 0, s64
	s_add_u32 s16, s16, s62
	s_mul_i32 s61, s7, s61
	s_addc_u32 s16, s63, s65
	s_addc_u32 s62, s66, 0
	s_add_u32 s16, s16, s61
	s_addc_u32 s61, 0, s62
	v_add_co_u32 v4, s16, v4, s16
	s_delay_alu instid0(VALU_DEP_1) | instskip(SKIP_1) | instid1(VALU_DEP_1)
	s_cmp_lg_u32 s16, 0
	s_addc_u32 s7, s7, s61
	v_readfirstlane_b32 s16, v4
	s_mul_i32 s61, s57, s7
	s_delay_alu instid0(VALU_DEP_1)
	s_mul_hi_u32 s62, s57, s16
	s_mul_i32 s60, s60, s16
	s_add_i32 s61, s62, s61
	s_mul_i32 s57, s57, s16
	s_add_i32 s61, s61, s60
	s_mul_hi_u32 s62, s7, s57
	s_mul_i32 s63, s7, s57
	s_mul_hi_u32 s57, s16, s57
	s_mul_hi_u32 s64, s16, s61
	s_mul_i32 s16, s16, s61
	s_mul_hi_u32 s60, s7, s61
	s_add_u32 s16, s57, s16
	s_addc_u32 s57, 0, s64
	s_add_u32 s16, s16, s63
	s_mul_i32 s61, s7, s61
	s_addc_u32 s16, s57, s62
	s_addc_u32 s57, s60, 0
	s_add_u32 s16, s16, s61
	s_addc_u32 s57, 0, s57
	v_add_co_u32 v4, s16, v4, s16
	s_delay_alu instid0(VALU_DEP_1) | instskip(SKIP_1) | instid1(VALU_DEP_1)
	s_cmp_lg_u32 s16, 0
	s_addc_u32 s7, s7, s57
	v_readfirstlane_b32 s16, v4
	s_mul_i32 s60, s26, s7
	s_mul_hi_u32 s57, s26, s7
	s_mul_hi_u32 s61, s17, s7
	s_mul_i32 s7, s17, s7
	s_mul_hi_u32 s62, s26, s16
	s_mul_hi_u32 s63, s17, s16
	s_mul_i32 s16, s17, s16
	s_add_u32 s60, s62, s60
	s_addc_u32 s57, 0, s57
	s_add_u32 s16, s60, s16
	s_addc_u32 s16, s57, s63
	s_addc_u32 s57, s61, 0
	s_add_u32 s7, s16, s7
	s_addc_u32 s16, 0, s57
	s_mul_hi_u32 s57, s33, s7
	s_mul_i32 s7, s33, s7
	s_mul_i32 s16, s33, s16
	v_sub_co_u32 v4, s7, s26, s7
	s_add_i32 s57, s57, s16
	s_cmp_lg_u32 s7, 0
	s_delay_alu instid0(VALU_DEP_1) | instskip(SKIP_2) | instid1(VALU_DEP_1)
	v_sub_co_u32 v5, s7, v4, s33
	s_subb_u32 s16, s17, s57
	s_cmp_lg_u32 s7, 0
	v_cmp_le_u32_e32 vcc_lo, s33, v5
	v_sub_co_u32 v6, s7, v5, s33
	s_subb_u32 s57, s16, 0
	s_cmp_lg_u32 s7, 0
	v_cndmask_b32_e64 v7, 0, -1, vcc_lo
	s_subb_u32 s7, s57, 0
	s_cmp_eq_u32 s57, 0
	v_mov_b32_e32 v9, s7
	s_cselect_b32 vcc_lo, -1, 0
	s_cmp_eq_u32 s16, 0
	v_cndmask_b32_e32 v7, -1, v7, vcc_lo
	v_cmp_le_u32_e32 vcc_lo, s33, v4
	s_cselect_b32 s7, -1, 0
	v_cndmask_b32_e64 v8, 0, -1, vcc_lo
	s_delay_alu instid0(VALU_DEP_3) | instskip(NEXT) | instid1(VALU_DEP_2)
	v_cmp_ne_u32_e32 vcc_lo, 0, v7
	v_cndmask_b32_e64 v7, -1, v8, s7
	v_cndmask_b32_e32 v8, s57, v9, vcc_lo
	v_cndmask_b32_e32 v6, v5, v6, vcc_lo
	s_delay_alu instid0(VALU_DEP_3) | instskip(NEXT) | instid1(VALU_DEP_3)
	v_cmp_ne_u32_e32 vcc_lo, 0, v7
	v_cndmask_b32_e32 v5, s16, v8, vcc_lo
	s_delay_alu instid0(VALU_DEP_3)
	v_cndmask_b32_e32 v4, v4, v6, vcc_lo
	s_cbranch_execnz .LBB132_326
.LBB132_325:                            ;   in Loop: Header=BB132_6 Depth=1
	v_cvt_f32_u32_e32 v4, s33
	s_sub_i32 s7, 0, s33
	s_delay_alu instid0(VALU_DEP_1) | instskip(SKIP_2) | instid1(VALU_DEP_1)
	v_rcp_iflag_f32_e32 v4, v4
	s_waitcnt_depctr 0xfff
	v_mul_f32_e32 v4, 0x4f7ffffe, v4
	v_cvt_u32_f32_e32 v4, v4
	s_delay_alu instid0(VALU_DEP_1) | instskip(NEXT) | instid1(VALU_DEP_1)
	v_mul_lo_u32 v5, s7, v4
	v_mul_hi_u32 v5, v4, v5
	s_delay_alu instid0(VALU_DEP_1) | instskip(NEXT) | instid1(VALU_DEP_1)
	v_add_nc_u32_e32 v4, v4, v5
	v_mul_hi_u32 v4, s26, v4
	s_delay_alu instid0(VALU_DEP_1) | instskip(NEXT) | instid1(VALU_DEP_1)
	v_mul_lo_u32 v4, v4, s33
	v_sub_nc_u32_e32 v4, s26, v4
	s_delay_alu instid0(VALU_DEP_1) | instskip(SKIP_1) | instid1(VALU_DEP_2)
	v_subrev_nc_u32_e32 v5, s33, v4
	v_cmp_le_u32_e32 vcc_lo, s33, v4
	v_cndmask_b32_e32 v4, v4, v5, vcc_lo
	s_delay_alu instid0(VALU_DEP_1) | instskip(SKIP_1) | instid1(VALU_DEP_2)
	v_subrev_nc_u32_e32 v5, s33, v4
	v_cmp_le_u32_e32 vcc_lo, s33, v4
	v_cndmask_b32_e32 v12, v4, v5, vcc_lo
	s_delay_alu instid0(VALU_DEP_1)
	v_dual_mov_b32 v4, v12 :: v_dual_mov_b32 v5, v13
.LBB132_326:                            ;   in Loop: Header=BB132_6 Depth=1
	s_delay_alu instid0(VALU_DEP_1) | instskip(NEXT) | instid1(VALU_DEP_2)
	v_sub_co_u32 v4, vcc_lo, s26, v4
	v_sub_co_ci_u32_e32 v5, vcc_lo, s17, v5, vcc_lo
	s_mov_b32 s7, 0
	s_mov_b32 s16, exec_lo
                                        ; implicit-def: $vgpr36
	s_delay_alu instid0(VALU_DEP_1)
	v_cmpx_gt_u64_e64 v[4:5], v[0:1]
	s_cbranch_execz .LBB132_338
; %bb.327:                              ;   in Loop: Header=BB132_6 Depth=1
	v_dual_mov_b32 v8, v0 :: v_dual_mov_b32 v7, v1
	v_mov_b32_e32 v6, v0
	s_mov_b32 s17, 0
                                        ; implicit-def: $sgpr26
	s_set_inst_prefetch_distance 0x1
	s_branch .LBB132_329
	.p2align	6
.LBB132_328:                            ;   in Loop: Header=BB132_329 Depth=2
	s_or_b32 exec_lo, exec_lo, s7
	s_waitcnt lgkmcnt(0)
	s_barrier
	buffer_gl0_inv
	ds_load_u16 v9, v13 offset:3072
	v_add_co_u32 v6, vcc_lo, v6, s33
	v_add_co_ci_u32_e32 v7, vcc_lo, 0, v7, vcc_lo
	v_add_nc_u32_e32 v8, s33, v8
	s_waitcnt lgkmcnt(0)
	s_barrier
	s_delay_alu instid0(VALU_DEP_2) | instskip(SKIP_2) | instid1(VALU_DEP_1)
	v_cmp_ge_u64_e32 vcc_lo, v[6:7], v[4:5]
	buffer_gl0_inv
	v_and_b32_e32 v12, 0xff, v9
	v_cmp_ne_u16_e64 s7, 0, v12
	s_delay_alu instid0(VALU_DEP_1) | instskip(NEXT) | instid1(SALU_CYCLE_1)
	s_or_b32 s57, vcc_lo, s7
	s_and_b32 s57, exec_lo, s57
	s_delay_alu instid0(SALU_CYCLE_1) | instskip(SKIP_2) | instid1(SALU_CYCLE_1)
	s_or_b32 s17, s57, s17
	s_and_not1_b32 s26, s26, exec_lo
	s_and_b32 s7, s7, exec_lo
	s_or_b32 s26, s26, s7
	s_and_not1_b32 exec_lo, exec_lo, s17
	s_cbranch_execz .LBB132_337
.LBB132_329:                            ;   Parent Loop BB132_6 Depth=1
                                        ; =>  This Inner Loop Header: Depth=2
	s_delay_alu instid0(VALU_DEP_1)
	v_cmp_gt_u64_e32 vcc_lo, s[8:9], v[6:7]
	v_mov_b32_e32 v9, 0
	s_and_saveexec_b32 s7, vcc_lo
	s_cbranch_execz .LBB132_331
; %bb.330:                              ;   in Loop: Header=BB132_329 Depth=2
	ds_load_u8 v9, v8
.LBB132_331:                            ;   in Loop: Header=BB132_329 Depth=2
	s_or_b32 exec_lo, exec_lo, s7
	s_and_saveexec_b32 s7, vcc_lo
	s_cbranch_execz .LBB132_328
; %bb.332:                              ;   in Loop: Header=BB132_329 Depth=2
	s_waitcnt lgkmcnt(0)
	v_bfe_i32 v12, v9, 0, 8
	s_delay_alu instid0(VALU_DEP_1) | instskip(NEXT) | instid1(VALU_DEP_1)
	v_add_nc_u32_e32 v12, 0x80, v12
	v_and_b32_e32 v12, v12, v34
	s_delay_alu instid0(VALU_DEP_1)
	v_cmp_eq_u32_e32 vcc_lo, v12, v35
	s_and_b32 exec_lo, exec_lo, vcc_lo
	s_cbranch_execz .LBB132_328
; %bb.333:                              ;   in Loop: Header=BB132_329 Depth=2
	v_lshlrev_b16 v9, 8, v9
	s_delay_alu instid0(VALU_DEP_1)
	v_or_b32_e32 v9, 1, v9
	ds_store_b16 v13, v9 offset:3072
	s_branch .LBB132_328
.LBB132_334:                            ;   in Loop: Header=BB132_6 Depth=1
                                        ; implicit-def: $vgpr2_vgpr3
	s_branch .LBB132_281
.LBB132_335:                            ;   in Loop: Header=BB132_6 Depth=1
                                        ; implicit-def: $vgpr2_vgpr3
	s_branch .LBB132_295
.LBB132_336:                            ;   in Loop: Header=BB132_6 Depth=1
	s_mov_b32 s16, -1
	s_mov_b32 s7, 0
                                        ; implicit-def: $sgpr17
                                        ; implicit-def: $vgpr36
	s_mov_b32 s57, s16
	s_cbranch_execnz .LBB132_339
	s_branch .LBB132_352
.LBB132_337:                            ;   in Loop: Header=BB132_6 Depth=1
	s_set_inst_prefetch_distance 0x2
	s_or_b32 exec_lo, exec_lo, s17
	v_lshrrev_b16 v36, 8, v9
	s_and_b32 s7, s26, exec_lo
.LBB132_338:                            ;   in Loop: Header=BB132_6 Depth=1
	s_or_b32 exec_lo, exec_lo, s16
	s_mov_b32 s16, 0
	s_mov_b32 s17, -1
	s_mov_b32 s57, s16
	s_branch .LBB132_352
.LBB132_339:                            ;   in Loop: Header=BB132_6 Depth=1
	s_mov_b32 s26, s49
	s_delay_alu instid0(SALU_CYCLE_1)
	s_cmp_lg_u64 s[26:27], 0
	s_cbranch_scc0 .LBB132_381
; %bb.340:                              ;   in Loop: Header=BB132_6 Depth=1
	v_cvt_f32_u32_e32 v4, s33
	s_sub_u32 s9, 0, s33
	s_subb_u32 s16, 0, 0
	s_delay_alu instid0(VALU_DEP_1) | instskip(NEXT) | instid1(VALU_DEP_1)
	v_fmac_f32_e64 v4, 0, 0x4f800000
	v_rcp_f32_e32 v4, v4
	s_waitcnt_depctr 0xfff
	v_mul_f32_e32 v4, 0x5f7ffffc, v4
	s_delay_alu instid0(VALU_DEP_1) | instskip(NEXT) | instid1(VALU_DEP_1)
	v_mul_f32_e32 v5, 0x2f800000, v4
	v_trunc_f32_e32 v5, v5
	s_delay_alu instid0(VALU_DEP_1) | instskip(SKIP_1) | instid1(VALU_DEP_2)
	v_fmac_f32_e32 v4, 0xcf800000, v5
	v_cvt_u32_f32_e32 v5, v5
	v_cvt_u32_f32_e32 v4, v4
	s_delay_alu instid0(VALU_DEP_2) | instskip(NEXT) | instid1(VALU_DEP_2)
	v_readfirstlane_b32 s7, v5
	v_readfirstlane_b32 s8, v4
	s_delay_alu instid0(VALU_DEP_2) | instskip(NEXT) | instid1(VALU_DEP_1)
	s_mul_i32 s17, s9, s7
	s_mul_hi_u32 s57, s9, s8
	s_mul_i32 s26, s16, s8
	s_add_i32 s17, s57, s17
	s_mul_i32 s60, s9, s8
	s_add_i32 s17, s17, s26
	s_mul_hi_u32 s57, s8, s60
	s_mul_hi_u32 s61, s7, s60
	s_mul_i32 s26, s7, s60
	s_mul_hi_u32 s60, s8, s17
	s_mul_i32 s8, s8, s17
	s_mul_hi_u32 s62, s7, s17
	s_add_u32 s8, s57, s8
	s_addc_u32 s57, 0, s60
	s_add_u32 s8, s8, s26
	s_mul_i32 s17, s7, s17
	s_addc_u32 s8, s57, s61
	s_addc_u32 s26, s62, 0
	s_add_u32 s8, s8, s17
	s_addc_u32 s17, 0, s26
	v_add_co_u32 v4, s8, v4, s8
	s_delay_alu instid0(VALU_DEP_1) | instskip(SKIP_1) | instid1(VALU_DEP_1)
	s_cmp_lg_u32 s8, 0
	s_addc_u32 s7, s7, s17
	v_readfirstlane_b32 s8, v4
	s_mul_i32 s17, s9, s7
	s_delay_alu instid0(VALU_DEP_1)
	s_mul_hi_u32 s26, s9, s8
	s_mul_i32 s16, s16, s8
	s_add_i32 s17, s26, s17
	s_mul_i32 s9, s9, s8
	s_add_i32 s17, s17, s16
	s_mul_hi_u32 s26, s7, s9
	s_mul_i32 s57, s7, s9
	s_mul_hi_u32 s9, s8, s9
	s_mul_hi_u32 s60, s8, s17
	s_mul_i32 s8, s8, s17
	s_mul_hi_u32 s16, s7, s17
	s_add_u32 s8, s9, s8
	s_addc_u32 s9, 0, s60
	s_add_u32 s8, s8, s57
	s_mul_i32 s17, s7, s17
	s_addc_u32 s8, s9, s26
	s_addc_u32 s9, s16, 0
	s_add_u32 s8, s8, s17
	s_addc_u32 s9, 0, s9
	v_add_co_u32 v4, s8, v4, s8
	s_delay_alu instid0(VALU_DEP_1) | instskip(SKIP_1) | instid1(VALU_DEP_1)
	s_cmp_lg_u32 s8, 0
	s_addc_u32 s7, s7, s9
	v_readfirstlane_b32 s8, v4
	s_mul_i32 s16, s77, s7
	s_mul_hi_u32 s9, s77, s7
	s_mul_hi_u32 s17, s27, s7
	s_mul_i32 s7, s27, s7
	s_mul_hi_u32 s26, s77, s8
	s_mul_hi_u32 s57, s27, s8
	s_mul_i32 s8, s27, s8
	s_add_u32 s16, s26, s16
	s_addc_u32 s9, 0, s9
	s_add_u32 s8, s16, s8
	s_addc_u32 s8, s9, s57
	s_addc_u32 s9, s17, 0
	s_add_u32 s7, s8, s7
	s_addc_u32 s8, 0, s9
	s_mul_hi_u32 s9, s33, s7
	s_mul_i32 s7, s33, s7
	s_mul_i32 s8, s33, s8
	v_sub_co_u32 v4, s7, s77, s7
	s_add_i32 s9, s9, s8
	s_cmp_lg_u32 s7, 0
	s_delay_alu instid0(VALU_DEP_1) | instskip(SKIP_2) | instid1(VALU_DEP_1)
	v_sub_co_u32 v5, s7, v4, s33
	s_subb_u32 s8, s27, s9
	s_cmp_lg_u32 s7, 0
	v_cmp_le_u32_e32 vcc_lo, s33, v5
	v_sub_co_u32 v6, s7, v5, s33
	s_subb_u32 s9, s8, 0
	s_cmp_lg_u32 s7, 0
	v_cndmask_b32_e64 v7, 0, -1, vcc_lo
	s_subb_u32 s7, s9, 0
	s_cmp_eq_u32 s9, 0
	v_mov_b32_e32 v9, s7
	s_cselect_b32 vcc_lo, -1, 0
	s_cmp_eq_u32 s8, 0
	v_cndmask_b32_e32 v7, -1, v7, vcc_lo
	v_cmp_le_u32_e32 vcc_lo, s33, v4
	s_cselect_b32 s7, -1, 0
	v_cndmask_b32_e64 v8, 0, -1, vcc_lo
	s_delay_alu instid0(VALU_DEP_3) | instskip(NEXT) | instid1(VALU_DEP_2)
	v_cmp_ne_u32_e32 vcc_lo, 0, v7
	v_cndmask_b32_e64 v7, -1, v8, s7
	v_cndmask_b32_e32 v8, s9, v9, vcc_lo
	v_cndmask_b32_e32 v6, v5, v6, vcc_lo
	s_delay_alu instid0(VALU_DEP_3) | instskip(NEXT) | instid1(VALU_DEP_3)
	v_cmp_ne_u32_e32 vcc_lo, 0, v7
	v_cndmask_b32_e32 v5, s8, v8, vcc_lo
	s_delay_alu instid0(VALU_DEP_3)
	v_cndmask_b32_e32 v4, v4, v6, vcc_lo
	s_cbranch_execnz .LBB132_342
.LBB132_341:                            ;   in Loop: Header=BB132_6 Depth=1
	v_cvt_f32_u32_e32 v4, s33
	s_sub_i32 s7, 0, s33
	s_delay_alu instid0(VALU_DEP_1) | instskip(SKIP_2) | instid1(VALU_DEP_1)
	v_rcp_iflag_f32_e32 v4, v4
	s_waitcnt_depctr 0xfff
	v_mul_f32_e32 v4, 0x4f7ffffe, v4
	v_cvt_u32_f32_e32 v4, v4
	s_delay_alu instid0(VALU_DEP_1) | instskip(NEXT) | instid1(VALU_DEP_1)
	v_mul_lo_u32 v5, s7, v4
	v_mul_hi_u32 v5, v4, v5
	s_delay_alu instid0(VALU_DEP_1) | instskip(NEXT) | instid1(VALU_DEP_1)
	v_add_nc_u32_e32 v4, v4, v5
	v_mul_hi_u32 v4, s77, v4
	s_delay_alu instid0(VALU_DEP_1) | instskip(NEXT) | instid1(VALU_DEP_1)
	v_mul_lo_u32 v4, v4, s33
	v_sub_nc_u32_e32 v4, s77, v4
	s_delay_alu instid0(VALU_DEP_1) | instskip(SKIP_1) | instid1(VALU_DEP_2)
	v_subrev_nc_u32_e32 v5, s33, v4
	v_cmp_le_u32_e32 vcc_lo, s33, v4
	v_cndmask_b32_e32 v4, v4, v5, vcc_lo
	s_delay_alu instid0(VALU_DEP_1) | instskip(SKIP_1) | instid1(VALU_DEP_2)
	v_subrev_nc_u32_e32 v5, s33, v4
	v_cmp_le_u32_e32 vcc_lo, s33, v4
	v_cndmask_b32_e32 v12, v4, v5, vcc_lo
	s_delay_alu instid0(VALU_DEP_1)
	v_dual_mov_b32 v4, v12 :: v_dual_mov_b32 v5, v13
.LBB132_342:                            ;   in Loop: Header=BB132_6 Depth=1
	s_delay_alu instid0(VALU_DEP_1) | instskip(NEXT) | instid1(VALU_DEP_2)
	v_sub_co_u32 v4, vcc_lo, s77, v4
	v_sub_co_ci_u32_e32 v5, vcc_lo, s27, v5, vcc_lo
	s_mov_b32 s7, 0
	s_mov_b32 s8, exec_lo
                                        ; implicit-def: $vgpr36
	s_delay_alu instid0(VALU_DEP_1)
	v_cmpx_gt_u64_e64 v[4:5], v[0:1]
	s_cbranch_execz .LBB132_351
; %bb.343:                              ;   in Loop: Header=BB132_6 Depth=1
	v_dual_mov_b32 v6, v10 :: v_dual_mov_b32 v7, v11
	v_dual_mov_b32 v9, v1 :: v_dual_mov_b32 v8, v0
	s_mov_b32 s9, 0
                                        ; implicit-def: $sgpr16
	s_set_inst_prefetch_distance 0x1
	s_branch .LBB132_345
	.p2align	6
.LBB132_344:                            ;   in Loop: Header=BB132_345 Depth=2
	s_or_b32 exec_lo, exec_lo, s7
	s_waitcnt vmcnt(0) lgkmcnt(0)
	s_barrier
	buffer_gl0_inv
	ds_load_u16 v12, v13 offset:3072
	v_add_co_u32 v8, vcc_lo, v8, s33
	v_add_co_ci_u32_e32 v9, vcc_lo, 0, v9, vcc_lo
	s_waitcnt lgkmcnt(0)
	s_barrier
	buffer_gl0_inv
	v_cmp_ge_u64_e32 vcc_lo, v[8:9], v[4:5]
	v_and_b32_e32 v23, 0xff, v12
	s_delay_alu instid0(VALU_DEP_1) | instskip(NEXT) | instid1(VALU_DEP_1)
	v_cmp_ne_u16_e64 s7, 0, v23
	s_or_b32 s17, vcc_lo, s7
	v_add_co_u32 v6, vcc_lo, v6, s68
	s_and_b32 s17, exec_lo, s17
	v_add_co_ci_u32_e32 v7, vcc_lo, s41, v7, vcc_lo
	s_or_b32 s9, s17, s9
	s_and_not1_b32 s16, s16, exec_lo
	s_and_b32 s7, s7, exec_lo
	s_delay_alu instid0(SALU_CYCLE_1)
	s_or_b32 s16, s16, s7
	s_and_not1_b32 exec_lo, exec_lo, s9
	s_cbranch_execz .LBB132_350
.LBB132_345:                            ;   Parent Loop BB132_6 Depth=1
                                        ; =>  This Inner Loop Header: Depth=2
	s_delay_alu instid0(VALU_DEP_1)
	v_cmp_gt_u64_e32 vcc_lo, s[28:29], v[8:9]
	v_mov_b32_e32 v12, 0
	s_and_saveexec_b32 s7, vcc_lo
	s_cbranch_execz .LBB132_347
; %bb.346:                              ;   in Loop: Header=BB132_345 Depth=2
	global_load_u8 v12, v[6:7], off
.LBB132_347:                            ;   in Loop: Header=BB132_345 Depth=2
	s_or_b32 exec_lo, exec_lo, s7
	s_and_saveexec_b32 s7, vcc_lo
	s_cbranch_execz .LBB132_344
; %bb.348:                              ;   in Loop: Header=BB132_345 Depth=2
	s_waitcnt vmcnt(0)
	v_bfe_i32 v23, v12, 0, 8
	s_delay_alu instid0(VALU_DEP_1) | instskip(NEXT) | instid1(VALU_DEP_1)
	v_add_nc_u32_e32 v23, 0x80, v23
	v_and_b32_e32 v23, v23, v34
	s_delay_alu instid0(VALU_DEP_1)
	v_cmp_eq_u32_e32 vcc_lo, v23, v35
	s_and_b32 exec_lo, exec_lo, vcc_lo
	s_cbranch_execz .LBB132_344
; %bb.349:                              ;   in Loop: Header=BB132_345 Depth=2
	v_lshlrev_b16 v12, 8, v12
	s_delay_alu instid0(VALU_DEP_1)
	v_or_b32_e32 v12, 1, v12
	ds_store_b16 v13, v12 offset:3072
	s_branch .LBB132_344
.LBB132_350:                            ;   in Loop: Header=BB132_6 Depth=1
	s_set_inst_prefetch_distance 0x2
	s_or_b32 exec_lo, exec_lo, s9
	v_lshrrev_b16 v36, 8, v12
	s_and_b32 s7, s16, exec_lo
.LBB132_351:                            ;   in Loop: Header=BB132_6 Depth=1
	s_or_b32 exec_lo, exec_lo, s8
	s_mov_b32 s17, 0
	s_mov_b32 s16, -1
	s_mov_b32 s57, 0
.LBB132_352:                            ;   in Loop: Header=BB132_6 Depth=1
	s_or_not1_b32 s7, s7, exec_lo
.LBB132_353:                            ;   in Loop: Header=BB132_6 Depth=1
	s_or_b32 exec_lo, exec_lo, s58
	s_mov_b32 s26, 0
                                        ; implicit-def: $vgpr6
	s_and_saveexec_b32 s58, s7
	s_cbranch_execz .LBB132_466
; %bb.354:                              ;   in Loop: Header=BB132_6 Depth=1
	v_mov_b32_e32 v4, 1
	v_dual_mov_b32 v5, 0 :: v_dual_mov_b32 v6, 1
	s_xor_b32 s8, s59, -1
	s_delay_alu instid0(SALU_CYCLE_1)
	s_and_saveexec_b32 s7, s8
	s_cbranch_execz .LBB132_364
; %bb.355:                              ;   in Loop: Header=BB132_6 Depth=1
	s_mov_b32 s9, exec_lo
                                        ; implicit-def: $sgpr26
                                        ; implicit-def: $sgpr8
	v_cmpx_ge_u64_e64 s[14:15], v[2:3]
	s_xor_b32 s9, exec_lo, s9
	s_cbranch_execz .LBB132_361
; %bb.356:                              ;   in Loop: Header=BB132_6 Depth=1
	ds_load_b64 v[4:5], v13 offset:5120
	s_waitcnt lgkmcnt(0)
	v_cmp_ne_u64_e32 vcc_lo, 0, v[4:5]
	s_cbranch_vccnz .LBB132_360
; %bb.357:                              ;   in Loop: Header=BB132_6 Depth=1
	s_and_saveexec_b32 s8, s5
	s_cbranch_execz .LBB132_359
; %bb.358:                              ;   in Loop: Header=BB132_6 Depth=1
	v_dual_mov_b32 v4, s14 :: v_dual_mov_b32 v5, s15
	ds_store_b64 v13, v[4:5] offset:5128
.LBB132_359:                            ;   in Loop: Header=BB132_6 Depth=1
	s_or_b32 exec_lo, exec_lo, s8
	s_waitcnt lgkmcnt(0)
	s_barrier
	buffer_gl0_inv
.LBB132_360:                            ;   in Loop: Header=BB132_6 Depth=1
	s_lshl_b32 s8, 2, s22
	v_or_b32_e32 v34, s20, v34
	v_and_or_b32 v35, v35, s21, s8
	s_mov_b32 s8, 0
	s_mov_b32 s26, 5
.LBB132_361:                            ;   in Loop: Header=BB132_6 Depth=1
	s_or_saveexec_b32 s9, s9
	v_mov_b32_e32 v6, s26
	s_xor_b32 exec_lo, exec_lo, s9
; %bb.362:                              ;   in Loop: Header=BB132_6 Depth=1
	v_sub_co_u32 v2, vcc_lo, v2, s14
	v_subrev_co_ci_u32_e32 v3, vcc_lo, s15, v3, vcc_lo
	v_mov_b32_e32 v6, 0
	s_or_b32 s8, s8, exec_lo
; %bb.363:                              ;   in Loop: Header=BB132_6 Depth=1
	s_or_b32 exec_lo, exec_lo, s9
	s_delay_alu instid0(VALU_DEP_2)
	v_dual_mov_b32 v5, v3 :: v_dual_mov_b32 v4, v2
	s_and_b32 s26, s8, exec_lo
.LBB132_364:                            ;   in Loop: Header=BB132_6 Depth=1
	s_or_b32 exec_lo, exec_lo, s7
	s_mov_b32 s7, -1
                                        ; implicit-def: $sgpr8
                                        ; implicit-def: $sgpr9
                                        ; implicit-def: $sgpr14
	s_and_saveexec_b32 s59, s26
	s_cbranch_execz .LBB132_465
; %bb.365:                              ;   in Loop: Header=BB132_6 Depth=1
	v_cmp_eq_u64_e32 vcc_lo, 1, v[4:5]
	s_cmp_eq_u64 s[12:13], 1
                                        ; implicit-def: $sgpr14
                                        ; implicit-def: $sgpr15
                                        ; implicit-def: $sgpr60
	s_cselect_b32 s7, -1, 0
	s_delay_alu instid0(SALU_CYCLE_1)
	s_and_b32 s62, s7, vcc_lo
	s_mov_b32 s7, -1
	s_and_saveexec_b32 s61, s62
	s_cbranch_execz .LBB132_399
; %bb.366:                              ;   in Loop: Header=BB132_6 Depth=1
	ds_load_b64 v[2:3], v13 offset:5120
	s_waitcnt lgkmcnt(0)
	s_barrier
	buffer_gl0_inv
	v_readfirstlane_b32 s8, v2
	v_readfirstlane_b32 s9, v3
	s_and_saveexec_b32 s7, s6
	s_cbranch_execz .LBB132_368
; %bb.367:                              ;   in Loop: Header=BB132_6 Depth=1
	ds_store_b8 v0, v13 offset:3072
.LBB132_368:                            ;   in Loop: Header=BB132_6 Depth=1
	s_or_b32 exec_lo, exec_lo, s7
	s_lshl_b32 s7, 1, s22
	v_or_b32_e32 v34, s20, v34
	v_and_or_b32 v35, v35, s21, s7
	s_cmp_eq_u64 s[8:9], 0
	s_waitcnt lgkmcnt(0)
	s_barrier
	buffer_gl0_inv
	s_cbranch_scc1 .LBB132_382
; %bb.369:                              ;   in Loop: Header=BB132_6 Depth=1
	s_add_u32 s26, s75, s8
	s_addc_u32 s15, s76, s9
	s_mov_b32 s14, s49
	s_delay_alu instid0(SALU_CYCLE_1)
	s_cmp_lg_u64 s[14:15], 0
	s_cbranch_scc0 .LBB132_417
; %bb.370:                              ;   in Loop: Header=BB132_6 Depth=1
	v_cvt_f32_u32_e32 v2, s33
	s_sub_u32 s60, 0, s33
	s_subb_u32 s63, 0, 0
	s_delay_alu instid0(VALU_DEP_1) | instskip(NEXT) | instid1(VALU_DEP_1)
	v_fmac_f32_e64 v2, 0, 0x4f800000
	v_rcp_f32_e32 v2, v2
	s_waitcnt_depctr 0xfff
	v_mul_f32_e32 v2, 0x5f7ffffc, v2
	s_delay_alu instid0(VALU_DEP_1) | instskip(NEXT) | instid1(VALU_DEP_1)
	v_mul_f32_e32 v3, 0x2f800000, v2
	v_trunc_f32_e32 v3, v3
	s_delay_alu instid0(VALU_DEP_1) | instskip(SKIP_1) | instid1(VALU_DEP_2)
	v_fmac_f32_e32 v2, 0xcf800000, v3
	v_cvt_u32_f32_e32 v3, v3
	v_cvt_u32_f32_e32 v2, v2
	s_delay_alu instid0(VALU_DEP_2) | instskip(NEXT) | instid1(VALU_DEP_2)
	v_readfirstlane_b32 s7, v3
	v_readfirstlane_b32 s14, v2
	s_delay_alu instid0(VALU_DEP_2) | instskip(NEXT) | instid1(VALU_DEP_1)
	s_mul_i32 s64, s60, s7
	s_mul_hi_u32 s66, s60, s14
	s_mul_i32 s65, s63, s14
	s_add_i32 s64, s66, s64
	s_mul_i32 s67, s60, s14
	s_add_i32 s64, s64, s65
	s_mul_hi_u32 s66, s14, s67
	s_mul_hi_u32 s95, s7, s67
	s_mul_i32 s65, s7, s67
	s_mul_hi_u32 s67, s14, s64
	s_mul_i32 s14, s14, s64
	s_mul_hi_u32 s96, s7, s64
	s_add_u32 s14, s66, s14
	s_addc_u32 s66, 0, s67
	s_add_u32 s14, s14, s65
	s_mul_i32 s64, s7, s64
	s_addc_u32 s14, s66, s95
	s_addc_u32 s65, s96, 0
	s_add_u32 s14, s14, s64
	s_addc_u32 s64, 0, s65
	v_add_co_u32 v2, s14, v2, s14
	s_delay_alu instid0(VALU_DEP_1) | instskip(SKIP_1) | instid1(VALU_DEP_1)
	s_cmp_lg_u32 s14, 0
	s_addc_u32 s7, s7, s64
	v_readfirstlane_b32 s14, v2
	s_mul_i32 s64, s60, s7
	s_delay_alu instid0(VALU_DEP_1)
	s_mul_hi_u32 s65, s60, s14
	s_mul_i32 s63, s63, s14
	s_add_i32 s64, s65, s64
	s_mul_i32 s60, s60, s14
	s_add_i32 s64, s64, s63
	s_mul_hi_u32 s65, s7, s60
	s_mul_i32 s66, s7, s60
	s_mul_hi_u32 s60, s14, s60
	s_mul_hi_u32 s67, s14, s64
	s_mul_i32 s14, s14, s64
	s_mul_hi_u32 s63, s7, s64
	s_add_u32 s14, s60, s14
	s_addc_u32 s60, 0, s67
	s_add_u32 s14, s14, s66
	s_mul_i32 s64, s7, s64
	s_addc_u32 s14, s60, s65
	s_addc_u32 s60, s63, 0
	s_add_u32 s14, s14, s64
	s_addc_u32 s60, 0, s60
	v_add_co_u32 v2, s14, v2, s14
	s_delay_alu instid0(VALU_DEP_1) | instskip(SKIP_1) | instid1(VALU_DEP_1)
	s_cmp_lg_u32 s14, 0
	s_addc_u32 s7, s7, s60
	v_readfirstlane_b32 s14, v2
	s_mul_i32 s63, s26, s7
	s_mul_hi_u32 s60, s26, s7
	s_mul_hi_u32 s64, s15, s7
	s_mul_i32 s7, s15, s7
	s_mul_hi_u32 s65, s26, s14
	s_mul_hi_u32 s66, s15, s14
	s_mul_i32 s14, s15, s14
	s_add_u32 s63, s65, s63
	s_addc_u32 s60, 0, s60
	s_add_u32 s14, s63, s14
	s_addc_u32 s14, s60, s66
	s_addc_u32 s60, s64, 0
	s_add_u32 s7, s14, s7
	s_addc_u32 s14, 0, s60
	s_mul_hi_u32 s60, s33, s7
	s_mul_i32 s7, s33, s7
	s_mul_i32 s14, s33, s14
	v_sub_co_u32 v2, s7, s26, s7
	s_add_i32 s60, s60, s14
	s_cmp_lg_u32 s7, 0
	s_delay_alu instid0(VALU_DEP_1) | instskip(SKIP_2) | instid1(VALU_DEP_1)
	v_sub_co_u32 v3, s7, v2, s33
	s_subb_u32 s14, s15, s60
	s_cmp_lg_u32 s7, 0
	v_cmp_le_u32_e32 vcc_lo, s33, v3
	v_sub_co_u32 v6, s7, v3, s33
	s_subb_u32 s60, s14, 0
	s_cmp_lg_u32 s7, 0
	v_cndmask_b32_e64 v7, 0, -1, vcc_lo
	s_subb_u32 s7, s60, 0
	s_cmp_eq_u32 s60, 0
	v_mov_b32_e32 v9, s7
	s_cselect_b32 vcc_lo, -1, 0
	s_cmp_eq_u32 s14, 0
	v_cndmask_b32_e32 v7, -1, v7, vcc_lo
	v_cmp_le_u32_e32 vcc_lo, s33, v2
	s_cselect_b32 s7, -1, 0
	v_cndmask_b32_e64 v8, 0, -1, vcc_lo
	s_delay_alu instid0(VALU_DEP_3) | instskip(NEXT) | instid1(VALU_DEP_2)
	v_cmp_ne_u32_e32 vcc_lo, 0, v7
	v_cndmask_b32_e64 v7, -1, v8, s7
	v_cndmask_b32_e32 v8, s60, v9, vcc_lo
	v_cndmask_b32_e32 v6, v3, v6, vcc_lo
	s_delay_alu instid0(VALU_DEP_3) | instskip(NEXT) | instid1(VALU_DEP_3)
	v_cmp_ne_u32_e32 vcc_lo, 0, v7
	v_cndmask_b32_e32 v3, s14, v8, vcc_lo
	s_delay_alu instid0(VALU_DEP_3)
	v_cndmask_b32_e32 v2, v2, v6, vcc_lo
	s_cbranch_execnz .LBB132_372
.LBB132_371:                            ;   in Loop: Header=BB132_6 Depth=1
	v_cvt_f32_u32_e32 v2, s33
	s_sub_i32 s7, 0, s33
	s_delay_alu instid0(VALU_DEP_1) | instskip(SKIP_2) | instid1(VALU_DEP_1)
	v_rcp_iflag_f32_e32 v2, v2
	s_waitcnt_depctr 0xfff
	v_mul_f32_e32 v2, 0x4f7ffffe, v2
	v_cvt_u32_f32_e32 v2, v2
	s_delay_alu instid0(VALU_DEP_1) | instskip(NEXT) | instid1(VALU_DEP_1)
	v_mul_lo_u32 v3, s7, v2
	v_mul_hi_u32 v3, v2, v3
	s_delay_alu instid0(VALU_DEP_1) | instskip(NEXT) | instid1(VALU_DEP_1)
	v_add_nc_u32_e32 v2, v2, v3
	v_mul_hi_u32 v2, s26, v2
	s_delay_alu instid0(VALU_DEP_1) | instskip(NEXT) | instid1(VALU_DEP_1)
	v_mul_lo_u32 v2, v2, s33
	v_sub_nc_u32_e32 v2, s26, v2
	s_delay_alu instid0(VALU_DEP_1) | instskip(SKIP_1) | instid1(VALU_DEP_2)
	v_subrev_nc_u32_e32 v3, s33, v2
	v_cmp_le_u32_e32 vcc_lo, s33, v2
	v_cndmask_b32_e32 v2, v2, v3, vcc_lo
	s_delay_alu instid0(VALU_DEP_1) | instskip(SKIP_1) | instid1(VALU_DEP_2)
	v_subrev_nc_u32_e32 v3, s33, v2
	v_cmp_le_u32_e32 vcc_lo, s33, v2
	v_cndmask_b32_e32 v12, v2, v3, vcc_lo
	s_delay_alu instid0(VALU_DEP_1)
	v_dual_mov_b32 v2, v12 :: v_dual_mov_b32 v3, v13
.LBB132_372:                            ;   in Loop: Header=BB132_6 Depth=1
	s_delay_alu instid0(VALU_DEP_1) | instskip(NEXT) | instid1(VALU_DEP_2)
	v_sub_co_u32 v2, vcc_lo, s26, v2
	v_sub_co_ci_u32_e32 v3, vcc_lo, s15, v3, vcc_lo
	s_mov_b32 s7, 0
	s_mov_b32 s14, exec_lo
                                        ; implicit-def: $vgpr36
	s_delay_alu instid0(VALU_DEP_1)
	v_cmpx_gt_u64_e64 v[2:3], v[0:1]
	s_cbranch_execz .LBB132_384
; %bb.373:                              ;   in Loop: Header=BB132_6 Depth=1
	v_dual_mov_b32 v8, v0 :: v_dual_mov_b32 v7, v1
	v_mov_b32_e32 v6, v0
	s_mov_b32 s15, 0
                                        ; implicit-def: $sgpr26
	s_set_inst_prefetch_distance 0x1
	s_branch .LBB132_375
	.p2align	6
.LBB132_374:                            ;   in Loop: Header=BB132_375 Depth=2
	s_or_b32 exec_lo, exec_lo, s7
	s_waitcnt lgkmcnt(0)
	s_barrier
	buffer_gl0_inv
	ds_load_u16 v9, v13 offset:3072
	v_add_co_u32 v6, vcc_lo, v6, s33
	v_add_co_ci_u32_e32 v7, vcc_lo, 0, v7, vcc_lo
	v_add_nc_u32_e32 v8, s33, v8
	s_waitcnt lgkmcnt(0)
	s_barrier
	s_delay_alu instid0(VALU_DEP_2) | instskip(SKIP_2) | instid1(VALU_DEP_1)
	v_cmp_ge_u64_e32 vcc_lo, v[6:7], v[2:3]
	buffer_gl0_inv
	v_and_b32_e32 v12, 0xff, v9
	v_cmp_ne_u16_e64 s7, 0, v12
	s_delay_alu instid0(VALU_DEP_1) | instskip(NEXT) | instid1(SALU_CYCLE_1)
	s_or_b32 s60, vcc_lo, s7
	s_and_b32 s60, exec_lo, s60
	s_delay_alu instid0(SALU_CYCLE_1) | instskip(SKIP_2) | instid1(SALU_CYCLE_1)
	s_or_b32 s15, s60, s15
	s_and_not1_b32 s26, s26, exec_lo
	s_and_b32 s7, s7, exec_lo
	s_or_b32 s26, s26, s7
	s_and_not1_b32 exec_lo, exec_lo, s15
	s_cbranch_execz .LBB132_383
.LBB132_375:                            ;   Parent Loop BB132_6 Depth=1
                                        ; =>  This Inner Loop Header: Depth=2
	s_delay_alu instid0(VALU_DEP_1)
	v_cmp_gt_u64_e32 vcc_lo, s[8:9], v[6:7]
	v_mov_b32_e32 v9, 0
	s_and_saveexec_b32 s7, vcc_lo
	s_cbranch_execz .LBB132_377
; %bb.376:                              ;   in Loop: Header=BB132_375 Depth=2
	ds_load_u8 v9, v8
.LBB132_377:                            ;   in Loop: Header=BB132_375 Depth=2
	s_or_b32 exec_lo, exec_lo, s7
	s_and_saveexec_b32 s7, vcc_lo
	s_cbranch_execz .LBB132_374
; %bb.378:                              ;   in Loop: Header=BB132_375 Depth=2
	s_waitcnt lgkmcnt(0)
	v_bfe_i32 v12, v9, 0, 8
	s_delay_alu instid0(VALU_DEP_1) | instskip(NEXT) | instid1(VALU_DEP_1)
	v_add_nc_u32_e32 v12, 0x80, v12
	v_and_b32_e32 v12, v12, v34
	s_delay_alu instid0(VALU_DEP_1)
	v_cmp_eq_u32_e32 vcc_lo, v12, v35
	s_and_b32 exec_lo, exec_lo, vcc_lo
	s_cbranch_execz .LBB132_374
; %bb.379:                              ;   in Loop: Header=BB132_375 Depth=2
	v_lshlrev_b16 v9, 8, v9
	s_delay_alu instid0(VALU_DEP_1)
	v_or_b32_e32 v9, 1, v9
	ds_store_b16 v13, v9 offset:3072
	s_branch .LBB132_374
.LBB132_380:                            ;   in Loop: Header=BB132_6 Depth=1
                                        ; implicit-def: $vgpr4_vgpr5
	s_branch .LBB132_325
.LBB132_381:                            ;   in Loop: Header=BB132_6 Depth=1
                                        ; implicit-def: $vgpr4_vgpr5
	s_branch .LBB132_341
.LBB132_382:                            ;   in Loop: Header=BB132_6 Depth=1
	s_mov_b32 s14, -1
	s_mov_b32 s7, 0
                                        ; implicit-def: $sgpr15
                                        ; implicit-def: $vgpr36
	s_mov_b32 s60, s14
	s_cbranch_execnz .LBB132_385
	s_branch .LBB132_398
.LBB132_383:                            ;   in Loop: Header=BB132_6 Depth=1
	s_set_inst_prefetch_distance 0x2
	s_or_b32 exec_lo, exec_lo, s15
	v_lshrrev_b16 v36, 8, v9
	s_and_b32 s7, s26, exec_lo
.LBB132_384:                            ;   in Loop: Header=BB132_6 Depth=1
	s_or_b32 exec_lo, exec_lo, s14
	s_mov_b32 s14, 0
	s_mov_b32 s15, -1
	s_mov_b32 s60, s14
	s_branch .LBB132_398
.LBB132_385:                            ;   in Loop: Header=BB132_6 Depth=1
	s_mov_b32 s26, s49
	s_delay_alu instid0(SALU_CYCLE_1)
	s_cmp_lg_u64 s[26:27], 0
	s_cbranch_scc0 .LBB132_418
; %bb.386:                              ;   in Loop: Header=BB132_6 Depth=1
	v_cvt_f32_u32_e32 v2, s33
	s_sub_u32 s9, 0, s33
	s_subb_u32 s14, 0, 0
	s_delay_alu instid0(VALU_DEP_1) | instskip(NEXT) | instid1(VALU_DEP_1)
	v_fmac_f32_e64 v2, 0, 0x4f800000
	v_rcp_f32_e32 v2, v2
	s_waitcnt_depctr 0xfff
	v_mul_f32_e32 v2, 0x5f7ffffc, v2
	s_delay_alu instid0(VALU_DEP_1) | instskip(NEXT) | instid1(VALU_DEP_1)
	v_mul_f32_e32 v3, 0x2f800000, v2
	v_trunc_f32_e32 v3, v3
	s_delay_alu instid0(VALU_DEP_1) | instskip(SKIP_1) | instid1(VALU_DEP_2)
	v_fmac_f32_e32 v2, 0xcf800000, v3
	v_cvt_u32_f32_e32 v3, v3
	v_cvt_u32_f32_e32 v2, v2
	s_delay_alu instid0(VALU_DEP_2) | instskip(NEXT) | instid1(VALU_DEP_2)
	v_readfirstlane_b32 s7, v3
	v_readfirstlane_b32 s8, v2
	s_delay_alu instid0(VALU_DEP_2) | instskip(NEXT) | instid1(VALU_DEP_1)
	s_mul_i32 s15, s9, s7
	s_mul_hi_u32 s60, s9, s8
	s_mul_i32 s26, s14, s8
	s_add_i32 s15, s60, s15
	s_mul_i32 s63, s9, s8
	s_add_i32 s15, s15, s26
	s_mul_hi_u32 s60, s8, s63
	s_mul_hi_u32 s64, s7, s63
	s_mul_i32 s26, s7, s63
	s_mul_hi_u32 s63, s8, s15
	s_mul_i32 s8, s8, s15
	s_mul_hi_u32 s65, s7, s15
	s_add_u32 s8, s60, s8
	s_addc_u32 s60, 0, s63
	s_add_u32 s8, s8, s26
	s_mul_i32 s15, s7, s15
	s_addc_u32 s8, s60, s64
	s_addc_u32 s26, s65, 0
	s_add_u32 s8, s8, s15
	s_addc_u32 s15, 0, s26
	v_add_co_u32 v2, s8, v2, s8
	s_delay_alu instid0(VALU_DEP_1) | instskip(SKIP_1) | instid1(VALU_DEP_1)
	s_cmp_lg_u32 s8, 0
	s_addc_u32 s7, s7, s15
	v_readfirstlane_b32 s8, v2
	s_mul_i32 s15, s9, s7
	s_delay_alu instid0(VALU_DEP_1)
	s_mul_hi_u32 s26, s9, s8
	s_mul_i32 s14, s14, s8
	s_add_i32 s15, s26, s15
	s_mul_i32 s9, s9, s8
	s_add_i32 s15, s15, s14
	s_mul_hi_u32 s26, s7, s9
	s_mul_i32 s60, s7, s9
	s_mul_hi_u32 s9, s8, s9
	s_mul_hi_u32 s63, s8, s15
	s_mul_i32 s8, s8, s15
	s_mul_hi_u32 s14, s7, s15
	s_add_u32 s8, s9, s8
	s_addc_u32 s9, 0, s63
	s_add_u32 s8, s8, s60
	s_mul_i32 s15, s7, s15
	s_addc_u32 s8, s9, s26
	s_addc_u32 s9, s14, 0
	s_add_u32 s8, s8, s15
	s_addc_u32 s9, 0, s9
	v_add_co_u32 v2, s8, v2, s8
	s_delay_alu instid0(VALU_DEP_1) | instskip(SKIP_1) | instid1(VALU_DEP_1)
	s_cmp_lg_u32 s8, 0
	s_addc_u32 s7, s7, s9
	v_readfirstlane_b32 s8, v2
	s_mul_i32 s14, s77, s7
	s_mul_hi_u32 s9, s77, s7
	s_mul_hi_u32 s15, s27, s7
	s_mul_i32 s7, s27, s7
	s_mul_hi_u32 s26, s77, s8
	s_mul_hi_u32 s60, s27, s8
	s_mul_i32 s8, s27, s8
	s_add_u32 s14, s26, s14
	s_addc_u32 s9, 0, s9
	s_add_u32 s8, s14, s8
	s_addc_u32 s8, s9, s60
	s_addc_u32 s9, s15, 0
	s_add_u32 s7, s8, s7
	s_addc_u32 s8, 0, s9
	s_mul_hi_u32 s9, s33, s7
	s_mul_i32 s7, s33, s7
	s_mul_i32 s8, s33, s8
	v_sub_co_u32 v2, s7, s77, s7
	s_add_i32 s9, s9, s8
	s_cmp_lg_u32 s7, 0
	s_delay_alu instid0(VALU_DEP_1) | instskip(SKIP_2) | instid1(VALU_DEP_1)
	v_sub_co_u32 v3, s7, v2, s33
	s_subb_u32 s8, s27, s9
	s_cmp_lg_u32 s7, 0
	v_cmp_le_u32_e32 vcc_lo, s33, v3
	v_sub_co_u32 v6, s7, v3, s33
	s_subb_u32 s9, s8, 0
	s_cmp_lg_u32 s7, 0
	v_cndmask_b32_e64 v7, 0, -1, vcc_lo
	s_subb_u32 s7, s9, 0
	s_cmp_eq_u32 s9, 0
	v_mov_b32_e32 v9, s7
	s_cselect_b32 vcc_lo, -1, 0
	s_cmp_eq_u32 s8, 0
	v_cndmask_b32_e32 v7, -1, v7, vcc_lo
	v_cmp_le_u32_e32 vcc_lo, s33, v2
	s_cselect_b32 s7, -1, 0
	v_cndmask_b32_e64 v8, 0, -1, vcc_lo
	s_delay_alu instid0(VALU_DEP_3) | instskip(NEXT) | instid1(VALU_DEP_2)
	v_cmp_ne_u32_e32 vcc_lo, 0, v7
	v_cndmask_b32_e64 v7, -1, v8, s7
	v_cndmask_b32_e32 v8, s9, v9, vcc_lo
	v_cndmask_b32_e32 v6, v3, v6, vcc_lo
	s_delay_alu instid0(VALU_DEP_3) | instskip(NEXT) | instid1(VALU_DEP_3)
	v_cmp_ne_u32_e32 vcc_lo, 0, v7
	v_cndmask_b32_e32 v3, s8, v8, vcc_lo
	s_delay_alu instid0(VALU_DEP_3)
	v_cndmask_b32_e32 v2, v2, v6, vcc_lo
	s_cbranch_execnz .LBB132_388
.LBB132_387:                            ;   in Loop: Header=BB132_6 Depth=1
	v_cvt_f32_u32_e32 v2, s33
	s_sub_i32 s7, 0, s33
	s_delay_alu instid0(VALU_DEP_1) | instskip(SKIP_2) | instid1(VALU_DEP_1)
	v_rcp_iflag_f32_e32 v2, v2
	s_waitcnt_depctr 0xfff
	v_mul_f32_e32 v2, 0x4f7ffffe, v2
	v_cvt_u32_f32_e32 v2, v2
	s_delay_alu instid0(VALU_DEP_1) | instskip(NEXT) | instid1(VALU_DEP_1)
	v_mul_lo_u32 v3, s7, v2
	v_mul_hi_u32 v3, v2, v3
	s_delay_alu instid0(VALU_DEP_1) | instskip(NEXT) | instid1(VALU_DEP_1)
	v_add_nc_u32_e32 v2, v2, v3
	v_mul_hi_u32 v2, s77, v2
	s_delay_alu instid0(VALU_DEP_1) | instskip(NEXT) | instid1(VALU_DEP_1)
	v_mul_lo_u32 v2, v2, s33
	v_sub_nc_u32_e32 v2, s77, v2
	s_delay_alu instid0(VALU_DEP_1) | instskip(SKIP_1) | instid1(VALU_DEP_2)
	v_subrev_nc_u32_e32 v3, s33, v2
	v_cmp_le_u32_e32 vcc_lo, s33, v2
	v_cndmask_b32_e32 v2, v2, v3, vcc_lo
	s_delay_alu instid0(VALU_DEP_1) | instskip(SKIP_1) | instid1(VALU_DEP_2)
	v_subrev_nc_u32_e32 v3, s33, v2
	v_cmp_le_u32_e32 vcc_lo, s33, v2
	v_cndmask_b32_e32 v12, v2, v3, vcc_lo
	s_delay_alu instid0(VALU_DEP_1)
	v_dual_mov_b32 v2, v12 :: v_dual_mov_b32 v3, v13
.LBB132_388:                            ;   in Loop: Header=BB132_6 Depth=1
	s_delay_alu instid0(VALU_DEP_1) | instskip(NEXT) | instid1(VALU_DEP_2)
	v_sub_co_u32 v2, vcc_lo, s77, v2
	v_sub_co_ci_u32_e32 v3, vcc_lo, s27, v3, vcc_lo
	s_mov_b32 s7, 0
	s_mov_b32 s8, exec_lo
                                        ; implicit-def: $vgpr36
	s_delay_alu instid0(VALU_DEP_1)
	v_cmpx_gt_u64_e64 v[2:3], v[0:1]
	s_cbranch_execz .LBB132_397
; %bb.389:                              ;   in Loop: Header=BB132_6 Depth=1
	v_dual_mov_b32 v6, v10 :: v_dual_mov_b32 v7, v11
	v_dual_mov_b32 v9, v1 :: v_dual_mov_b32 v8, v0
	s_mov_b32 s9, 0
                                        ; implicit-def: $sgpr14
	s_set_inst_prefetch_distance 0x1
	s_branch .LBB132_391
	.p2align	6
.LBB132_390:                            ;   in Loop: Header=BB132_391 Depth=2
	s_or_b32 exec_lo, exec_lo, s7
	s_waitcnt vmcnt(0) lgkmcnt(0)
	s_barrier
	buffer_gl0_inv
	ds_load_u16 v12, v13 offset:3072
	v_add_co_u32 v8, vcc_lo, v8, s33
	v_add_co_ci_u32_e32 v9, vcc_lo, 0, v9, vcc_lo
	s_waitcnt lgkmcnt(0)
	s_barrier
	buffer_gl0_inv
	v_cmp_ge_u64_e32 vcc_lo, v[8:9], v[2:3]
	v_and_b32_e32 v23, 0xff, v12
	s_delay_alu instid0(VALU_DEP_1) | instskip(NEXT) | instid1(VALU_DEP_1)
	v_cmp_ne_u16_e64 s7, 0, v23
	s_or_b32 s15, vcc_lo, s7
	v_add_co_u32 v6, vcc_lo, v6, s68
	s_and_b32 s15, exec_lo, s15
	v_add_co_ci_u32_e32 v7, vcc_lo, s41, v7, vcc_lo
	s_or_b32 s9, s15, s9
	s_and_not1_b32 s14, s14, exec_lo
	s_and_b32 s7, s7, exec_lo
	s_delay_alu instid0(SALU_CYCLE_1)
	s_or_b32 s14, s14, s7
	s_and_not1_b32 exec_lo, exec_lo, s9
	s_cbranch_execz .LBB132_396
.LBB132_391:                            ;   Parent Loop BB132_6 Depth=1
                                        ; =>  This Inner Loop Header: Depth=2
	s_delay_alu instid0(VALU_DEP_1)
	v_cmp_gt_u64_e32 vcc_lo, s[28:29], v[8:9]
	v_mov_b32_e32 v12, 0
	s_and_saveexec_b32 s7, vcc_lo
	s_cbranch_execz .LBB132_393
; %bb.392:                              ;   in Loop: Header=BB132_391 Depth=2
	global_load_u8 v12, v[6:7], off
.LBB132_393:                            ;   in Loop: Header=BB132_391 Depth=2
	s_or_b32 exec_lo, exec_lo, s7
	s_and_saveexec_b32 s7, vcc_lo
	s_cbranch_execz .LBB132_390
; %bb.394:                              ;   in Loop: Header=BB132_391 Depth=2
	s_waitcnt vmcnt(0)
	v_bfe_i32 v23, v12, 0, 8
	s_delay_alu instid0(VALU_DEP_1) | instskip(NEXT) | instid1(VALU_DEP_1)
	v_add_nc_u32_e32 v23, 0x80, v23
	v_and_b32_e32 v23, v23, v34
	s_delay_alu instid0(VALU_DEP_1)
	v_cmp_eq_u32_e32 vcc_lo, v23, v35
	s_and_b32 exec_lo, exec_lo, vcc_lo
	s_cbranch_execz .LBB132_390
; %bb.395:                              ;   in Loop: Header=BB132_391 Depth=2
	v_lshlrev_b16 v12, 8, v12
	s_delay_alu instid0(VALU_DEP_1)
	v_or_b32_e32 v12, 1, v12
	ds_store_b16 v13, v12 offset:3072
	s_branch .LBB132_390
.LBB132_396:                            ;   in Loop: Header=BB132_6 Depth=1
	s_set_inst_prefetch_distance 0x2
	s_or_b32 exec_lo, exec_lo, s9
	v_lshrrev_b16 v36, 8, v12
	s_and_b32 s7, s14, exec_lo
.LBB132_397:                            ;   in Loop: Header=BB132_6 Depth=1
	s_or_b32 exec_lo, exec_lo, s8
	s_mov_b32 s15, 0
	s_mov_b32 s14, -1
	s_mov_b32 s60, 0
.LBB132_398:                            ;   in Loop: Header=BB132_6 Depth=1
	s_or_not1_b32 s7, s7, exec_lo
.LBB132_399:                            ;   in Loop: Header=BB132_6 Depth=1
	s_or_b32 exec_lo, exec_lo, s61
	s_mov_b32 s26, 0
                                        ; implicit-def: $vgpr6
	s_and_saveexec_b32 s61, s7
	s_cbranch_execz .LBB132_464
; %bb.400:                              ;   in Loop: Header=BB132_6 Depth=1
	v_mov_b32_e32 v2, 1
	v_dual_mov_b32 v3, 0 :: v_dual_mov_b32 v6, 1
	s_xor_b32 s8, s62, -1
	s_delay_alu instid0(SALU_CYCLE_1)
	s_and_saveexec_b32 s7, s8
	s_cbranch_execz .LBB132_410
; %bb.401:                              ;   in Loop: Header=BB132_6 Depth=1
	s_mov_b32 s9, exec_lo
                                        ; implicit-def: $sgpr26
                                        ; implicit-def: $sgpr8
	v_cmpx_ge_u64_e64 s[12:13], v[4:5]
	s_xor_b32 s9, exec_lo, s9
	s_cbranch_execz .LBB132_407
; %bb.402:                              ;   in Loop: Header=BB132_6 Depth=1
	ds_load_b64 v[2:3], v13 offset:5120
	s_waitcnt lgkmcnt(0)
	v_cmp_ne_u64_e32 vcc_lo, 0, v[2:3]
	s_cbranch_vccnz .LBB132_406
; %bb.403:                              ;   in Loop: Header=BB132_6 Depth=1
	s_and_saveexec_b32 s8, s5
	s_cbranch_execz .LBB132_405
; %bb.404:                              ;   in Loop: Header=BB132_6 Depth=1
	v_dual_mov_b32 v2, s12 :: v_dual_mov_b32 v3, s13
	ds_store_b64 v13, v[2:3] offset:5128
.LBB132_405:                            ;   in Loop: Header=BB132_6 Depth=1
	s_or_b32 exec_lo, exec_lo, s8
	s_waitcnt lgkmcnt(0)
	s_barrier
	buffer_gl0_inv
.LBB132_406:                            ;   in Loop: Header=BB132_6 Depth=1
	s_lshl_b32 s8, 1, s22
	v_or_b32_e32 v34, s20, v34
	v_and_or_b32 v35, v35, s21, s8
	s_mov_b32 s8, 0
	s_mov_b32 s26, 5
.LBB132_407:                            ;   in Loop: Header=BB132_6 Depth=1
	s_or_saveexec_b32 s9, s9
	v_mov_b32_e32 v6, s26
	s_xor_b32 exec_lo, exec_lo, s9
; %bb.408:                              ;   in Loop: Header=BB132_6 Depth=1
	v_sub_co_u32 v4, vcc_lo, v4, s12
	v_subrev_co_ci_u32_e32 v5, vcc_lo, s13, v5, vcc_lo
	v_mov_b32_e32 v6, 0
	s_or_b32 s8, s8, exec_lo
; %bb.409:                              ;   in Loop: Header=BB132_6 Depth=1
	s_or_b32 exec_lo, exec_lo, s9
	s_delay_alu instid0(VALU_DEP_2)
	v_dual_mov_b32 v2, v4 :: v_dual_mov_b32 v3, v5
	s_and_b32 s26, s8, exec_lo
.LBB132_410:                            ;   in Loop: Header=BB132_6 Depth=1
	s_or_b32 exec_lo, exec_lo, s7
	s_mov_b32 s12, -1
                                        ; implicit-def: $sgpr7
                                        ; implicit-def: $sgpr8
                                        ; implicit-def: $sgpr9
	s_and_saveexec_b32 s22, s26
	s_cbranch_execz .LBB132_463
; %bb.411:                              ;   in Loop: Header=BB132_6 Depth=1
	v_cmp_eq_u64_e32 vcc_lo, 1, v[2:3]
	s_cmp_eq_u64 s[10:11], 1
	s_mov_b32 s13, -1
	s_cselect_b32 s7, -1, 0
                                        ; implicit-def: $sgpr8
                                        ; implicit-def: $sgpr9
	s_delay_alu instid0(SALU_CYCLE_1) | instskip(NEXT) | instid1(SALU_CYCLE_1)
	s_and_b32 s62, s7, vcc_lo
                                        ; implicit-def: $sgpr7
	s_and_saveexec_b32 s63, s62
	s_cbranch_execz .LBB132_450
; %bb.412:                              ;   in Loop: Header=BB132_6 Depth=1
	ds_load_b64 v[4:5], v13 offset:5120
	s_waitcnt lgkmcnt(0)
	s_barrier
	buffer_gl0_inv
	v_readfirstlane_b32 s8, v4
	v_readfirstlane_b32 s9, v5
	s_and_saveexec_b32 s7, s6
	s_cbranch_execz .LBB132_414
; %bb.413:                              ;   in Loop: Header=BB132_6 Depth=1
	ds_store_b8 v0, v13 offset:3072
.LBB132_414:                            ;   in Loop: Header=BB132_6 Depth=1
	s_or_b32 exec_lo, exec_lo, s7
	v_and_b32_e32 v35, s21, v35
	v_or_b32_e32 v34, s20, v34
	s_cmp_eq_u64 s[8:9], 0
	s_waitcnt lgkmcnt(0)
	s_barrier
	buffer_gl0_inv
	s_cbranch_scc1 .LBB132_419
; %bb.415:                              ;   in Loop: Header=BB132_6 Depth=1
	s_add_u32 s26, s75, s8
	s_addc_u32 s13, s76, s9
	s_mov_b32 s12, s49
	s_delay_alu instid0(SALU_CYCLE_1)
	s_cmp_lg_u64 s[12:13], 0
	s_cbranch_scc0 .LBB132_420
; %bb.416:                              ;   in Loop: Header=BB132_6 Depth=1
	v_cvt_f32_u32_e32 v4, s33
	s_sub_u32 s64, 0, s33
	s_subb_u32 s65, 0, 0
	s_delay_alu instid0(VALU_DEP_1) | instskip(NEXT) | instid1(VALU_DEP_1)
	v_fmac_f32_e64 v4, 0, 0x4f800000
	v_rcp_f32_e32 v4, v4
	s_waitcnt_depctr 0xfff
	v_mul_f32_e32 v4, 0x5f7ffffc, v4
	s_delay_alu instid0(VALU_DEP_1) | instskip(NEXT) | instid1(VALU_DEP_1)
	v_mul_f32_e32 v5, 0x2f800000, v4
	v_trunc_f32_e32 v5, v5
	s_delay_alu instid0(VALU_DEP_1) | instskip(SKIP_1) | instid1(VALU_DEP_2)
	v_fmac_f32_e32 v4, 0xcf800000, v5
	v_cvt_u32_f32_e32 v5, v5
	v_cvt_u32_f32_e32 v4, v4
	s_delay_alu instid0(VALU_DEP_2) | instskip(NEXT) | instid1(VALU_DEP_2)
	v_readfirstlane_b32 s7, v5
	v_readfirstlane_b32 s12, v4
	s_delay_alu instid0(VALU_DEP_2) | instskip(NEXT) | instid1(VALU_DEP_1)
	s_mul_i32 s66, s64, s7
	s_mul_hi_u32 s95, s64, s12
	s_mul_i32 s67, s65, s12
	s_add_i32 s66, s95, s66
	s_mul_i32 s96, s64, s12
	s_add_i32 s66, s66, s67
	s_mul_hi_u32 s95, s12, s96
	s_mul_hi_u32 s97, s7, s96
	s_mul_i32 s67, s7, s96
	s_mul_hi_u32 s96, s12, s66
	s_mul_i32 s12, s12, s66
	s_mul_hi_u32 s98, s7, s66
	s_add_u32 s12, s95, s12
	s_addc_u32 s95, 0, s96
	s_add_u32 s12, s12, s67
	s_mul_i32 s66, s7, s66
	s_addc_u32 s12, s95, s97
	s_addc_u32 s67, s98, 0
	s_add_u32 s12, s12, s66
	s_addc_u32 s66, 0, s67
	v_add_co_u32 v4, s12, v4, s12
	s_delay_alu instid0(VALU_DEP_1) | instskip(SKIP_1) | instid1(VALU_DEP_1)
	s_cmp_lg_u32 s12, 0
	s_addc_u32 s7, s7, s66
	v_readfirstlane_b32 s12, v4
	s_mul_i32 s66, s64, s7
	s_delay_alu instid0(VALU_DEP_1)
	s_mul_hi_u32 s67, s64, s12
	s_mul_i32 s65, s65, s12
	s_add_i32 s66, s67, s66
	s_mul_i32 s64, s64, s12
	s_add_i32 s66, s66, s65
	s_mul_hi_u32 s67, s7, s64
	s_mul_i32 s95, s7, s64
	s_mul_hi_u32 s64, s12, s64
	s_mul_hi_u32 s96, s12, s66
	s_mul_i32 s12, s12, s66
	s_mul_hi_u32 s65, s7, s66
	s_add_u32 s12, s64, s12
	s_addc_u32 s64, 0, s96
	s_add_u32 s12, s12, s95
	s_mul_i32 s66, s7, s66
	s_addc_u32 s12, s64, s67
	s_addc_u32 s64, s65, 0
	s_add_u32 s12, s12, s66
	s_addc_u32 s64, 0, s64
	v_add_co_u32 v4, s12, v4, s12
	s_delay_alu instid0(VALU_DEP_1) | instskip(SKIP_1) | instid1(VALU_DEP_1)
	s_cmp_lg_u32 s12, 0
	s_addc_u32 s7, s7, s64
	v_readfirstlane_b32 s12, v4
	s_mul_i32 s65, s26, s7
	s_mul_hi_u32 s64, s26, s7
	s_mul_hi_u32 s66, s13, s7
	s_mul_i32 s7, s13, s7
	s_mul_hi_u32 s67, s26, s12
	s_mul_hi_u32 s95, s13, s12
	s_mul_i32 s12, s13, s12
	s_add_u32 s65, s67, s65
	s_addc_u32 s64, 0, s64
	s_add_u32 s12, s65, s12
	s_addc_u32 s12, s64, s95
	s_addc_u32 s64, s66, 0
	s_add_u32 s7, s12, s7
	s_addc_u32 s12, 0, s64
	s_mul_hi_u32 s64, s33, s7
	s_mul_i32 s7, s33, s7
	s_mul_i32 s12, s33, s12
	v_sub_co_u32 v4, s7, s26, s7
	s_add_i32 s64, s64, s12
	s_cmp_lg_u32 s7, 0
	s_delay_alu instid0(VALU_DEP_1) | instskip(SKIP_2) | instid1(VALU_DEP_1)
	v_sub_co_u32 v5, s7, v4, s33
	s_subb_u32 s12, s13, s64
	s_cmp_lg_u32 s7, 0
	v_cmp_le_u32_e32 vcc_lo, s33, v5
	v_sub_co_u32 v6, s7, v5, s33
	s_subb_u32 s64, s12, 0
	s_cmp_lg_u32 s7, 0
	v_cndmask_b32_e64 v7, 0, -1, vcc_lo
	s_subb_u32 s7, s64, 0
	s_cmp_eq_u32 s64, 0
	v_mov_b32_e32 v9, s7
	s_cselect_b32 vcc_lo, -1, 0
	s_cmp_eq_u32 s12, 0
	v_cndmask_b32_e32 v7, -1, v7, vcc_lo
	v_cmp_le_u32_e32 vcc_lo, s33, v4
	s_cselect_b32 s7, -1, 0
	v_cndmask_b32_e64 v8, 0, -1, vcc_lo
	s_delay_alu instid0(VALU_DEP_3) | instskip(NEXT) | instid1(VALU_DEP_2)
	v_cmp_ne_u32_e32 vcc_lo, 0, v7
	v_cndmask_b32_e64 v7, -1, v8, s7
	v_cndmask_b32_e32 v8, s64, v9, vcc_lo
	v_cndmask_b32_e32 v6, v5, v6, vcc_lo
	s_mov_b32 s7, 0
	s_delay_alu instid0(VALU_DEP_3) | instskip(NEXT) | instid1(VALU_DEP_3)
	v_cmp_ne_u32_e32 vcc_lo, 0, v7
	v_cndmask_b32_e32 v5, s12, v8, vcc_lo
	s_delay_alu instid0(VALU_DEP_3)
	v_cndmask_b32_e32 v4, v4, v6, vcc_lo
	s_branch .LBB132_421
.LBB132_417:                            ;   in Loop: Header=BB132_6 Depth=1
                                        ; implicit-def: $vgpr2_vgpr3
	s_branch .LBB132_371
.LBB132_418:                            ;   in Loop: Header=BB132_6 Depth=1
                                        ; implicit-def: $vgpr2_vgpr3
	s_branch .LBB132_387
.LBB132_419:                            ;   in Loop: Header=BB132_6 Depth=1
	s_mov_b32 s7, -1
	s_mov_b32 s13, 0
                                        ; implicit-def: $sgpr8
                                        ; implicit-def: $vgpr36
	s_branch .LBB132_433
.LBB132_420:                            ;   in Loop: Header=BB132_6 Depth=1
	s_mov_b32 s7, -1
                                        ; implicit-def: $vgpr4_vgpr5
.LBB132_421:                            ;   in Loop: Header=BB132_6 Depth=1
	s_delay_alu instid0(SALU_CYCLE_1)
	s_and_not1_b32 vcc_lo, exec_lo, s7
	s_cbranch_vccnz .LBB132_423
; %bb.422:                              ;   in Loop: Header=BB132_6 Depth=1
	v_cvt_f32_u32_e32 v4, s33
	s_sub_i32 s7, 0, s33
	s_delay_alu instid0(VALU_DEP_1) | instskip(SKIP_2) | instid1(VALU_DEP_1)
	v_rcp_iflag_f32_e32 v4, v4
	s_waitcnt_depctr 0xfff
	v_mul_f32_e32 v4, 0x4f7ffffe, v4
	v_cvt_u32_f32_e32 v4, v4
	s_delay_alu instid0(VALU_DEP_1) | instskip(NEXT) | instid1(VALU_DEP_1)
	v_mul_lo_u32 v5, s7, v4
	v_mul_hi_u32 v5, v4, v5
	s_delay_alu instid0(VALU_DEP_1) | instskip(NEXT) | instid1(VALU_DEP_1)
	v_add_nc_u32_e32 v4, v4, v5
	v_mul_hi_u32 v4, s26, v4
	s_delay_alu instid0(VALU_DEP_1) | instskip(NEXT) | instid1(VALU_DEP_1)
	v_mul_lo_u32 v4, v4, s33
	v_sub_nc_u32_e32 v4, s26, v4
	s_delay_alu instid0(VALU_DEP_1) | instskip(SKIP_1) | instid1(VALU_DEP_2)
	v_subrev_nc_u32_e32 v5, s33, v4
	v_cmp_le_u32_e32 vcc_lo, s33, v4
	v_cndmask_b32_e32 v4, v4, v5, vcc_lo
	s_delay_alu instid0(VALU_DEP_1) | instskip(SKIP_1) | instid1(VALU_DEP_2)
	v_subrev_nc_u32_e32 v5, s33, v4
	v_cmp_le_u32_e32 vcc_lo, s33, v4
	v_cndmask_b32_e32 v12, v4, v5, vcc_lo
	s_delay_alu instid0(VALU_DEP_1)
	v_dual_mov_b32 v4, v12 :: v_dual_mov_b32 v5, v13
.LBB132_423:                            ;   in Loop: Header=BB132_6 Depth=1
	s_delay_alu instid0(VALU_DEP_1) | instskip(NEXT) | instid1(VALU_DEP_2)
	v_sub_co_u32 v4, vcc_lo, s26, v4
	v_sub_co_ci_u32_e32 v5, vcc_lo, s13, v5, vcc_lo
	s_mov_b32 s13, 0
	s_mov_b32 s12, exec_lo
                                        ; implicit-def: $vgpr36
	s_delay_alu instid0(VALU_DEP_1)
	v_cmpx_gt_u64_e64 v[4:5], v[0:1]
	s_cbranch_execz .LBB132_432
; %bb.424:                              ;   in Loop: Header=BB132_6 Depth=1
	v_dual_mov_b32 v8, v0 :: v_dual_mov_b32 v7, v1
	v_mov_b32_e32 v6, v0
                                        ; implicit-def: $sgpr26
	s_set_inst_prefetch_distance 0x1
	s_branch .LBB132_426
	.p2align	6
.LBB132_425:                            ;   in Loop: Header=BB132_426 Depth=2
	s_or_b32 exec_lo, exec_lo, s7
	s_waitcnt lgkmcnt(0)
	s_barrier
	buffer_gl0_inv
	ds_load_u16 v9, v13 offset:3072
	v_add_co_u32 v6, vcc_lo, v6, s33
	v_add_co_ci_u32_e32 v7, vcc_lo, 0, v7, vcc_lo
	v_add_nc_u32_e32 v8, s33, v8
	s_waitcnt lgkmcnt(0)
	s_barrier
	s_delay_alu instid0(VALU_DEP_2) | instskip(SKIP_2) | instid1(VALU_DEP_1)
	v_cmp_ge_u64_e32 vcc_lo, v[6:7], v[4:5]
	buffer_gl0_inv
	v_and_b32_e32 v12, 0xff, v9
	v_cmp_ne_u16_e64 s7, 0, v12
	s_delay_alu instid0(VALU_DEP_1) | instskip(NEXT) | instid1(SALU_CYCLE_1)
	s_or_b32 s64, vcc_lo, s7
	s_and_b32 s64, exec_lo, s64
	s_delay_alu instid0(SALU_CYCLE_1) | instskip(SKIP_2) | instid1(SALU_CYCLE_1)
	s_or_b32 s13, s64, s13
	s_and_not1_b32 s26, s26, exec_lo
	s_and_b32 s7, s7, exec_lo
	s_or_b32 s26, s26, s7
	s_and_not1_b32 exec_lo, exec_lo, s13
	s_cbranch_execz .LBB132_431
.LBB132_426:                            ;   Parent Loop BB132_6 Depth=1
                                        ; =>  This Inner Loop Header: Depth=2
	s_delay_alu instid0(VALU_DEP_1)
	v_cmp_gt_u64_e32 vcc_lo, s[8:9], v[6:7]
	v_mov_b32_e32 v9, 0
	s_and_saveexec_b32 s7, vcc_lo
	s_cbranch_execz .LBB132_428
; %bb.427:                              ;   in Loop: Header=BB132_426 Depth=2
	ds_load_u8 v9, v8
.LBB132_428:                            ;   in Loop: Header=BB132_426 Depth=2
	s_or_b32 exec_lo, exec_lo, s7
	s_and_saveexec_b32 s7, vcc_lo
	s_cbranch_execz .LBB132_425
; %bb.429:                              ;   in Loop: Header=BB132_426 Depth=2
	s_waitcnt lgkmcnt(0)
	v_bfe_i32 v12, v9, 0, 8
	s_delay_alu instid0(VALU_DEP_1) | instskip(NEXT) | instid1(VALU_DEP_1)
	v_add_nc_u32_e32 v12, 0x80, v12
	v_and_b32_e32 v12, v12, v34
	s_delay_alu instid0(VALU_DEP_1)
	v_cmp_eq_u32_e32 vcc_lo, v12, v35
	s_and_b32 exec_lo, exec_lo, vcc_lo
	s_cbranch_execz .LBB132_425
; %bb.430:                              ;   in Loop: Header=BB132_426 Depth=2
	v_lshlrev_b16 v9, 8, v9
	s_delay_alu instid0(VALU_DEP_1)
	v_or_b32_e32 v9, 1, v9
	ds_store_b16 v13, v9 offset:3072
	s_branch .LBB132_425
.LBB132_431:                            ;   in Loop: Header=BB132_6 Depth=1
	s_set_inst_prefetch_distance 0x2
	s_or_b32 exec_lo, exec_lo, s13
	v_lshrrev_b16 v36, 8, v9
	s_and_b32 s13, s26, exec_lo
.LBB132_432:                            ;   in Loop: Header=BB132_6 Depth=1
	s_or_b32 exec_lo, exec_lo, s12
	s_mov_b32 s7, 0
	s_mov_b32 s8, -1
.LBB132_433:                            ;   in Loop: Header=BB132_6 Depth=1
	s_and_b32 vcc_lo, exec_lo, s7
	s_mov_b32 s9, s7
	s_cbranch_vccz .LBB132_449
; %bb.434:                              ;   in Loop: Header=BB132_6 Depth=1
	s_mov_b32 s26, s49
	s_delay_alu instid0(SALU_CYCLE_1)
	s_cmp_lg_u64 s[26:27], 0
	s_cbranch_scc0 .LBB132_436
; %bb.435:                              ;   in Loop: Header=BB132_6 Depth=1
	v_cvt_f32_u32_e32 v4, s33
	s_sub_u32 s9, 0, s33
	s_subb_u32 s12, 0, 0
	s_delay_alu instid0(VALU_DEP_1) | instskip(NEXT) | instid1(VALU_DEP_1)
	v_fmac_f32_e64 v4, 0, 0x4f800000
	v_rcp_f32_e32 v4, v4
	s_waitcnt_depctr 0xfff
	v_mul_f32_e32 v4, 0x5f7ffffc, v4
	s_delay_alu instid0(VALU_DEP_1) | instskip(NEXT) | instid1(VALU_DEP_1)
	v_mul_f32_e32 v5, 0x2f800000, v4
	v_trunc_f32_e32 v5, v5
	s_delay_alu instid0(VALU_DEP_1) | instskip(SKIP_1) | instid1(VALU_DEP_2)
	v_fmac_f32_e32 v4, 0xcf800000, v5
	v_cvt_u32_f32_e32 v5, v5
	v_cvt_u32_f32_e32 v4, v4
	s_delay_alu instid0(VALU_DEP_2) | instskip(NEXT) | instid1(VALU_DEP_2)
	v_readfirstlane_b32 s7, v5
	v_readfirstlane_b32 s8, v4
	s_delay_alu instid0(VALU_DEP_2) | instskip(NEXT) | instid1(VALU_DEP_1)
	s_mul_i32 s13, s9, s7
	s_mul_hi_u32 s64, s9, s8
	s_mul_i32 s26, s12, s8
	s_add_i32 s13, s64, s13
	s_mul_i32 s65, s9, s8
	s_add_i32 s13, s13, s26
	s_mul_hi_u32 s64, s8, s65
	s_mul_hi_u32 s66, s7, s65
	s_mul_i32 s26, s7, s65
	s_mul_hi_u32 s65, s8, s13
	s_mul_i32 s8, s8, s13
	s_mul_hi_u32 s67, s7, s13
	s_add_u32 s8, s64, s8
	s_addc_u32 s64, 0, s65
	s_add_u32 s8, s8, s26
	s_mul_i32 s13, s7, s13
	s_addc_u32 s8, s64, s66
	s_addc_u32 s26, s67, 0
	s_add_u32 s8, s8, s13
	s_addc_u32 s13, 0, s26
	v_add_co_u32 v4, s8, v4, s8
	s_delay_alu instid0(VALU_DEP_1) | instskip(SKIP_1) | instid1(VALU_DEP_1)
	s_cmp_lg_u32 s8, 0
	s_addc_u32 s7, s7, s13
	v_readfirstlane_b32 s8, v4
	s_mul_i32 s13, s9, s7
	s_delay_alu instid0(VALU_DEP_1)
	s_mul_hi_u32 s26, s9, s8
	s_mul_i32 s12, s12, s8
	s_add_i32 s13, s26, s13
	s_mul_i32 s9, s9, s8
	s_add_i32 s13, s13, s12
	s_mul_hi_u32 s26, s7, s9
	s_mul_i32 s64, s7, s9
	s_mul_hi_u32 s9, s8, s9
	s_mul_hi_u32 s65, s8, s13
	s_mul_i32 s8, s8, s13
	s_mul_hi_u32 s12, s7, s13
	s_add_u32 s8, s9, s8
	s_addc_u32 s9, 0, s65
	s_add_u32 s8, s8, s64
	s_mul_i32 s13, s7, s13
	s_addc_u32 s8, s9, s26
	s_addc_u32 s9, s12, 0
	s_add_u32 s8, s8, s13
	s_addc_u32 s9, 0, s9
	v_add_co_u32 v4, s8, v4, s8
	s_delay_alu instid0(VALU_DEP_1) | instskip(SKIP_1) | instid1(VALU_DEP_1)
	s_cmp_lg_u32 s8, 0
	s_addc_u32 s7, s7, s9
	v_readfirstlane_b32 s8, v4
	s_mul_i32 s12, s77, s7
	s_mul_hi_u32 s9, s77, s7
	s_mul_hi_u32 s13, s27, s7
	s_mul_i32 s7, s27, s7
	s_mul_hi_u32 s26, s77, s8
	s_mul_hi_u32 s64, s27, s8
	s_mul_i32 s8, s27, s8
	s_add_u32 s12, s26, s12
	s_addc_u32 s9, 0, s9
	s_add_u32 s8, s12, s8
	s_addc_u32 s8, s9, s64
	s_addc_u32 s9, s13, 0
	s_add_u32 s7, s8, s7
	s_addc_u32 s8, 0, s9
	s_mul_hi_u32 s9, s33, s7
	s_mul_i32 s7, s33, s7
	s_mul_i32 s8, s33, s8
	v_sub_co_u32 v4, s7, s77, s7
	s_add_i32 s9, s9, s8
	s_cmp_lg_u32 s7, 0
	s_delay_alu instid0(VALU_DEP_1) | instskip(SKIP_2) | instid1(VALU_DEP_1)
	v_sub_co_u32 v5, s7, v4, s33
	s_subb_u32 s8, s27, s9
	s_cmp_lg_u32 s7, 0
	v_cmp_le_u32_e32 vcc_lo, s33, v5
	v_sub_co_u32 v6, s7, v5, s33
	s_subb_u32 s9, s8, 0
	s_cmp_lg_u32 s7, 0
	v_cndmask_b32_e64 v7, 0, -1, vcc_lo
	s_subb_u32 s7, s9, 0
	s_cmp_eq_u32 s9, 0
	v_mov_b32_e32 v9, s7
	s_cselect_b32 vcc_lo, -1, 0
	s_cmp_eq_u32 s8, 0
	v_cndmask_b32_e32 v7, -1, v7, vcc_lo
	v_cmp_le_u32_e32 vcc_lo, s33, v4
	s_cselect_b32 s7, -1, 0
	v_cndmask_b32_e64 v8, 0, -1, vcc_lo
	s_delay_alu instid0(VALU_DEP_3) | instskip(NEXT) | instid1(VALU_DEP_2)
	v_cmp_ne_u32_e32 vcc_lo, 0, v7
	v_cndmask_b32_e64 v7, -1, v8, s7
	v_cndmask_b32_e32 v8, s9, v9, vcc_lo
	v_cndmask_b32_e32 v6, v5, v6, vcc_lo
	s_mov_b32 s7, 0
	s_delay_alu instid0(VALU_DEP_3) | instskip(NEXT) | instid1(VALU_DEP_3)
	v_cmp_ne_u32_e32 vcc_lo, 0, v7
	v_cndmask_b32_e32 v5, s8, v8, vcc_lo
	s_delay_alu instid0(VALU_DEP_3)
	v_cndmask_b32_e32 v4, v4, v6, vcc_lo
	s_branch .LBB132_437
.LBB132_436:                            ;   in Loop: Header=BB132_6 Depth=1
	s_mov_b32 s7, -1
                                        ; implicit-def: $vgpr4_vgpr5
.LBB132_437:                            ;   in Loop: Header=BB132_6 Depth=1
	s_delay_alu instid0(SALU_CYCLE_1)
	s_and_not1_b32 vcc_lo, exec_lo, s7
	s_cbranch_vccnz .LBB132_439
; %bb.438:                              ;   in Loop: Header=BB132_6 Depth=1
	v_cvt_f32_u32_e32 v4, s33
	s_sub_i32 s7, 0, s33
	s_delay_alu instid0(VALU_DEP_1) | instskip(SKIP_2) | instid1(VALU_DEP_1)
	v_rcp_iflag_f32_e32 v4, v4
	s_waitcnt_depctr 0xfff
	v_mul_f32_e32 v4, 0x4f7ffffe, v4
	v_cvt_u32_f32_e32 v4, v4
	s_delay_alu instid0(VALU_DEP_1) | instskip(NEXT) | instid1(VALU_DEP_1)
	v_mul_lo_u32 v5, s7, v4
	v_mul_hi_u32 v5, v4, v5
	s_delay_alu instid0(VALU_DEP_1) | instskip(NEXT) | instid1(VALU_DEP_1)
	v_add_nc_u32_e32 v4, v4, v5
	v_mul_hi_u32 v4, s77, v4
	s_delay_alu instid0(VALU_DEP_1) | instskip(NEXT) | instid1(VALU_DEP_1)
	v_mul_lo_u32 v4, v4, s33
	v_sub_nc_u32_e32 v4, s77, v4
	s_delay_alu instid0(VALU_DEP_1) | instskip(SKIP_1) | instid1(VALU_DEP_2)
	v_subrev_nc_u32_e32 v5, s33, v4
	v_cmp_le_u32_e32 vcc_lo, s33, v4
	v_cndmask_b32_e32 v4, v4, v5, vcc_lo
	s_delay_alu instid0(VALU_DEP_1) | instskip(SKIP_1) | instid1(VALU_DEP_2)
	v_subrev_nc_u32_e32 v5, s33, v4
	v_cmp_le_u32_e32 vcc_lo, s33, v4
	v_cndmask_b32_e32 v12, v4, v5, vcc_lo
	s_delay_alu instid0(VALU_DEP_1)
	v_dual_mov_b32 v4, v12 :: v_dual_mov_b32 v5, v13
.LBB132_439:                            ;   in Loop: Header=BB132_6 Depth=1
	s_delay_alu instid0(VALU_DEP_1) | instskip(NEXT) | instid1(VALU_DEP_2)
	v_sub_co_u32 v4, vcc_lo, s77, v4
	v_sub_co_ci_u32_e32 v5, vcc_lo, s27, v5, vcc_lo
	s_mov_b32 s13, 0
	s_mov_b32 s8, exec_lo
                                        ; implicit-def: $vgpr36
	s_delay_alu instid0(VALU_DEP_1)
	v_cmpx_gt_u64_e64 v[4:5], v[0:1]
	s_cbranch_execz .LBB132_448
; %bb.440:                              ;   in Loop: Header=BB132_6 Depth=1
	v_dual_mov_b32 v6, v10 :: v_dual_mov_b32 v7, v11
	v_dual_mov_b32 v9, v1 :: v_dual_mov_b32 v8, v0
	s_mov_b32 s9, 0
                                        ; implicit-def: $sgpr12
	s_set_inst_prefetch_distance 0x1
	s_branch .LBB132_442
	.p2align	6
.LBB132_441:                            ;   in Loop: Header=BB132_442 Depth=2
	s_or_b32 exec_lo, exec_lo, s7
	s_waitcnt vmcnt(0) lgkmcnt(0)
	s_barrier
	buffer_gl0_inv
	ds_load_u16 v12, v13 offset:3072
	v_add_co_u32 v8, vcc_lo, v8, s33
	v_add_co_ci_u32_e32 v9, vcc_lo, 0, v9, vcc_lo
	s_waitcnt lgkmcnt(0)
	s_barrier
	buffer_gl0_inv
	v_cmp_ge_u64_e32 vcc_lo, v[8:9], v[4:5]
	v_and_b32_e32 v23, 0xff, v12
	s_delay_alu instid0(VALU_DEP_1) | instskip(NEXT) | instid1(VALU_DEP_1)
	v_cmp_ne_u16_e64 s7, 0, v23
	s_or_b32 s13, vcc_lo, s7
	v_add_co_u32 v6, vcc_lo, v6, s68
	s_and_b32 s13, exec_lo, s13
	v_add_co_ci_u32_e32 v7, vcc_lo, s41, v7, vcc_lo
	s_or_b32 s9, s13, s9
	s_and_not1_b32 s12, s12, exec_lo
	s_and_b32 s7, s7, exec_lo
	s_delay_alu instid0(SALU_CYCLE_1)
	s_or_b32 s12, s12, s7
	s_and_not1_b32 exec_lo, exec_lo, s9
	s_cbranch_execz .LBB132_447
.LBB132_442:                            ;   Parent Loop BB132_6 Depth=1
                                        ; =>  This Inner Loop Header: Depth=2
	s_delay_alu instid0(VALU_DEP_1)
	v_cmp_gt_u64_e32 vcc_lo, s[28:29], v[8:9]
	v_mov_b32_e32 v12, 0
	s_and_saveexec_b32 s7, vcc_lo
	s_cbranch_execz .LBB132_444
; %bb.443:                              ;   in Loop: Header=BB132_442 Depth=2
	global_load_u8 v12, v[6:7], off
.LBB132_444:                            ;   in Loop: Header=BB132_442 Depth=2
	s_or_b32 exec_lo, exec_lo, s7
	s_and_saveexec_b32 s7, vcc_lo
	s_cbranch_execz .LBB132_441
; %bb.445:                              ;   in Loop: Header=BB132_442 Depth=2
	s_waitcnt vmcnt(0)
	v_bfe_i32 v23, v12, 0, 8
	s_delay_alu instid0(VALU_DEP_1) | instskip(NEXT) | instid1(VALU_DEP_1)
	v_add_nc_u32_e32 v23, 0x80, v23
	v_and_b32_e32 v23, v23, v34
	s_delay_alu instid0(VALU_DEP_1)
	v_cmp_eq_u32_e32 vcc_lo, v23, v35
	s_and_b32 exec_lo, exec_lo, vcc_lo
	s_cbranch_execz .LBB132_441
; %bb.446:                              ;   in Loop: Header=BB132_442 Depth=2
	v_lshlrev_b16 v12, 8, v12
	s_delay_alu instid0(VALU_DEP_1)
	v_or_b32_e32 v12, 1, v12
	ds_store_b16 v13, v12 offset:3072
	s_branch .LBB132_441
.LBB132_447:                            ;   in Loop: Header=BB132_6 Depth=1
	s_set_inst_prefetch_distance 0x2
	s_or_b32 exec_lo, exec_lo, s9
	v_lshrrev_b16 v36, 8, v12
	s_and_b32 s13, s12, exec_lo
.LBB132_448:                            ;   in Loop: Header=BB132_6 Depth=1
	s_or_b32 exec_lo, exec_lo, s8
	s_mov_b32 s8, 0
	s_mov_b32 s7, -1
	s_mov_b32 s9, 0
.LBB132_449:                            ;   in Loop: Header=BB132_6 Depth=1
	s_or_not1_b32 s13, s13, exec_lo
.LBB132_450:                            ;   in Loop: Header=BB132_6 Depth=1
	s_or_b32 exec_lo, exec_lo, s63
	s_mov_b32 s26, 0
                                        ; implicit-def: $vgpr6
                                        ; implicit-def: $vgpr4_vgpr5
	s_and_saveexec_b32 s12, s13
	s_cbranch_execz .LBB132_462
; %bb.451:                              ;   in Loop: Header=BB132_6 Depth=1
	v_mov_b32_e32 v4, 1
	v_dual_mov_b32 v5, 0 :: v_dual_mov_b32 v6, 1
	s_xor_b32 s26, s62, -1
	s_delay_alu instid0(SALU_CYCLE_1)
	s_and_saveexec_b32 s13, s26
	s_cbranch_execz .LBB132_461
; %bb.452:                              ;   in Loop: Header=BB132_6 Depth=1
	s_mov_b32 s26, exec_lo
                                        ; implicit-def: $sgpr62
	v_cmpx_ge_u64_e64 s[10:11], v[2:3]
	s_xor_b32 s26, exec_lo, s26
	s_cbranch_execz .LBB132_458
; %bb.453:                              ;   in Loop: Header=BB132_6 Depth=1
	ds_load_b64 v[4:5], v13 offset:5120
	s_waitcnt lgkmcnt(0)
	v_cmp_ne_u64_e32 vcc_lo, 0, v[4:5]
	s_cbranch_vccnz .LBB132_457
; %bb.454:                              ;   in Loop: Header=BB132_6 Depth=1
	s_and_saveexec_b32 s62, s5
	s_cbranch_execz .LBB132_456
; %bb.455:                              ;   in Loop: Header=BB132_6 Depth=1
	v_dual_mov_b32 v4, s10 :: v_dual_mov_b32 v5, s11
	ds_store_b64 v13, v[4:5] offset:5128
.LBB132_456:                            ;   in Loop: Header=BB132_6 Depth=1
	s_or_b32 exec_lo, exec_lo, s62
	s_waitcnt lgkmcnt(0)
	s_barrier
	buffer_gl0_inv
.LBB132_457:                            ;   in Loop: Header=BB132_6 Depth=1
	v_and_b32_e32 v35, s21, v35
	v_or_b32_e32 v34, s20, v34
	s_mov_b32 s62, 5
.LBB132_458:                            ;   in Loop: Header=BB132_6 Depth=1
	s_or_saveexec_b32 s20, s26
	v_mov_b32_e32 v6, s62
	s_xor_b32 exec_lo, exec_lo, s20
; %bb.459:                              ;   in Loop: Header=BB132_6 Depth=1
	v_sub_co_u32 v2, vcc_lo, v2, s10
	v_subrev_co_ci_u32_e32 v3, vcc_lo, s11, v3, vcc_lo
	v_mov_b32_e32 v6, 5
; %bb.460:                              ;   in Loop: Header=BB132_6 Depth=1
	s_or_b32 exec_lo, exec_lo, s20
	s_delay_alu instid0(VALU_DEP_2)
	v_dual_mov_b32 v5, v3 :: v_dual_mov_b32 v4, v2
.LBB132_461:                            ;   in Loop: Header=BB132_6 Depth=1
	s_or_b32 exec_lo, exec_lo, s13
	s_delay_alu instid0(SALU_CYCLE_1)
	s_mov_b32 s26, exec_lo
.LBB132_462:                            ;   in Loop: Header=BB132_6 Depth=1
	s_or_b32 exec_lo, exec_lo, s12
	s_delay_alu instid0(VALU_DEP_1)
	v_dual_mov_b32 v2, v4 :: v_dual_mov_b32 v3, v5
	s_or_not1_b32 s12, s26, exec_lo
.LBB132_463:                            ;   in Loop: Header=BB132_6 Depth=1
	s_or_b32 exec_lo, exec_lo, s22
	s_delay_alu instid0(SALU_CYCLE_1)
	s_and_not1_b32 s10, s14, exec_lo
	s_and_b32 s7, s7, exec_lo
	s_and_b32 s8, s8, exec_lo
	s_or_b32 s14, s10, s7
	s_and_not1_b32 s7, s15, exec_lo
	s_and_not1_b32 s10, s60, exec_lo
	s_and_b32 s9, s9, exec_lo
	v_dual_mov_b32 v5, v3 :: v_dual_mov_b32 v4, v2
	s_or_b32 s15, s7, s8
	s_or_b32 s60, s10, s9
	s_and_b32 s26, s12, exec_lo
.LBB132_464:                            ;   in Loop: Header=BB132_6 Depth=1
	s_or_b32 exec_lo, exec_lo, s61
	s_delay_alu instid0(SALU_CYCLE_1)
	s_and_b32 s14, s14, exec_lo
	s_and_b32 s9, s15, exec_lo
	;; [unrolled: 1-line block ×3, first 2 shown]
	s_or_not1_b32 s7, s26, exec_lo
.LBB132_465:                            ;   in Loop: Header=BB132_6 Depth=1
	s_or_b32 exec_lo, exec_lo, s59
	s_delay_alu instid0(SALU_CYCLE_1)
	s_and_not1_b32 s10, s16, exec_lo
	s_and_b32 s11, s14, exec_lo
	s_and_b32 s9, s9, exec_lo
	s_or_b32 s16, s10, s11
	s_and_not1_b32 s10, s17, exec_lo
	s_and_not1_b32 s11, s57, exec_lo
	s_and_b32 s8, s8, exec_lo
	v_dual_mov_b32 v2, v4 :: v_dual_mov_b32 v3, v5
	s_or_b32 s17, s10, s9
	s_or_b32 s57, s11, s8
	s_and_b32 s26, s7, exec_lo
.LBB132_466:                            ;   in Loop: Header=BB132_6 Depth=1
	s_or_b32 exec_lo, exec_lo, s58
	s_delay_alu instid0(SALU_CYCLE_1)
	s_and_b32 s16, s16, exec_lo
	s_and_b32 s9, s17, exec_lo
	;; [unrolled: 1-line block ×3, first 2 shown]
	s_or_not1_b32 s17, s26, exec_lo
.LBB132_467:                            ;   in Loop: Header=BB132_6 Depth=1
	s_or_b32 exec_lo, exec_lo, s56
	s_mov_b32 s7, s25
	s_mov_b32 s10, s24
	s_and_saveexec_b32 s11, s17
; %bb.468:                              ;   in Loop: Header=BB132_6 Depth=1
	v_cmp_eq_u32_e32 vcc_lo, 5, v6
	v_cmp_ne_u32_e64 s7, 5, v6
	s_and_not1_b32 s10, s24, exec_lo
	s_and_not1_b32 s12, s25, exec_lo
	;; [unrolled: 1-line block ×3, first 2 shown]
	s_and_b32 s13, vcc_lo, exec_lo
	s_and_b32 s7, s7, exec_lo
	s_and_not1_b32 s9, s9, exec_lo
	s_and_not1_b32 s8, s8, exec_lo
	s_or_b32 s10, s10, s7
	s_or_b32 s7, s12, s13
; %bb.469:                              ;   in Loop: Header=BB132_6 Depth=1
	s_or_b32 exec_lo, exec_lo, s11
	s_delay_alu instid0(SALU_CYCLE_1)
	s_and_not1_b32 s11, s18, exec_lo
	s_and_b32 s12, s16, exec_lo
	s_and_b32 s9, s9, exec_lo
	s_or_b32 s18, s11, s12
	s_and_not1_b32 s11, s19, exec_lo
	s_and_not1_b32 s12, s23, exec_lo
	s_and_b32 s8, s8, exec_lo
	v_dual_mov_b32 v25, v35 :: v_dual_mov_b32 v26, v34
	v_mov_b32_e32 v27, v36
	s_or_b32 s19, s11, s9
	s_or_b32 s23, s12, s8
	s_and_not1_b32 s8, s24, exec_lo
	s_and_b32 s9, s10, exec_lo
	s_and_not1_b32 s10, s25, exec_lo
	s_and_b32 s7, s7, exec_lo
	s_or_b32 s24, s8, s9
	s_or_b32 s25, s10, s7
.LBB132_470:                            ;   in Loop: Header=BB132_6 Depth=1
	s_or_b32 exec_lo, exec_lo, s48
	s_mov_b32 s56, s23
	s_mov_b32 s48, s23
	s_and_saveexec_b32 s7, s25
.LBB132_471:                            ;   in Loop: Header=BB132_6 Depth=1
	v_mov_b32_e32 v6, 0
	s_and_not1_b32 s23, s23, exec_lo
	s_and_not1_b32 s18, s18, exec_lo
	;; [unrolled: 1-line block ×5, first 2 shown]
	s_or_b32 s24, s24, exec_lo
.LBB132_472:                            ;   in Loop: Header=BB132_6 Depth=1
	s_or_b32 exec_lo, exec_lo, s7
	s_delay_alu instid0(SALU_CYCLE_1)
	s_and_not1_b32 s7, s94, exec_lo
	s_and_b32 s9, s23, exec_lo
	s_and_not1_b32 s10, s91, exec_lo
	s_or_b32 s94, s7, s9
	s_and_not1_b32 s7, s93, exec_lo
	s_and_b32 s9, s18, exec_lo
	s_and_b32 s11, s19, exec_lo
	s_or_b32 s93, s7, s9
	s_or_b32 s91, s10, s11
	s_and_not1_b32 s7, s92, exec_lo
	s_and_b32 s9, s56, exec_lo
	s_and_not1_b32 s10, s90, exec_lo
	s_and_b32 s11, s48, exec_lo
	s_mov_b32 s8, -1
	s_or_b32 s92, s7, s9
	s_or_b32 s90, s10, s11
                                        ; implicit-def: $vgpr34
                                        ; implicit-def: $vgpr35
                                        ; implicit-def: $vgpr23_vgpr24
                                        ; implicit-def: $vgpr36
	s_and_saveexec_b32 s7, s24
	s_delay_alu instid0(SALU_CYCLE_1)
	s_xor_b32 s7, exec_lo, s7
	s_cbranch_execz .LBB132_5
; %bb.473:                              ;   in Loop: Header=BB132_6 Depth=1
	s_mov_b32 s9, -1
	s_mov_b32 s10, exec_lo
	v_cmpx_eq_u32_e32 0, v6
	s_cbranch_execz .LBB132_4
; %bb.474:                              ;   in Loop: Header=BB132_6 Depth=1
	s_xor_b32 s85, s85, 1
	s_add_i32 s11, s82, -2
	s_cmp_eq_u32 s82, 0
	s_mov_b32 s82, s11
	s_cselect_b32 s8, -1, 0
	s_xor_b32 s9, exec_lo, -1
	s_or_not1_b32 s8, s8, exec_lo
	s_branch .LBB132_4
.LBB132_475:
	s_or_b32 exec_lo, exec_lo, s83
	s_xor_b32 s7, s89, -1
	s_xor_b32 s9, s87, -1
	;; [unrolled: 1-line block ×5, first 2 shown]
	s_mov_b32 s8, 0
	s_and_saveexec_b32 s12, s11
	s_delay_alu instid0(SALU_CYCLE_1)
	s_xor_b32 s14, exec_lo, s12
	s_cbranch_execz .LBB132_532
; %bb.476:
	s_and_saveexec_b32 s11, s10
	s_delay_alu instid0(SALU_CYCLE_1)
	s_xor_b32 s15, exec_lo, s11
	s_cbranch_execz .LBB132_530
; %bb.477:
	;; [unrolled: 5-line block ×4, first 2 shown]
	s_and_saveexec_b32 s7, s6
	s_delay_alu instid0(SALU_CYCLE_1)
	s_xor_b32 s6, exec_lo, s7
; %bb.480:
	v_xor_b32_e32 v27, 0xffffff80, v25
; %bb.481:
	s_or_b32 exec_lo, exec_lo, s6
	s_and_saveexec_b32 s6, s5
	s_cbranch_execz .LBB132_483
; %bb.482:
	v_mov_b32_e32 v2, 0
	s_delay_alu instid0(VALU_DEP_1)
	v_mov_b32_e32 v3, v2
	ds_store_b64 v2, v[2:3] offset:5136
.LBB132_483:
	s_or_b32 exec_lo, exec_lo, s6
	v_mov_b32_e32 v17, 0
	s_waitcnt lgkmcnt(0)
	s_barrier
	buffer_gl0_inv
	s_and_saveexec_b32 s5, s3
	s_cbranch_execz .LBB132_485
; %bb.484:
	global_load_u8 v17, v[10:11], off
.LBB132_485:
	s_or_b32 exec_lo, exec_lo, s5
	s_clause 0x1
	s_load_b64 s[8:9], s[0:1], 0x368
	s_load_b64 s[10:11], s[0:1], 0x510
	s_add_u32 s5, s28, 31
	s_mul_i32 s12, s47, s40
	s_mul_hi_u32 s13, s46, s40
	s_mul_i32 s0, s43, s40
	s_mul_hi_u32 s1, s42, s40
	s_addc_u32 s7, s29, 0
	s_and_b32 s6, s5, 0xffffffe0
	s_mul_i32 s5, s46, s40
	s_add_i32 s13, s13, s12
	s_add_i32 s1, s1, s0
	s_mul_i32 s0, s42, s40
	s_add_u32 s12, s44, s5
	s_addc_u32 s13, s45, s13
	s_lshl_b64 s[18:19], s[0:1], 3
	v_add_nc_u32_e32 v16, s33, v0
	s_add_u32 s1, s36, s18
	s_addc_u32 s5, s37, s19
	s_mov_b32 s0, -1
	s_mov_b32 s19, 0
	s_mov_b32 s18, 0
	s_mov_b32 s20, exec_lo
	v_cmpx_gt_u64_e64 s[6:7], v[0:1]
	s_cbranch_execz .LBB132_501
; %bb.486:
	s_add_u32 s22, s34, s69
	s_addc_u32 s23, s35, s70
	v_dual_mov_b32 v13, v1 :: v_dual_mov_b32 v12, v0
	v_mad_u64_u32 v[2:3], null, s38, v16, s[22:23]
                                        ; implicit-def: $sgpr21
                                        ; implicit-def: $vgpr8_vgpr9
	s_delay_alu instid0(VALU_DEP_1) | instskip(SKIP_1) | instid1(VALU_DEP_1)
	v_mad_u64_u32 v[4:5], null, s39, v16, v[3:4]
	v_bfe_i32 v3, v27, 0, 8
	v_dual_mov_b32 v5, 0 :: v_dual_add_nc_u32 v18, 0x80, v3
	s_delay_alu instid0(VALU_DEP_3)
	v_mov_b32_e32 v3, v4
	s_branch .LBB132_488
.LBB132_487:                            ;   in Loop: Header=BB132_488 Depth=1
	s_or_b32 exec_lo, exec_lo, s22
	s_xor_b32 s22, s24, -1
	s_and_b32 s0, exec_lo, s0
	v_mov_b32_e32 v13, v7
	v_dual_mov_b32 v17, v19 :: v_dual_mov_b32 v12, v6
	s_or_b32 s18, s0, s18
	s_and_not1_b32 s0, s21, exec_lo
	s_and_b32 s21, s22, exec_lo
	s_delay_alu instid0(SALU_CYCLE_1)
	s_or_b32 s21, s0, s21
	s_and_not1_b32 exec_lo, exec_lo, s18
	s_cbranch_execz .LBB132_500
.LBB132_488:                            ; =>This Inner Loop Header: Depth=1
	v_add_co_u32 v6, vcc_lo, v12, s33
	v_add_co_ci_u32_e32 v7, vcc_lo, 0, v13, vcc_lo
	v_mov_b32_e32 v19, 0
	s_mov_b32 s0, exec_lo
	s_delay_alu instid0(VALU_DEP_2)
	v_cmpx_gt_u64_e64 s[28:29], v[6:7]
	s_cbranch_execz .LBB132_490
; %bb.489:                              ;   in Loop: Header=BB132_488 Depth=1
	global_load_u8 v19, v[2:3], off
.LBB132_490:                            ;   in Loop: Header=BB132_488 Depth=1
	s_or_b32 exec_lo, exec_lo, s0
	s_waitcnt vmcnt(0)
	v_bfe_i32 v4, v17, 0, 8
	s_delay_alu instid0(VALU_DEP_1) | instskip(NEXT) | instid1(VALU_DEP_1)
	v_add_nc_u32_e32 v4, 0x80, v4
	v_cmp_gt_u32_e32 vcc_lo, v4, v18
	v_cndmask_b32_e64 v14, 0, 1, vcc_lo
	v_cmp_lt_u32_e32 vcc_lo, v4, v18
	v_cndmask_b32_e64 v4, 0, 1, vcc_lo
	v_cmp_gt_u64_e32 vcc_lo, s[28:29], v[12:13]
	s_delay_alu instid0(VALU_DEP_2) | instskip(NEXT) | instid1(VALU_DEP_1)
	v_cndmask_b32_e64 v4, v4, v14, s4
	v_and_b32_e32 v4, 1, v4
	s_delay_alu instid0(VALU_DEP_1) | instskip(NEXT) | instid1(VALU_DEP_1)
	v_cmp_eq_u32_e64 s0, 1, v4
	s_and_b32 s22, vcc_lo, s0
	s_delay_alu instid0(SALU_CYCLE_1) | instskip(NEXT) | instid1(VALU_DEP_1)
	v_cndmask_b32_e64 v4, 0, 1, s22
	v_cmp_ne_u32_e32 vcc_lo, 0, v4
	s_cmp_lg_u32 vcc_lo, 0
	s_cselect_b32 s0, -1, 0
	s_delay_alu instid0(SALU_CYCLE_1) | instskip(NEXT) | instid1(SALU_CYCLE_1)
	s_and_b32 s0, s2, s0
	s_and_saveexec_b32 s23, s0
	s_cbranch_execz .LBB132_494
; %bb.491:                              ;   in Loop: Header=BB132_488 Depth=1
	s_mov_b32 s26, exec_lo
	s_bcnt1_i32_b32 s24, vcc_lo
	v_mbcnt_lo_u32_b32 v14, s26, 0
	s_mov_b32 s25, exec_lo
                                        ; implicit-def: $vgpr8_vgpr9
	s_delay_alu instid0(VALU_DEP_1)
	v_cmpx_eq_u32_e32 0, v14
	s_cbranch_execz .LBB132_493
; %bb.492:                              ;   in Loop: Header=BB132_488 Depth=1
	s_bcnt1_i32_b32 s0, s26
	s_delay_alu instid0(SALU_CYCLE_1) | instskip(NEXT) | instid1(SALU_CYCLE_1)
	s_mul_i32 s0, s24, s0
	v_mov_b32_e32 v4, s0
	s_waitcnt lgkmcnt(0)
	ds_add_rtn_u64 v[8:9], v5, v[4:5] offset:5136
.LBB132_493:                            ;   in Loop: Header=BB132_488 Depth=1
	s_or_b32 exec_lo, exec_lo, s25
	s_waitcnt lgkmcnt(0)
	v_readfirstlane_b32 s27, v9
	v_readfirstlane_b32 s26, v8
	s_delay_alu instid0(VALU_DEP_1)
	v_mad_u64_u32 v[8:9], null, s24, v14, s[26:27]
.LBB132_494:                            ;   in Loop: Header=BB132_488 Depth=1
	s_or_b32 exec_lo, exec_lo, s23
	s_waitcnt lgkmcnt(0)
	ds_bpermute_b32 v8, v5, v8
	ds_bpermute_b32 v9, v5, v9
	s_mov_b32 s0, -1
	s_mov_b32 s25, -1
                                        ; implicit-def: $sgpr24
	s_and_saveexec_b32 s23, s22
	s_cbranch_execz .LBB132_498
; %bb.495:                              ;   in Loop: Header=BB132_488 Depth=1
	v_and_b32_e32 v4, vcc_lo, v29
	s_mov_b32 s22, 0
	s_mov_b32 s24, exec_lo
	s_delay_alu instid0(VALU_DEP_1) | instskip(SKIP_1) | instid1(VALU_DEP_1)
	v_bcnt_u32_b32 v4, v4, 0
	s_waitcnt lgkmcnt(0)
	v_add_co_u32 v14, vcc_lo, v8, v4
	v_add_co_ci_u32_e32 v15, vcc_lo, 0, v9, vcc_lo
	s_delay_alu instid0(VALU_DEP_1)
	v_cmpx_gt_u64_e64 s[30:31], v[14:15]
	s_cbranch_execz .LBB132_497
; %bb.496:                              ;   in Loop: Header=BB132_488 Depth=1
	v_mul_lo_u32 v4, v15, s10
	v_mul_lo_u32 v24, v14, s11
	v_mad_u64_u32 v[20:21], null, v14, s10, 0
	v_mad_u64_u32 v[22:23], null, v14, s8, s[12:13]
	v_mul_lo_u32 v25, v14, s9
	s_mov_b32 s22, exec_lo
	s_delay_alu instid0(VALU_DEP_3) | instskip(SKIP_1) | instid1(VALU_DEP_2)
	v_add3_u32 v21, v21, v24, v4
	v_mul_lo_u32 v4, v15, s8
	v_lshlrev_b64 v[14:15], 3, v[20:21]
	s_delay_alu instid0(VALU_DEP_2) | instskip(NEXT) | instid1(VALU_DEP_2)
	v_add3_u32 v23, v4, v23, v25
	v_add_co_u32 v14, vcc_lo, s1, v14
	s_delay_alu instid0(VALU_DEP_3)
	v_add_co_ci_u32_e32 v15, vcc_lo, s5, v15, vcc_lo
	global_store_b8 v[22:23], v17, off
	global_store_b64 v[14:15], v[12:13], off
.LBB132_497:                            ;   in Loop: Header=BB132_488 Depth=1
	s_or_b32 exec_lo, exec_lo, s24
	s_mov_b32 s24, -1
	s_or_not1_b32 s25, s22, exec_lo
.LBB132_498:                            ;   in Loop: Header=BB132_488 Depth=1
	s_or_b32 exec_lo, exec_lo, s23
	s_and_saveexec_b32 s22, s25
	s_cbranch_execz .LBB132_487
; %bb.499:                              ;   in Loop: Header=BB132_488 Depth=1
	v_cmp_le_u64_e32 vcc_lo, s[6:7], v[6:7]
	v_add_co_u32 v2, s0, v2, s68
	s_delay_alu instid0(VALU_DEP_1)
	v_add_co_ci_u32_e64 v3, s0, s41, v3, s0
	s_and_not1_b32 s24, s24, exec_lo
	s_or_not1_b32 s0, vcc_lo, exec_lo
	s_branch .LBB132_487
.LBB132_500:
	s_or_b32 exec_lo, exec_lo, s18
	s_delay_alu instid0(SALU_CYCLE_1)
	s_mov_b32 s18, exec_lo
	s_or_not1_b32 s0, s21, exec_lo
.LBB132_501:
	s_or_b32 exec_lo, exec_lo, s20
	s_and_saveexec_b32 s4, s0
	s_cbranch_execz .LBB132_524
; %bb.502:
	v_mov_b32_e32 v3, 0
	v_mov_b32_e32 v13, 0
	s_waitcnt vmcnt(0) lgkmcnt(0)
	s_waitcnt_vscnt null, 0x0
	s_barrier
	buffer_gl0_inv
	s_and_saveexec_b32 s0, s3
	s_cbranch_execz .LBB132_504
; %bb.503:
	global_load_u8 v13, v[10:11], off
.LBB132_504:
	s_or_b32 exec_lo, exec_lo, s0
	s_add_u32 s20, s34, s69
	s_addc_u32 s21, s35, s70
	v_and_b32_e32 v12, 0xff, v27
	v_mad_u64_u32 v[4:5], null, s38, v16, s[20:21]
	s_mov_b32 s19, 0
                                        ; implicit-def: $sgpr3
                                        ; implicit-def: $sgpr20
                                        ; implicit-def: $sgpr21
	s_delay_alu instid0(VALU_DEP_1) | instskip(NEXT) | instid1(VALU_DEP_1)
	v_mov_b32_e32 v2, v5
	v_mad_u64_u32 v[5:6], null, s39, v16, v[2:3]
                                        ; implicit-def: $vgpr6_vgpr7
	s_branch .LBB132_507
.LBB132_505:                            ;   in Loop: Header=BB132_507 Depth=1
	s_or_b32 exec_lo, exec_lo, s24
	v_dual_mov_b32 v0, v8 :: v_dual_mov_b32 v1, v9
	s_and_not1_b32 s0, s21, exec_lo
	s_and_b32 s21, s26, exec_lo
	s_and_not1_b32 s20, s20, exec_lo
	s_and_b32 s23, s23, exec_lo
	s_or_b32 s21, s0, s21
	s_or_b32 s20, s20, s23
.LBB132_506:                            ;   in Loop: Header=BB132_507 Depth=1
	s_or_b32 exec_lo, exec_lo, s22
	s_xor_b32 s0, s21, -1
	s_and_b32 s22, exec_lo, s20
	s_delay_alu instid0(SALU_CYCLE_1) | instskip(SKIP_2) | instid1(SALU_CYCLE_1)
	s_or_b32 s19, s22, s19
	s_and_not1_b32 s3, s3, exec_lo
	s_and_b32 s0, s0, exec_lo
	s_or_b32 s3, s3, s0
	s_and_not1_b32 exec_lo, exec_lo, s19
	s_cbranch_execz .LBB132_522
.LBB132_507:                            ; =>This Inner Loop Header: Depth=1
	s_or_b32 s21, s21, exec_lo
	s_or_b32 s20, s20, exec_lo
	s_mov_b32 s22, exec_lo
	v_cmpx_gt_u64_e64 s[6:7], v[0:1]
	s_cbranch_execz .LBB132_506
; %bb.508:                              ;   in Loop: Header=BB132_507 Depth=1
	v_add_co_u32 v8, vcc_lo, v0, s33
	v_add_co_ci_u32_e32 v9, vcc_lo, 0, v1, vcc_lo
	v_mov_b32_e32 v14, 0
	s_mov_b32 s0, exec_lo
	s_delay_alu instid0(VALU_DEP_2)
	v_cmpx_gt_u64_e64 s[28:29], v[8:9]
	s_cbranch_execz .LBB132_510
; %bb.509:                              ;   in Loop: Header=BB132_507 Depth=1
	global_load_u8 v14, v[4:5], off
.LBB132_510:                            ;   in Loop: Header=BB132_507 Depth=1
	s_or_b32 exec_lo, exec_lo, s0
	s_waitcnt vmcnt(0)
	v_and_b32_e32 v2, 0xff, v13
	v_cmp_gt_u64_e32 vcc_lo, s[28:29], v[0:1]
	s_delay_alu instid0(VALU_DEP_2) | instskip(NEXT) | instid1(VALU_DEP_1)
	v_cmp_eq_u16_e64 s0, v2, v12
	s_and_b32 s24, vcc_lo, s0
	s_delay_alu instid0(SALU_CYCLE_1) | instskip(NEXT) | instid1(VALU_DEP_1)
	v_cndmask_b32_e64 v2, 0, 1, s24
	v_cmp_ne_u32_e32 vcc_lo, 0, v2
	s_cmp_lg_u32 vcc_lo, 0
	s_cselect_b32 s0, -1, 0
	s_delay_alu instid0(SALU_CYCLE_1) | instskip(NEXT) | instid1(SALU_CYCLE_1)
	s_and_b32 s0, s2, s0
	s_and_saveexec_b32 s23, s0
	s_cbranch_execz .LBB132_514
; %bb.511:                              ;   in Loop: Header=BB132_507 Depth=1
	s_mov_b32 s27, exec_lo
	s_bcnt1_i32_b32 s25, vcc_lo
	v_mbcnt_lo_u32_b32 v10, s27, 0
	s_mov_b32 s26, exec_lo
                                        ; implicit-def: $vgpr6_vgpr7
	s_delay_alu instid0(VALU_DEP_1)
	v_cmpx_eq_u32_e32 0, v10
	s_cbranch_execz .LBB132_513
; %bb.512:                              ;   in Loop: Header=BB132_507 Depth=1
	s_bcnt1_i32_b32 s0, s27
	s_delay_alu instid0(SALU_CYCLE_1) | instskip(NEXT) | instid1(SALU_CYCLE_1)
	s_mul_i32 s0, s25, s0
	v_mov_b32_e32 v2, s0
	ds_add_rtn_u64 v[6:7], v3, v[2:3] offset:5136
.LBB132_513:                            ;   in Loop: Header=BB132_507 Depth=1
	s_or_b32 exec_lo, exec_lo, s26
	s_waitcnt lgkmcnt(0)
	v_readfirstlane_b32 s27, v7
	v_readfirstlane_b32 s26, v6
	s_delay_alu instid0(VALU_DEP_1)
	v_mad_u64_u32 v[6:7], null, s25, v10, s[26:27]
.LBB132_514:                            ;   in Loop: Header=BB132_507 Depth=1
	s_or_b32 exec_lo, exec_lo, s23
	ds_bpermute_b32 v6, v3, v6
	ds_bpermute_b32 v7, v3, v7
	s_cmp_eq_u32 vcc_lo, 0
	s_mov_b32 s23, -1
	s_cselect_b32 s25, -1, 0
	s_mov_b32 s26, -1
	s_waitcnt lgkmcnt(0)
	v_cmp_gt_u64_e64 s0, s[30:31], v[6:7]
	s_delay_alu instid0(VALU_DEP_1) | instskip(SKIP_3) | instid1(SALU_CYCLE_1)
	s_or_b32 s0, s25, s0
	s_mov_b32 s25, -1
	v_cndmask_b32_e64 v13, v13, v14, s0
	s_and_b32 s27, s24, s0
	s_and_saveexec_b32 s24, s27
	s_cbranch_execz .LBB132_520
; %bb.515:                              ;   in Loop: Header=BB132_507 Depth=1
	v_and_b32_e32 v2, vcc_lo, v29
	v_sub_co_u32 v10, vcc_lo, s30, v6
	v_sub_co_ci_u32_e32 v11, vcc_lo, s31, v7, vcc_lo
	s_delay_alu instid0(VALU_DEP_3) | instskip(SKIP_2) | instid1(VALU_DEP_1)
	v_bcnt_u32_b32 v2, v2, 0
	s_mov_b32 s27, -1
	s_mov_b32 s26, exec_lo
	v_cmp_le_u64_e64 s25, v[10:11], v[2:3]
	v_cmpx_gt_u64_e64 v[10:11], v[2:3]
	s_cbranch_execz .LBB132_519
; %bb.516:                              ;   in Loop: Header=BB132_507 Depth=1
	v_add_co_u32 v10, vcc_lo, v6, v2
	v_add_co_ci_u32_e32 v11, vcc_lo, 0, v7, vcc_lo
	s_delay_alu instid0(VALU_DEP_4) | instskip(SKIP_1) | instid1(VALU_DEP_1)
	s_mov_b32 s34, s25
	s_mov_b32 s27, exec_lo
	v_cmpx_gt_u64_e64 s[30:31], v[10:11]
	s_cbranch_execz .LBB132_518
; %bb.517:                              ;   in Loop: Header=BB132_507 Depth=1
	v_mul_lo_u32 v2, v11, s10
	v_mul_lo_u32 v13, v10, s11
	v_mad_u64_u32 v[15:16], null, v10, s10, 0
	v_mad_u64_u32 v[17:18], null, v10, s8, s[12:13]
	v_mul_lo_u32 v19, v10, s9
	s_or_b32 s34, s25, exec_lo
	s_delay_alu instid0(VALU_DEP_3) | instskip(SKIP_1) | instid1(VALU_DEP_2)
	v_add3_u32 v16, v16, v13, v2
	v_mul_lo_u32 v2, v11, s8
	v_lshlrev_b64 v[10:11], 3, v[15:16]
	s_delay_alu instid0(VALU_DEP_2) | instskip(NEXT) | instid1(VALU_DEP_2)
	v_add3_u32 v18, v2, v18, v19
	v_add_co_u32 v10, vcc_lo, s1, v10
	s_delay_alu instid0(VALU_DEP_3)
	v_add_co_ci_u32_e32 v11, vcc_lo, s5, v11, vcc_lo
	global_store_b8 v[17:18], v27, off
	global_store_b64 v[10:11], v[0:1], off
.LBB132_518:                            ;   in Loop: Header=BB132_507 Depth=1
	s_or_b32 exec_lo, exec_lo, s27
	s_delay_alu instid0(SALU_CYCLE_1)
	s_and_not1_b32 s25, s25, exec_lo
	s_and_b32 s34, s34, exec_lo
	s_xor_b32 s27, exec_lo, -1
	s_or_b32 s25, s25, s34
.LBB132_519:                            ;   in Loop: Header=BB132_507 Depth=1
	s_or_b32 exec_lo, exec_lo, s26
	v_mov_b32_e32 v13, v14
	s_or_not1_b32 s26, s27, exec_lo
	s_or_b32 s0, s0, exec_lo
	s_or_not1_b32 s25, s25, exec_lo
.LBB132_520:                            ;   in Loop: Header=BB132_507 Depth=1
	s_or_b32 exec_lo, exec_lo, s24
	s_and_saveexec_b32 s24, s25
	s_cbranch_execz .LBB132_505
; %bb.521:                              ;   in Loop: Header=BB132_507 Depth=1
	v_add_co_u32 v4, vcc_lo, v4, s68
	v_add_co_ci_u32_e32 v5, vcc_lo, s41, v5, vcc_lo
	s_xor_b32 s0, s0, -1
	s_or_b32 s26, s26, exec_lo
	s_or_not1_b32 s23, s0, exec_lo
	s_branch .LBB132_505
.LBB132_522:
	s_or_b32 exec_lo, exec_lo, s19
	s_mov_b32 s0, 0
	s_and_saveexec_b32 s1, s3
	s_delay_alu instid0(SALU_CYCLE_1)
	s_xor_b32 s1, exec_lo, s1
	s_cbranch_execnz .LBB132_554
.LBB132_523:
	s_or_b32 exec_lo, exec_lo, s1
	s_delay_alu instid0(SALU_CYCLE_1)
	s_and_b32 s19, s0, exec_lo
	s_and_not1_b32 s18, s18, exec_lo
.LBB132_524:
	s_or_b32 exec_lo, exec_lo, s4
	s_and_saveexec_b32 s0, s18
	s_delay_alu instid0(SALU_CYCLE_1)
	s_xor_b32 s0, exec_lo, s0
	s_cbranch_execnz .LBB132_550
.LBB132_525:
	s_or_b32 exec_lo, exec_lo, s0
	s_waitcnt lgkmcnt(0)
	s_and_b32 s8, s19, exec_lo
.LBB132_526:
	s_and_not1_saveexec_b32 s0, s17
	s_cbranch_execnz .LBB132_546
.LBB132_527:
	s_or_b32 exec_lo, exec_lo, s0
	s_delay_alu instid0(SALU_CYCLE_1)
	s_and_b32 s8, s8, exec_lo
.LBB132_528:
	s_and_not1_saveexec_b32 s0, s16
	s_cbranch_execnz .LBB132_542
.LBB132_529:
	s_or_b32 exec_lo, exec_lo, s0
	s_delay_alu instid0(SALU_CYCLE_1)
	s_and_b32 s8, s8, exec_lo
.LBB132_530:
	s_and_not1_saveexec_b32 s0, s15
	s_cbranch_execnz .LBB132_538
.LBB132_531:
	s_or_b32 exec_lo, exec_lo, s0
	s_delay_alu instid0(SALU_CYCLE_1)
	s_and_b32 s8, s8, exec_lo
.LBB132_532:
	s_and_not1_saveexec_b32 s0, s14
	s_cbranch_execnz .LBB132_536
; %bb.533:
	s_or_b32 exec_lo, exec_lo, s0
	s_and_saveexec_b32 s0, s8
.LBB132_534:
	; divergent unreachable
.LBB132_535:
	s_nop 0
	s_sendmsg sendmsg(MSG_DEALLOC_VGPRS)
	s_endpgm
.LBB132_536:
	s_cbranch_execnz .LBB132_540
; %bb.537:
	s_or_b32 s8, s8, exec_lo
	s_or_b32 exec_lo, exec_lo, s0
	s_and_saveexec_b32 s0, s8
	s_cbranch_execnz .LBB132_534
	s_branch .LBB132_535
.LBB132_538:
	s_cbranch_execnz .LBB132_544
; %bb.539:
	s_or_b32 s8, s8, exec_lo
	s_branch .LBB132_531
.LBB132_540:
	s_trap 2
	s_sendmsg_rtn_b32 s0, sendmsg(MSG_RTN_GET_DOORBELL)
	s_mov_b32 ttmp2, m0
	s_waitcnt lgkmcnt(0)
	s_and_b32 s0, s0, 0x3ff
	s_delay_alu instid0(SALU_CYCLE_1) | instskip(NEXT) | instid1(SALU_CYCLE_1)
	s_bitset1_b32 s0, 10
	s_mov_b32 m0, s0
	s_sendmsg sendmsg(MSG_INTERRUPT)
	s_mov_b32 m0, ttmp2
.LBB132_541:                            ; =>This Inner Loop Header: Depth=1
	s_sethalt 5
	s_branch .LBB132_541
.LBB132_542:
	s_cbranch_execnz .LBB132_548
; %bb.543:
	s_or_b32 s8, s8, exec_lo
	s_branch .LBB132_529
.LBB132_544:
	s_trap 2
	s_sendmsg_rtn_b32 s0, sendmsg(MSG_RTN_GET_DOORBELL)
	s_mov_b32 ttmp2, m0
	s_waitcnt lgkmcnt(0)
	s_and_b32 s0, s0, 0x3ff
	s_delay_alu instid0(SALU_CYCLE_1) | instskip(NEXT) | instid1(SALU_CYCLE_1)
	s_bitset1_b32 s0, 10
	s_mov_b32 m0, s0
	s_sendmsg sendmsg(MSG_INTERRUPT)
	s_mov_b32 m0, ttmp2
.LBB132_545:                            ; =>This Inner Loop Header: Depth=1
	s_sethalt 5
	s_branch .LBB132_545
.LBB132_546:
	s_cbranch_execnz .LBB132_552
; %bb.547:
	s_or_b32 s8, s8, exec_lo
	s_branch .LBB132_527
.LBB132_548:
	s_trap 2
	s_sendmsg_rtn_b32 s0, sendmsg(MSG_RTN_GET_DOORBELL)
	s_mov_b32 ttmp2, m0
	s_waitcnt lgkmcnt(0)
	s_and_b32 s0, s0, 0x3ff
	s_delay_alu instid0(SALU_CYCLE_1) | instskip(NEXT) | instid1(SALU_CYCLE_1)
	s_bitset1_b32 s0, 10
	s_mov_b32 m0, s0
	s_sendmsg sendmsg(MSG_INTERRUPT)
	s_mov_b32 m0, ttmp2
.LBB132_549:                            ; =>This Inner Loop Header: Depth=1
	s_sethalt 5
	s_branch .LBB132_549
.LBB132_550:
	s_cbranch_execnz .LBB132_556
; %bb.551:
	s_or_b32 s19, s19, exec_lo
	s_branch .LBB132_525
.LBB132_552:
	s_trap 2
	s_sendmsg_rtn_b32 s0, sendmsg(MSG_RTN_GET_DOORBELL)
	s_mov_b32 ttmp2, m0
	s_waitcnt lgkmcnt(0)
	s_and_b32 s0, s0, 0x3ff
	s_delay_alu instid0(SALU_CYCLE_1) | instskip(NEXT) | instid1(SALU_CYCLE_1)
	s_bitset1_b32 s0, 10
	s_mov_b32 m0, s0
	s_sendmsg sendmsg(MSG_INTERRUPT)
	s_mov_b32 m0, ttmp2
.LBB132_553:                            ; =>This Inner Loop Header: Depth=1
	s_sethalt 5
	s_branch .LBB132_553
.LBB132_554:
	s_cbranch_execnz .LBB132_558
; %bb.555:
	s_mov_b32 s0, exec_lo
	s_branch .LBB132_523
.LBB132_556:
	s_trap 2
	s_sendmsg_rtn_b32 s0, sendmsg(MSG_RTN_GET_DOORBELL)
	s_mov_b32 ttmp2, m0
	s_waitcnt lgkmcnt(0)
	s_and_b32 s0, s0, 0x3ff
	s_delay_alu instid0(SALU_CYCLE_1) | instskip(NEXT) | instid1(SALU_CYCLE_1)
	s_bitset1_b32 s0, 10
	s_mov_b32 m0, s0
	s_sendmsg sendmsg(MSG_INTERRUPT)
	s_mov_b32 m0, ttmp2
.LBB132_557:                            ; =>This Inner Loop Header: Depth=1
	s_sethalt 5
	s_branch .LBB132_557
.LBB132_558:
	s_trap 2
	s_sendmsg_rtn_b32 s0, sendmsg(MSG_RTN_GET_DOORBELL)
	s_mov_b32 ttmp2, m0
	s_waitcnt lgkmcnt(0)
	s_and_b32 s0, s0, 0x3ff
	s_delay_alu instid0(SALU_CYCLE_1) | instskip(NEXT) | instid1(SALU_CYCLE_1)
	s_bitset1_b32 s0, 10
	s_mov_b32 m0, s0
	s_sendmsg sendmsg(MSG_INTERRUPT)
	s_mov_b32 m0, ttmp2
.LBB132_559:                            ; =>This Inner Loop Header: Depth=1
	s_sethalt 5
	s_branch .LBB132_559
	.section	.rodata,"a",@progbits
	.p2align	6, 0x0
	.amdhsa_kernel _ZN2at6native6sbtopk10gatherTopKIamLi1ELb0EEEvNS_4cuda6detail10TensorInfoIKT_T0_EES8_S8_bS8_S8_NS5_IS6_S8_EES8_NS5_IlS8_EES8_PS6_
		.amdhsa_group_segment_fixed_size 5152
		.amdhsa_private_segment_fixed_size 0
		.amdhsa_kernarg_size 1568
		.amdhsa_user_sgpr_count 13
		.amdhsa_user_sgpr_dispatch_ptr 0
		.amdhsa_user_sgpr_queue_ptr 0
		.amdhsa_user_sgpr_kernarg_segment_ptr 1
		.amdhsa_user_sgpr_dispatch_id 0
		.amdhsa_user_sgpr_private_segment_size 0
		.amdhsa_wavefront_size32 1
		.amdhsa_uses_dynamic_stack 0
		.amdhsa_enable_private_segment 0
		.amdhsa_system_sgpr_workgroup_id_x 1
		.amdhsa_system_sgpr_workgroup_id_y 1
		.amdhsa_system_sgpr_workgroup_id_z 1
		.amdhsa_system_sgpr_workgroup_info 0
		.amdhsa_system_vgpr_workitem_id 0
		.amdhsa_next_free_vgpr 41
		.amdhsa_next_free_sgpr 105
		.amdhsa_reserve_vcc 1
		.amdhsa_float_round_mode_32 0
		.amdhsa_float_round_mode_16_64 0
		.amdhsa_float_denorm_mode_32 3
		.amdhsa_float_denorm_mode_16_64 3
		.amdhsa_dx10_clamp 1
		.amdhsa_ieee_mode 1
		.amdhsa_fp16_overflow 0
		.amdhsa_workgroup_processor_mode 1
		.amdhsa_memory_ordered 1
		.amdhsa_forward_progress 0
		.amdhsa_shared_vgpr_count 0
		.amdhsa_exception_fp_ieee_invalid_op 0
		.amdhsa_exception_fp_denorm_src 0
		.amdhsa_exception_fp_ieee_div_zero 0
		.amdhsa_exception_fp_ieee_overflow 0
		.amdhsa_exception_fp_ieee_underflow 0
		.amdhsa_exception_fp_ieee_inexact 0
		.amdhsa_exception_int_div_zero 0
	.end_amdhsa_kernel
	.section	.text._ZN2at6native6sbtopk10gatherTopKIamLi1ELb0EEEvNS_4cuda6detail10TensorInfoIKT_T0_EES8_S8_bS8_S8_NS5_IS6_S8_EES8_NS5_IlS8_EES8_PS6_,"axG",@progbits,_ZN2at6native6sbtopk10gatherTopKIamLi1ELb0EEEvNS_4cuda6detail10TensorInfoIKT_T0_EES8_S8_bS8_S8_NS5_IS6_S8_EES8_NS5_IlS8_EES8_PS6_,comdat
.Lfunc_end132:
	.size	_ZN2at6native6sbtopk10gatherTopKIamLi1ELb0EEEvNS_4cuda6detail10TensorInfoIKT_T0_EES8_S8_bS8_S8_NS5_IS6_S8_EES8_NS5_IlS8_EES8_PS6_, .Lfunc_end132-_ZN2at6native6sbtopk10gatherTopKIamLi1ELb0EEEvNS_4cuda6detail10TensorInfoIKT_T0_EES8_S8_bS8_S8_NS5_IS6_S8_EES8_NS5_IlS8_EES8_PS6_
                                        ; -- End function
	.section	.AMDGPU.csdata,"",@progbits
; Kernel info:
; codeLenInByte = 28484
; NumSgprs: 107
; NumVgprs: 41
; ScratchSize: 0
; MemoryBound: 0
; FloatMode: 240
; IeeeMode: 1
; LDSByteSize: 5152 bytes/workgroup (compile time only)
; SGPRBlocks: 13
; VGPRBlocks: 5
; NumSGPRsForWavesPerEU: 107
; NumVGPRsForWavesPerEU: 41
; Occupancy: 16
; WaveLimiterHint : 1
; COMPUTE_PGM_RSRC2:SCRATCH_EN: 0
; COMPUTE_PGM_RSRC2:USER_SGPR: 13
; COMPUTE_PGM_RSRC2:TRAP_HANDLER: 0
; COMPUTE_PGM_RSRC2:TGID_X_EN: 1
; COMPUTE_PGM_RSRC2:TGID_Y_EN: 1
; COMPUTE_PGM_RSRC2:TGID_Z_EN: 1
; COMPUTE_PGM_RSRC2:TIDIG_COMP_CNT: 0
	.section	.text._ZN2at6native6mbtopk23computeBlockDigitCountsIamjLi2EEEvNS_4cuda6detail10TensorInfoIKT_T0_EEjPjjS8_iijT1_PSB_Ps,"axG",@progbits,_ZN2at6native6mbtopk23computeBlockDigitCountsIamjLi2EEEvNS_4cuda6detail10TensorInfoIKT_T0_EEjPjjS8_iijT1_PSB_Ps,comdat
	.protected	_ZN2at6native6mbtopk23computeBlockDigitCountsIamjLi2EEEvNS_4cuda6detail10TensorInfoIKT_T0_EEjPjjS8_iijT1_PSB_Ps ; -- Begin function _ZN2at6native6mbtopk23computeBlockDigitCountsIamjLi2EEEvNS_4cuda6detail10TensorInfoIKT_T0_EEjPjjS8_iijT1_PSB_Ps
	.globl	_ZN2at6native6mbtopk23computeBlockDigitCountsIamjLi2EEEvNS_4cuda6detail10TensorInfoIKT_T0_EEjPjjS8_iijT1_PSB_Ps
	.p2align	8
	.type	_ZN2at6native6mbtopk23computeBlockDigitCountsIamjLi2EEEvNS_4cuda6detail10TensorInfoIKT_T0_EEjPjjS8_iijT1_PSB_Ps,@function
_ZN2at6native6mbtopk23computeBlockDigitCountsIamjLi2EEEvNS_4cuda6detail10TensorInfoIKT_T0_EEjPjjS8_iijT1_PSB_Ps: ; @_ZN2at6native6mbtopk23computeBlockDigitCountsIamjLi2EEEvNS_4cuda6detail10TensorInfoIKT_T0_EEjPjjS8_iijT1_PSB_Ps
; %bb.0:
	s_clause 0x2
	s_load_b128 s[8:11], s[0:1], 0x1c0
	s_load_b32 s5, s[0:1], 0x1b0
	s_load_b64 s[2:3], s[0:1], 0x1e0
	s_waitcnt lgkmcnt(0)
	v_cvt_f32_u32_e32 v1, s10
	s_sub_i32 s6, 0, s10
	s_mul_i32 s3, s3, s15
	s_delay_alu instid0(SALU_CYCLE_1) | instskip(NEXT) | instid1(VALU_DEP_1)
	s_add_i32 s3, s3, s14
	v_rcp_iflag_f32_e32 v1, v1
	s_mul_i32 s16, s3, s2
	s_delay_alu instid0(SALU_CYCLE_1) | instskip(SKIP_2) | instid1(VALU_DEP_1)
	s_add_i32 s16, s16, s13
	s_waitcnt_depctr 0xfff
	v_mul_f32_e32 v1, 0x4f7ffffe, v1
	v_cvt_u32_f32_e32 v1, v1
	s_delay_alu instid0(VALU_DEP_1) | instskip(NEXT) | instid1(VALU_DEP_1)
	v_readfirstlane_b32 s4, v1
	s_mul_i32 s6, s6, s4
	s_delay_alu instid0(SALU_CYCLE_1) | instskip(NEXT) | instid1(SALU_CYCLE_1)
	s_mul_hi_u32 s2, s4, s6
	s_add_i32 s4, s4, s2
	s_delay_alu instid0(SALU_CYCLE_1) | instskip(NEXT) | instid1(SALU_CYCLE_1)
	s_mul_hi_u32 s2, s16, s4
	s_mul_i32 s3, s2, s10
	s_add_i32 s4, s2, 1
	s_sub_i32 s3, s16, s3
	s_delay_alu instid0(SALU_CYCLE_1)
	s_sub_i32 s6, s3, s10
	s_cmp_ge_u32 s3, s10
	s_cselect_b32 s2, s4, s2
	s_cselect_b32 s3, s6, s3
	s_add_i32 s4, s2, 1
	s_cmp_ge_u32 s3, s10
	s_mov_b32 s3, 0
	s_cselect_b32 s2, s4, s2
	s_delay_alu instid0(SALU_CYCLE_1)
	s_cmp_ge_u32 s2, s5
	s_cbranch_scc1 .LBB133_25
; %bb.1:
	s_clause 0x1
	s_load_b64 s[12:13], s[0:1], 0x10
	s_load_b128 s[4:7], s[0:1], 0x1d0
	s_lshl_b64 s[14:15], s[2:3], 2
	s_waitcnt lgkmcnt(0)
	v_cmp_lt_u64_e64 s17, s[2:3], s[12:13]
	s_add_u32 s4, s4, s14
	s_addc_u32 s5, s5, s15
	s_mov_b64 s[14:15], 0
	s_delay_alu instid0(VALU_DEP_1)
	s_and_b32 vcc_lo, exec_lo, s17
	s_cbranch_vccnz .LBB133_3
; %bb.2:
	v_cvt_f32_u32_e32 v1, s12
	s_sub_i32 s14, 0, s12
	s_delay_alu instid0(VALU_DEP_1) | instskip(SKIP_2) | instid1(VALU_DEP_1)
	v_rcp_iflag_f32_e32 v1, v1
	s_waitcnt_depctr 0xfff
	v_mul_f32_e32 v1, 0x4f7ffffe, v1
	v_cvt_u32_f32_e32 v1, v1
	s_delay_alu instid0(VALU_DEP_1) | instskip(NEXT) | instid1(VALU_DEP_1)
	v_readfirstlane_b32 s3, v1
	s_mul_i32 s14, s14, s3
	s_delay_alu instid0(SALU_CYCLE_1) | instskip(NEXT) | instid1(SALU_CYCLE_1)
	s_mul_hi_u32 s14, s3, s14
	s_add_i32 s3, s3, s14
	s_delay_alu instid0(SALU_CYCLE_1) | instskip(NEXT) | instid1(SALU_CYCLE_1)
	s_mul_hi_u32 s3, s2, s3
	s_mul_i32 s14, s3, s12
	s_add_i32 s15, s3, 1
	s_sub_i32 s14, s2, s14
	s_delay_alu instid0(SALU_CYCLE_1)
	s_sub_i32 s17, s14, s12
	s_cmp_ge_u32 s14, s12
	s_cselect_b32 s3, s15, s3
	s_cselect_b32 s14, s17, s14
	s_add_i32 s15, s3, 1
	s_cmp_ge_u32 s14, s12
	s_cselect_b32 s14, s15, s3
.LBB133_3:
	v_cmp_gt_u32_e32 vcc_lo, 0x100, v0
	v_lshlrev_b32_e32 v1, 2, v0
	s_and_saveexec_b32 s3, vcc_lo
	s_cbranch_execz .LBB133_5
; %bb.4:
	v_mov_b32_e32 v2, 0
	ds_store_b32 v1, v2
.LBB133_5:
	s_or_b32 exec_lo, exec_lo, s3
	s_load_b32 s15, s[0:1], 0x1a0
	s_mul_i32 s3, s2, s10
	s_waitcnt lgkmcnt(0)
	s_sub_i32 s17, s16, s3
	s_barrier
	s_mul_i32 s3, s9, s17
	s_add_i32 s17, s17, 1
	s_lshl_b32 s3, s3, 8
	buffer_gl0_inv
	s_sub_i32 s18, s15, s3
	s_delay_alu instid0(SALU_CYCLE_1) | instskip(SKIP_4) | instid1(VALU_DEP_1)
	s_add_u32 s18, s18, 0xff
	s_addc_u32 s19, 0, 0
	s_cmp_lt_u32 s17, s10
	v_alignbit_b32 v2, s19, s18, 8
	s_mov_b32 s17, 0
	v_readfirstlane_b32 s18, v2
	s_delay_alu instid0(VALU_DEP_1) | instskip(NEXT) | instid1(SALU_CYCLE_1)
	s_cselect_b32 s10, s9, s18
	s_cmp_lt_i32 s10, 1
	s_cbranch_scc1 .LBB133_21
; %bb.6:
	s_clause 0x1
	s_load_b128 s[20:23], s[0:1], 0xd0
	s_load_b64 s[18:19], s[0:1], 0x0
	s_load_b32 s9, s[4:5], 0x0
	s_load_b64 s[4:5], s[0:1], 0x1b8
	s_mul_i32 s13, s14, s13
	s_mul_hi_u32 s24, s14, s12
	s_mul_i32 s12, s14, s12
	s_add_i32 s24, s24, s13
	s_sub_u32 s0, s2, s12
	v_add_nc_u32_e32 v2, s3, v0
	s_subb_u32 s1, 0, s24
	s_waitcnt lgkmcnt(0)
	s_mul_i32 s2, s0, s23
	s_mul_hi_u32 s3, s0, s22
	s_mul_i32 s1, s1, s22
	s_mul_i32 s12, s14, s21
	s_mul_hi_u32 s13, s14, s20
	s_add_i32 s2, s3, s2
	s_mul_i32 s14, s14, s20
	s_add_i32 s13, s13, s12
	s_add_i32 s1, s2, s1
	s_mul_i32 s0, s0, s22
	s_add_u32 s2, s18, s14
	s_addc_u32 s3, s19, s13
	s_add_u32 s2, s2, s0
	s_addc_u32 s3, s3, s1
	s_and_b32 s1, s8, 0xff
	s_cmp_eq_u32 s10, 1
	s_cbranch_scc1 .LBB133_16
; %bb.7:
	v_dual_mov_b32 v3, 1 :: v_dual_mov_b32 v4, v2
	s_and_b32 s8, s10, 0x7ffffffe
	s_mov_b32 s12, 0
	s_branch .LBB133_9
.LBB133_8:                              ;   in Loop: Header=BB133_9 Depth=1
	s_or_b32 exec_lo, exec_lo, s13
	v_add_nc_u32_e32 v4, 0x200, v4
	s_add_i32 s12, s12, 2
	s_delay_alu instid0(SALU_CYCLE_1)
	s_cmp_eq_u32 s8, s12
	s_cbranch_scc1 .LBB133_15
.LBB133_9:                              ; =>This Inner Loop Header: Depth=1
	s_mov_b32 s13, exec_lo
	v_cmpx_gt_u32_e64 s15, v4
	s_cbranch_execz .LBB133_12
; %bb.10:                               ;   in Loop: Header=BB133_9 Depth=1
	v_mad_u64_u32 v[5:6], null, v4, s4, s[2:3]
	s_delay_alu instid0(VALU_DEP_1) | instskip(NEXT) | instid1(VALU_DEP_1)
	v_mad_u64_u32 v[7:8], null, v4, s5, v[6:7]
	v_mov_b32_e32 v6, v7
	global_load_i8 v5, v[5:6], off
	s_waitcnt vmcnt(0)
	v_add_nc_u32_e32 v5, 0x80, v5
	s_delay_alu instid0(VALU_DEP_1) | instskip(NEXT) | instid1(VALU_DEP_1)
	v_xor_b32_e32 v6, s9, v5
	v_and_b32_e32 v6, s11, v6
	s_delay_alu instid0(VALU_DEP_1) | instskip(NEXT) | instid1(VALU_DEP_1)
	v_cmp_eq_u32_e64 s0, 0, v6
	s_and_b32 exec_lo, exec_lo, s0
	s_cbranch_execz .LBB133_12
; %bb.11:                               ;   in Loop: Header=BB133_9 Depth=1
	v_lshrrev_b32_e32 v5, s1, v5
	s_delay_alu instid0(VALU_DEP_1)
	v_lshlrev_b32_e32 v5, 2, v5
	ds_add_u32 v5, v3
.LBB133_12:                             ;   in Loop: Header=BB133_9 Depth=1
	s_or_b32 exec_lo, exec_lo, s13
	v_add_nc_u32_e32 v5, 0x100, v4
	s_mov_b32 s13, exec_lo
	s_delay_alu instid0(VALU_DEP_1)
	v_cmpx_gt_u32_e64 s15, v5
	s_cbranch_execz .LBB133_8
; %bb.13:                               ;   in Loop: Header=BB133_9 Depth=1
	v_mad_u64_u32 v[6:7], null, v5, s4, s[2:3]
	s_delay_alu instid0(VALU_DEP_1) | instskip(NEXT) | instid1(VALU_DEP_1)
	v_mad_u64_u32 v[8:9], null, v5, s5, v[7:8]
	v_mov_b32_e32 v7, v8
	global_load_i8 v5, v[6:7], off
	s_waitcnt vmcnt(0)
	v_add_nc_u32_e32 v5, 0x80, v5
	s_delay_alu instid0(VALU_DEP_1) | instskip(NEXT) | instid1(VALU_DEP_1)
	v_xor_b32_e32 v6, s9, v5
	v_and_b32_e32 v6, s11, v6
	s_delay_alu instid0(VALU_DEP_1) | instskip(NEXT) | instid1(VALU_DEP_1)
	v_cmp_eq_u32_e64 s0, 0, v6
	s_and_b32 exec_lo, exec_lo, s0
	s_cbranch_execz .LBB133_8
; %bb.14:                               ;   in Loop: Header=BB133_9 Depth=1
	v_lshrrev_b32_e32 v5, s1, v5
	s_delay_alu instid0(VALU_DEP_1)
	v_lshlrev_b32_e32 v5, 2, v5
	ds_add_u32 v5, v3
	s_branch .LBB133_8
.LBB133_15:
	s_lshl_b32 s17, s8, 8
.LBB133_16:
	s_bitcmp0_b32 s10, 0
	s_cbranch_scc1 .LBB133_21
; %bb.17:
	v_add_nc_u32_e32 v2, s17, v2
	s_mov_b32 s8, exec_lo
	s_delay_alu instid0(VALU_DEP_1)
	v_cmpx_gt_u32_e64 s15, v2
	s_cbranch_execz .LBB133_20
; %bb.18:
	v_mad_u64_u32 v[3:4], null, v2, s4, s[2:3]
	s_delay_alu instid0(VALU_DEP_1) | instskip(NEXT) | instid1(VALU_DEP_1)
	v_mad_u64_u32 v[5:6], null, v2, s5, v[4:5]
	v_mov_b32_e32 v4, v5
	global_load_i8 v2, v[3:4], off
	s_waitcnt vmcnt(0)
	v_add_nc_u32_e32 v2, 0x80, v2
	s_delay_alu instid0(VALU_DEP_1) | instskip(NEXT) | instid1(VALU_DEP_1)
	v_xor_b32_e32 v3, s9, v2
	v_and_b32_e32 v3, s11, v3
	s_delay_alu instid0(VALU_DEP_1) | instskip(NEXT) | instid1(VALU_DEP_1)
	v_cmp_eq_u32_e64 s0, 0, v3
	s_and_b32 exec_lo, exec_lo, s0
	s_cbranch_execz .LBB133_20
; %bb.19:
	v_lshrrev_b32_e32 v2, s1, v2
	s_delay_alu instid0(VALU_DEP_1)
	v_dual_mov_b32 v3, 1 :: v_dual_lshlrev_b32 v2, 2, v2
	ds_add_u32 v2, v3
.LBB133_20:
	s_or_b32 exec_lo, exec_lo, s8
.LBB133_21:
	v_mov_b32_e32 v2, 0
	s_waitcnt lgkmcnt(0)
	s_barrier
	buffer_gl0_inv
	s_and_saveexec_b32 s0, vcc_lo
	s_cbranch_execz .LBB133_23
; %bb.22:
	ds_load_b32 v2, v1
.LBB133_23:
	s_or_b32 exec_lo, exec_lo, s0
	s_and_saveexec_b32 s0, vcc_lo
	s_cbranch_execz .LBB133_25
; %bb.24:
	v_lshl_or_b32 v0, s16, 8, v0
	v_mov_b32_e32 v1, 0
	s_delay_alu instid0(VALU_DEP_1) | instskip(NEXT) | instid1(VALU_DEP_1)
	v_lshlrev_b64 v[0:1], 1, v[0:1]
	v_add_co_u32 v0, vcc_lo, s6, v0
	s_delay_alu instid0(VALU_DEP_2)
	v_add_co_ci_u32_e32 v1, vcc_lo, s7, v1, vcc_lo
	s_waitcnt lgkmcnt(0)
	global_store_b16 v[0:1], v2, off
.LBB133_25:
	s_nop 0
	s_sendmsg sendmsg(MSG_DEALLOC_VGPRS)
	s_endpgm
	.section	.rodata,"a",@progbits
	.p2align	6, 0x0
	.amdhsa_kernel _ZN2at6native6mbtopk23computeBlockDigitCountsIamjLi2EEEvNS_4cuda6detail10TensorInfoIKT_T0_EEjPjjS8_iijT1_PSB_Ps
		.amdhsa_group_segment_fixed_size 1024
		.amdhsa_private_segment_fixed_size 0
		.amdhsa_kernarg_size 736
		.amdhsa_user_sgpr_count 13
		.amdhsa_user_sgpr_dispatch_ptr 0
		.amdhsa_user_sgpr_queue_ptr 0
		.amdhsa_user_sgpr_kernarg_segment_ptr 1
		.amdhsa_user_sgpr_dispatch_id 0
		.amdhsa_user_sgpr_private_segment_size 0
		.amdhsa_wavefront_size32 1
		.amdhsa_uses_dynamic_stack 0
		.amdhsa_enable_private_segment 0
		.amdhsa_system_sgpr_workgroup_id_x 1
		.amdhsa_system_sgpr_workgroup_id_y 1
		.amdhsa_system_sgpr_workgroup_id_z 1
		.amdhsa_system_sgpr_workgroup_info 0
		.amdhsa_system_vgpr_workitem_id 0
		.amdhsa_next_free_vgpr 10
		.amdhsa_next_free_sgpr 25
		.amdhsa_reserve_vcc 1
		.amdhsa_float_round_mode_32 0
		.amdhsa_float_round_mode_16_64 0
		.amdhsa_float_denorm_mode_32 3
		.amdhsa_float_denorm_mode_16_64 3
		.amdhsa_dx10_clamp 1
		.amdhsa_ieee_mode 1
		.amdhsa_fp16_overflow 0
		.amdhsa_workgroup_processor_mode 1
		.amdhsa_memory_ordered 1
		.amdhsa_forward_progress 0
		.amdhsa_shared_vgpr_count 0
		.amdhsa_exception_fp_ieee_invalid_op 0
		.amdhsa_exception_fp_denorm_src 0
		.amdhsa_exception_fp_ieee_div_zero 0
		.amdhsa_exception_fp_ieee_overflow 0
		.amdhsa_exception_fp_ieee_underflow 0
		.amdhsa_exception_fp_ieee_inexact 0
		.amdhsa_exception_int_div_zero 0
	.end_amdhsa_kernel
	.section	.text._ZN2at6native6mbtopk23computeBlockDigitCountsIamjLi2EEEvNS_4cuda6detail10TensorInfoIKT_T0_EEjPjjS8_iijT1_PSB_Ps,"axG",@progbits,_ZN2at6native6mbtopk23computeBlockDigitCountsIamjLi2EEEvNS_4cuda6detail10TensorInfoIKT_T0_EEjPjjS8_iijT1_PSB_Ps,comdat
.Lfunc_end133:
	.size	_ZN2at6native6mbtopk23computeBlockDigitCountsIamjLi2EEEvNS_4cuda6detail10TensorInfoIKT_T0_EEjPjjS8_iijT1_PSB_Ps, .Lfunc_end133-_ZN2at6native6mbtopk23computeBlockDigitCountsIamjLi2EEEvNS_4cuda6detail10TensorInfoIKT_T0_EEjPjjS8_iijT1_PSB_Ps
                                        ; -- End function
	.section	.AMDGPU.csdata,"",@progbits
; Kernel info:
; codeLenInByte = 1168
; NumSgprs: 27
; NumVgprs: 10
; ScratchSize: 0
; MemoryBound: 0
; FloatMode: 240
; IeeeMode: 1
; LDSByteSize: 1024 bytes/workgroup (compile time only)
; SGPRBlocks: 3
; VGPRBlocks: 1
; NumSGPRsForWavesPerEU: 27
; NumVGPRsForWavesPerEU: 10
; Occupancy: 16
; WaveLimiterHint : 1
; COMPUTE_PGM_RSRC2:SCRATCH_EN: 0
; COMPUTE_PGM_RSRC2:USER_SGPR: 13
; COMPUTE_PGM_RSRC2:TRAP_HANDLER: 0
; COMPUTE_PGM_RSRC2:TGID_X_EN: 1
; COMPUTE_PGM_RSRC2:TGID_Y_EN: 1
; COMPUTE_PGM_RSRC2:TGID_Z_EN: 1
; COMPUTE_PGM_RSRC2:TIDIG_COMP_CNT: 0
	.section	.text._ZN2at6native6mbtopk10gatherTopKIamLi2EEEvNS_4cuda6detail10TensorInfoIKT_T0_EES8_S8_bjS8_NS5_IS6_S8_EES8_NS5_IlS8_EES8_jjPS6_PjSD_j,"axG",@progbits,_ZN2at6native6mbtopk10gatherTopKIamLi2EEEvNS_4cuda6detail10TensorInfoIKT_T0_EES8_S8_bjS8_NS5_IS6_S8_EES8_NS5_IlS8_EES8_jjPS6_PjSD_j,comdat
	.protected	_ZN2at6native6mbtopk10gatherTopKIamLi2EEEvNS_4cuda6detail10TensorInfoIKT_T0_EES8_S8_bjS8_NS5_IS6_S8_EES8_NS5_IlS8_EES8_jjPS6_PjSD_j ; -- Begin function _ZN2at6native6mbtopk10gatherTopKIamLi2EEEvNS_4cuda6detail10TensorInfoIKT_T0_EES8_S8_bjS8_NS5_IS6_S8_EES8_NS5_IlS8_EES8_jjPS6_PjSD_j
	.globl	_ZN2at6native6mbtopk10gatherTopKIamLi2EEEvNS_4cuda6detail10TensorInfoIKT_T0_EES8_S8_bjS8_NS5_IS6_S8_EES8_NS5_IlS8_EES8_jjPS6_PjSD_j
	.p2align	8
	.type	_ZN2at6native6mbtopk10gatherTopKIamLi2EEEvNS_4cuda6detail10TensorInfoIKT_T0_EES8_S8_bjS8_NS5_IS6_S8_EES8_NS5_IlS8_EES8_jjPS6_PjSD_j,@function
_ZN2at6native6mbtopk10gatherTopKIamLi2EEEvNS_4cuda6detail10TensorInfoIKT_T0_EES8_S8_bjS8_NS5_IS6_S8_EES8_NS5_IlS8_EES8_jjPS6_PjSD_j: ; @_ZN2at6native6mbtopk10gatherTopKIamLi2EEEvNS_4cuda6detail10TensorInfoIKT_T0_EES8_S8_bjS8_NS5_IS6_S8_EES8_NS5_IlS8_EES8_jjPS6_PjSD_j
; %bb.0:
	s_clause 0x1
	s_load_b64 s[2:3], s[0:1], 0x538
	s_load_b32 s4, s[0:1], 0x530
	s_waitcnt lgkmcnt(0)
	s_mul_i32 s3, s3, s15
	s_delay_alu instid0(SALU_CYCLE_1) | instskip(NEXT) | instid1(SALU_CYCLE_1)
	s_add_i32 s3, s3, s14
	s_mul_i32 s2, s3, s2
	s_delay_alu instid0(SALU_CYCLE_1) | instskip(NEXT) | instid1(SALU_CYCLE_1)
	s_add_i32 s2, s2, s13
	s_cmp_ge_u32 s2, s4
	s_cbranch_scc1 .LBB134_48
; %bb.1:
	s_clause 0x1
	s_load_b64 s[28:29], s[0:1], 0x510
	s_load_b64 s[36:37], s[0:1], 0x1d0
	s_mov_b32 s31, 0
	s_waitcnt lgkmcnt(0)
	v_cvt_f32_u32_e32 v1, s29
	s_sub_i32 s4, 0, s29
	s_lshl_b32 s33, s28, 8
	s_delay_alu instid0(VALU_DEP_1) | instskip(SKIP_2) | instid1(VALU_DEP_1)
	v_rcp_iflag_f32_e32 v1, v1
	s_waitcnt_depctr 0xfff
	v_mul_f32_e32 v1, 0x4f7ffffe, v1
	v_cvt_u32_f32_e32 v1, v1
	s_delay_alu instid0(VALU_DEP_1) | instskip(NEXT) | instid1(VALU_DEP_1)
	v_readfirstlane_b32 s3, v1
	s_mul_i32 s4, s4, s3
	s_delay_alu instid0(SALU_CYCLE_1) | instskip(NEXT) | instid1(SALU_CYCLE_1)
	s_mul_hi_u32 s4, s3, s4
	s_add_i32 s3, s3, s4
	s_clause 0x1
	s_load_b128 s[4:7], s[0:1], 0x1a0
	s_load_b64 s[34:35], s[0:1], 0x10
	s_mul_hi_u32 s3, s2, s3
	s_delay_alu instid0(SALU_CYCLE_1) | instskip(SKIP_2) | instid1(SALU_CYCLE_1)
	s_mul_i32 s8, s3, s29
	s_add_i32 s9, s3, 1
	s_sub_i32 s8, s2, s8
	s_sub_i32 s10, s8, s29
	s_cmp_ge_u32 s8, s29
	s_cselect_b32 s3, s9, s3
	s_cselect_b32 s8, s10, s8
	s_add_i32 s9, s3, 1
	s_cmp_ge_u32 s8, s29
	s_cselect_b32 s30, s9, s3
	s_delay_alu instid0(SALU_CYCLE_1) | instskip(NEXT) | instid1(SALU_CYCLE_1)
	s_mul_i32 s16, s30, s29
	s_sub_i32 s48, s2, s16
	s_delay_alu instid0(SALU_CYCLE_1) | instskip(NEXT) | instid1(SALU_CYCLE_1)
	s_add_i32 s2, s48, 1
	s_cmp_lt_u32 s2, s29
	s_cbranch_scc1 .LBB134_3
; %bb.2:
	s_mul_i32 s2, s48, s33
	s_waitcnt lgkmcnt(0)
	s_sub_u32 s2, s4, s2
	s_subb_u32 s3, s5, 0
	s_add_u32 s2, s2, 0xff
	s_addc_u32 s3, s3, 0
	s_delay_alu instid0(SALU_CYCLE_1) | instskip(NEXT) | instid1(SALU_CYCLE_1)
	s_ashr_i32 s8, s3, 31
	s_lshr_b32 s8, s8, 24
	s_delay_alu instid0(SALU_CYCLE_1) | instskip(SKIP_1) | instid1(SALU_CYCLE_1)
	s_add_u32 s2, s2, s8
	s_addc_u32 s3, s3, 0
	v_alignbit_b32 v1, s3, s2, 8
	s_delay_alu instid0(VALU_DEP_1)
	v_readfirstlane_b32 s28, v1
.LBB134_3:
	s_load_b64 s[38:39], s[0:1], 0x378
	s_waitcnt lgkmcnt(0)
	v_cmp_lt_u64_e64 s2, s[30:31], s[34:35]
	s_mov_b64 s[44:45], 0
	s_mov_b64 s[40:41], 0
	s_delay_alu instid0(VALU_DEP_1)
	s_and_b32 vcc_lo, exec_lo, s2
	s_cbranch_vccz .LBB134_20
; %bb.4:
	v_cmp_lt_u64_e64 s2, s[30:31], s[36:37]
	s_delay_alu instid0(VALU_DEP_1)
	s_and_b32 vcc_lo, exec_lo, s2
	s_cbranch_vccz .LBB134_21
.LBB134_5:
	v_cmp_lt_u64_e64 s2, s[30:31], s[38:39]
	s_mov_b64 s[42:43], 0
	s_delay_alu instid0(VALU_DEP_1)
	s_and_b32 vcc_lo, exec_lo, s2
	s_cbranch_vccnz .LBB134_7
.LBB134_6:
	v_cvt_f32_u32_e32 v1, s38
	s_sub_i32 s3, 0, s38
	s_waitcnt_depctr 0xfff
	v_rcp_iflag_f32_e32 v1, v1
	s_waitcnt_depctr 0xfff
	v_mul_f32_e32 v1, 0x4f7ffffe, v1
	s_delay_alu instid0(VALU_DEP_1) | instskip(NEXT) | instid1(VALU_DEP_1)
	v_cvt_u32_f32_e32 v1, v1
	v_readfirstlane_b32 s2, v1
	s_delay_alu instid0(VALU_DEP_1) | instskip(NEXT) | instid1(SALU_CYCLE_1)
	s_mul_i32 s3, s3, s2
	s_mul_hi_u32 s3, s2, s3
	s_delay_alu instid0(SALU_CYCLE_1) | instskip(NEXT) | instid1(SALU_CYCLE_1)
	s_add_i32 s2, s2, s3
	s_mul_hi_u32 s2, s30, s2
	s_delay_alu instid0(SALU_CYCLE_1) | instskip(SKIP_2) | instid1(SALU_CYCLE_1)
	s_mul_i32 s3, s2, s38
	s_add_i32 s8, s2, 1
	s_sub_i32 s3, s30, s3
	s_sub_i32 s9, s3, s38
	s_cmp_ge_u32 s3, s38
	s_cselect_b32 s2, s8, s2
	s_cselect_b32 s3, s9, s3
	s_add_i32 s8, s2, 1
	s_cmp_ge_u32 s3, s38
	s_cselect_b32 s42, s8, s2
.LBB134_7:
	s_clause 0x1
	s_load_b128 s[8:11], s[0:1], 0x518
	s_load_b64 s[46:47], s[0:1], 0x0
	v_mov_b32_e32 v1, 0
	s_mov_b32 s17, 0
	s_waitcnt lgkmcnt(0)
	s_add_u32 s2, s8, s30
	s_addc_u32 s3, s9, 0
	global_load_u8 v4, v1, s[2:3]
	v_cmp_ne_u32_e64 s2, 0, v0
	v_cmp_eq_u32_e64 s3, 0, v0
	s_delay_alu instid0(VALU_DEP_1)
	s_and_saveexec_b32 s22, s3
	s_cbranch_execz .LBB134_25
; %bb.8:
	s_load_b64 s[8:9], s[0:1], 0x528
	s_lshl_b64 s[18:19], s[16:17], 2
	s_mov_b32 s16, 0
	s_add_u32 s12, s10, s18
	s_addc_u32 s13, s11, s19
	s_mov_b32 s23, 0
	s_waitcnt lgkmcnt(0)
	s_add_u32 s14, s8, s18
	s_addc_u32 s15, s9, s19
	s_cmp_lt_u32 s29, 4
	s_cbranch_scc1 .LBB134_22
; %bb.9:
	s_mov_b32 s24, 0
.LBB134_10:                             ; =>This Inner Loop Header: Depth=1
	s_add_u32 s12, s10, s18
	s_addc_u32 s13, s11, s19
	s_add_u32 s20, s8, s18
	s_load_b128 s[12:15], s[12:13], 0x0
	s_addc_u32 s21, s9, s19
	s_cmp_ge_u32 s24, s48
	s_cbranch_scc0 .LBB134_17
; %bb.11:                               ;   in Loop: Header=BB134_10 Depth=1
	s_add_i32 s25, s24, 1
	s_delay_alu instid0(SALU_CYCLE_1)
	s_cmp_ge_u32 s25, s48
	s_cbranch_scc0 .LBB134_18
.LBB134_12:                             ;   in Loop: Header=BB134_10 Depth=1
	s_add_i32 s25, s25, 1
	s_delay_alu instid0(SALU_CYCLE_1)
	s_cmp_ge_u32 s25, s48
	s_cbranch_scc0 .LBB134_19
.LBB134_13:                             ;   in Loop: Header=BB134_10 Depth=1
	s_add_i32 s25, s25, 1
	s_delay_alu instid0(SALU_CYCLE_1)
	s_cmp_ge_u32 s25, s48
	s_cbranch_scc1 .LBB134_15
.LBB134_14:                             ;   in Loop: Header=BB134_10 Depth=1
	s_load_b32 s20, s[20:21], 0xc
	s_waitcnt lgkmcnt(0)
	s_add_i32 s17, s17, s15
	s_add_i32 s16, s20, s16
.LBB134_15:                             ;   in Loop: Header=BB134_10 Depth=1
	s_waitcnt lgkmcnt(0)
	s_add_i32 s12, s12, s23
	s_delay_alu instid0(SALU_CYCLE_1) | instskip(NEXT) | instid1(SALU_CYCLE_1)
	s_add_i32 s12, s12, s13
	s_add_i32 s12, s12, s14
	s_delay_alu instid0(SALU_CYCLE_1)
	s_add_i32 s23, s12, s15
	s_add_u32 s10, s10, 16
	s_addc_u32 s11, s11, 0
	s_add_u32 s8, s8, 16
	s_addc_u32 s9, s9, 0
	s_add_i32 s21, s25, 4
	s_add_u32 s14, s8, s18
	s_addc_u32 s15, s9, s19
	s_add_u32 s12, s10, s18
	s_addc_u32 s13, s11, s19
	s_add_i32 s20, s25, 1
	s_cmp_ge_u32 s21, s29
	s_cbranch_scc1 .LBB134_23
; %bb.16:                               ;   in Loop: Header=BB134_10 Depth=1
	s_mov_b32 s24, s20
	s_branch .LBB134_10
.LBB134_17:                             ;   in Loop: Header=BB134_10 Depth=1
	s_load_b32 s25, s[20:21], 0x0
	s_waitcnt lgkmcnt(0)
	s_add_i32 s17, s12, s17
	s_add_i32 s16, s25, s16
	;; [unrolled: 1-line block ×3, first 2 shown]
	s_delay_alu instid0(SALU_CYCLE_1)
	s_cmp_ge_u32 s25, s48
	s_cbranch_scc1 .LBB134_12
.LBB134_18:                             ;   in Loop: Header=BB134_10 Depth=1
	s_load_b32 s26, s[20:21], 0x4
	s_waitcnt lgkmcnt(0)
	s_add_i32 s17, s17, s13
	s_add_i32 s16, s26, s16
	s_add_i32 s25, s25, 1
	s_delay_alu instid0(SALU_CYCLE_1)
	s_cmp_ge_u32 s25, s48
	s_cbranch_scc1 .LBB134_13
.LBB134_19:                             ;   in Loop: Header=BB134_10 Depth=1
	s_load_b32 s26, s[20:21], 0x8
	s_waitcnt lgkmcnt(0)
	s_add_i32 s17, s17, s14
	s_add_i32 s16, s26, s16
	;; [unrolled: 1-line block ×3, first 2 shown]
	s_delay_alu instid0(SALU_CYCLE_1)
	s_cmp_ge_u32 s25, s48
	s_cbranch_scc0 .LBB134_14
	s_branch .LBB134_15
.LBB134_20:
	v_cvt_f32_u32_e32 v1, s34
	s_sub_i32 s3, 0, s34
	s_delay_alu instid0(VALU_DEP_1) | instskip(SKIP_2) | instid1(VALU_DEP_1)
	v_rcp_iflag_f32_e32 v1, v1
	s_waitcnt_depctr 0xfff
	v_mul_f32_e32 v1, 0x4f7ffffe, v1
	v_cvt_u32_f32_e32 v1, v1
	s_delay_alu instid0(VALU_DEP_1) | instskip(NEXT) | instid1(VALU_DEP_1)
	v_readfirstlane_b32 s2, v1
	s_mul_i32 s3, s3, s2
	s_delay_alu instid0(SALU_CYCLE_1) | instskip(NEXT) | instid1(SALU_CYCLE_1)
	s_mul_hi_u32 s3, s2, s3
	s_add_i32 s2, s2, s3
	s_delay_alu instid0(SALU_CYCLE_1) | instskip(NEXT) | instid1(SALU_CYCLE_1)
	s_mul_hi_u32 s2, s30, s2
	s_mul_i32 s3, s2, s34
	s_add_i32 s8, s2, 1
	s_sub_i32 s3, s30, s3
	s_delay_alu instid0(SALU_CYCLE_1)
	s_sub_i32 s9, s3, s34
	s_cmp_ge_u32 s3, s34
	s_cselect_b32 s2, s8, s2
	s_cselect_b32 s3, s9, s3
	s_add_i32 s8, s2, 1
	s_cmp_ge_u32 s3, s34
	s_cselect_b32 s40, s8, s2
	v_cmp_lt_u64_e64 s2, s[30:31], s[36:37]
	s_delay_alu instid0(VALU_DEP_1)
	s_and_b32 vcc_lo, exec_lo, s2
	s_cbranch_vccnz .LBB134_5
.LBB134_21:
	v_cvt_f32_u32_e32 v1, s36
	s_sub_i32 s3, 0, s36
	s_delay_alu instid0(VALU_DEP_1) | instskip(SKIP_2) | instid1(VALU_DEP_1)
	v_rcp_iflag_f32_e32 v1, v1
	s_waitcnt_depctr 0xfff
	v_mul_f32_e32 v1, 0x4f7ffffe, v1
	v_cvt_u32_f32_e32 v1, v1
	s_delay_alu instid0(VALU_DEP_1) | instskip(NEXT) | instid1(VALU_DEP_1)
	v_readfirstlane_b32 s2, v1
	s_mul_i32 s3, s3, s2
	s_delay_alu instid0(SALU_CYCLE_1) | instskip(NEXT) | instid1(SALU_CYCLE_1)
	s_mul_hi_u32 s3, s2, s3
	s_add_i32 s2, s2, s3
	s_delay_alu instid0(SALU_CYCLE_1) | instskip(NEXT) | instid1(SALU_CYCLE_1)
	s_mul_hi_u32 s2, s30, s2
	s_mul_i32 s3, s2, s36
	s_add_i32 s8, s2, 1
	s_sub_i32 s3, s30, s3
	s_delay_alu instid0(SALU_CYCLE_1)
	s_sub_i32 s9, s3, s36
	s_cmp_ge_u32 s3, s36
	s_cselect_b32 s2, s8, s2
	s_cselect_b32 s3, s9, s3
	s_add_i32 s8, s2, 1
	s_cmp_ge_u32 s3, s36
	s_cselect_b32 s44, s8, s2
	v_cmp_lt_u64_e64 s2, s[30:31], s[38:39]
	s_mov_b64 s[42:43], 0
	s_delay_alu instid0(VALU_DEP_1)
	s_and_b32 vcc_lo, exec_lo, s2
	s_cbranch_vccz .LBB134_6
	s_branch .LBB134_7
.LBB134_22:
	s_mov_b32 s8, 0
	s_delay_alu instid0(SALU_CYCLE_1)
	s_cmp_ge_u32 s8, s29
	s_cbranch_scc0 .LBB134_46
	s_branch .LBB134_24
.LBB134_23:
	s_add_i32 s8, s24, 4
	s_delay_alu instid0(SALU_CYCLE_1)
	s_cmp_ge_u32 s8, s29
	s_cbranch_scc0 .LBB134_46
.LBB134_24:
	v_dual_mov_b32 v1, s16 :: v_dual_mov_b32 v2, s23
	v_mov_b32_e32 v3, s17
	v_mov_b32_e32 v5, 0
	ds_store_b96 v5, v[1:3] offset:1056
.LBB134_25:
	s_or_b32 exec_lo, exec_lo, s22
	s_clause 0x4
	s_load_b128 s[8:11], s[0:1], 0x1b8
	s_load_b128 s[20:23], s[0:1], 0xd0
	s_load_b128 s[12:15], s[0:1], 0x360
	s_load_b128 s[24:27], s[0:1], 0x290
	s_load_b128 s[16:19], s[0:1], 0x438
	s_cmp_eq_u32 s28, 0
	s_waitcnt vmcnt(0) lgkmcnt(0)
	s_barrier
	buffer_gl0_inv
	s_cbranch_scc1 .LBB134_48
; %bb.26:
	s_mul_i32 s29, s44, s37
	s_mul_hi_u32 s31, s44, s36
	s_mul_i32 s36, s44, s36
	s_add_i32 s31, s31, s29
	s_sub_u32 s29, s30, s36
	s_subb_u32 s31, 0, s31
	s_mul_i32 s27, s29, s27
	s_mul_hi_u32 s36, s29, s26
	s_mul_i32 s31, s31, s26
	s_add_i32 s27, s36, s27
	s_mul_i32 s25, s44, s25
	s_add_i32 s27, s27, s31
	s_mul_hi_u32 s31, s44, s24
	s_mul_i32 s29, s29, s26
	s_add_i32 s31, s31, s25
	s_mul_i32 s25, s40, s35
	s_mul_hi_u32 s26, s40, s34
	s_mul_i32 s34, s40, s34
	s_add_i32 s26, s26, s25
	s_sub_u32 s25, s30, s34
	s_subb_u32 s26, 0, s26
	s_mul_i32 s23, s25, s23
	s_mul_hi_u32 s34, s25, s22
	s_mul_i32 s26, s26, s22
	s_add_i32 s23, s34, s23
	s_mul_i32 s21, s40, s21
	s_mul_hi_u32 s34, s40, s20
	v_bfe_i32 v6, v4, 0, 8
	v_mov_b32_e32 v5, 0
	s_add_i32 s23, s23, s26
	s_add_i32 s34, s34, s21
	s_mul_i32 s21, s42, s39
	v_add_nc_u32_e32 v8, 0x80, v6
	s_mul_hi_u32 s26, s42, s38
	s_mul_i32 s35, s42, s38
	s_add_i32 s26, s26, s21
	s_sub_u32 s30, s30, s35
	ds_load_b96 v[1:3], v5 offset:1056
	s_mul_i32 s25, s25, s22
	s_mul_i32 s19, s30, s19
	s_mul_hi_u32 s21, s30, s18
	s_subb_u32 s22, 0, s26
	s_add_i32 s19, s21, s19
	s_mul_i32 s22, s22, s18
	s_mul_i32 s26, s40, s20
	;; [unrolled: 1-line block ×3, first 2 shown]
	s_mul_hi_u32 s20, s42, s16
	s_add_i32 s19, s19, s22
	s_add_i32 s21, s20, s17
	s_mul_i32 s20, s42, s16
	s_add_u32 s16, s46, s26
	s_addc_u32 s17, s47, s34
	s_mul_i32 s24, s44, s24
	s_add_u32 s16, s16, s25
	s_addc_u32 s17, s17, s23
	s_add_u32 s10, s10, s24
	s_addc_u32 s11, s11, s31
	;; [unrolled: 2-line block ×3, first 2 shown]
	s_lshl_b64 s[20:21], s[20:21], 3
	s_mul_i32 s18, s30, s18
	s_add_u32 s20, s14, s20
	s_addc_u32 s21, s15, s21
	s_lshl_b64 s[14:15], s[18:19], 3
	v_lshrrev_b32_e32 v7, 5, v0
	s_add_u32 s18, s20, s14
	s_load_b32 s20, s[0:1], 0x1b0
	s_waitcnt lgkmcnt(0)
	v_add_nc_u32_e32 v1, v1, v2
	s_addc_u32 s19, s21, s15
	s_load_b64 s[14:15], s[0:1], 0x508
	v_add_lshl_u32 v9, v7, v0, 2
	v_lshlrev_b32_e32 v2, 3, v0
	v_mad_u64_u32 v[6:7], null, s48, s33, v[0:1]
	v_add_nc_u32_e32 v11, -1, v0
	v_lshrrev_b32_e32 v12, 2, v0
	v_mbcnt_lo_u32_b32 v10, -1, 0
	v_cmp_gt_u32_e64 s0, 32, v0
                                        ; implicit-def: $vgpr16
	s_delay_alu instid0(VALU_DEP_3)
	v_add_lshl_u32 v0, v12, v2, 2
	v_and_b32_e32 v12, 0xff, v4
	v_mov_b32_e32 v4, v6
	v_lshrrev_b32_e32 v13, 5, v11
	v_bfe_i32 v14, v10, 4, 1
	v_add_nc_u32_e32 v15, -1, v10
	s_bitcmp1_b32 s20, 0
	s_delay_alu instid0(VALU_DEP_3)
	v_add_lshl_u32 v11, v13, v11, 2
	v_and_b32_e32 v13, 15, v10
	s_cselect_b32 s1, -1, 0
	s_branch .LBB134_29
.LBB134_27:                             ;   in Loop: Header=BB134_29 Depth=1
	s_or_b32 exec_lo, exec_lo, s20
	v_add_nc_u32_e32 v1, v2, v1
.LBB134_28:                             ;   in Loop: Header=BB134_29 Depth=1
	v_add_nc_u32_e32 v3, v17, v3
	v_add_nc_u32_e32 v4, 0x100, v4
	s_add_i32 s28, s28, -1
	s_delay_alu instid0(SALU_CYCLE_1)
	s_cmp_lg_u32 s28, 0
	s_cbranch_scc0 .LBB134_48
.LBB134_29:                             ; =>This Inner Loop Header: Depth=1
	v_mov_b32_e32 v2, v5
	v_mov_b32_e32 v6, v5
	s_mov_b32 s20, exec_lo
	v_cmpx_gt_u64_e64 s[4:5], v[4:5]
	s_cbranch_execz .LBB134_31
; %bb.30:                               ;   in Loop: Header=BB134_29 Depth=1
	v_mad_u64_u32 v[6:7], null, v4, s8, s[16:17]
	s_delay_alu instid0(VALU_DEP_1) | instskip(NEXT) | instid1(VALU_DEP_1)
	v_mov_b32_e32 v2, v7
	v_mad_u64_u32 v[16:17], null, v4, s9, v[2:3]
	s_delay_alu instid0(VALU_DEP_1) | instskip(SKIP_3) | instid1(VALU_DEP_1)
	v_mov_b32_e32 v7, v16
	global_load_u8 v16, v[6:7], off
	s_waitcnt vmcnt(0)
	v_bfe_i32 v2, v16, 0, 8
	v_add_nc_u32_e32 v2, 0x80, v2
	s_delay_alu instid0(VALU_DEP_1) | instskip(SKIP_4) | instid1(VALU_DEP_2)
	v_cmp_gt_u32_e32 vcc_lo, v2, v8
	v_cndmask_b32_e64 v6, 0, 1, vcc_lo
	v_cmp_lt_u32_e32 vcc_lo, v2, v8
	v_cndmask_b32_e64 v2, 0, 1, vcc_lo
	v_cmp_eq_u16_e32 vcc_lo, v16, v12
	v_cndmask_b32_e64 v2, v2, v6, s1
	v_cndmask_b32_e64 v6, 0, 1, vcc_lo
	s_delay_alu instid0(VALU_DEP_2)
	v_and_b32_e32 v2, 1, v2
.LBB134_31:                             ;   in Loop: Header=BB134_29 Depth=1
	s_or_b32 exec_lo, exec_lo, s20
	ds_store_b32 v9, v2
	s_waitcnt lgkmcnt(0)
	s_waitcnt_vscnt null, 0x0
	s_barrier
	buffer_gl0_inv
	s_and_saveexec_b32 s20, s0
	s_cbranch_execz .LBB134_33
; %bb.32:                               ;   in Loop: Header=BB134_29 Depth=1
	ds_load_2addr_b32 v[17:18], v0 offset1:1
	ds_load_2addr_b32 v[19:20], v0 offset0:2 offset1:3
	ds_load_2addr_b32 v[21:22], v0 offset0:4 offset1:5
	;; [unrolled: 1-line block ×3, first 2 shown]
	v_cmp_ne_u32_e32 vcc_lo, 0, v13
	; wave barrier
	s_waitcnt lgkmcnt(3)
	v_add_nc_u32_e32 v7, v18, v17
	s_waitcnt lgkmcnt(2)
	s_delay_alu instid0(VALU_DEP_1) | instskip(SKIP_1) | instid1(VALU_DEP_1)
	v_add3_u32 v7, v7, v19, v20
	s_waitcnt lgkmcnt(1)
	v_add3_u32 v7, v7, v21, v22
	s_waitcnt lgkmcnt(0)
	s_delay_alu instid0(VALU_DEP_1) | instskip(NEXT) | instid1(VALU_DEP_1)
	v_add3_u32 v7, v7, v23, v24
	v_mov_b32_dpp v18, v7 row_shr:1 row_mask:0xf bank_mask:0xf
	s_delay_alu instid0(VALU_DEP_1) | instskip(SKIP_1) | instid1(VALU_DEP_2)
	v_cndmask_b32_e32 v18, 0, v18, vcc_lo
	v_cmp_lt_u32_e32 vcc_lo, 1, v13
	v_add_nc_u32_e32 v7, v18, v7
	s_delay_alu instid0(VALU_DEP_1) | instskip(NEXT) | instid1(VALU_DEP_1)
	v_mov_b32_dpp v18, v7 row_shr:2 row_mask:0xf bank_mask:0xf
	v_cndmask_b32_e32 v18, 0, v18, vcc_lo
	v_cmp_lt_u32_e32 vcc_lo, 3, v13
	s_delay_alu instid0(VALU_DEP_2) | instskip(NEXT) | instid1(VALU_DEP_1)
	v_add_nc_u32_e32 v7, v7, v18
	v_mov_b32_dpp v18, v7 row_shr:4 row_mask:0xf bank_mask:0xf
	s_delay_alu instid0(VALU_DEP_1) | instskip(SKIP_1) | instid1(VALU_DEP_2)
	v_cndmask_b32_e32 v18, 0, v18, vcc_lo
	v_cmp_lt_u32_e32 vcc_lo, 7, v13
	v_add_nc_u32_e32 v7, v7, v18
	s_delay_alu instid0(VALU_DEP_1) | instskip(NEXT) | instid1(VALU_DEP_1)
	v_mov_b32_dpp v18, v7 row_shr:8 row_mask:0xf bank_mask:0xf
	v_cndmask_b32_e32 v18, 0, v18, vcc_lo
	v_cmp_gt_i32_e32 vcc_lo, 0, v15
	s_delay_alu instid0(VALU_DEP_2)
	v_add_nc_u32_e32 v7, v7, v18
	v_cndmask_b32_e32 v19, v15, v10, vcc_lo
	ds_swizzle_b32 v18, v7 offset:swizzle(BROADCAST,32,15)
	v_lshlrev_b32_e32 v19, 2, v19
	s_waitcnt lgkmcnt(0)
	v_and_b32_e32 v18, v14, v18
	s_delay_alu instid0(VALU_DEP_1) | instskip(SKIP_3) | instid1(VALU_DEP_1)
	v_add_nc_u32_e32 v7, v7, v18
	ds_bpermute_b32 v7, v19, v7
	s_waitcnt lgkmcnt(0)
	v_add_nc_u32_e32 v7, v7, v17
	v_cndmask_b32_e64 v7, v7, v2, s3
	ds_store_b32 v0, v7
	; wave barrier
	ds_load_2addr_b32 v[17:18], v0 offset0:1 offset1:2
	ds_load_2addr_b32 v[19:20], v0 offset0:3 offset1:4
	;; [unrolled: 1-line block ×3, first 2 shown]
	ds_load_b32 v23, v0 offset:28
	s_waitcnt lgkmcnt(3)
	v_add_nc_u32_e32 v7, v17, v7
	s_delay_alu instid0(VALU_DEP_1) | instskip(SKIP_1) | instid1(VALU_DEP_1)
	v_add_nc_u32_e32 v17, v18, v7
	s_waitcnt lgkmcnt(2)
	v_add_nc_u32_e32 v18, v19, v17
	s_delay_alu instid0(VALU_DEP_1) | instskip(SKIP_1) | instid1(VALU_DEP_1)
	v_add_nc_u32_e32 v19, v20, v18
	;; [unrolled: 4-line block ×3, first 2 shown]
	s_waitcnt lgkmcnt(0)
	v_add_nc_u32_e32 v22, v23, v21
	ds_store_2addr_b32 v0, v7, v17 offset0:1 offset1:2
	ds_store_2addr_b32 v0, v18, v19 offset0:3 offset1:4
	;; [unrolled: 1-line block ×3, first 2 shown]
	ds_store_b32 v0, v22 offset:28
.LBB134_33:                             ;   in Loop: Header=BB134_29 Depth=1
	s_or_b32 exec_lo, exec_lo, s20
	v_mov_b32_e32 v7, 0
	s_waitcnt lgkmcnt(0)
	s_barrier
	buffer_gl0_inv
	s_and_saveexec_b32 s20, s2
	s_cbranch_execz .LBB134_35
; %bb.34:                               ;   in Loop: Header=BB134_29 Depth=1
	ds_load_b32 v7, v11
.LBB134_35:                             ;   in Loop: Header=BB134_29 Depth=1
	s_or_b32 exec_lo, exec_lo, s20
	ds_load_b32 v17, v5 offset:1048
	s_mov_b32 s20, exec_lo
	s_waitcnt lgkmcnt(0)
	s_barrier
	buffer_gl0_inv
	v_cmpx_ne_u32_e32 0, v2
	s_cbranch_execz .LBB134_37
; %bb.36:                               ;   in Loop: Header=BB134_29 Depth=1
	v_add_nc_u32_e32 v7, v7, v3
	s_delay_alu instid0(VALU_DEP_1) | instskip(SKIP_1) | instid1(VALU_DEP_2)
	v_mad_u64_u32 v[18:19], null, v7, s14, 0
	v_mad_u64_u32 v[20:21], null, v7, s12, s[10:11]
	v_mov_b32_e32 v2, v19
	s_delay_alu instid0(VALU_DEP_1) | instskip(NEXT) | instid1(VALU_DEP_1)
	v_mad_u64_u32 v[22:23], null, v7, s15, v[2:3]
	v_dual_mov_b32 v2, v21 :: v_dual_mov_b32 v19, v22
	s_delay_alu instid0(VALU_DEP_1) | instskip(NEXT) | instid1(VALU_DEP_2)
	v_mad_u64_u32 v[21:22], null, v7, s13, v[2:3]
	v_lshlrev_b64 v[18:19], 3, v[18:19]
	s_delay_alu instid0(VALU_DEP_1) | instskip(NEXT) | instid1(VALU_DEP_2)
	v_add_co_u32 v18, vcc_lo, s18, v18
	v_add_co_ci_u32_e32 v19, vcc_lo, s19, v19, vcc_lo
	global_store_b8 v[20:21], v16, off
	global_store_b64 v[18:19], v[4:5], off
.LBB134_37:                             ;   in Loop: Header=BB134_29 Depth=1
	s_or_b32 exec_lo, exec_lo, s20
	v_mov_b32_e32 v2, v5
	s_delay_alu instid0(VALU_DEP_1)
	v_cmp_le_u64_e32 vcc_lo, s[6:7], v[1:2]
	s_cbranch_vccnz .LBB134_28
; %bb.38:                               ;   in Loop: Header=BB134_29 Depth=1
	ds_store_b32 v9, v6
	s_waitcnt lgkmcnt(0)
	s_waitcnt_vscnt null, 0x0
	s_barrier
	buffer_gl0_inv
	s_and_saveexec_b32 s20, s0
	s_cbranch_execz .LBB134_40
; %bb.39:                               ;   in Loop: Header=BB134_29 Depth=1
	ds_load_2addr_b32 v[18:19], v0 offset1:1
	ds_load_2addr_b32 v[20:21], v0 offset0:2 offset1:3
	ds_load_2addr_b32 v[22:23], v0 offset0:4 offset1:5
	;; [unrolled: 1-line block ×3, first 2 shown]
	v_cmp_ne_u32_e32 vcc_lo, 0, v13
	; wave barrier
	s_waitcnt lgkmcnt(3)
	v_add_nc_u32_e32 v2, v19, v18
	s_waitcnt lgkmcnt(2)
	s_delay_alu instid0(VALU_DEP_1) | instskip(SKIP_1) | instid1(VALU_DEP_1)
	v_add3_u32 v2, v2, v20, v21
	s_waitcnt lgkmcnt(1)
	v_add3_u32 v2, v2, v22, v23
	s_waitcnt lgkmcnt(0)
	s_delay_alu instid0(VALU_DEP_1) | instskip(NEXT) | instid1(VALU_DEP_1)
	v_add3_u32 v2, v2, v24, v25
	v_mov_b32_dpp v7, v2 row_shr:1 row_mask:0xf bank_mask:0xf
	s_delay_alu instid0(VALU_DEP_1) | instskip(SKIP_1) | instid1(VALU_DEP_2)
	v_cndmask_b32_e32 v7, 0, v7, vcc_lo
	v_cmp_lt_u32_e32 vcc_lo, 1, v13
	v_add_nc_u32_e32 v2, v7, v2
	s_delay_alu instid0(VALU_DEP_1) | instskip(NEXT) | instid1(VALU_DEP_1)
	v_mov_b32_dpp v7, v2 row_shr:2 row_mask:0xf bank_mask:0xf
	v_cndmask_b32_e32 v7, 0, v7, vcc_lo
	v_cmp_lt_u32_e32 vcc_lo, 3, v13
	s_delay_alu instid0(VALU_DEP_2) | instskip(NEXT) | instid1(VALU_DEP_1)
	v_add_nc_u32_e32 v2, v2, v7
	v_mov_b32_dpp v7, v2 row_shr:4 row_mask:0xf bank_mask:0xf
	s_delay_alu instid0(VALU_DEP_1) | instskip(SKIP_1) | instid1(VALU_DEP_2)
	v_cndmask_b32_e32 v7, 0, v7, vcc_lo
	v_cmp_lt_u32_e32 vcc_lo, 7, v13
	v_add_nc_u32_e32 v2, v2, v7
	s_delay_alu instid0(VALU_DEP_1) | instskip(NEXT) | instid1(VALU_DEP_1)
	v_mov_b32_dpp v7, v2 row_shr:8 row_mask:0xf bank_mask:0xf
	v_cndmask_b32_e32 v7, 0, v7, vcc_lo
	v_cmp_gt_i32_e32 vcc_lo, 0, v15
	s_delay_alu instid0(VALU_DEP_2) | instskip(SKIP_4) | instid1(VALU_DEP_1)
	v_dual_cndmask_b32 v19, v15, v10 :: v_dual_add_nc_u32 v2, v2, v7
	ds_swizzle_b32 v7, v2 offset:swizzle(BROADCAST,32,15)
	v_lshlrev_b32_e32 v19, 2, v19
	s_waitcnt lgkmcnt(0)
	v_and_b32_e32 v7, v14, v7
	v_add_nc_u32_e32 v2, v2, v7
	ds_bpermute_b32 v2, v19, v2
	s_waitcnt lgkmcnt(0)
	v_add_nc_u32_e32 v2, v2, v18
	s_delay_alu instid0(VALU_DEP_1)
	v_cndmask_b32_e64 v2, v2, v6, s3
	ds_store_b32 v0, v2
	; wave barrier
	ds_load_2addr_b32 v[18:19], v0 offset0:1 offset1:2
	ds_load_2addr_b32 v[20:21], v0 offset0:3 offset1:4
	;; [unrolled: 1-line block ×3, first 2 shown]
	ds_load_b32 v7, v0 offset:28
	s_waitcnt lgkmcnt(3)
	v_add_nc_u32_e32 v2, v18, v2
	s_delay_alu instid0(VALU_DEP_1) | instskip(SKIP_1) | instid1(VALU_DEP_1)
	v_add_nc_u32_e32 v18, v19, v2
	s_waitcnt lgkmcnt(2)
	v_add_nc_u32_e32 v19, v20, v18
	s_delay_alu instid0(VALU_DEP_1) | instskip(SKIP_1) | instid1(VALU_DEP_1)
	v_add_nc_u32_e32 v20, v21, v19
	;; [unrolled: 4-line block ×3, first 2 shown]
	s_waitcnt lgkmcnt(0)
	v_add_nc_u32_e32 v7, v7, v22
	ds_store_2addr_b32 v0, v2, v18 offset0:1 offset1:2
	ds_store_2addr_b32 v0, v19, v20 offset0:3 offset1:4
	;; [unrolled: 1-line block ×3, first 2 shown]
	ds_store_b32 v0, v7 offset:28
.LBB134_40:                             ;   in Loop: Header=BB134_29 Depth=1
	s_or_b32 exec_lo, exec_lo, s20
	v_mov_b32_e32 v7, 0
	s_waitcnt lgkmcnt(0)
	s_barrier
	buffer_gl0_inv
	s_and_saveexec_b32 s20, s2
	s_cbranch_execz .LBB134_42
; %bb.41:                               ;   in Loop: Header=BB134_29 Depth=1
	ds_load_b32 v7, v11
.LBB134_42:                             ;   in Loop: Header=BB134_29 Depth=1
	s_or_b32 exec_lo, exec_lo, s20
	ds_load_b32 v2, v5 offset:1048
	s_mov_b32 s20, exec_lo
	s_waitcnt lgkmcnt(0)
	s_barrier
	buffer_gl0_inv
	v_cmpx_ne_u32_e32 0, v6
	s_cbranch_execz .LBB134_27
; %bb.43:                               ;   in Loop: Header=BB134_29 Depth=1
	v_dual_mov_b32 v7, v5 :: v_dual_add_nc_u32 v6, v7, v1
	s_delay_alu instid0(VALU_DEP_1)
	v_cmp_gt_u64_e32 vcc_lo, s[6:7], v[6:7]
	s_and_b32 exec_lo, exec_lo, vcc_lo
	s_cbranch_execz .LBB134_27
; %bb.44:                               ;   in Loop: Header=BB134_29 Depth=1
	v_mad_u64_u32 v[18:19], null, v6, s14, 0
	v_mad_u64_u32 v[20:21], null, v6, s12, s[10:11]
	s_delay_alu instid0(VALU_DEP_2) | instskip(NEXT) | instid1(VALU_DEP_1)
	v_mov_b32_e32 v7, v19
	v_mad_u64_u32 v[22:23], null, v6, s15, v[7:8]
	s_delay_alu instid0(VALU_DEP_3) | instskip(NEXT) | instid1(VALU_DEP_2)
	v_mov_b32_e32 v7, v21
	v_mov_b32_e32 v19, v22
	s_delay_alu instid0(VALU_DEP_2) | instskip(NEXT) | instid1(VALU_DEP_2)
	v_mad_u64_u32 v[21:22], null, v6, s13, v[7:8]
	v_lshlrev_b64 v[6:7], 3, v[18:19]
	s_delay_alu instid0(VALU_DEP_1) | instskip(NEXT) | instid1(VALU_DEP_2)
	v_add_co_u32 v6, vcc_lo, s18, v6
	v_add_co_ci_u32_e32 v7, vcc_lo, s19, v7, vcc_lo
	global_store_b8 v[20:21], v16, off
	global_store_b64 v[6:7], v[4:5], off
	s_branch .LBB134_27
	.p2align	6
.LBB134_45:                             ;   in Loop: Header=BB134_46 Depth=1
	s_add_u32 s12, s12, 4
	s_addc_u32 s13, s13, 0
	s_waitcnt lgkmcnt(0)
	s_add_i32 s23, s9, s23
	s_add_u32 s14, s14, 4
	s_addc_u32 s15, s15, 0
	s_add_i32 s8, s8, 1
	s_delay_alu instid0(SALU_CYCLE_1)
	s_cmp_lt_u32 s8, s29
	s_cbranch_scc0 .LBB134_24
.LBB134_46:                             ; =>This Inner Loop Header: Depth=1
	s_load_b32 s9, s[12:13], 0x0
	s_cmp_ge_u32 s8, s48
	s_cbranch_scc1 .LBB134_45
; %bb.47:                               ;   in Loop: Header=BB134_46 Depth=1
	s_load_b32 s10, s[14:15], 0x0
	s_waitcnt lgkmcnt(0)
	s_add_i32 s17, s9, s17
	s_add_i32 s16, s10, s16
	s_branch .LBB134_45
.LBB134_48:
	s_nop 0
	s_sendmsg sendmsg(MSG_DEALLOC_VGPRS)
	s_endpgm
	.section	.rodata,"a",@progbits
	.p2align	6, 0x0
	.amdhsa_kernel _ZN2at6native6mbtopk10gatherTopKIamLi2EEEvNS_4cuda6detail10TensorInfoIKT_T0_EES8_S8_bjS8_NS5_IS6_S8_EES8_NS5_IlS8_EES8_jjPS6_PjSD_j
		.amdhsa_group_segment_fixed_size 1068
		.amdhsa_private_segment_fixed_size 0
		.amdhsa_kernarg_size 1592
		.amdhsa_user_sgpr_count 13
		.amdhsa_user_sgpr_dispatch_ptr 0
		.amdhsa_user_sgpr_queue_ptr 0
		.amdhsa_user_sgpr_kernarg_segment_ptr 1
		.amdhsa_user_sgpr_dispatch_id 0
		.amdhsa_user_sgpr_private_segment_size 0
		.amdhsa_wavefront_size32 1
		.amdhsa_uses_dynamic_stack 0
		.amdhsa_enable_private_segment 0
		.amdhsa_system_sgpr_workgroup_id_x 1
		.amdhsa_system_sgpr_workgroup_id_y 1
		.amdhsa_system_sgpr_workgroup_id_z 1
		.amdhsa_system_sgpr_workgroup_info 0
		.amdhsa_system_vgpr_workitem_id 0
		.amdhsa_next_free_vgpr 26
		.amdhsa_next_free_sgpr 49
		.amdhsa_reserve_vcc 1
		.amdhsa_float_round_mode_32 0
		.amdhsa_float_round_mode_16_64 0
		.amdhsa_float_denorm_mode_32 3
		.amdhsa_float_denorm_mode_16_64 3
		.amdhsa_dx10_clamp 1
		.amdhsa_ieee_mode 1
		.amdhsa_fp16_overflow 0
		.amdhsa_workgroup_processor_mode 1
		.amdhsa_memory_ordered 1
		.amdhsa_forward_progress 0
		.amdhsa_shared_vgpr_count 0
		.amdhsa_exception_fp_ieee_invalid_op 0
		.amdhsa_exception_fp_denorm_src 0
		.amdhsa_exception_fp_ieee_div_zero 0
		.amdhsa_exception_fp_ieee_overflow 0
		.amdhsa_exception_fp_ieee_underflow 0
		.amdhsa_exception_fp_ieee_inexact 0
		.amdhsa_exception_int_div_zero 0
	.end_amdhsa_kernel
	.section	.text._ZN2at6native6mbtopk10gatherTopKIamLi2EEEvNS_4cuda6detail10TensorInfoIKT_T0_EES8_S8_bjS8_NS5_IS6_S8_EES8_NS5_IlS8_EES8_jjPS6_PjSD_j,"axG",@progbits,_ZN2at6native6mbtopk10gatherTopKIamLi2EEEvNS_4cuda6detail10TensorInfoIKT_T0_EES8_S8_bjS8_NS5_IS6_S8_EES8_NS5_IlS8_EES8_jjPS6_PjSD_j,comdat
.Lfunc_end134:
	.size	_ZN2at6native6mbtopk10gatherTopKIamLi2EEEvNS_4cuda6detail10TensorInfoIKT_T0_EES8_S8_bjS8_NS5_IS6_S8_EES8_NS5_IlS8_EES8_jjPS6_PjSD_j, .Lfunc_end134-_ZN2at6native6mbtopk10gatherTopKIamLi2EEEvNS_4cuda6detail10TensorInfoIKT_T0_EES8_S8_bjS8_NS5_IS6_S8_EES8_NS5_IlS8_EES8_jjPS6_PjSD_j
                                        ; -- End function
	.section	.AMDGPU.csdata,"",@progbits
; Kernel info:
; codeLenInByte = 3236
; NumSgprs: 51
; NumVgprs: 26
; ScratchSize: 0
; MemoryBound: 0
; FloatMode: 240
; IeeeMode: 1
; LDSByteSize: 1068 bytes/workgroup (compile time only)
; SGPRBlocks: 6
; VGPRBlocks: 3
; NumSGPRsForWavesPerEU: 51
; NumVGPRsForWavesPerEU: 26
; Occupancy: 16
; WaveLimiterHint : 1
; COMPUTE_PGM_RSRC2:SCRATCH_EN: 0
; COMPUTE_PGM_RSRC2:USER_SGPR: 13
; COMPUTE_PGM_RSRC2:TRAP_HANDLER: 0
; COMPUTE_PGM_RSRC2:TGID_X_EN: 1
; COMPUTE_PGM_RSRC2:TGID_Y_EN: 1
; COMPUTE_PGM_RSRC2:TGID_Z_EN: 1
; COMPUTE_PGM_RSRC2:TIDIG_COMP_CNT: 0
	.section	.text._ZN2at6native6sbtopk10gatherTopKIamLi2ELb0EEEvNS_4cuda6detail10TensorInfoIKT_T0_EES8_S8_bS8_S8_NS5_IS6_S8_EES8_NS5_IlS8_EES8_PS6_,"axG",@progbits,_ZN2at6native6sbtopk10gatherTopKIamLi2ELb0EEEvNS_4cuda6detail10TensorInfoIKT_T0_EES8_S8_bS8_S8_NS5_IS6_S8_EES8_NS5_IlS8_EES8_PS6_,comdat
	.protected	_ZN2at6native6sbtopk10gatherTopKIamLi2ELb0EEEvNS_4cuda6detail10TensorInfoIKT_T0_EES8_S8_bS8_S8_NS5_IS6_S8_EES8_NS5_IlS8_EES8_PS6_ ; -- Begin function _ZN2at6native6sbtopk10gatherTopKIamLi2ELb0EEEvNS_4cuda6detail10TensorInfoIKT_T0_EES8_S8_bS8_S8_NS5_IS6_S8_EES8_NS5_IlS8_EES8_PS6_
	.globl	_ZN2at6native6sbtopk10gatherTopKIamLi2ELb0EEEvNS_4cuda6detail10TensorInfoIKT_T0_EES8_S8_bS8_S8_NS5_IS6_S8_EES8_NS5_IlS8_EES8_PS6_
	.p2align	8
	.type	_ZN2at6native6sbtopk10gatherTopKIamLi2ELb0EEEvNS_4cuda6detail10TensorInfoIKT_T0_EES8_S8_bS8_S8_NS5_IS6_S8_EES8_NS5_IlS8_EES8_PS6_,@function
_ZN2at6native6sbtopk10gatherTopKIamLi2ELb0EEEvNS_4cuda6detail10TensorInfoIKT_T0_EES8_S8_bS8_S8_NS5_IS6_S8_EES8_NS5_IlS8_EES8_PS6_: ; @_ZN2at6native6sbtopk10gatherTopKIamLi2ELb0EEEvNS_4cuda6detail10TensorInfoIKT_T0_EES8_S8_bS8_S8_NS5_IS6_S8_EES8_NS5_IlS8_EES8_PS6_
; %bb.0:
	s_clause 0x1
	s_load_b64 s[18:19], s[0:1], 0x520
	s_load_b128 s[28:31], s[0:1], 0x1b8
	s_add_u32 s16, s0, 0x520
	s_addc_u32 s17, s1, 0
	s_mov_b32 s35, 0
	s_waitcnt lgkmcnt(0)
	s_mul_i32 s2, s19, s15
	s_delay_alu instid0(SALU_CYCLE_1) | instskip(NEXT) | instid1(SALU_CYCLE_1)
	s_add_i32 s2, s2, s14
	s_mul_i32 s2, s2, s18
	s_delay_alu instid0(SALU_CYCLE_1) | instskip(NEXT) | instid1(SALU_CYCLE_1)
	s_add_i32 s34, s2, s13
	v_cmp_ge_u64_e64 s2, s[34:35], s[28:29]
	s_delay_alu instid0(VALU_DEP_1)
	s_and_b32 vcc_lo, exec_lo, s2
	s_cbranch_vccnz .LBB135_541
; %bb.1:
	s_clause 0x2
	s_load_b64 s[6:7], s[0:1], 0x10
	s_load_b64 s[48:49], s[0:1], 0x380
	;; [unrolled: 1-line block ×3, first 2 shown]
	s_mov_b64 s[50:51], 0
	s_waitcnt lgkmcnt(0)
	v_cmp_lt_u64_e64 s2, s[34:35], s[6:7]
	s_delay_alu instid0(VALU_DEP_1)
	s_and_b32 vcc_lo, exec_lo, s2
	s_mov_b64 s[2:3], 0
	s_cbranch_vccnz .LBB135_3
; %bb.2:
	v_cvt_f32_u32_e32 v1, s6
	s_sub_i32 s3, 0, s6
	s_delay_alu instid0(VALU_DEP_1) | instskip(SKIP_2) | instid1(VALU_DEP_1)
	v_rcp_iflag_f32_e32 v1, v1
	s_waitcnt_depctr 0xfff
	v_mul_f32_e32 v1, 0x4f7ffffe, v1
	v_cvt_u32_f32_e32 v1, v1
	s_delay_alu instid0(VALU_DEP_1) | instskip(NEXT) | instid1(VALU_DEP_1)
	v_readfirstlane_b32 s2, v1
	s_mul_i32 s3, s3, s2
	s_delay_alu instid0(SALU_CYCLE_1) | instskip(NEXT) | instid1(SALU_CYCLE_1)
	s_mul_hi_u32 s3, s2, s3
	s_add_i32 s2, s2, s3
	s_delay_alu instid0(SALU_CYCLE_1) | instskip(NEXT) | instid1(SALU_CYCLE_1)
	s_mul_hi_u32 s2, s34, s2
	s_mul_i32 s3, s2, s6
	s_add_i32 s4, s2, 1
	s_sub_i32 s3, s34, s3
	s_delay_alu instid0(SALU_CYCLE_1)
	s_sub_i32 s5, s3, s6
	s_cmp_ge_u32 s3, s6
	s_cselect_b32 s2, s4, s2
	s_cselect_b32 s3, s5, s3
	s_add_i32 s4, s2, 1
	s_cmp_ge_u32 s3, s6
	s_cselect_b32 s2, s4, s2
.LBB135_3:
	v_cmp_lt_u64_e64 s3, s[34:35], s[52:53]
	s_delay_alu instid0(VALU_DEP_1)
	s_and_b32 vcc_lo, exec_lo, s3
	s_cbranch_vccnz .LBB135_5
; %bb.4:
	v_cvt_f32_u32_e32 v1, s52
	s_sub_i32 s4, 0, s52
	s_delay_alu instid0(VALU_DEP_1) | instskip(SKIP_2) | instid1(VALU_DEP_1)
	v_rcp_iflag_f32_e32 v1, v1
	s_waitcnt_depctr 0xfff
	v_mul_f32_e32 v1, 0x4f7ffffe, v1
	v_cvt_u32_f32_e32 v1, v1
	s_delay_alu instid0(VALU_DEP_1) | instskip(NEXT) | instid1(VALU_DEP_1)
	v_readfirstlane_b32 s3, v1
	s_mul_i32 s4, s4, s3
	s_delay_alu instid0(SALU_CYCLE_1) | instskip(NEXT) | instid1(SALU_CYCLE_1)
	s_mul_hi_u32 s4, s3, s4
	s_add_i32 s3, s3, s4
	s_delay_alu instid0(SALU_CYCLE_1) | instskip(NEXT) | instid1(SALU_CYCLE_1)
	s_mul_hi_u32 s3, s34, s3
	s_mul_i32 s4, s3, s52
	s_add_i32 s5, s3, 1
	s_sub_i32 s4, s34, s4
	s_delay_alu instid0(SALU_CYCLE_1)
	s_sub_i32 s8, s4, s52
	s_cmp_ge_u32 s4, s52
	s_cselect_b32 s3, s5, s3
	s_cselect_b32 s4, s8, s4
	s_add_i32 s5, s3, 1
	s_cmp_ge_u32 s4, s52
	s_cselect_b32 s50, s5, s3
.LBB135_5:
	s_load_b64 s[14:15], s[0:1], 0x0
	v_cmp_lt_u64_e64 s3, s[34:35], s[48:49]
	s_mov_b64 s[54:55], 0
	s_delay_alu instid0(VALU_DEP_1)
	s_and_b32 vcc_lo, exec_lo, s3
	s_cbranch_vccnz .LBB135_7
; %bb.6:
	v_cvt_f32_u32_e32 v1, s48
	s_sub_i32 s4, 0, s48
	s_delay_alu instid0(VALU_DEP_1) | instskip(SKIP_2) | instid1(VALU_DEP_1)
	v_rcp_iflag_f32_e32 v1, v1
	s_waitcnt_depctr 0xfff
	v_mul_f32_e32 v1, 0x4f7ffffe, v1
	v_cvt_u32_f32_e32 v1, v1
	s_delay_alu instid0(VALU_DEP_1) | instskip(NEXT) | instid1(VALU_DEP_1)
	v_readfirstlane_b32 s3, v1
	s_mul_i32 s4, s4, s3
	s_delay_alu instid0(SALU_CYCLE_1) | instskip(NEXT) | instid1(SALU_CYCLE_1)
	s_mul_hi_u32 s4, s3, s4
	s_add_i32 s3, s3, s4
	s_delay_alu instid0(SALU_CYCLE_1) | instskip(NEXT) | instid1(SALU_CYCLE_1)
	s_mul_hi_u32 s3, s34, s3
	s_mul_i32 s4, s3, s48
	s_add_i32 s5, s3, 1
	s_sub_i32 s4, s34, s4
	s_delay_alu instid0(SALU_CYCLE_1)
	s_sub_i32 s8, s4, s48
	s_cmp_ge_u32 s4, s48
	s_cselect_b32 s3, s5, s3
	s_cselect_b32 s4, s8, s4
	s_add_i32 s5, s3, 1
	s_cmp_ge_u32 s4, s48
	s_cselect_b32 s54, s5, s3
.LBB135_7:
	s_clause 0x3
	s_load_b64 s[102:103], s[0:1], 0x370
	s_load_b64 s[58:59], s[0:1], 0x1c8
	s_load_b128 s[8:11], s[0:1], 0xd0
	s_load_b128 s[36:39], s[0:1], 0x1a0
	v_cmp_eq_u32_e64 s5, 0, v0
	s_mov_b32 s61, 0
	s_delay_alu instid0(VALU_DEP_1)
	s_and_saveexec_b32 s3, s5
	s_cbranch_execz .LBB135_9
; %bb.8:
	s_waitcnt lgkmcnt(0)
	v_dual_mov_b32 v1, 0 :: v_dual_mov_b32 v4, s37
	s_delay_alu instid0(VALU_DEP_1)
	v_dual_mov_b32 v3, s36 :: v_dual_mov_b32 v2, v1
	ds_store_b32 v1, v1 offset:5144
	ds_store_b128 v1, v[1:4] offset:5120
.LBB135_9:
	s_or_b32 exec_lo, exec_lo, s3
	s_mul_i32 s3, s2, s7
	s_mul_hi_u32 s4, s2, s6
	s_mul_i32 s6, s2, s6
	s_add_i32 s4, s4, s3
	s_sub_u32 s3, s34, s6
	s_subb_u32 s4, 0, s4
	s_waitcnt lgkmcnt(0)
	s_mul_i32 s7, s3, s11
	s_mul_hi_u32 s11, s3, s10
	s_mul_i32 s4, s4, s10
	s_add_i32 s7, s11, s7
	s_clause 0x1
	s_load_b32 s6, s[0:1], 0x1b0
	s_load_b128 s[44:47], s[0:1], 0x298
	s_add_i32 s7, s7, s4
	s_mul_i32 s4, s2, s9
	s_mul_hi_u32 s9, s2, s8
	s_mul_i32 s2, s2, s8
	s_add_i32 s9, s9, s4
	s_mul_i32 s3, s3, s10
	s_add_u32 s2, s14, s2
	s_addc_u32 s4, s15, s9
	s_add_u32 s28, s2, s3
	s_addc_u32 s29, s4, s7
	s_waitcnt lgkmcnt(0)
	s_barrier
	buffer_gl0_inv
	s_load_b32 s7, s[16:17], 0xc
	v_mad_u64_u32 v[10:11], null, v0, s30, s[28:29]
	v_mbcnt_lo_u32_b32 v23, -1, 0
	v_cmp_gt_u32_e32 vcc_lo, 32, v0
	s_bitcmp1_b32 s6, 0
	s_load_b128 s[40:43], s[0:1], 0x440
	s_cselect_b32 s3, -1, 0
	v_cmp_gt_i32_e64 s4, 4, v23
	s_delay_alu instid0(VALU_DEP_4) | instskip(SKIP_2) | instid1(VALU_DEP_3)
	v_dual_mov_b32 v1, v11 :: v_dual_lshlrev_b32 v14, 2, v0
	s_xor_b32 s35, s3, -1
	v_cmp_lt_u64_e64 s55, 0xc00, s[36:37]
	s_and_b32 s51, vcc_lo, s4
	s_delay_alu instid0(VALU_DEP_2)
	v_mad_u64_u32 v[2:3], null, v0, s31, v[1:2]
	v_lshrrev_b32_e32 v3, 3, v0
	v_dual_mov_b32 v13, 0 :: v_dual_mov_b32 v16, s38
	v_cmp_eq_u32_e64 s2, 0, v23
	s_waitcnt lgkmcnt(0)
	s_and_b32 s33, s7, 0xffff
	v_and_b32_e32 v24, 0x7c, v3
	s_bfe_u32 s8, s7, 0xb0005
	s_add_u32 s74, s33, -1
	s_addc_u32 s75, 0, -1
	s_add_u32 s76, s74, s36
	s_addc_u32 s27, s75, s37
	s_cmp_lt_u32 s13, s18
	v_mov_b32_e32 v1, v13
	s_cselect_b32 s9, 12, 18
	v_dual_mov_b32 v11, v2 :: v_dual_mov_b32 v28, 0
	v_lshlrev_b64 v[2:3], v23, -1
	s_add_u32 s62, s16, s9
	v_cmp_gt_u16_e64 s77, s7, 31
	s_addc_u32 s63, s17, 0
	s_add_i32 s7, s8, -1
	s_bfe_u32 s78, s33, 0x30005
	s_cmp_gt_u32 s7, 6
	v_cmp_gt_u64_e64 s4, s[36:37], v[0:1]
	v_dual_mov_b32 v15, v13 :: v_dual_mov_b32 v26, 0
	v_cmp_gt_u32_e64 s6, 2, v0
	v_not_b32_e32 v22, v2
	s_cselect_b32 s79, -1, 0
	s_and_b32 s80, s8, 0x7f8
	v_lshl_or_b32 v25, v23, 3, 0xc00
	v_mov_b32_e32 v17, s39
	v_mov_b32_e32 v27, 0
	s_cmp_lg_u32 s78, 0
	s_mov_b32 s81, 6
	s_cselect_b32 s83, -1, 0
	s_mov_b32 s82, 0
	s_mov_b32 s85, 0
                                        ; implicit-def: $sgpr84
                                        ; implicit-def: $sgpr88
                                        ; implicit-def: $sgpr87
                                        ; implicit-def: $sgpr89
                                        ; implicit-def: $sgpr86
                                        ; implicit-def: $sgpr90
                                        ; implicit-def: $sgpr92
                                        ; implicit-def: $sgpr91
                                        ; implicit-def: $sgpr93
                                        ; implicit-def: $sgpr94
	s_branch .LBB135_12
.LBB135_10:                             ;   in Loop: Header=BB135_12 Depth=1
	s_or_b32 exec_lo, exec_lo, s10
	v_dual_mov_b32 v26, v9 :: v_dual_mov_b32 v27, v8
	v_dual_mov_b32 v17, v3 :: v_dual_mov_b32 v16, v2
	v_mov_b32_e32 v28, v18
	s_and_not1_b32 s10, s94, exec_lo
	s_and_b32 s9, s9, exec_lo
	s_and_not1_b32 s93, s93, exec_lo
	s_or_b32 s94, s10, s9
	s_and_not1_b32 s91, s91, exec_lo
	s_and_not1_b32 s92, s92, exec_lo
	;; [unrolled: 1-line block ×3, first 2 shown]
	s_or_not1_b32 s8, s8, exec_lo
.LBB135_11:                             ;   in Loop: Header=BB135_12 Depth=1
	s_or_b32 exec_lo, exec_lo, s7
	s_delay_alu instid0(SALU_CYCLE_1) | instskip(NEXT) | instid1(SALU_CYCLE_1)
	s_and_b32 s7, exec_lo, s8
	s_or_b32 s82, s7, s82
	s_and_not1_b32 s7, s86, exec_lo
	s_and_b32 s8, s94, exec_lo
	s_and_not1_b32 s9, s89, exec_lo
	s_or_b32 s86, s7, s8
	s_and_b32 s7, s93, exec_lo
	s_and_not1_b32 s8, s87, exec_lo
	s_and_b32 s10, s91, exec_lo
	s_or_b32 s89, s9, s7
	s_or_b32 s87, s8, s10
	s_and_not1_b32 s7, s88, exec_lo
	s_and_b32 s8, s92, exec_lo
	s_and_not1_b32 s9, s84, exec_lo
	s_and_b32 s10, s90, exec_lo
	s_or_b32 s88, s7, s8
	s_or_b32 s84, s9, s10
	s_and_not1_b32 exec_lo, exec_lo, s82
	s_cbranch_execz .LBB135_481
.LBB135_12:                             ; =>This Loop Header: Depth=1
                                        ;     Child Loop BB135_17 Depth 2
                                        ;     Child Loop BB135_35 Depth 2
                                        ;     Child Loop BB135_62 Depth 2
                                        ;     Child Loop BB135_66 Depth 2
                                        ;     Child Loop BB135_48 Depth 2
                                        ;     Child Loop BB135_55 Depth 2
                                        ;     Child Loop BB135_75 Depth 2
                                        ;     Child Loop BB135_80 Depth 2
                                        ;     Child Loop BB135_109 Depth 2
                                        ;     Child Loop BB135_93 Depth 2
                                        ;     Child Loop BB135_155 Depth 2
                                        ;     Child Loop BB135_139 Depth 2
                                        ;     Child Loop BB135_201 Depth 2
                                        ;     Child Loop BB135_185 Depth 2
                                        ;     Child Loop BB135_236 Depth 2
                                        ;     Child Loop BB135_252 Depth 2
                                        ;     Child Loop BB135_305 Depth 2
                                        ;     Child Loop BB135_291 Depth 2
                                        ;     Child Loop BB135_351 Depth 2
                                        ;     Child Loop BB135_335 Depth 2
                                        ;     Child Loop BB135_397 Depth 2
                                        ;     Child Loop BB135_381 Depth 2
                                        ;     Child Loop BB135_432 Depth 2
                                        ;     Child Loop BB135_448 Depth 2
	ds_load_b128 v[2:5], v13 offset:5120
	s_waitcnt lgkmcnt(0)
	v_readfirstlane_b32 s65, v3
	v_readfirstlane_b32 s64, v2
	s_delay_alu instid0(VALU_DEP_1)
	s_cmp_lg_u64 s[64:65], 0
	s_cbranch_scc1 .LBB135_42
; %bb.13:                               ;   in Loop: Header=BB135_12 Depth=1
	s_and_b32 vcc_lo, exec_lo, s55
	s_cbranch_vccz .LBB135_25
; %bb.14:                               ;   in Loop: Header=BB135_12 Depth=1
	v_cmp_gt_u64_e32 vcc_lo, 0xc01, v[4:5]
	s_mov_b32 s9, 0
	s_mov_b32 s7, 0
	s_cbranch_vccz .LBB135_26
; %bb.15:                               ;   in Loop: Header=BB135_12 Depth=1
	global_load_u16 v2, v13, s[62:63]
	global_load_u8 v5, v[10:11], off
	s_mov_b32 s10, 0
	s_waitcnt vmcnt(1)
	v_dual_mov_b32 v3, v1 :: v_dual_and_b32 v4, 0xffff, v2
	v_mov_b32_e32 v2, v0
	s_branch .LBB135_17
.LBB135_16:                             ;   in Loop: Header=BB135_17 Depth=2
	s_or_b32 exec_lo, exec_lo, s8
	v_mov_b32_e32 v5, v6
	s_and_not1_b32 exec_lo, exec_lo, s10
	s_cbranch_execz .LBB135_27
.LBB135_17:                             ;   Parent Loop BB135_12 Depth=1
                                        ; =>  This Inner Loop Header: Depth=2
	s_delay_alu instid0(VALU_DEP_1) | instskip(NEXT) | instid1(VALU_DEP_3)
	v_add_co_u32 v2, vcc_lo, v2, v4
	v_add_co_ci_u32_e32 v3, vcc_lo, 0, v3, vcc_lo
	s_waitcnt lgkmcnt(0)
	v_dual_mov_b32 v7, 0 :: v_dual_mov_b32 v6, 0
	s_mov_b32 s8, exec_lo
	s_delay_alu instid0(VALU_DEP_2)
	v_cmp_le_u64_e32 vcc_lo, s[36:37], v[2:3]
	v_cmpx_gt_u64_e64 s[36:37], v[2:3]
	s_cbranch_execz .LBB135_19
; %bb.18:                               ;   in Loop: Header=BB135_17 Depth=2
	v_mad_u64_u32 v[8:9], null, v2, s30, s[28:29]
	v_mul_lo_u32 v6, v2, s31
	v_mul_lo_u32 v12, v3, s30
	s_delay_alu instid0(VALU_DEP_1)
	v_add3_u32 v9, v12, v9, v6
	global_load_u8 v6, v[8:9], off
.LBB135_19:                             ;   in Loop: Header=BB135_17 Depth=2
	s_or_b32 exec_lo, exec_lo, s8
	s_waitcnt vmcnt(0)
	v_bfe_i32 v8, v5, 0, 8
	s_delay_alu instid0(VALU_DEP_1) | instskip(NEXT) | instid1(VALU_DEP_1)
	v_add_nc_u32_e32 v8, 0x80, v8
	v_and_b32_e32 v8, v8, v26
	s_delay_alu instid0(VALU_DEP_1) | instskip(NEXT) | instid1(VALU_DEP_1)
	v_cmp_eq_u32_e64 s7, v8, v27
	s_cmp_lg_u32 s7, 0
	s_cselect_b32 s8, -1, 0
	s_delay_alu instid0(SALU_CYCLE_1) | instskip(NEXT) | instid1(SALU_CYCLE_1)
	s_and_b32 s8, s2, s8
	s_and_saveexec_b32 s11, s8
	s_cbranch_execz .LBB135_23
; %bb.20:                               ;   in Loop: Header=BB135_17 Depth=2
	s_mov_b32 s14, exec_lo
	s_bcnt1_i32_b32 s12, s7
	v_mbcnt_lo_u32_b32 v7, s14, 0
	s_mov_b32 s13, exec_lo
                                        ; implicit-def: $vgpr8
	s_delay_alu instid0(VALU_DEP_1)
	v_cmpx_eq_u32_e32 0, v7
	s_cbranch_execz .LBB135_22
; %bb.21:                               ;   in Loop: Header=BB135_17 Depth=2
	s_bcnt1_i32_b32 s8, s14
	s_delay_alu instid0(SALU_CYCLE_1) | instskip(NEXT) | instid1(SALU_CYCLE_1)
	s_mul_i32 s8, s12, s8
	v_mov_b32_e32 v8, s8
	ds_add_rtn_u32 v8, v13, v8 offset:5144
.LBB135_22:                             ;   in Loop: Header=BB135_17 Depth=2
	s_or_b32 exec_lo, exec_lo, s13
	s_waitcnt lgkmcnt(0)
	v_readfirstlane_b32 s8, v8
	s_delay_alu instid0(VALU_DEP_1)
	v_mad_u32_u24 v7, s12, v7, s8
.LBB135_23:                             ;   in Loop: Header=BB135_17 Depth=2
	s_or_b32 exec_lo, exec_lo, s11
	ds_bpermute_b32 v7, v13, v7
	s_and_b32 s8, exec_lo, vcc_lo
	s_delay_alu instid0(SALU_CYCLE_1)
	s_or_b32 s10, s8, s10
	s_and_saveexec_b32 s8, s7
	s_cbranch_execz .LBB135_16
; %bb.24:                               ;   in Loop: Header=BB135_17 Depth=2
	v_and_b32_e32 v8, s7, v22
	s_waitcnt lgkmcnt(0)
	s_delay_alu instid0(VALU_DEP_1)
	v_bcnt_u32_b32 v7, v8, v7
	ds_store_b8 v7, v5
	s_branch .LBB135_16
.LBB135_25:                             ;   in Loop: Header=BB135_12 Depth=1
	s_mov_b32 s7, 0
                                        ; implicit-def: $sgpr64_sgpr65
	s_cbranch_execnz .LBB135_30
	s_branch .LBB135_40
.LBB135_26:                             ;   in Loop: Header=BB135_12 Depth=1
	s_mov_b64 s[64:65], 0
	s_and_b32 vcc_lo, exec_lo, s9
	s_cbranch_vccnz .LBB135_30
	s_branch .LBB135_40
.LBB135_27:                             ;   in Loop: Header=BB135_12 Depth=1
	s_or_b32 exec_lo, exec_lo, s10
	s_waitcnt lgkmcnt(0)
	s_barrier
	buffer_gl0_inv
	s_and_saveexec_b32 s7, s5
	s_cbranch_execz .LBB135_29
; %bb.28:                               ;   in Loop: Header=BB135_12 Depth=1
	ds_load_b32 v2, v13 offset:5144
	s_waitcnt lgkmcnt(0)
	v_ashrrev_i32_e32 v3, 31, v2
	ds_store_b64 v13, v[2:3] offset:5120
.LBB135_29:                             ;   in Loop: Header=BB135_12 Depth=1
	s_or_b32 exec_lo, exec_lo, s7
	s_waitcnt lgkmcnt(0)
	s_mov_b32 s7, -1
	s_barrier
	s_mov_b64 s[64:65], 0
	s_and_b32 vcc_lo, exec_lo, s9
	s_cbranch_vccz .LBB135_40
.LBB135_30:                             ;   in Loop: Header=BB135_12 Depth=1
	v_mov_b32_e32 v4, 0
	s_and_saveexec_b32 s7, s4
	s_cbranch_execz .LBB135_32
; %bb.31:                               ;   in Loop: Header=BB135_12 Depth=1
	global_load_u8 v4, v[10:11], off
.LBB135_32:                             ;   in Loop: Header=BB135_12 Depth=1
	s_or_b32 exec_lo, exec_lo, s7
	s_and_saveexec_b32 s8, s4
	s_cbranch_execz .LBB135_37
; %bb.33:                               ;   in Loop: Header=BB135_12 Depth=1
	global_load_u16 v2, v13, s[62:63]
	v_mov_b32_e32 v5, v0
	s_mov_b32 s9, 0
	s_waitcnt vmcnt(0)
	v_dual_mov_b32 v3, v1 :: v_dual_and_b32 v6, 0xffff, v2
	v_mov_b32_e32 v2, v0
	s_set_inst_prefetch_distance 0x1
	s_branch .LBB135_35
	.p2align	6
.LBB135_34:                             ;   in Loop: Header=BB135_35 Depth=2
	s_or_b32 exec_lo, exec_lo, s10
	ds_store_b8 v5, v4
	s_waitcnt vmcnt(0)
	v_dual_mov_b32 v4, v7 :: v_dual_add_nc_u32 v5, v5, v6
	s_and_b32 s7, exec_lo, vcc_lo
	s_delay_alu instid0(SALU_CYCLE_1) | instskip(NEXT) | instid1(SALU_CYCLE_1)
	s_or_b32 s9, s7, s9
	s_and_not1_b32 exec_lo, exec_lo, s9
	s_cbranch_execz .LBB135_37
.LBB135_35:                             ;   Parent Loop BB135_12 Depth=1
                                        ; =>  This Inner Loop Header: Depth=2
	s_delay_alu instid0(VALU_DEP_1) | instskip(SKIP_3) | instid1(VALU_DEP_2)
	v_add_co_u32 v2, vcc_lo, v2, v6
	v_add_co_ci_u32_e32 v3, vcc_lo, 0, v3, vcc_lo
	v_mov_b32_e32 v7, 0
	s_mov_b32 s10, exec_lo
	v_cmp_le_u64_e32 vcc_lo, s[36:37], v[2:3]
	v_cmpx_gt_u64_e64 s[36:37], v[2:3]
	s_cbranch_execz .LBB135_34
; %bb.36:                               ;   in Loop: Header=BB135_35 Depth=2
	v_mad_u64_u32 v[7:8], null, v2, s30, s[28:29]
	v_mul_lo_u32 v9, v2, s31
	v_mul_lo_u32 v12, v3, s30
	s_delay_alu instid0(VALU_DEP_1)
	v_add3_u32 v8, v12, v8, v9
	global_load_u8 v7, v[7:8], off
	s_branch .LBB135_34
.LBB135_37:                             ;   in Loop: Header=BB135_12 Depth=1
	s_set_inst_prefetch_distance 0x2
	s_or_b32 exec_lo, exec_lo, s8
	s_waitcnt vmcnt(0) lgkmcnt(0)
	s_barrier
	buffer_gl0_inv
	s_and_saveexec_b32 s7, s5
	s_cbranch_execz .LBB135_39
; %bb.38:                               ;   in Loop: Header=BB135_12 Depth=1
	v_dual_mov_b32 v2, s36 :: v_dual_mov_b32 v3, s37
	ds_store_b64 v13, v[2:3] offset:5120
.LBB135_39:                             ;   in Loop: Header=BB135_12 Depth=1
	s_or_b32 exec_lo, exec_lo, s7
	s_mov_b32 s7, -1
	s_waitcnt lgkmcnt(0)
	s_barrier
                                        ; implicit-def: $sgpr64_sgpr65
.LBB135_40:                             ;   in Loop: Header=BB135_12 Depth=1
	s_and_b32 vcc_lo, exec_lo, s7
	s_cbranch_vccz .LBB135_42
; %bb.41:                               ;   in Loop: Header=BB135_12 Depth=1
	buffer_gl0_inv
	ds_load_b64 v[2:3], v13 offset:5120
	s_waitcnt lgkmcnt(0)
	v_readfirstlane_b32 s64, v2
.LBB135_42:                             ;   in Loop: Header=BB135_12 Depth=1
	s_delay_alu instid0(VALU_DEP_1)
	s_cmp_lt_i32 s64, 1
	s_cbranch_scc0 .LBB135_57
; %bb.43:                               ;   in Loop: Header=BB135_12 Depth=1
	global_load_u16 v29, v13, s[62:63]
	s_mov_b32 s8, s61
	s_mov_b32 s9, s37
	s_waitcnt vmcnt(0)
	v_readfirstlane_b32 s7, v29
	s_delay_alu instid0(VALU_DEP_1) | instskip(NEXT) | instid1(SALU_CYCLE_1)
	s_and_b32 s7, 0xffff, s7
	s_lshl_b32 s25, s7, 2
	s_cmp_lg_u64 s[8:9], 0
	s_cbranch_scc0 .LBB135_77
; %bb.44:                               ;   in Loop: Header=BB135_12 Depth=1
	v_cvt_f32_u32_e32 v2, s25
	s_sub_u32 s9, 0, s25
	s_subb_u32 s10, 0, 0
	s_delay_alu instid0(VALU_DEP_1) | instskip(NEXT) | instid1(VALU_DEP_1)
	v_fmac_f32_e64 v2, 0, 0x4f800000
	v_rcp_f32_e32 v2, v2
	s_waitcnt_depctr 0xfff
	v_mul_f32_e32 v2, 0x5f7ffffc, v2
	s_delay_alu instid0(VALU_DEP_1) | instskip(NEXT) | instid1(VALU_DEP_1)
	v_mul_f32_e32 v3, 0x2f800000, v2
	v_trunc_f32_e32 v3, v3
	s_delay_alu instid0(VALU_DEP_1) | instskip(SKIP_1) | instid1(VALU_DEP_2)
	v_fmac_f32_e32 v2, 0xcf800000, v3
	v_cvt_u32_f32_e32 v3, v3
	v_cvt_u32_f32_e32 v2, v2
	s_delay_alu instid0(VALU_DEP_2) | instskip(NEXT) | instid1(VALU_DEP_2)
	v_readfirstlane_b32 s7, v3
	v_readfirstlane_b32 s8, v2
	s_delay_alu instid0(VALU_DEP_2) | instskip(NEXT) | instid1(VALU_DEP_1)
	s_mul_i32 s11, s9, s7
	s_mul_hi_u32 s13, s9, s8
	s_mul_i32 s12, s10, s8
	s_add_i32 s11, s13, s11
	s_mul_i32 s14, s9, s8
	s_add_i32 s11, s11, s12
	s_mul_hi_u32 s13, s8, s14
	s_mul_hi_u32 s15, s7, s14
	s_mul_i32 s12, s7, s14
	s_mul_hi_u32 s14, s8, s11
	s_mul_i32 s8, s8, s11
	s_mul_hi_u32 s16, s7, s11
	s_add_u32 s8, s13, s8
	s_addc_u32 s13, 0, s14
	s_add_u32 s8, s8, s12
	s_mul_i32 s11, s7, s11
	s_addc_u32 s8, s13, s15
	s_addc_u32 s12, s16, 0
	s_add_u32 s8, s8, s11
	s_addc_u32 s11, 0, s12
	v_add_co_u32 v2, s8, v2, s8
	s_delay_alu instid0(VALU_DEP_1) | instskip(SKIP_1) | instid1(VALU_DEP_1)
	s_cmp_lg_u32 s8, 0
	s_addc_u32 s7, s7, s11
	v_readfirstlane_b32 s8, v2
	s_mul_i32 s11, s9, s7
	s_delay_alu instid0(VALU_DEP_1)
	s_mul_hi_u32 s12, s9, s8
	s_mul_i32 s10, s10, s8
	s_add_i32 s11, s12, s11
	s_mul_i32 s9, s9, s8
	s_add_i32 s11, s11, s10
	s_mul_hi_u32 s12, s7, s9
	s_mul_i32 s13, s7, s9
	s_mul_hi_u32 s9, s8, s9
	s_mul_hi_u32 s14, s8, s11
	s_mul_i32 s8, s8, s11
	s_mul_hi_u32 s10, s7, s11
	s_add_u32 s8, s9, s8
	s_addc_u32 s9, 0, s14
	s_add_u32 s8, s8, s13
	s_mul_i32 s11, s7, s11
	s_addc_u32 s8, s9, s12
	s_addc_u32 s9, s10, 0
	s_add_u32 s8, s8, s11
	s_addc_u32 s9, 0, s9
	v_add_co_u32 v2, s8, v2, s8
	s_delay_alu instid0(VALU_DEP_1) | instskip(SKIP_1) | instid1(VALU_DEP_1)
	s_cmp_lg_u32 s8, 0
	s_addc_u32 s7, s7, s9
	v_readfirstlane_b32 s8, v2
	s_mul_i32 s10, s36, s7
	s_mul_hi_u32 s9, s36, s7
	s_mul_hi_u32 s11, s37, s7
	s_mul_i32 s7, s37, s7
	s_mul_hi_u32 s12, s36, s8
	s_mul_hi_u32 s13, s37, s8
	s_mul_i32 s8, s37, s8
	s_add_u32 s10, s12, s10
	s_addc_u32 s9, 0, s9
	s_add_u32 s8, s10, s8
	s_addc_u32 s8, s9, s13
	s_addc_u32 s9, s11, 0
	s_add_u32 s7, s8, s7
	s_addc_u32 s8, 0, s9
	s_mul_hi_u32 s9, s25, s7
	s_mul_i32 s7, s25, s7
	s_mul_i32 s8, s25, s8
	v_sub_co_u32 v2, s7, s36, s7
	s_add_i32 s9, s9, s8
	s_cmp_lg_u32 s7, 0
	s_delay_alu instid0(VALU_DEP_1) | instskip(SKIP_2) | instid1(VALU_DEP_1)
	v_sub_co_u32 v3, s7, v2, s25
	s_subb_u32 s8, s37, s9
	s_cmp_lg_u32 s7, 0
	v_cmp_le_u32_e32 vcc_lo, s25, v3
	v_sub_co_u32 v4, s7, v3, s25
	s_subb_u32 s9, s8, 0
	s_cmp_lg_u32 s7, 0
	v_cndmask_b32_e64 v5, 0, -1, vcc_lo
	s_subb_u32 s7, s9, 0
	s_cmp_eq_u32 s9, 0
	v_mov_b32_e32 v7, s7
	s_cselect_b32 vcc_lo, -1, 0
	s_cmp_eq_u32 s8, 0
	v_cndmask_b32_e32 v5, -1, v5, vcc_lo
	v_cmp_le_u32_e32 vcc_lo, s25, v2
	s_cselect_b32 s7, -1, 0
	v_cndmask_b32_e64 v6, 0, -1, vcc_lo
	s_delay_alu instid0(VALU_DEP_3) | instskip(NEXT) | instid1(VALU_DEP_2)
	v_cmp_ne_u32_e32 vcc_lo, 0, v5
	v_cndmask_b32_e64 v5, -1, v6, s7
	v_cndmask_b32_e32 v6, s9, v7, vcc_lo
	v_cndmask_b32_e32 v4, v3, v4, vcc_lo
	s_delay_alu instid0(VALU_DEP_3) | instskip(NEXT) | instid1(VALU_DEP_3)
	v_cmp_ne_u32_e32 vcc_lo, 0, v5
	v_cndmask_b32_e32 v3, s8, v6, vcc_lo
	s_delay_alu instid0(VALU_DEP_3)
	v_cndmask_b32_e32 v2, v2, v4, vcc_lo
	s_cbranch_execnz .LBB135_46
.LBB135_45:                             ;   in Loop: Header=BB135_12 Depth=1
	v_cvt_f32_u32_e32 v2, s25
	s_sub_i32 s7, 0, s25
	s_delay_alu instid0(VALU_DEP_1) | instskip(SKIP_2) | instid1(VALU_DEP_1)
	v_rcp_iflag_f32_e32 v2, v2
	s_waitcnt_depctr 0xfff
	v_mul_f32_e32 v2, 0x4f7ffffe, v2
	v_cvt_u32_f32_e32 v2, v2
	s_delay_alu instid0(VALU_DEP_1) | instskip(NEXT) | instid1(VALU_DEP_1)
	v_mul_lo_u32 v3, s7, v2
	v_mul_hi_u32 v3, v2, v3
	s_delay_alu instid0(VALU_DEP_1) | instskip(NEXT) | instid1(VALU_DEP_1)
	v_add_nc_u32_e32 v2, v2, v3
	v_mul_hi_u32 v2, s36, v2
	s_delay_alu instid0(VALU_DEP_1) | instskip(NEXT) | instid1(VALU_DEP_1)
	v_mul_lo_u32 v2, v2, s25
	v_sub_nc_u32_e32 v2, s36, v2
	s_delay_alu instid0(VALU_DEP_1) | instskip(SKIP_1) | instid1(VALU_DEP_2)
	v_subrev_nc_u32_e32 v3, s25, v2
	v_cmp_le_u32_e32 vcc_lo, s25, v2
	v_cndmask_b32_e32 v2, v2, v3, vcc_lo
	s_delay_alu instid0(VALU_DEP_1) | instskip(SKIP_1) | instid1(VALU_DEP_2)
	v_subrev_nc_u32_e32 v3, s25, v2
	v_cmp_le_u32_e32 vcc_lo, s25, v2
	v_cndmask_b32_e32 v12, v2, v3, vcc_lo
	s_delay_alu instid0(VALU_DEP_1)
	v_dual_mov_b32 v2, v12 :: v_dual_mov_b32 v3, v13
.LBB135_46:                             ;   in Loop: Header=BB135_12 Depth=1
	s_delay_alu instid0(VALU_DEP_1) | instskip(NEXT) | instid1(VALU_DEP_2)
	v_sub_co_u32 v18, vcc_lo, s36, v2
	v_sub_co_ci_u32_e32 v19, vcc_lo, s37, v3, vcc_lo
	v_mov_b32_e32 v2, 0
	v_mov_b32_e32 v3, 0
	s_mov_b64 s[66:67], 0
	s_mov_b32 s26, exec_lo
	s_delay_alu instid0(VALU_DEP_1)
	v_dual_mov_b32 v5, v3 :: v_dual_mov_b32 v4, v2
	v_dual_mov_b32 v7, v3 :: v_dual_mov_b32 v6, v2
	;; [unrolled: 1-line block ×3, first 2 shown]
	v_cmpx_gt_u64_e64 v[18:19], v[14:15]
	s_cbranch_execz .LBB135_50
; %bb.47:                               ;   in Loop: Header=BB135_12 Depth=1
	v_dual_mov_b32 v21, v15 :: v_dual_mov_b32 v20, v14
	s_and_b32 s65, s81, 0xfe
	s_mov_b32 s60, 0
	s_mov_b64 s[68:69], 0
	s_mov_b64 s[70:71], 0
	;; [unrolled: 1-line block ×3, first 2 shown]
.LBB135_48:                             ;   Parent Loop BB135_12 Depth=1
                                        ; =>  This Inner Loop Header: Depth=2
	v_mad_u64_u32 v[2:3], null, v20, s30, s[28:29]
	v_mul_lo_u32 v4, v20, s31
	v_mul_lo_u32 v5, v21, s30
	s_delay_alu instid0(VALU_DEP_1) | instskip(NEXT) | instid1(VALU_DEP_4)
	v_add3_u32 v3, v5, v3, v4
	v_add_co_u32 v4, vcc_lo, v2, s30
	s_delay_alu instid0(VALU_DEP_2)
	v_add_co_ci_u32_e32 v5, vcc_lo, s31, v3, vcc_lo
	s_clause 0x1
	global_load_i8 v6, v[2:3], off
	global_load_i8 v7, v[4:5], off
	v_add_co_u32 v2, vcc_lo, v4, s30
	v_add_co_ci_u32_e32 v3, vcc_lo, s31, v5, vcc_lo
	s_delay_alu instid0(VALU_DEP_2)
	v_add_co_u32 v4, vcc_lo, v2, s30
	global_load_i8 v2, v[2:3], off
	v_add_co_ci_u32_e32 v5, vcc_lo, s31, v3, vcc_lo
	v_add_co_u32 v20, vcc_lo, v20, s25
	v_add_co_ci_u32_e32 v21, vcc_lo, 0, v21, vcc_lo
	global_load_i8 v3, v[4:5], off
	v_cmp_ge_u64_e32 vcc_lo, v[20:21], v[18:19]
	s_waitcnt vmcnt(3)
	v_add_nc_u32_e32 v4, 0x80, v6
	s_waitcnt vmcnt(2)
	v_add_nc_u32_e32 v6, 0x80, v7
	s_delay_alu instid0(VALU_DEP_2) | instskip(SKIP_1) | instid1(VALU_DEP_2)
	v_and_b32_e32 v5, v4, v26
	v_bfe_u32 v4, v4, s65, 2
	v_cmp_eq_u32_e64 s7, v5, v27
	s_waitcnt vmcnt(1)
	v_add_nc_u32_e32 v2, 0x80, v2
	v_and_b32_e32 v5, v6, v26
	v_bfe_u32 v6, v6, s65, 2
	v_cmp_eq_u32_e64 s8, 0, v4
	v_cmp_eq_u32_e64 s9, 1, v4
	;; [unrolled: 1-line block ×4, first 2 shown]
	s_waitcnt vmcnt(0)
	v_add_nc_u32_e32 v3, 0x80, v3
	v_and_b32_e32 v4, v2, v26
	v_cmp_eq_u32_e64 s12, v5, v27
	v_bfe_u32 v2, v2, s65, 2
	v_cmp_eq_u32_e64 s13, 0, v6
	s_and_b32 s8, s7, s8
	v_cmp_eq_u32_e64 s16, v4, v27
	v_cndmask_b32_e64 v5, 0, 1, s8
	v_and_b32_e32 v4, v3, v26
	v_bfe_u32 v3, v3, s65, 2
	v_cmp_eq_u32_e64 s17, 0, v2
	s_and_b32 s13, s12, s13
	v_cmp_ne_u32_e64 s18, 0, v5
	v_cndmask_b32_e64 v5, 0, 1, s13
	v_cmp_eq_u32_e64 s21, v4, v27
	v_cmp_eq_u32_e64 s22, 0, v3
	s_and_b32 s17, s16, s17
	v_cmp_eq_u32_e64 s13, 1, v2
	v_cmp_eq_u32_e64 s19, 2, v2
	;; [unrolled: 1-line block ×3, first 2 shown]
	s_bcnt1_i32_b32 s95, s18
	v_cmp_ne_u32_e64 s18, 0, v5
	v_cndmask_b32_e64 v2, 0, 1, s17
	s_and_b32 s22, s21, s22
	v_cmp_eq_u32_e64 s17, 1, v3
	v_cmp_eq_u32_e64 s23, 2, v3
	;; [unrolled: 1-line block ×3, first 2 shown]
	v_cndmask_b32_e64 v3, 0, 1, s22
	s_bcnt1_i32_b32 s22, s18
	v_cmp_ne_u32_e64 s18, 0, v2
	s_add_i32 s95, s22, s95
	v_cmp_eq_u32_e64 s8, 1, v6
	v_cmp_ne_u32_e64 s22, 0, v3
	v_cmp_eq_u32_e64 s14, 2, v6
	s_bcnt1_i32_b32 s18, s18
	v_cmp_eq_u32_e64 s15, 3, v6
	s_add_i32 s18, s95, s18
	s_bcnt1_i32_b32 s22, s22
	s_delay_alu instid0(SALU_CYCLE_1) | instskip(NEXT) | instid1(SALU_CYCLE_1)
	s_add_i32 s18, s18, s22
	s_add_u32 s72, s72, s18
	s_addc_u32 s73, s73, 0
	s_and_b32 s9, s7, s9
	s_and_b32 s8, s12, s8
	v_cndmask_b32_e64 v2, 0, 1, s9
	v_cndmask_b32_e64 v3, 0, 1, s8
	s_and_b32 s8, s16, s13
	s_delay_alu instid0(SALU_CYCLE_1) | instskip(SKIP_1) | instid1(VALU_DEP_2)
	v_cndmask_b32_e64 v4, 0, 1, s8
	s_and_b32 s8, s21, s17
	v_cmp_ne_u32_e64 s9, 0, v3
	v_cndmask_b32_e64 v5, 0, 1, s8
	v_cmp_ne_u32_e64 s8, 0, v2
	v_cmp_ne_u32_e64 s13, 0, v4
	s_delay_alu instid0(VALU_DEP_4) | instskip(NEXT) | instid1(VALU_DEP_3)
	s_bcnt1_i32_b32 s9, s9
	v_cmp_ne_u32_e64 s17, 0, v5
	s_delay_alu instid0(VALU_DEP_3) | instskip(NEXT) | instid1(VALU_DEP_2)
	s_bcnt1_i32_b32 s8, s8
	s_bcnt1_i32_b32 s13, s13
	s_add_i32 s8, s9, s8
	s_delay_alu instid0(VALU_DEP_1) | instskip(SKIP_1) | instid1(SALU_CYCLE_1)
	s_bcnt1_i32_b32 s17, s17
	s_add_i32 s8, s8, s13
	s_add_i32 s8, s8, s17
	s_delay_alu instid0(SALU_CYCLE_1) | instskip(SKIP_2) | instid1(SALU_CYCLE_1)
	s_add_u32 s70, s70, s8
	s_addc_u32 s71, s71, 0
	s_and_b32 s8, s7, s10
	v_cndmask_b32_e64 v2, 0, 1, s8
	s_and_b32 s8, s12, s14
	s_delay_alu instid0(SALU_CYCLE_1) | instskip(SKIP_1) | instid1(SALU_CYCLE_1)
	v_cndmask_b32_e64 v3, 0, 1, s8
	s_and_b32 s8, s16, s19
	v_cndmask_b32_e64 v4, 0, 1, s8
	s_and_b32 s8, s21, s23
	s_delay_alu instid0(VALU_DEP_2) | instskip(SKIP_3) | instid1(VALU_DEP_4)
	v_cmp_ne_u32_e64 s9, 0, v3
	v_cndmask_b32_e64 v5, 0, 1, s8
	v_cmp_ne_u32_e64 s8, 0, v2
	v_cmp_ne_u32_e64 s10, 0, v4
	s_bcnt1_i32_b32 s9, s9
	s_delay_alu instid0(VALU_DEP_3) | instskip(NEXT) | instid1(VALU_DEP_3)
	v_cmp_ne_u32_e64 s13, 0, v5
	s_bcnt1_i32_b32 s8, s8
	s_delay_alu instid0(VALU_DEP_2) | instskip(SKIP_1) | instid1(VALU_DEP_1)
	s_bcnt1_i32_b32 s10, s10
	s_add_i32 s8, s9, s8
	s_bcnt1_i32_b32 s13, s13
	s_add_i32 s8, s8, s10
	s_delay_alu instid0(SALU_CYCLE_1) | instskip(NEXT) | instid1(SALU_CYCLE_1)
	s_add_i32 s8, s8, s13
	s_add_u32 s68, s68, s8
	s_addc_u32 s69, s69, 0
	s_and_b32 s7, s7, s11
	v_mov_b32_e32 v6, s68
	v_cndmask_b32_e64 v2, 0, 1, s7
	s_and_b32 s7, s12, s15
	v_mov_b32_e32 v7, s69
	v_cndmask_b32_e64 v3, 0, 1, s7
	s_and_b32 s7, s16, s20
	s_delay_alu instid0(SALU_CYCLE_1) | instskip(SKIP_1) | instid1(VALU_DEP_2)
	v_cndmask_b32_e64 v4, 0, 1, s7
	s_and_b32 s7, s21, s24
	v_cmp_ne_u32_e64 s8, 0, v3
	v_cndmask_b32_e64 v5, 0, 1, s7
	v_cmp_ne_u32_e64 s7, 0, v2
	v_cmp_ne_u32_e64 s9, 0, v4
	v_mov_b32_e32 v2, s72
	s_bcnt1_i32_b32 s8, s8
	v_cmp_ne_u32_e64 s10, 0, v5
	s_bcnt1_i32_b32 s7, s7
	s_bcnt1_i32_b32 s9, s9
	s_add_i32 s7, s8, s7
	v_mov_b32_e32 v4, s70
	s_bcnt1_i32_b32 s8, s10
	s_add_i32 s7, s7, s9
	v_mov_b32_e32 v3, s73
	s_add_i32 s7, s7, s8
	v_mov_b32_e32 v5, s71
	s_add_u32 s66, s66, s7
	s_addc_u32 s67, s67, 0
	s_delay_alu instid0(SALU_CYCLE_1) | instskip(SKIP_1) | instid1(SALU_CYCLE_1)
	v_dual_mov_b32 v8, s66 :: v_dual_mov_b32 v9, s67
	s_or_b32 s60, vcc_lo, s60
	s_and_not1_b32 exec_lo, exec_lo, s60
	s_cbranch_execnz .LBB135_48
; %bb.49:                               ;   in Loop: Header=BB135_12 Depth=1
	s_or_b32 exec_lo, exec_lo, s60
.LBB135_50:                             ;   in Loop: Header=BB135_12 Depth=1
	s_delay_alu instid0(SALU_CYCLE_1) | instskip(SKIP_3) | instid1(VALU_DEP_2)
	s_or_b32 exec_lo, exec_lo, s26
	v_add_co_u32 v18, vcc_lo, v18, v0
	v_add_co_ci_u32_e32 v19, vcc_lo, 0, v19, vcc_lo
	v_dual_mov_b32 v21, 0 :: v_dual_and_b32 v12, 0xffff, v29
	v_cmp_gt_u64_e32 vcc_lo, s[36:37], v[18:19]
	s_and_saveexec_b32 s7, vcc_lo
	s_cbranch_execz .LBB135_52
; %bb.51:                               ;   in Loop: Header=BB135_12 Depth=1
	v_mad_u64_u32 v[20:21], null, v18, s30, s[28:29]
	v_mul_lo_u32 v29, v18, s31
	v_mul_lo_u32 v30, v19, s30
	s_delay_alu instid0(VALU_DEP_1)
	v_add3_u32 v21, v30, v21, v29
	global_load_u8 v21, v[20:21], off
.LBB135_52:                             ;   in Loop: Header=BB135_12 Depth=1
	s_or_b32 exec_lo, exec_lo, s7
	s_and_saveexec_b32 s11, vcc_lo
	s_cbranch_execz .LBB135_59
; %bb.53:                               ;   in Loop: Header=BB135_12 Depth=1
	s_and_b32 s13, s81, 0xfe
	s_mov_b32 s12, 0
	s_branch .LBB135_55
.LBB135_54:                             ;   in Loop: Header=BB135_55 Depth=2
	s_or_b32 exec_lo, exec_lo, s8
	s_waitcnt vmcnt(0)
	v_bfe_i32 v21, v21, 0, 8
	s_and_b32 s9, exec_lo, vcc_lo
	s_delay_alu instid0(SALU_CYCLE_1) | instskip(NEXT) | instid1(VALU_DEP_1)
	s_or_b32 s12, s9, s12
	v_add_nc_u32_e32 v21, 0x80, v21
	s_delay_alu instid0(VALU_DEP_1) | instskip(SKIP_1) | instid1(VALU_DEP_2)
	v_and_b32_e32 v29, v21, v26
	v_bfe_u32 v21, v21, s13, 2
	v_cmp_eq_u32_e64 s7, v29, v27
	s_delay_alu instid0(VALU_DEP_2) | instskip(SKIP_2) | instid1(VALU_DEP_3)
	v_cmp_eq_u32_e64 s8, 0, v21
	v_cmp_eq_u32_e32 vcc_lo, 1, v21
	v_cmp_eq_u32_e64 s9, 2, v21
	s_and_b32 s8, s7, s8
	s_delay_alu instid0(SALU_CYCLE_1) | instskip(SKIP_4) | instid1(SALU_CYCLE_1)
	v_cndmask_b32_e64 v29, 0, 1, s8
	s_and_b32 s8, s7, vcc_lo
	v_cmp_eq_u32_e32 vcc_lo, 3, v21
	v_cndmask_b32_e64 v30, 0, 1, s8
	s_and_b32 s8, s7, s9
	v_cndmask_b32_e64 v31, 0, 1, s8
	v_cmp_ne_u32_e64 s8, 0, v29
	s_delay_alu instid0(VALU_DEP_3) | instskip(SKIP_1) | instid1(SALU_CYCLE_1)
	v_cmp_ne_u32_e64 s9, 0, v30
	s_and_b32 s7, s7, vcc_lo
	v_cndmask_b32_e64 v21, 0, 1, s7
	s_delay_alu instid0(VALU_DEP_3)
	s_bcnt1_i32_b32 s7, s8
	v_cmp_ne_u32_e64 s10, 0, v31
	v_add_co_u32 v2, vcc_lo, v2, s7
	s_bcnt1_i32_b32 s8, s9
	v_add_co_ci_u32_e32 v3, vcc_lo, 0, v3, vcc_lo
	v_add_co_u32 v4, vcc_lo, v4, s8
	v_add_co_ci_u32_e32 v5, vcc_lo, 0, v5, vcc_lo
	s_bcnt1_i32_b32 s9, s10
	v_cmp_ne_u32_e32 vcc_lo, 0, v21
	v_add_co_u32 v6, s7, v6, s9
	s_delay_alu instid0(VALU_DEP_1)
	v_add_co_ci_u32_e64 v7, s7, 0, v7, s7
	s_bcnt1_i32_b32 s7, vcc_lo
	v_mov_b32_e32 v21, v20
	v_add_co_u32 v8, vcc_lo, v8, s7
	v_add_co_ci_u32_e32 v9, vcc_lo, 0, v9, vcc_lo
	s_and_not1_b32 exec_lo, exec_lo, s12
	s_cbranch_execz .LBB135_58
.LBB135_55:                             ;   Parent Loop BB135_12 Depth=1
                                        ; =>  This Inner Loop Header: Depth=2
	v_add_co_u32 v18, vcc_lo, v18, v12
	v_add_co_ci_u32_e32 v19, vcc_lo, 0, v19, vcc_lo
	v_mov_b32_e32 v20, 0
	s_mov_b32 s8, exec_lo
	s_delay_alu instid0(VALU_DEP_2)
	v_cmp_le_u64_e32 vcc_lo, s[36:37], v[18:19]
	v_cmpx_gt_u64_e64 s[36:37], v[18:19]
	s_cbranch_execz .LBB135_54
; %bb.56:                               ;   in Loop: Header=BB135_55 Depth=2
	v_mad_u64_u32 v[29:30], null, v18, s30, s[28:29]
	v_mul_lo_u32 v20, v18, s31
	v_mul_lo_u32 v31, v19, s30
	s_delay_alu instid0(VALU_DEP_1)
	v_add3_u32 v30, v31, v30, v20
	global_load_u8 v20, v[29:30], off
	s_branch .LBB135_54
.LBB135_57:                             ;   in Loop: Header=BB135_12 Depth=1
                                        ; implicit-def: $vgpr8_vgpr9
                                        ; implicit-def: $vgpr4_vgpr5
	s_cbranch_execnz .LBB135_60
	s_branch .LBB135_69
.LBB135_58:                             ;   in Loop: Header=BB135_12 Depth=1
	s_or_b32 exec_lo, exec_lo, s12
.LBB135_59:                             ;   in Loop: Header=BB135_12 Depth=1
	s_delay_alu instid0(SALU_CYCLE_1)
	s_or_b32 exec_lo, exec_lo, s11
	s_branch .LBB135_69
.LBB135_60:                             ;   in Loop: Header=BB135_12 Depth=1
	global_load_u16 v12, v13, s[62:63]
	s_mov_b64 s[66:67], 0
	s_mov_b32 s95, exec_lo
	s_waitcnt vmcnt(0)
	v_readfirstlane_b32 s7, v12
	s_delay_alu instid0(VALU_DEP_1) | instskip(NEXT) | instid1(SALU_CYCLE_1)
	s_and_b32 s7, 0xffff, s7
	s_lshl_b32 s65, s7, 2
	s_delay_alu instid0(SALU_CYCLE_1) | instskip(SKIP_1) | instid1(VALU_DEP_1)
	v_cvt_f32_u32_e32 v2, s65
	s_sub_i32 s8, 0, s65
	v_rcp_iflag_f32_e32 v2, v2
	s_waitcnt_depctr 0xfff
	v_mul_f32_e32 v2, 0x4f7ffffe, v2
	s_delay_alu instid0(VALU_DEP_1) | instskip(NEXT) | instid1(VALU_DEP_1)
	v_cvt_u32_f32_e32 v2, v2
	v_readfirstlane_b32 s7, v2
	v_mov_b32_e32 v2, 0
	v_mov_b32_e32 v3, 0
	s_delay_alu instid0(VALU_DEP_3) | instskip(NEXT) | instid1(VALU_DEP_1)
	s_mul_i32 s8, s8, s7
	v_dual_mov_b32 v5, v3 :: v_dual_mov_b32 v4, v2
	s_mul_hi_u32 s8, s7, s8
	v_dual_mov_b32 v7, v3 :: v_dual_mov_b32 v6, v2
	s_add_i32 s7, s7, s8
	v_dual_mov_b32 v9, v3 :: v_dual_mov_b32 v8, v2
	s_mul_hi_u32 s7, s64, s7
	s_delay_alu instid0(SALU_CYCLE_1) | instskip(NEXT) | instid1(SALU_CYCLE_1)
	s_mul_i32 s7, s7, s65
	s_sub_i32 s7, s64, s7
	s_delay_alu instid0(SALU_CYCLE_1) | instskip(SKIP_2) | instid1(SALU_CYCLE_1)
	s_sub_i32 s8, s7, s65
	s_cmp_ge_u32 s7, s65
	s_cselect_b32 s7, s8, s7
	s_sub_i32 s8, s7, s65
	s_cmp_ge_u32 s7, s65
	s_cselect_b32 s7, s8, s7
	s_delay_alu instid0(SALU_CYCLE_1) | instskip(NEXT) | instid1(SALU_CYCLE_1)
	s_sub_i32 s60, s64, s7
	v_cmpx_gt_u32_e64 s60, v14
	s_cbranch_execz .LBB135_64
; %bb.61:                               ;   in Loop: Header=BB135_12 Depth=1
	v_dual_mov_b32 v20, v14 :: v_dual_mov_b32 v19, v15
	v_mov_b32_e32 v18, v14
	s_and_b32 s97, s81, 0xfe
	s_mov_b32 s96, 0
	s_mov_b64 s[68:69], 0
	s_mov_b64 s[70:71], 0
	;; [unrolled: 1-line block ×3, first 2 shown]
.LBB135_62:                             ;   Parent Loop BB135_12 Depth=1
                                        ; =>  This Inner Loop Header: Depth=2
	ds_load_b32 v2, v20
	v_add_co_u32 v18, vcc_lo, v18, s65
	v_add_co_ci_u32_e32 v19, vcc_lo, 0, v19, vcc_lo
	s_delay_alu instid0(VALU_DEP_1)
	v_cmp_le_u64_e32 vcc_lo, s[60:61], v[18:19]
	s_waitcnt lgkmcnt(0)
	v_bfe_i32 v3, v2, 0, 8
	v_bfe_i32 v4, v2, 8, 8
	;; [unrolled: 1-line block ×3, first 2 shown]
	v_ashrrev_i32_e32 v2, 24, v2
	s_delay_alu instid0(VALU_DEP_4) | instskip(NEXT) | instid1(VALU_DEP_4)
	v_add_nc_u32_e32 v3, 0x80, v3
	v_add_nc_u32_e32 v4, 0x80, v4
	s_delay_alu instid0(VALU_DEP_4) | instskip(NEXT) | instid1(VALU_DEP_4)
	v_add_nc_u32_e32 v5, 0x80, v5
	v_add_nc_u32_e32 v2, 0x80, v2
	s_delay_alu instid0(VALU_DEP_4)
	v_and_b32_e32 v6, v3, v26
	v_bfe_u32 v3, v3, s97, 2
	v_and_b32_e32 v7, v4, v26
	v_bfe_u32 v4, v4, s97, 2
	;; [unrolled: 2-line block ×3, first 2 shown]
	v_cmp_eq_u32_e64 s7, v6, v27
	v_cmp_eq_u32_e64 s11, 0, v3
	v_and_b32_e32 v9, v2, v26
	v_bfe_u32 v2, v2, s97, 2
	v_cmp_eq_u32_e64 s8, v7, v27
	v_cmp_eq_u32_e64 s12, 0, v4
	;; [unrolled: 1-line block ×4, first 2 shown]
	s_and_b32 s11, s7, s11
	v_cmp_eq_u32_e64 s10, v9, v27
	v_cmp_eq_u32_e64 s14, 0, v2
	;; [unrolled: 1-line block ×5, first 2 shown]
	v_cndmask_b32_e64 v2, 0, 1, s11
	s_and_b32 s11, s8, s12
	v_cmp_eq_u32_e64 s15, 1, v3
	v_cmp_eq_u32_e64 s19, 2, v3
	v_cmp_eq_u32_e64 s23, 3, v3
	v_cndmask_b32_e64 v3, 0, 1, s11
	s_and_b32 s11, s9, s13
	v_cmp_eq_u32_e64 s16, 1, v4
	v_cmp_eq_u32_e64 s20, 2, v4
	v_cmp_eq_u32_e64 s24, 3, v4
	;; [unrolled: 5-line block ×3, first 2 shown]
	v_cndmask_b32_e64 v5, 0, 1, s11
	v_cmp_ne_u32_e64 s11, 0, v2
	v_cmp_ne_u32_e64 s12, 0, v3
	;; [unrolled: 1-line block ×3, first 2 shown]
	s_delay_alu instid0(VALU_DEP_4) | instskip(NEXT) | instid1(VALU_DEP_4)
	v_cmp_ne_u32_e64 s14, 0, v5
	s_bcnt1_i32_b32 s11, s11
	s_delay_alu instid0(VALU_DEP_3) | instskip(NEXT) | instid1(VALU_DEP_2)
	s_bcnt1_i32_b32 s12, s12
	s_bcnt1_i32_b32 s13, s13
	s_add_i32 s11, s12, s11
	s_bcnt1_i32_b32 s14, s14
	s_add_i32 s11, s11, s13
	s_delay_alu instid0(SALU_CYCLE_1) | instskip(NEXT) | instid1(SALU_CYCLE_1)
	s_add_i32 s11, s11, s14
	s_add_u32 s72, s72, s11
	s_addc_u32 s73, s73, 0
	s_and_b32 s11, s7, s15
	v_add_nc_u32_e32 v20, s65, v20
	v_cndmask_b32_e64 v2, 0, 1, s11
	s_and_b32 s11, s8, s16
	s_delay_alu instid0(SALU_CYCLE_1) | instskip(SKIP_1) | instid1(SALU_CYCLE_1)
	v_cndmask_b32_e64 v3, 0, 1, s11
	s_and_b32 s11, s9, s17
	v_cndmask_b32_e64 v4, 0, 1, s11
	s_and_b32 s11, s10, s18
	s_delay_alu instid0(VALU_DEP_2) | instskip(SKIP_3) | instid1(VALU_DEP_4)
	v_cmp_ne_u32_e64 s12, 0, v3
	v_cndmask_b32_e64 v5, 0, 1, s11
	v_cmp_ne_u32_e64 s11, 0, v2
	v_cmp_ne_u32_e64 s13, 0, v4
	s_bcnt1_i32_b32 s12, s12
	s_delay_alu instid0(VALU_DEP_3) | instskip(NEXT) | instid1(VALU_DEP_3)
	v_cmp_ne_u32_e64 s14, 0, v5
	s_bcnt1_i32_b32 s11, s11
	s_delay_alu instid0(VALU_DEP_2) | instskip(SKIP_1) | instid1(VALU_DEP_1)
	s_bcnt1_i32_b32 s13, s13
	s_add_i32 s11, s12, s11
	s_bcnt1_i32_b32 s14, s14
	s_add_i32 s11, s11, s13
	s_delay_alu instid0(SALU_CYCLE_1) | instskip(NEXT) | instid1(SALU_CYCLE_1)
	s_add_i32 s11, s11, s14
	s_add_u32 s70, s70, s11
	s_addc_u32 s71, s71, 0
	s_and_b32 s11, s7, s19
	s_delay_alu instid0(SALU_CYCLE_1) | instskip(SKIP_1) | instid1(SALU_CYCLE_1)
	v_cndmask_b32_e64 v2, 0, 1, s11
	s_and_b32 s11, s8, s20
	v_cndmask_b32_e64 v3, 0, 1, s11
	s_and_b32 s11, s9, s21
	s_delay_alu instid0(SALU_CYCLE_1) | instskip(SKIP_1) | instid1(VALU_DEP_2)
	v_cndmask_b32_e64 v4, 0, 1, s11
	s_and_b32 s11, s10, s22
	v_cmp_ne_u32_e64 s12, 0, v3
	v_cndmask_b32_e64 v5, 0, 1, s11
	v_cmp_ne_u32_e64 s11, 0, v2
	v_cmp_ne_u32_e64 s13, 0, v4
	s_delay_alu instid0(VALU_DEP_4) | instskip(NEXT) | instid1(VALU_DEP_3)
	s_bcnt1_i32_b32 s12, s12
	v_cmp_ne_u32_e64 s14, 0, v5
	s_delay_alu instid0(VALU_DEP_3) | instskip(NEXT) | instid1(VALU_DEP_2)
	s_bcnt1_i32_b32 s11, s11
	s_bcnt1_i32_b32 s13, s13
	s_add_i32 s11, s12, s11
	s_delay_alu instid0(VALU_DEP_1) | instskip(SKIP_1) | instid1(SALU_CYCLE_1)
	s_bcnt1_i32_b32 s14, s14
	s_add_i32 s11, s11, s13
	s_add_i32 s11, s11, s14
	s_delay_alu instid0(SALU_CYCLE_1)
	s_add_u32 s68, s68, s11
	s_addc_u32 s69, s69, 0
	s_and_b32 s7, s7, s23
	v_mov_b32_e32 v6, s68
	v_cndmask_b32_e64 v2, 0, 1, s7
	s_and_b32 s7, s8, s24
	v_mov_b32_e32 v7, s69
	v_cndmask_b32_e64 v3, 0, 1, s7
	s_and_b32 s7, s9, s25
	s_delay_alu instid0(SALU_CYCLE_1) | instskip(SKIP_1) | instid1(VALU_DEP_2)
	v_cndmask_b32_e64 v4, 0, 1, s7
	s_and_b32 s7, s10, s26
	v_cmp_ne_u32_e64 s8, 0, v3
	v_cndmask_b32_e64 v5, 0, 1, s7
	v_cmp_ne_u32_e64 s7, 0, v2
	v_cmp_ne_u32_e64 s9, 0, v4
	v_dual_mov_b32 v2, s72 :: v_dual_mov_b32 v3, s73
	s_delay_alu instid0(VALU_DEP_4) | instskip(NEXT) | instid1(VALU_DEP_4)
	v_cmp_ne_u32_e64 s10, 0, v5
	s_bcnt1_i32_b32 s7, s7
	s_bcnt1_i32_b32 s8, s8
	;; [unrolled: 1-line block ×3, first 2 shown]
	s_add_i32 s7, s8, s7
	s_bcnt1_i32_b32 s8, s10
	s_add_i32 s7, s7, s9
	v_mov_b32_e32 v4, s70
	s_add_i32 s7, s7, s8
	v_mov_b32_e32 v5, s71
	s_add_u32 s66, s66, s7
	s_addc_u32 s67, s67, 0
	s_delay_alu instid0(SALU_CYCLE_1) | instskip(SKIP_1) | instid1(SALU_CYCLE_1)
	v_dual_mov_b32 v8, s66 :: v_dual_mov_b32 v9, s67
	s_or_b32 s96, vcc_lo, s96
	s_and_not1_b32 exec_lo, exec_lo, s96
	s_cbranch_execnz .LBB135_62
; %bb.63:                               ;   in Loop: Header=BB135_12 Depth=1
	s_or_b32 exec_lo, exec_lo, s96
.LBB135_64:                             ;   in Loop: Header=BB135_12 Depth=1
	s_delay_alu instid0(SALU_CYCLE_1) | instskip(SKIP_3) | instid1(VALU_DEP_1)
	s_or_b32 exec_lo, exec_lo, s95
	v_and_b32_e32 v20, 0xffff, v12
	v_add_nc_u32_e32 v12, s60, v0
	s_mov_b32 s14, exec_lo
	v_cmpx_gt_u32_e64 s64, v12
	s_cbranch_execz .LBB135_68
; %bb.65:                               ;   in Loop: Header=BB135_12 Depth=1
	v_dual_mov_b32 v19, v13 :: v_dual_mov_b32 v18, v12
	s_mov_b32 s13, 0
	s_and_b32 s12, s64, 0x7fffffff
	s_and_b32 s16, s81, 0xfe
	s_mov_b32 s15, s13
.LBB135_66:                             ;   Parent Loop BB135_12 Depth=1
                                        ; =>  This Inner Loop Header: Depth=2
	ds_load_i8 v21, v12
	v_add_co_u32 v18, vcc_lo, v18, v20
	v_add_co_ci_u32_e32 v19, vcc_lo, 0, v19, vcc_lo
	v_add_nc_u32_e32 v12, v12, v20
	s_delay_alu instid0(VALU_DEP_2) | instskip(SKIP_2) | instid1(VALU_DEP_1)
	v_cmp_le_u64_e32 vcc_lo, s[12:13], v[18:19]
	s_waitcnt lgkmcnt(0)
	v_add_nc_u32_e32 v21, 0x80, v21
	v_and_b32_e32 v29, v21, v26
	v_bfe_u32 v21, v21, s16, 2
	s_delay_alu instid0(VALU_DEP_2) | instskip(NEXT) | instid1(VALU_DEP_2)
	v_cmp_eq_u32_e64 s7, v29, v27
	v_cmp_eq_u32_e64 s8, 0, v21
	v_cmp_eq_u32_e64 s9, 1, v21
	v_cmp_eq_u32_e64 s10, 2, v21
	v_cmp_eq_u32_e64 s11, 3, v21
	s_delay_alu instid0(VALU_DEP_4) | instskip(NEXT) | instid1(SALU_CYCLE_1)
	s_and_b32 s8, s7, s8
	v_cndmask_b32_e64 v21, 0, 1, s8
	s_and_b32 s8, s7, s9
	s_delay_alu instid0(SALU_CYCLE_1)
	v_cndmask_b32_e64 v29, 0, 1, s8
	s_and_b32 s8, s7, s10
	s_and_b32 s7, s7, s11
	v_cndmask_b32_e64 v30, 0, 1, s8
	v_cndmask_b32_e64 v31, 0, 1, s7
	v_cmp_ne_u32_e64 s7, 0, v21
	v_cmp_ne_u32_e64 s8, 0, v29
	s_delay_alu instid0(VALU_DEP_4) | instskip(NEXT) | instid1(VALU_DEP_4)
	v_cmp_ne_u32_e64 s9, 0, v30
	v_cmp_ne_u32_e64 s10, 0, v31
	s_delay_alu instid0(VALU_DEP_4) | instskip(NEXT) | instid1(VALU_DEP_3)
	s_bcnt1_i32_b32 s7, s7
	s_bcnt1_i32_b32 s8, s8
	v_add_co_u32 v2, s7, v2, s7
	s_delay_alu instid0(VALU_DEP_1)
	v_add_co_ci_u32_e64 v3, s7, 0, v3, s7
	v_add_co_u32 v4, s7, v4, s8
	s_bcnt1_i32_b32 s9, s9
	v_add_co_ci_u32_e64 v5, s7, 0, v5, s7
	v_add_co_u32 v6, s7, v6, s9
	s_bcnt1_i32_b32 s10, s10
	v_add_co_ci_u32_e64 v7, s7, 0, v7, s7
	v_add_co_u32 v8, s7, v8, s10
	s_delay_alu instid0(VALU_DEP_1) | instskip(SKIP_1) | instid1(SALU_CYCLE_1)
	v_add_co_ci_u32_e64 v9, s7, 0, v9, s7
	s_or_b32 s15, vcc_lo, s15
	s_and_not1_b32 exec_lo, exec_lo, s15
	s_cbranch_execnz .LBB135_66
; %bb.67:                               ;   in Loop: Header=BB135_12 Depth=1
	s_or_b32 exec_lo, exec_lo, s15
.LBB135_68:                             ;   in Loop: Header=BB135_12 Depth=1
	s_delay_alu instid0(SALU_CYCLE_1)
	s_or_b32 exec_lo, exec_lo, s14
.LBB135_69:                             ;   in Loop: Header=BB135_12 Depth=1
	s_lshl_b32 s7, s85, 7
	s_and_saveexec_b32 s8, s2
	s_cbranch_execz .LBB135_71
; %bb.70:                               ;   in Loop: Header=BB135_12 Depth=1
	v_or_b32_e32 v12, s7, v24
	s_delay_alu instid0(VALU_DEP_1)
	v_lshlrev_b32_e32 v12, 3, v12
	ds_store_b128 v12, v[2:5] offset:3072
	ds_store_b128 v12, v[6:9] offset:3088
.LBB135_71:                             ;   in Loop: Header=BB135_12 Depth=1
	s_or_b32 exec_lo, exec_lo, s8
	s_waitcnt vmcnt(0) lgkmcnt(0)
	s_barrier
	buffer_gl0_inv
	s_and_saveexec_b32 s8, s51
	s_cbranch_execz .LBB135_82
; %bb.72:                               ;   in Loop: Header=BB135_12 Depth=1
	v_mov_b32_e32 v2, 0
	v_mov_b32_e32 v3, 0
	s_and_not1_b32 vcc_lo, exec_lo, s77
	s_cbranch_vccnz .LBB135_81
; %bb.73:                               ;   in Loop: Header=BB135_12 Depth=1
	v_mov_b32_e32 v2, 0
	v_mov_b32_e32 v3, 0
	s_and_not1_b32 vcc_lo, exec_lo, s79
	s_cbranch_vccnz .LBB135_78
; %bb.74:                               ;   in Loop: Header=BB135_12 Depth=1
	v_lshl_add_u32 v4, s85, 10, v25
	s_mov_b32 s9, 0
	s_set_inst_prefetch_distance 0x1
	.p2align	6
.LBB135_75:                             ;   Parent Loop BB135_12 Depth=1
                                        ; =>  This Inner Loop Header: Depth=2
	ds_load_2addr_b64 v[5:8], v4 offset1:4
	ds_load_2addr_b64 v[18:21], v4 offset0:8 offset1:12
	ds_load_2addr_b64 v[29:32], v4 offset0:16 offset1:20
	s_add_i32 s9, s9, 8
	s_delay_alu instid0(SALU_CYCLE_1) | instskip(SKIP_3) | instid1(VALU_DEP_2)
	s_cmp_eq_u32 s80, s9
	s_waitcnt lgkmcnt(2)
	v_add_co_u32 v2, vcc_lo, v5, v2
	v_add_co_ci_u32_e32 v3, vcc_lo, v6, v3, vcc_lo
	v_add_co_u32 v2, vcc_lo, v7, v2
	s_delay_alu instid0(VALU_DEP_2)
	v_add_co_ci_u32_e32 v3, vcc_lo, v8, v3, vcc_lo
	ds_load_2addr_b64 v[5:8], v4 offset0:24 offset1:28
	s_waitcnt lgkmcnt(2)
	v_add_co_u32 v2, vcc_lo, v18, v2
	v_add_co_ci_u32_e32 v3, vcc_lo, v19, v3, vcc_lo
	v_add_nc_u32_e32 v4, 0x100, v4
	s_delay_alu instid0(VALU_DEP_3) | instskip(NEXT) | instid1(VALU_DEP_3)
	v_add_co_u32 v2, vcc_lo, v20, v2
	v_add_co_ci_u32_e32 v3, vcc_lo, v21, v3, vcc_lo
	s_waitcnt lgkmcnt(1)
	s_delay_alu instid0(VALU_DEP_2) | instskip(NEXT) | instid1(VALU_DEP_2)
	v_add_co_u32 v2, vcc_lo, v29, v2
	v_add_co_ci_u32_e32 v3, vcc_lo, v30, v3, vcc_lo
	s_delay_alu instid0(VALU_DEP_2) | instskip(NEXT) | instid1(VALU_DEP_2)
	v_add_co_u32 v2, vcc_lo, v31, v2
	v_add_co_ci_u32_e32 v3, vcc_lo, v32, v3, vcc_lo
	s_waitcnt lgkmcnt(0)
	s_delay_alu instid0(VALU_DEP_2) | instskip(NEXT) | instid1(VALU_DEP_2)
	v_add_co_u32 v2, vcc_lo, v5, v2
	v_add_co_ci_u32_e32 v3, vcc_lo, v6, v3, vcc_lo
	s_delay_alu instid0(VALU_DEP_2) | instskip(NEXT) | instid1(VALU_DEP_2)
	v_add_co_u32 v2, vcc_lo, v7, v2
	v_add_co_ci_u32_e32 v3, vcc_lo, v8, v3, vcc_lo
	s_cbranch_scc0 .LBB135_75
; %bb.76:                               ;   in Loop: Header=BB135_12 Depth=1
	s_set_inst_prefetch_distance 0x2
	s_mov_b32 s9, s80
	s_and_not1_b32 vcc_lo, exec_lo, s83
	s_cbranch_vccz .LBB135_79
	s_branch .LBB135_81
.LBB135_77:                             ;   in Loop: Header=BB135_12 Depth=1
                                        ; implicit-def: $vgpr2_vgpr3
	s_branch .LBB135_45
.LBB135_78:                             ;   in Loop: Header=BB135_12 Depth=1
	s_mov_b32 s9, 0
	s_and_not1_b32 vcc_lo, exec_lo, s83
	s_cbranch_vccnz .LBB135_81
.LBB135_79:                             ;   in Loop: Header=BB135_12 Depth=1
	s_lshl_b32 s10, s85, 10
	s_lshl_b32 s9, s9, 5
	s_delay_alu instid0(SALU_CYCLE_1)
	v_add3_u32 v4, s10, s9, v25
	s_mov_b32 s9, s78
.LBB135_80:                             ;   Parent Loop BB135_12 Depth=1
                                        ; =>  This Inner Loop Header: Depth=2
	ds_load_b64 v[5:6], v4
	v_add_nc_u32_e32 v4, 32, v4
	s_add_i32 s9, s9, -1
	s_delay_alu instid0(SALU_CYCLE_1)
	s_cmp_lg_u32 s9, 0
	s_waitcnt lgkmcnt(0)
	v_add_co_u32 v2, vcc_lo, v5, v2
	v_add_co_ci_u32_e32 v3, vcc_lo, v6, v3, vcc_lo
	s_cbranch_scc1 .LBB135_80
.LBB135_81:                             ;   in Loop: Header=BB135_12 Depth=1
	v_add_lshl_u32 v4, s7, v23, 3
	ds_store_b64 v4, v[2:3] offset:3072
.LBB135_82:                             ;   in Loop: Header=BB135_12 Depth=1
	s_or_b32 exec_lo, exec_lo, s8
	s_lshl_b32 s7, s7, 3
	s_waitcnt lgkmcnt(0)
	v_mov_b32_e32 v6, s7
	s_barrier
	buffer_gl0_inv
	s_and_b32 s22, s81, 0xfe
	v_cmp_eq_u64_e64 s7, 1, v[16:17]
	ds_load_b128 v[2:5], v6 offset:3072
	ds_load_b128 v[6:9], v6 offset:3088
	s_lshl_b32 s20, 3, s22
	s_and_not1_b32 vcc_lo, exec_lo, s35
	s_not_b32 s21, s20
	s_waitcnt lgkmcnt(1)
	v_readfirstlane_b32 s11, v3
	v_readfirstlane_b32 s10, v2
	;; [unrolled: 1-line block ×4, first 2 shown]
	s_waitcnt lgkmcnt(0)
	v_readfirstlane_b32 s15, v7
	v_readfirstlane_b32 s14, v6
	;; [unrolled: 1-line block ×4, first 2 shown]
	s_cbranch_vccnz .LBB135_98
; %bb.83:                               ;   in Loop: Header=BB135_12 Depth=1
	s_cmp_eq_u64 s[10:11], 1
	v_dual_mov_b32 v8, v27 :: v_dual_mov_b32 v9, v26
	v_mov_b32_e32 v18, v28
	s_cselect_b32 s8, -1, 0
                                        ; implicit-def: $sgpr23
                                        ; implicit-def: $sgpr64
                                        ; implicit-def: $sgpr60
	s_delay_alu instid0(SALU_CYCLE_1)
	s_and_b32 s67, s8, s7
	s_mov_b32 s8, -1
	s_and_saveexec_b32 s24, s67
	s_cbranch_execz .LBB135_117
; %bb.84:                               ;   in Loop: Header=BB135_12 Depth=1
	ds_load_b64 v[2:3], v13 offset:5120
	s_waitcnt lgkmcnt(0)
	s_barrier
	buffer_gl0_inv
	v_readfirstlane_b32 s18, v2
	v_readfirstlane_b32 s19, v3
	s_and_saveexec_b32 s8, s6
	s_cbranch_execz .LBB135_86
; %bb.85:                               ;   in Loop: Header=BB135_12 Depth=1
	ds_store_b8 v0, v13 offset:3072
.LBB135_86:                             ;   in Loop: Header=BB135_12 Depth=1
	s_or_b32 exec_lo, exec_lo, s8
	v_and_b32_e32 v8, s21, v27
	v_or_b32_e32 v9, s20, v26
	s_cmp_eq_u64 s[18:19], 0
	s_waitcnt lgkmcnt(0)
	s_barrier
	buffer_gl0_inv
	s_cbranch_scc1 .LBB135_100
; %bb.87:                               ;   in Loop: Header=BB135_12 Depth=1
	s_add_u32 s23, s74, s18
	s_addc_u32 s9, s75, s19
	s_mov_b32 s8, s61
	s_delay_alu instid0(SALU_CYCLE_1)
	s_cmp_lg_u64 s[8:9], 0
	s_cbranch_scc0 .LBB135_144
; %bb.88:                               ;   in Loop: Header=BB135_12 Depth=1
	v_cvt_f32_u32_e32 v2, s33
	s_sub_u32 s26, 0, s33
	s_subb_u32 s56, 0, 0
	s_delay_alu instid0(VALU_DEP_1) | instskip(NEXT) | instid1(VALU_DEP_1)
	v_fmac_f32_e64 v2, 0, 0x4f800000
	v_rcp_f32_e32 v2, v2
	s_waitcnt_depctr 0xfff
	v_mul_f32_e32 v2, 0x5f7ffffc, v2
	s_delay_alu instid0(VALU_DEP_1) | instskip(NEXT) | instid1(VALU_DEP_1)
	v_mul_f32_e32 v3, 0x2f800000, v2
	v_trunc_f32_e32 v3, v3
	s_delay_alu instid0(VALU_DEP_1) | instskip(SKIP_1) | instid1(VALU_DEP_2)
	v_fmac_f32_e32 v2, 0xcf800000, v3
	v_cvt_u32_f32_e32 v3, v3
	v_cvt_u32_f32_e32 v2, v2
	s_delay_alu instid0(VALU_DEP_2) | instskip(NEXT) | instid1(VALU_DEP_2)
	v_readfirstlane_b32 s8, v3
	v_readfirstlane_b32 s25, v2
	s_delay_alu instid0(VALU_DEP_2) | instskip(NEXT) | instid1(VALU_DEP_1)
	s_mul_i32 s57, s26, s8
	s_mul_hi_u32 s64, s26, s25
	s_mul_i32 s60, s56, s25
	s_add_i32 s57, s64, s57
	s_mul_i32 s65, s26, s25
	s_add_i32 s57, s57, s60
	s_mul_hi_u32 s64, s25, s65
	s_mul_hi_u32 s66, s8, s65
	s_mul_i32 s60, s8, s65
	s_mul_hi_u32 s65, s25, s57
	s_mul_i32 s25, s25, s57
	s_mul_hi_u32 s68, s8, s57
	s_add_u32 s25, s64, s25
	s_addc_u32 s64, 0, s65
	s_add_u32 s25, s25, s60
	s_mul_i32 s57, s8, s57
	s_addc_u32 s25, s64, s66
	s_addc_u32 s60, s68, 0
	s_add_u32 s25, s25, s57
	s_addc_u32 s57, 0, s60
	v_add_co_u32 v2, s25, v2, s25
	s_delay_alu instid0(VALU_DEP_1) | instskip(SKIP_1) | instid1(VALU_DEP_1)
	s_cmp_lg_u32 s25, 0
	s_addc_u32 s8, s8, s57
	v_readfirstlane_b32 s25, v2
	s_mul_i32 s57, s26, s8
	s_delay_alu instid0(VALU_DEP_1)
	s_mul_hi_u32 s60, s26, s25
	s_mul_i32 s56, s56, s25
	s_add_i32 s57, s60, s57
	s_mul_i32 s26, s26, s25
	s_add_i32 s57, s57, s56
	s_mul_hi_u32 s60, s8, s26
	s_mul_i32 s64, s8, s26
	s_mul_hi_u32 s26, s25, s26
	s_mul_hi_u32 s65, s25, s57
	s_mul_i32 s25, s25, s57
	s_mul_hi_u32 s56, s8, s57
	s_add_u32 s25, s26, s25
	s_addc_u32 s26, 0, s65
	s_add_u32 s25, s25, s64
	s_mul_i32 s57, s8, s57
	s_addc_u32 s25, s26, s60
	s_addc_u32 s26, s56, 0
	s_add_u32 s25, s25, s57
	s_addc_u32 s26, 0, s26
	v_add_co_u32 v2, s25, v2, s25
	s_delay_alu instid0(VALU_DEP_1) | instskip(SKIP_1) | instid1(VALU_DEP_1)
	s_cmp_lg_u32 s25, 0
	s_addc_u32 s8, s8, s26
	v_readfirstlane_b32 s25, v2
	s_mul_i32 s56, s23, s8
	s_mul_hi_u32 s26, s23, s8
	s_mul_hi_u32 s57, s9, s8
	s_mul_i32 s8, s9, s8
	s_mul_hi_u32 s60, s23, s25
	s_mul_hi_u32 s64, s9, s25
	s_mul_i32 s25, s9, s25
	s_add_u32 s56, s60, s56
	s_addc_u32 s26, 0, s26
	s_add_u32 s25, s56, s25
	s_addc_u32 s25, s26, s64
	s_addc_u32 s26, s57, 0
	s_add_u32 s8, s25, s8
	s_addc_u32 s25, 0, s26
	s_mul_hi_u32 s26, s33, s8
	s_mul_i32 s8, s33, s8
	s_mul_i32 s25, s33, s25
	v_sub_co_u32 v2, s8, s23, s8
	s_add_i32 s26, s26, s25
	s_cmp_lg_u32 s8, 0
	s_delay_alu instid0(VALU_DEP_1) | instskip(SKIP_2) | instid1(VALU_DEP_1)
	v_sub_co_u32 v3, s8, v2, s33
	s_subb_u32 s25, s9, s26
	s_cmp_lg_u32 s8, 0
	v_cmp_le_u32_e32 vcc_lo, s33, v3
	v_sub_co_u32 v4, s8, v3, s33
	s_subb_u32 s26, s25, 0
	s_cmp_lg_u32 s8, 0
	v_cndmask_b32_e64 v5, 0, -1, vcc_lo
	s_subb_u32 s8, s26, 0
	s_cmp_eq_u32 s26, 0
	v_mov_b32_e32 v7, s8
	s_cselect_b32 vcc_lo, -1, 0
	s_cmp_eq_u32 s25, 0
	v_cndmask_b32_e32 v5, -1, v5, vcc_lo
	v_cmp_le_u32_e32 vcc_lo, s33, v2
	s_cselect_b32 s8, -1, 0
	v_cndmask_b32_e64 v6, 0, -1, vcc_lo
	s_delay_alu instid0(VALU_DEP_3) | instskip(NEXT) | instid1(VALU_DEP_2)
	v_cmp_ne_u32_e32 vcc_lo, 0, v5
	v_cndmask_b32_e64 v5, -1, v6, s8
	v_cndmask_b32_e32 v6, s26, v7, vcc_lo
	v_cndmask_b32_e32 v4, v3, v4, vcc_lo
	s_delay_alu instid0(VALU_DEP_3) | instskip(NEXT) | instid1(VALU_DEP_3)
	v_cmp_ne_u32_e32 vcc_lo, 0, v5
	v_cndmask_b32_e32 v3, s25, v6, vcc_lo
	s_delay_alu instid0(VALU_DEP_3)
	v_cndmask_b32_e32 v2, v2, v4, vcc_lo
	s_cbranch_execnz .LBB135_90
.LBB135_89:                             ;   in Loop: Header=BB135_12 Depth=1
	v_cvt_f32_u32_e32 v2, s33
	s_sub_i32 s8, 0, s33
	s_delay_alu instid0(VALU_DEP_1) | instskip(SKIP_2) | instid1(VALU_DEP_1)
	v_rcp_iflag_f32_e32 v2, v2
	s_waitcnt_depctr 0xfff
	v_mul_f32_e32 v2, 0x4f7ffffe, v2
	v_cvt_u32_f32_e32 v2, v2
	s_delay_alu instid0(VALU_DEP_1) | instskip(NEXT) | instid1(VALU_DEP_1)
	v_mul_lo_u32 v3, s8, v2
	v_mul_hi_u32 v3, v2, v3
	s_delay_alu instid0(VALU_DEP_1) | instskip(NEXT) | instid1(VALU_DEP_1)
	v_add_nc_u32_e32 v2, v2, v3
	v_mul_hi_u32 v2, s23, v2
	s_delay_alu instid0(VALU_DEP_1) | instskip(NEXT) | instid1(VALU_DEP_1)
	v_mul_lo_u32 v2, v2, s33
	v_sub_nc_u32_e32 v2, s23, v2
	s_delay_alu instid0(VALU_DEP_1) | instskip(SKIP_1) | instid1(VALU_DEP_2)
	v_subrev_nc_u32_e32 v3, s33, v2
	v_cmp_le_u32_e32 vcc_lo, s33, v2
	v_cndmask_b32_e32 v2, v2, v3, vcc_lo
	s_delay_alu instid0(VALU_DEP_1) | instskip(SKIP_1) | instid1(VALU_DEP_2)
	v_subrev_nc_u32_e32 v3, s33, v2
	v_cmp_le_u32_e32 vcc_lo, s33, v2
	v_cndmask_b32_e32 v12, v2, v3, vcc_lo
	s_delay_alu instid0(VALU_DEP_1)
	v_dual_mov_b32 v2, v12 :: v_dual_mov_b32 v3, v13
.LBB135_90:                             ;   in Loop: Header=BB135_12 Depth=1
	s_delay_alu instid0(VALU_DEP_1) | instskip(NEXT) | instid1(VALU_DEP_2)
	v_sub_co_u32 v2, vcc_lo, s23, v2
	v_sub_co_ci_u32_e32 v3, vcc_lo, s9, v3, vcc_lo
	s_mov_b32 s8, 0
	s_mov_b32 s9, exec_lo
                                        ; implicit-def: $vgpr18
	s_delay_alu instid0(VALU_DEP_1)
	v_cmpx_gt_u64_e64 v[2:3], v[0:1]
	s_cbranch_execz .LBB135_102
; %bb.91:                               ;   in Loop: Header=BB135_12 Depth=1
	v_dual_mov_b32 v6, v0 :: v_dual_mov_b32 v5, v1
	v_mov_b32_e32 v4, v0
	s_mov_b32 s23, 0
                                        ; implicit-def: $sgpr25
	s_set_inst_prefetch_distance 0x1
	s_branch .LBB135_93
	.p2align	6
.LBB135_92:                             ;   in Loop: Header=BB135_93 Depth=2
	s_or_b32 exec_lo, exec_lo, s8
	s_waitcnt lgkmcnt(0)
	s_barrier
	buffer_gl0_inv
	ds_load_u16 v7, v13 offset:3072
	v_add_co_u32 v4, vcc_lo, v4, s33
	v_add_co_ci_u32_e32 v5, vcc_lo, 0, v5, vcc_lo
	v_add_nc_u32_e32 v6, s33, v6
	s_waitcnt lgkmcnt(0)
	s_barrier
	s_delay_alu instid0(VALU_DEP_2) | instskip(SKIP_2) | instid1(VALU_DEP_1)
	v_cmp_ge_u64_e32 vcc_lo, v[4:5], v[2:3]
	buffer_gl0_inv
	v_and_b32_e32 v12, 0xff, v7
	v_cmp_ne_u16_e64 s8, 0, v12
	s_delay_alu instid0(VALU_DEP_1) | instskip(NEXT) | instid1(SALU_CYCLE_1)
	s_or_b32 s26, vcc_lo, s8
	s_and_b32 s26, exec_lo, s26
	s_delay_alu instid0(SALU_CYCLE_1) | instskip(SKIP_2) | instid1(SALU_CYCLE_1)
	s_or_b32 s23, s26, s23
	s_and_not1_b32 s25, s25, exec_lo
	s_and_b32 s8, s8, exec_lo
	s_or_b32 s25, s25, s8
	s_and_not1_b32 exec_lo, exec_lo, s23
	s_cbranch_execz .LBB135_101
.LBB135_93:                             ;   Parent Loop BB135_12 Depth=1
                                        ; =>  This Inner Loop Header: Depth=2
	s_delay_alu instid0(VALU_DEP_1)
	v_cmp_gt_u64_e32 vcc_lo, s[18:19], v[4:5]
	v_mov_b32_e32 v7, 0
	s_and_saveexec_b32 s8, vcc_lo
	s_cbranch_execz .LBB135_95
; %bb.94:                               ;   in Loop: Header=BB135_93 Depth=2
	ds_load_u8 v7, v6
.LBB135_95:                             ;   in Loop: Header=BB135_93 Depth=2
	s_or_b32 exec_lo, exec_lo, s8
	s_and_saveexec_b32 s8, vcc_lo
	s_cbranch_execz .LBB135_92
; %bb.96:                               ;   in Loop: Header=BB135_93 Depth=2
	s_waitcnt lgkmcnt(0)
	v_bfe_i32 v12, v7, 0, 8
	s_delay_alu instid0(VALU_DEP_1) | instskip(NEXT) | instid1(VALU_DEP_1)
	v_add_nc_u32_e32 v12, 0x80, v12
	v_and_b32_e32 v12, v12, v9
	s_delay_alu instid0(VALU_DEP_1)
	v_cmp_eq_u32_e32 vcc_lo, v12, v8
	s_and_b32 exec_lo, exec_lo, vcc_lo
	s_cbranch_execz .LBB135_92
; %bb.97:                               ;   in Loop: Header=BB135_93 Depth=2
	v_lshlrev_b16 v7, 8, v7
	s_delay_alu instid0(VALU_DEP_1)
	v_or_b32_e32 v7, 1, v7
	ds_store_b16 v13, v7 offset:3072
	s_branch .LBB135_92
.LBB135_98:                             ;   in Loop: Header=BB135_12 Depth=1
	s_mov_b32 s25, 0
	s_mov_b32 s24, 0
                                        ; implicit-def: $sgpr60
                                        ; implicit-def: $sgpr64
                                        ; implicit-def: $sgpr23
                                        ; implicit-def: $vgpr6
                                        ; implicit-def: $vgpr2_vgpr3
                                        ; implicit-def: $vgpr8
                                        ; implicit-def: $vgpr9
                                        ; implicit-def: $vgpr18
	s_cbranch_execnz .LBB135_281
.LBB135_99:                             ;   in Loop: Header=BB135_12 Depth=1
	s_mov_b32 s18, s23
	s_mov_b32 s19, s23
	s_and_saveexec_b32 s7, s25
	s_cbranch_execnz .LBB135_477
	s_branch .LBB135_478
.LBB135_100:                            ;   in Loop: Header=BB135_12 Depth=1
	s_mov_b32 s23, -1
	s_mov_b32 s8, 0
                                        ; implicit-def: $sgpr60
                                        ; implicit-def: $vgpr18
	s_mov_b32 s64, s23
	s_cbranch_execnz .LBB135_103
	s_branch .LBB135_116
.LBB135_101:                            ;   in Loop: Header=BB135_12 Depth=1
	s_set_inst_prefetch_distance 0x2
	s_or_b32 exec_lo, exec_lo, s23
	v_lshrrev_b16 v18, 8, v7
	s_and_b32 s8, s25, exec_lo
.LBB135_102:                            ;   in Loop: Header=BB135_12 Depth=1
	s_or_b32 exec_lo, exec_lo, s9
	s_mov_b32 s60, -1
	s_mov_b32 s23, 0
	s_delay_alu instid0(SALU_CYCLE_1)
	s_mov_b32 s64, s23
	s_branch .LBB135_116
.LBB135_103:                            ;   in Loop: Header=BB135_12 Depth=1
	s_mov_b32 s26, s61
	s_delay_alu instid0(SALU_CYCLE_1)
	s_cmp_lg_u64 s[26:27], 0
	s_cbranch_scc0 .LBB135_145
; %bb.104:                              ;   in Loop: Header=BB135_12 Depth=1
	v_cvt_f32_u32_e32 v2, s33
	s_sub_u32 s18, 0, s33
	s_subb_u32 s19, 0, 0
	s_delay_alu instid0(VALU_DEP_1) | instskip(NEXT) | instid1(VALU_DEP_1)
	v_fmac_f32_e64 v2, 0, 0x4f800000
	v_rcp_f32_e32 v2, v2
	s_waitcnt_depctr 0xfff
	v_mul_f32_e32 v2, 0x5f7ffffc, v2
	s_delay_alu instid0(VALU_DEP_1) | instskip(NEXT) | instid1(VALU_DEP_1)
	v_mul_f32_e32 v3, 0x2f800000, v2
	v_trunc_f32_e32 v3, v3
	s_delay_alu instid0(VALU_DEP_1) | instskip(SKIP_1) | instid1(VALU_DEP_2)
	v_fmac_f32_e32 v2, 0xcf800000, v3
	v_cvt_u32_f32_e32 v3, v3
	v_cvt_u32_f32_e32 v2, v2
	s_delay_alu instid0(VALU_DEP_2) | instskip(NEXT) | instid1(VALU_DEP_2)
	v_readfirstlane_b32 s8, v3
	v_readfirstlane_b32 s9, v2
	s_delay_alu instid0(VALU_DEP_2) | instskip(NEXT) | instid1(VALU_DEP_1)
	s_mul_i32 s23, s18, s8
	s_mul_hi_u32 s26, s18, s9
	s_mul_i32 s25, s19, s9
	s_add_i32 s23, s26, s23
	s_mul_i32 s56, s18, s9
	s_add_i32 s23, s23, s25
	s_mul_hi_u32 s26, s9, s56
	s_mul_hi_u32 s57, s8, s56
	s_mul_i32 s25, s8, s56
	s_mul_hi_u32 s56, s9, s23
	s_mul_i32 s9, s9, s23
	s_mul_hi_u32 s60, s8, s23
	s_add_u32 s9, s26, s9
	s_addc_u32 s26, 0, s56
	s_add_u32 s9, s9, s25
	s_mul_i32 s23, s8, s23
	s_addc_u32 s9, s26, s57
	s_addc_u32 s25, s60, 0
	s_add_u32 s9, s9, s23
	s_addc_u32 s23, 0, s25
	v_add_co_u32 v2, s9, v2, s9
	s_delay_alu instid0(VALU_DEP_1) | instskip(SKIP_1) | instid1(VALU_DEP_1)
	s_cmp_lg_u32 s9, 0
	s_addc_u32 s8, s8, s23
	v_readfirstlane_b32 s9, v2
	s_mul_i32 s23, s18, s8
	s_delay_alu instid0(VALU_DEP_1)
	s_mul_hi_u32 s25, s18, s9
	s_mul_i32 s19, s19, s9
	s_add_i32 s23, s25, s23
	s_mul_i32 s18, s18, s9
	s_add_i32 s23, s23, s19
	s_mul_hi_u32 s25, s8, s18
	s_mul_i32 s26, s8, s18
	s_mul_hi_u32 s18, s9, s18
	s_mul_hi_u32 s56, s9, s23
	s_mul_i32 s9, s9, s23
	s_mul_hi_u32 s19, s8, s23
	s_add_u32 s9, s18, s9
	s_addc_u32 s18, 0, s56
	s_add_u32 s9, s9, s26
	s_mul_i32 s23, s8, s23
	s_addc_u32 s9, s18, s25
	s_addc_u32 s18, s19, 0
	s_add_u32 s9, s9, s23
	s_addc_u32 s18, 0, s18
	v_add_co_u32 v2, s9, v2, s9
	s_delay_alu instid0(VALU_DEP_1) | instskip(SKIP_1) | instid1(VALU_DEP_1)
	s_cmp_lg_u32 s9, 0
	s_addc_u32 s8, s8, s18
	v_readfirstlane_b32 s9, v2
	s_mul_i32 s19, s76, s8
	s_mul_hi_u32 s18, s76, s8
	s_mul_hi_u32 s23, s27, s8
	s_mul_i32 s8, s27, s8
	s_mul_hi_u32 s25, s76, s9
	s_mul_hi_u32 s26, s27, s9
	s_mul_i32 s9, s27, s9
	s_add_u32 s19, s25, s19
	s_addc_u32 s18, 0, s18
	s_add_u32 s9, s19, s9
	s_addc_u32 s9, s18, s26
	s_addc_u32 s18, s23, 0
	s_add_u32 s8, s9, s8
	s_addc_u32 s9, 0, s18
	s_mul_hi_u32 s18, s33, s8
	s_mul_i32 s8, s33, s8
	s_mul_i32 s9, s33, s9
	v_sub_co_u32 v2, s8, s76, s8
	s_add_i32 s18, s18, s9
	s_cmp_lg_u32 s8, 0
	s_delay_alu instid0(VALU_DEP_1) | instskip(SKIP_2) | instid1(VALU_DEP_1)
	v_sub_co_u32 v3, s8, v2, s33
	s_subb_u32 s9, s27, s18
	s_cmp_lg_u32 s8, 0
	v_cmp_le_u32_e32 vcc_lo, s33, v3
	v_sub_co_u32 v4, s8, v3, s33
	s_subb_u32 s18, s9, 0
	s_cmp_lg_u32 s8, 0
	v_cndmask_b32_e64 v5, 0, -1, vcc_lo
	s_subb_u32 s8, s18, 0
	s_cmp_eq_u32 s18, 0
	v_mov_b32_e32 v7, s8
	s_cselect_b32 vcc_lo, -1, 0
	s_cmp_eq_u32 s9, 0
	v_cndmask_b32_e32 v5, -1, v5, vcc_lo
	v_cmp_le_u32_e32 vcc_lo, s33, v2
	s_cselect_b32 s8, -1, 0
	v_cndmask_b32_e64 v6, 0, -1, vcc_lo
	s_delay_alu instid0(VALU_DEP_3) | instskip(NEXT) | instid1(VALU_DEP_2)
	v_cmp_ne_u32_e32 vcc_lo, 0, v5
	v_cndmask_b32_e64 v5, -1, v6, s8
	v_cndmask_b32_e32 v6, s18, v7, vcc_lo
	v_cndmask_b32_e32 v4, v3, v4, vcc_lo
	s_delay_alu instid0(VALU_DEP_3) | instskip(NEXT) | instid1(VALU_DEP_3)
	v_cmp_ne_u32_e32 vcc_lo, 0, v5
	v_cndmask_b32_e32 v3, s9, v6, vcc_lo
	s_delay_alu instid0(VALU_DEP_3)
	v_cndmask_b32_e32 v2, v2, v4, vcc_lo
	s_cbranch_execnz .LBB135_106
.LBB135_105:                            ;   in Loop: Header=BB135_12 Depth=1
	v_cvt_f32_u32_e32 v2, s33
	s_sub_i32 s8, 0, s33
	s_delay_alu instid0(VALU_DEP_1) | instskip(SKIP_2) | instid1(VALU_DEP_1)
	v_rcp_iflag_f32_e32 v2, v2
	s_waitcnt_depctr 0xfff
	v_mul_f32_e32 v2, 0x4f7ffffe, v2
	v_cvt_u32_f32_e32 v2, v2
	s_delay_alu instid0(VALU_DEP_1) | instskip(NEXT) | instid1(VALU_DEP_1)
	v_mul_lo_u32 v3, s8, v2
	v_mul_hi_u32 v3, v2, v3
	s_delay_alu instid0(VALU_DEP_1) | instskip(NEXT) | instid1(VALU_DEP_1)
	v_add_nc_u32_e32 v2, v2, v3
	v_mul_hi_u32 v2, s76, v2
	s_delay_alu instid0(VALU_DEP_1) | instskip(NEXT) | instid1(VALU_DEP_1)
	v_mul_lo_u32 v2, v2, s33
	v_sub_nc_u32_e32 v2, s76, v2
	s_delay_alu instid0(VALU_DEP_1) | instskip(SKIP_1) | instid1(VALU_DEP_2)
	v_subrev_nc_u32_e32 v3, s33, v2
	v_cmp_le_u32_e32 vcc_lo, s33, v2
	v_cndmask_b32_e32 v2, v2, v3, vcc_lo
	s_delay_alu instid0(VALU_DEP_1) | instskip(SKIP_1) | instid1(VALU_DEP_2)
	v_subrev_nc_u32_e32 v3, s33, v2
	v_cmp_le_u32_e32 vcc_lo, s33, v2
	v_cndmask_b32_e32 v12, v2, v3, vcc_lo
	s_delay_alu instid0(VALU_DEP_1)
	v_dual_mov_b32 v2, v12 :: v_dual_mov_b32 v3, v13
.LBB135_106:                            ;   in Loop: Header=BB135_12 Depth=1
	s_delay_alu instid0(VALU_DEP_1) | instskip(NEXT) | instid1(VALU_DEP_2)
	v_sub_co_u32 v2, vcc_lo, s76, v2
	v_sub_co_ci_u32_e32 v3, vcc_lo, s27, v3, vcc_lo
	s_mov_b32 s8, 0
	s_mov_b32 s9, exec_lo
                                        ; implicit-def: $vgpr18
	s_delay_alu instid0(VALU_DEP_1)
	v_cmpx_gt_u64_e64 v[2:3], v[0:1]
	s_cbranch_execz .LBB135_115
; %bb.107:                              ;   in Loop: Header=BB135_12 Depth=1
	v_dual_mov_b32 v5, v1 :: v_dual_mov_b32 v4, v0
	s_mov_b32 s18, 0
                                        ; implicit-def: $sgpr19
	s_branch .LBB135_109
.LBB135_108:                            ;   in Loop: Header=BB135_109 Depth=2
	s_or_b32 exec_lo, exec_lo, s8
	s_waitcnt vmcnt(0) lgkmcnt(0)
	s_barrier
	buffer_gl0_inv
	ds_load_u16 v6, v13 offset:3072
	v_add_co_u32 v4, vcc_lo, v4, s33
	v_add_co_ci_u32_e32 v5, vcc_lo, 0, v5, vcc_lo
	s_waitcnt lgkmcnt(0)
	s_barrier
	buffer_gl0_inv
	v_cmp_ge_u64_e32 vcc_lo, v[4:5], v[2:3]
	v_and_b32_e32 v7, 0xff, v6
	s_delay_alu instid0(VALU_DEP_1) | instskip(NEXT) | instid1(VALU_DEP_1)
	v_cmp_ne_u16_e64 s8, 0, v7
	s_or_b32 s23, vcc_lo, s8
	s_delay_alu instid0(SALU_CYCLE_1) | instskip(NEXT) | instid1(SALU_CYCLE_1)
	s_and_b32 s23, exec_lo, s23
	s_or_b32 s18, s23, s18
	s_and_not1_b32 s19, s19, exec_lo
	s_and_b32 s8, s8, exec_lo
	s_delay_alu instid0(SALU_CYCLE_1)
	s_or_b32 s19, s19, s8
	s_and_not1_b32 exec_lo, exec_lo, s18
	s_cbranch_execz .LBB135_114
.LBB135_109:                            ;   Parent Loop BB135_12 Depth=1
                                        ; =>  This Inner Loop Header: Depth=2
	s_delay_alu instid0(VALU_DEP_1)
	v_cmp_gt_u64_e32 vcc_lo, s[36:37], v[4:5]
	v_mov_b32_e32 v6, 0
	s_and_saveexec_b32 s8, vcc_lo
	s_cbranch_execz .LBB135_111
; %bb.110:                              ;   in Loop: Header=BB135_109 Depth=2
	v_mad_u64_u32 v[6:7], null, v4, s30, s[28:29]
	v_mul_lo_u32 v12, v4, s31
	v_mul_lo_u32 v18, v5, s30
	s_delay_alu instid0(VALU_DEP_1)
	v_add3_u32 v7, v18, v7, v12
	global_load_u8 v6, v[6:7], off
.LBB135_111:                            ;   in Loop: Header=BB135_109 Depth=2
	s_or_b32 exec_lo, exec_lo, s8
	s_and_saveexec_b32 s8, vcc_lo
	s_cbranch_execz .LBB135_108
; %bb.112:                              ;   in Loop: Header=BB135_109 Depth=2
	s_waitcnt vmcnt(0)
	v_bfe_i32 v7, v6, 0, 8
	s_delay_alu instid0(VALU_DEP_1) | instskip(NEXT) | instid1(VALU_DEP_1)
	v_add_nc_u32_e32 v7, 0x80, v7
	v_and_b32_e32 v7, v7, v9
	s_delay_alu instid0(VALU_DEP_1)
	v_cmp_eq_u32_e32 vcc_lo, v7, v8
	s_and_b32 exec_lo, exec_lo, vcc_lo
	s_cbranch_execz .LBB135_108
; %bb.113:                              ;   in Loop: Header=BB135_109 Depth=2
	v_lshlrev_b16 v6, 8, v6
	s_delay_alu instid0(VALU_DEP_1)
	v_or_b32_e32 v6, 1, v6
	ds_store_b16 v13, v6 offset:3072
	s_branch .LBB135_108
.LBB135_114:                            ;   in Loop: Header=BB135_12 Depth=1
	s_or_b32 exec_lo, exec_lo, s18
	v_lshrrev_b16 v18, 8, v6
	s_and_b32 s8, s19, exec_lo
.LBB135_115:                            ;   in Loop: Header=BB135_12 Depth=1
	s_or_b32 exec_lo, exec_lo, s9
	s_mov_b32 s64, -1
	s_mov_b32 s23, 0
	s_mov_b32 s60, 0
.LBB135_116:                            ;   in Loop: Header=BB135_12 Depth=1
	s_or_not1_b32 s8, s8, exec_lo
.LBB135_117:                            ;   in Loop: Header=BB135_12 Depth=1
	s_or_b32 exec_lo, exec_lo, s24
	s_mov_b32 s65, 0
	s_mov_b32 s25, 0
	s_mov_b32 s24, 0
                                        ; implicit-def: $vgpr6
                                        ; implicit-def: $vgpr2_vgpr3
	s_and_saveexec_b32 s66, s8
	s_cbranch_execz .LBB135_280
; %bb.118:                              ;   in Loop: Header=BB135_12 Depth=1
	v_mov_b32_e32 v2, 1
	v_dual_mov_b32 v3, 0 :: v_dual_mov_b32 v6, 1
	s_xor_b32 s9, s67, -1
	s_delay_alu instid0(SALU_CYCLE_1)
	s_and_saveexec_b32 s8, s9
	s_cbranch_execz .LBB135_128
; %bb.119:                              ;   in Loop: Header=BB135_12 Depth=1
	s_mov_b32 s18, exec_lo
                                        ; implicit-def: $sgpr19
                                        ; implicit-def: $sgpr9
	v_cmpx_ge_u64_e64 s[10:11], v[16:17]
	s_xor_b32 s18, exec_lo, s18
	s_cbranch_execz .LBB135_125
; %bb.120:                              ;   in Loop: Header=BB135_12 Depth=1
	ds_load_b64 v[2:3], v13 offset:5120
	s_waitcnt lgkmcnt(0)
	v_cmp_ne_u64_e32 vcc_lo, 0, v[2:3]
	s_cbranch_vccnz .LBB135_124
; %bb.121:                              ;   in Loop: Header=BB135_12 Depth=1
	s_and_saveexec_b32 s9, s5
	s_cbranch_execz .LBB135_123
; %bb.122:                              ;   in Loop: Header=BB135_12 Depth=1
	v_dual_mov_b32 v2, s10 :: v_dual_mov_b32 v3, s11
	ds_store_b64 v13, v[2:3] offset:5128
.LBB135_123:                            ;   in Loop: Header=BB135_12 Depth=1
	s_or_b32 exec_lo, exec_lo, s9
	s_waitcnt lgkmcnt(0)
	s_barrier
	buffer_gl0_inv
.LBB135_124:                            ;   in Loop: Header=BB135_12 Depth=1
	v_and_b32_e32 v8, s21, v8
	v_or_b32_e32 v9, s20, v9
	s_mov_b32 s9, 0
	s_mov_b32 s19, 8
.LBB135_125:                            ;   in Loop: Header=BB135_12 Depth=1
	s_or_saveexec_b32 s18, s18
	v_mov_b32_e32 v2, v16
	v_dual_mov_b32 v6, s19 :: v_dual_mov_b32 v3, v17
	s_xor_b32 exec_lo, exec_lo, s18
; %bb.126:                              ;   in Loop: Header=BB135_12 Depth=1
	v_sub_co_u32 v2, vcc_lo, v16, s10
	v_subrev_co_ci_u32_e32 v3, vcc_lo, s11, v17, vcc_lo
	v_mov_b32_e32 v6, 0
	s_or_b32 s9, s9, exec_lo
; %bb.127:                              ;   in Loop: Header=BB135_12 Depth=1
	s_or_b32 exec_lo, exec_lo, s18
	s_delay_alu instid0(SALU_CYCLE_1)
	s_and_b32 s24, s9, exec_lo
.LBB135_128:                            ;   in Loop: Header=BB135_12 Depth=1
	s_or_b32 exec_lo, exec_lo, s8
	s_mov_b32 s25, -1
                                        ; implicit-def: $sgpr9
                                        ; implicit-def: $sgpr18
                                        ; implicit-def: $sgpr19
	s_and_saveexec_b32 s8, s24
	s_delay_alu instid0(SALU_CYCLE_1)
	s_xor_b32 s24, exec_lo, s8
	s_cbranch_execz .LBB135_277
; %bb.129:                              ;   in Loop: Header=BB135_12 Depth=1
	v_cmp_eq_u64_e32 vcc_lo, 1, v[2:3]
	s_cmp_eq_u64 s[12:13], 1
                                        ; implicit-def: $sgpr25
                                        ; implicit-def: $sgpr68
                                        ; implicit-def: $sgpr67
	s_cselect_b32 s8, -1, 0
	s_delay_alu instid0(SALU_CYCLE_1)
	s_and_b32 s70, s8, vcc_lo
	s_mov_b32 s8, -1
	s_and_saveexec_b32 s69, s70
	s_cbranch_execz .LBB135_163
; %bb.130:                              ;   in Loop: Header=BB135_12 Depth=1
	ds_load_b64 v[4:5], v13 offset:5120
	s_waitcnt lgkmcnt(0)
	s_barrier
	buffer_gl0_inv
	v_readfirstlane_b32 s18, v4
	v_readfirstlane_b32 s19, v5
	s_and_saveexec_b32 s8, s6
	s_cbranch_execz .LBB135_132
; %bb.131:                              ;   in Loop: Header=BB135_12 Depth=1
	ds_store_b8 v0, v13 offset:3072
.LBB135_132:                            ;   in Loop: Header=BB135_12 Depth=1
	s_or_b32 exec_lo, exec_lo, s8
	s_lshl_b32 s8, 1, s22
	v_or_b32_e32 v9, s20, v9
	v_and_or_b32 v8, v8, s21, s8
	s_cmp_eq_u64 s[18:19], 0
	s_waitcnt lgkmcnt(0)
	s_barrier
	buffer_gl0_inv
	s_cbranch_scc1 .LBB135_146
; %bb.133:                              ;   in Loop: Header=BB135_12 Depth=1
	s_add_u32 s25, s74, s18
	s_addc_u32 s9, s75, s19
	s_mov_b32 s8, s61
	s_delay_alu instid0(SALU_CYCLE_1)
	s_cmp_lg_u64 s[8:9], 0
	s_cbranch_scc0 .LBB135_190
; %bb.134:                              ;   in Loop: Header=BB135_12 Depth=1
	v_cvt_f32_u32_e32 v4, s33
	s_sub_u32 s67, 0, s33
	s_subb_u32 s68, 0, 0
	s_delay_alu instid0(VALU_DEP_1) | instskip(NEXT) | instid1(VALU_DEP_1)
	v_fmac_f32_e64 v4, 0, 0x4f800000
	v_rcp_f32_e32 v4, v4
	s_waitcnt_depctr 0xfff
	v_mul_f32_e32 v4, 0x5f7ffffc, v4
	s_delay_alu instid0(VALU_DEP_1) | instskip(NEXT) | instid1(VALU_DEP_1)
	v_mul_f32_e32 v5, 0x2f800000, v4
	v_trunc_f32_e32 v5, v5
	s_delay_alu instid0(VALU_DEP_1) | instskip(SKIP_1) | instid1(VALU_DEP_2)
	v_fmac_f32_e32 v4, 0xcf800000, v5
	v_cvt_u32_f32_e32 v5, v5
	v_cvt_u32_f32_e32 v4, v4
	s_delay_alu instid0(VALU_DEP_2) | instskip(NEXT) | instid1(VALU_DEP_2)
	v_readfirstlane_b32 s8, v5
	v_readfirstlane_b32 s26, v4
	s_delay_alu instid0(VALU_DEP_2) | instskip(NEXT) | instid1(VALU_DEP_1)
	s_mul_i32 s71, s67, s8
	s_mul_hi_u32 s73, s67, s26
	s_mul_i32 s72, s68, s26
	s_add_i32 s71, s73, s71
	s_mul_i32 s95, s67, s26
	s_add_i32 s71, s71, s72
	s_mul_hi_u32 s73, s26, s95
	s_mul_hi_u32 s96, s8, s95
	s_mul_i32 s72, s8, s95
	s_mul_hi_u32 s95, s26, s71
	s_mul_i32 s26, s26, s71
	s_mul_hi_u32 s97, s8, s71
	s_add_u32 s26, s73, s26
	s_addc_u32 s73, 0, s95
	s_add_u32 s26, s26, s72
	s_mul_i32 s71, s8, s71
	s_addc_u32 s26, s73, s96
	s_addc_u32 s72, s97, 0
	s_add_u32 s26, s26, s71
	s_addc_u32 s71, 0, s72
	v_add_co_u32 v4, s26, v4, s26
	s_delay_alu instid0(VALU_DEP_1) | instskip(SKIP_1) | instid1(VALU_DEP_1)
	s_cmp_lg_u32 s26, 0
	s_addc_u32 s8, s8, s71
	v_readfirstlane_b32 s26, v4
	s_mul_i32 s71, s67, s8
	s_delay_alu instid0(VALU_DEP_1)
	s_mul_hi_u32 s72, s67, s26
	s_mul_i32 s68, s68, s26
	s_add_i32 s71, s72, s71
	s_mul_i32 s67, s67, s26
	s_add_i32 s71, s71, s68
	s_mul_hi_u32 s72, s8, s67
	s_mul_i32 s73, s8, s67
	s_mul_hi_u32 s67, s26, s67
	s_mul_hi_u32 s95, s26, s71
	s_mul_i32 s26, s26, s71
	s_mul_hi_u32 s68, s8, s71
	s_add_u32 s26, s67, s26
	s_addc_u32 s67, 0, s95
	s_add_u32 s26, s26, s73
	s_mul_i32 s71, s8, s71
	s_addc_u32 s26, s67, s72
	s_addc_u32 s67, s68, 0
	s_add_u32 s26, s26, s71
	s_addc_u32 s67, 0, s67
	v_add_co_u32 v4, s26, v4, s26
	s_delay_alu instid0(VALU_DEP_1) | instskip(SKIP_1) | instid1(VALU_DEP_1)
	s_cmp_lg_u32 s26, 0
	s_addc_u32 s8, s8, s67
	v_readfirstlane_b32 s26, v4
	s_mul_i32 s68, s25, s8
	s_mul_hi_u32 s67, s25, s8
	s_mul_hi_u32 s71, s9, s8
	s_mul_i32 s8, s9, s8
	s_mul_hi_u32 s72, s25, s26
	s_mul_hi_u32 s73, s9, s26
	s_mul_i32 s26, s9, s26
	s_add_u32 s68, s72, s68
	s_addc_u32 s67, 0, s67
	s_add_u32 s26, s68, s26
	s_addc_u32 s26, s67, s73
	s_addc_u32 s67, s71, 0
	s_add_u32 s8, s26, s8
	s_addc_u32 s26, 0, s67
	s_mul_hi_u32 s67, s33, s8
	s_mul_i32 s8, s33, s8
	s_mul_i32 s26, s33, s26
	v_sub_co_u32 v4, s8, s25, s8
	s_add_i32 s67, s67, s26
	s_cmp_lg_u32 s8, 0
	s_delay_alu instid0(VALU_DEP_1) | instskip(SKIP_2) | instid1(VALU_DEP_1)
	v_sub_co_u32 v5, s8, v4, s33
	s_subb_u32 s26, s9, s67
	s_cmp_lg_u32 s8, 0
	v_cmp_le_u32_e32 vcc_lo, s33, v5
	v_sub_co_u32 v6, s8, v5, s33
	s_subb_u32 s67, s26, 0
	s_cmp_lg_u32 s8, 0
	v_cndmask_b32_e64 v7, 0, -1, vcc_lo
	s_subb_u32 s8, s67, 0
	s_cmp_eq_u32 s67, 0
	v_mov_b32_e32 v18, s8
	s_cselect_b32 vcc_lo, -1, 0
	s_cmp_eq_u32 s26, 0
	v_cndmask_b32_e32 v7, -1, v7, vcc_lo
	v_cmp_le_u32_e32 vcc_lo, s33, v4
	s_cselect_b32 s8, -1, 0
	v_cndmask_b32_e64 v12, 0, -1, vcc_lo
	s_delay_alu instid0(VALU_DEP_3) | instskip(NEXT) | instid1(VALU_DEP_2)
	v_cmp_ne_u32_e32 vcc_lo, 0, v7
	v_cndmask_b32_e64 v7, -1, v12, s8
	v_cndmask_b32_e32 v12, s67, v18, vcc_lo
	v_cndmask_b32_e32 v6, v5, v6, vcc_lo
	s_delay_alu instid0(VALU_DEP_3) | instskip(NEXT) | instid1(VALU_DEP_3)
	v_cmp_ne_u32_e32 vcc_lo, 0, v7
	v_cndmask_b32_e32 v5, s26, v12, vcc_lo
	s_delay_alu instid0(VALU_DEP_3)
	v_cndmask_b32_e32 v4, v4, v6, vcc_lo
	s_cbranch_execnz .LBB135_136
.LBB135_135:                            ;   in Loop: Header=BB135_12 Depth=1
	v_cvt_f32_u32_e32 v4, s33
	s_sub_i32 s8, 0, s33
	s_delay_alu instid0(VALU_DEP_1) | instskip(SKIP_2) | instid1(VALU_DEP_1)
	v_rcp_iflag_f32_e32 v4, v4
	s_waitcnt_depctr 0xfff
	v_mul_f32_e32 v4, 0x4f7ffffe, v4
	v_cvt_u32_f32_e32 v4, v4
	s_delay_alu instid0(VALU_DEP_1) | instskip(NEXT) | instid1(VALU_DEP_1)
	v_mul_lo_u32 v5, s8, v4
	v_mul_hi_u32 v5, v4, v5
	s_delay_alu instid0(VALU_DEP_1) | instskip(NEXT) | instid1(VALU_DEP_1)
	v_add_nc_u32_e32 v4, v4, v5
	v_mul_hi_u32 v4, s25, v4
	s_delay_alu instid0(VALU_DEP_1) | instskip(NEXT) | instid1(VALU_DEP_1)
	v_mul_lo_u32 v4, v4, s33
	v_sub_nc_u32_e32 v4, s25, v4
	s_delay_alu instid0(VALU_DEP_1) | instskip(SKIP_1) | instid1(VALU_DEP_2)
	v_subrev_nc_u32_e32 v5, s33, v4
	v_cmp_le_u32_e32 vcc_lo, s33, v4
	v_cndmask_b32_e32 v4, v4, v5, vcc_lo
	s_delay_alu instid0(VALU_DEP_1) | instskip(SKIP_1) | instid1(VALU_DEP_2)
	v_subrev_nc_u32_e32 v5, s33, v4
	v_cmp_le_u32_e32 vcc_lo, s33, v4
	v_cndmask_b32_e32 v12, v4, v5, vcc_lo
	s_delay_alu instid0(VALU_DEP_1)
	v_dual_mov_b32 v4, v12 :: v_dual_mov_b32 v5, v13
.LBB135_136:                            ;   in Loop: Header=BB135_12 Depth=1
	s_delay_alu instid0(VALU_DEP_1) | instskip(NEXT) | instid1(VALU_DEP_2)
	v_sub_co_u32 v4, vcc_lo, s25, v4
	v_sub_co_ci_u32_e32 v5, vcc_lo, s9, v5, vcc_lo
	s_mov_b32 s8, 0
	s_mov_b32 s9, exec_lo
                                        ; implicit-def: $vgpr18
	s_delay_alu instid0(VALU_DEP_1)
	v_cmpx_gt_u64_e64 v[4:5], v[0:1]
	s_cbranch_execz .LBB135_148
; %bb.137:                              ;   in Loop: Header=BB135_12 Depth=1
	v_dual_mov_b32 v12, v0 :: v_dual_mov_b32 v7, v1
	v_mov_b32_e32 v6, v0
	s_mov_b32 s25, 0
                                        ; implicit-def: $sgpr26
	s_set_inst_prefetch_distance 0x1
	s_branch .LBB135_139
	.p2align	6
.LBB135_138:                            ;   in Loop: Header=BB135_139 Depth=2
	s_or_b32 exec_lo, exec_lo, s8
	s_waitcnt lgkmcnt(0)
	s_barrier
	buffer_gl0_inv
	ds_load_u16 v18, v13 offset:3072
	v_add_co_u32 v6, vcc_lo, v6, s33
	v_add_co_ci_u32_e32 v7, vcc_lo, 0, v7, vcc_lo
	v_add_nc_u32_e32 v12, s33, v12
	s_waitcnt lgkmcnt(0)
	s_barrier
	s_delay_alu instid0(VALU_DEP_2) | instskip(SKIP_2) | instid1(VALU_DEP_1)
	v_cmp_ge_u64_e32 vcc_lo, v[6:7], v[4:5]
	buffer_gl0_inv
	v_and_b32_e32 v19, 0xff, v18
	v_cmp_ne_u16_e64 s8, 0, v19
	s_delay_alu instid0(VALU_DEP_1) | instskip(NEXT) | instid1(SALU_CYCLE_1)
	s_or_b32 s67, vcc_lo, s8
	s_and_b32 s67, exec_lo, s67
	s_delay_alu instid0(SALU_CYCLE_1) | instskip(SKIP_2) | instid1(SALU_CYCLE_1)
	s_or_b32 s25, s67, s25
	s_and_not1_b32 s26, s26, exec_lo
	s_and_b32 s8, s8, exec_lo
	s_or_b32 s26, s26, s8
	s_and_not1_b32 exec_lo, exec_lo, s25
	s_cbranch_execz .LBB135_147
.LBB135_139:                            ;   Parent Loop BB135_12 Depth=1
                                        ; =>  This Inner Loop Header: Depth=2
	s_delay_alu instid0(VALU_DEP_1)
	v_cmp_gt_u64_e32 vcc_lo, s[18:19], v[6:7]
	v_mov_b32_e32 v18, 0
	s_and_saveexec_b32 s8, vcc_lo
	s_cbranch_execz .LBB135_141
; %bb.140:                              ;   in Loop: Header=BB135_139 Depth=2
	ds_load_u8 v18, v12
.LBB135_141:                            ;   in Loop: Header=BB135_139 Depth=2
	s_or_b32 exec_lo, exec_lo, s8
	s_and_saveexec_b32 s8, vcc_lo
	s_cbranch_execz .LBB135_138
; %bb.142:                              ;   in Loop: Header=BB135_139 Depth=2
	s_waitcnt lgkmcnt(0)
	v_bfe_i32 v19, v18, 0, 8
	s_delay_alu instid0(VALU_DEP_1) | instskip(NEXT) | instid1(VALU_DEP_1)
	v_add_nc_u32_e32 v19, 0x80, v19
	v_and_b32_e32 v19, v19, v9
	s_delay_alu instid0(VALU_DEP_1)
	v_cmp_eq_u32_e32 vcc_lo, v19, v8
	s_and_b32 exec_lo, exec_lo, vcc_lo
	s_cbranch_execz .LBB135_138
; %bb.143:                              ;   in Loop: Header=BB135_139 Depth=2
	v_lshlrev_b16 v18, 8, v18
	s_delay_alu instid0(VALU_DEP_1)
	v_or_b32_e32 v18, 1, v18
	ds_store_b16 v13, v18 offset:3072
	s_branch .LBB135_138
.LBB135_144:                            ;   in Loop: Header=BB135_12 Depth=1
                                        ; implicit-def: $vgpr2_vgpr3
	s_branch .LBB135_89
.LBB135_145:                            ;   in Loop: Header=BB135_12 Depth=1
                                        ; implicit-def: $vgpr2_vgpr3
	s_branch .LBB135_105
.LBB135_146:                            ;   in Loop: Header=BB135_12 Depth=1
	s_mov_b32 s25, -1
	s_mov_b32 s8, 0
                                        ; implicit-def: $sgpr67
                                        ; implicit-def: $vgpr18
	s_mov_b32 s68, s25
	s_cbranch_execnz .LBB135_149
	s_branch .LBB135_162
.LBB135_147:                            ;   in Loop: Header=BB135_12 Depth=1
	s_set_inst_prefetch_distance 0x2
	s_or_b32 exec_lo, exec_lo, s25
	v_lshrrev_b16 v18, 8, v18
	s_and_b32 s8, s26, exec_lo
.LBB135_148:                            ;   in Loop: Header=BB135_12 Depth=1
	s_or_b32 exec_lo, exec_lo, s9
	s_mov_b32 s67, -1
	s_mov_b32 s25, 0
	s_delay_alu instid0(SALU_CYCLE_1)
	s_mov_b32 s68, s25
	s_branch .LBB135_162
.LBB135_149:                            ;   in Loop: Header=BB135_12 Depth=1
	s_mov_b32 s26, s61
	s_delay_alu instid0(SALU_CYCLE_1)
	s_cmp_lg_u64 s[26:27], 0
	s_cbranch_scc0 .LBB135_191
; %bb.150:                              ;   in Loop: Header=BB135_12 Depth=1
	v_cvt_f32_u32_e32 v4, s33
	s_sub_u32 s18, 0, s33
	s_subb_u32 s19, 0, 0
	s_delay_alu instid0(VALU_DEP_1) | instskip(NEXT) | instid1(VALU_DEP_1)
	v_fmac_f32_e64 v4, 0, 0x4f800000
	v_rcp_f32_e32 v4, v4
	s_waitcnt_depctr 0xfff
	v_mul_f32_e32 v4, 0x5f7ffffc, v4
	s_delay_alu instid0(VALU_DEP_1) | instskip(NEXT) | instid1(VALU_DEP_1)
	v_mul_f32_e32 v5, 0x2f800000, v4
	v_trunc_f32_e32 v5, v5
	s_delay_alu instid0(VALU_DEP_1) | instskip(SKIP_1) | instid1(VALU_DEP_2)
	v_fmac_f32_e32 v4, 0xcf800000, v5
	v_cvt_u32_f32_e32 v5, v5
	v_cvt_u32_f32_e32 v4, v4
	s_delay_alu instid0(VALU_DEP_2) | instskip(NEXT) | instid1(VALU_DEP_2)
	v_readfirstlane_b32 s8, v5
	v_readfirstlane_b32 s9, v4
	s_delay_alu instid0(VALU_DEP_2) | instskip(NEXT) | instid1(VALU_DEP_1)
	s_mul_i32 s25, s18, s8
	s_mul_hi_u32 s67, s18, s9
	s_mul_i32 s26, s19, s9
	s_add_i32 s25, s67, s25
	s_mul_i32 s68, s18, s9
	s_add_i32 s25, s25, s26
	s_mul_hi_u32 s67, s9, s68
	s_mul_hi_u32 s71, s8, s68
	s_mul_i32 s26, s8, s68
	s_mul_hi_u32 s68, s9, s25
	s_mul_i32 s9, s9, s25
	s_mul_hi_u32 s72, s8, s25
	s_add_u32 s9, s67, s9
	s_addc_u32 s67, 0, s68
	s_add_u32 s9, s9, s26
	s_mul_i32 s25, s8, s25
	s_addc_u32 s9, s67, s71
	s_addc_u32 s26, s72, 0
	s_add_u32 s9, s9, s25
	s_addc_u32 s25, 0, s26
	v_add_co_u32 v4, s9, v4, s9
	s_delay_alu instid0(VALU_DEP_1) | instskip(SKIP_1) | instid1(VALU_DEP_1)
	s_cmp_lg_u32 s9, 0
	s_addc_u32 s8, s8, s25
	v_readfirstlane_b32 s9, v4
	s_mul_i32 s25, s18, s8
	s_delay_alu instid0(VALU_DEP_1)
	s_mul_hi_u32 s26, s18, s9
	s_mul_i32 s19, s19, s9
	s_add_i32 s25, s26, s25
	s_mul_i32 s18, s18, s9
	s_add_i32 s25, s25, s19
	s_mul_hi_u32 s26, s8, s18
	s_mul_i32 s67, s8, s18
	s_mul_hi_u32 s18, s9, s18
	s_mul_hi_u32 s68, s9, s25
	s_mul_i32 s9, s9, s25
	s_mul_hi_u32 s19, s8, s25
	s_add_u32 s9, s18, s9
	s_addc_u32 s18, 0, s68
	s_add_u32 s9, s9, s67
	s_mul_i32 s25, s8, s25
	s_addc_u32 s9, s18, s26
	s_addc_u32 s18, s19, 0
	s_add_u32 s9, s9, s25
	s_addc_u32 s18, 0, s18
	v_add_co_u32 v4, s9, v4, s9
	s_delay_alu instid0(VALU_DEP_1) | instskip(SKIP_1) | instid1(VALU_DEP_1)
	s_cmp_lg_u32 s9, 0
	s_addc_u32 s8, s8, s18
	v_readfirstlane_b32 s9, v4
	s_mul_i32 s19, s76, s8
	s_mul_hi_u32 s18, s76, s8
	s_mul_hi_u32 s25, s27, s8
	s_mul_i32 s8, s27, s8
	s_mul_hi_u32 s26, s76, s9
	s_mul_hi_u32 s67, s27, s9
	s_mul_i32 s9, s27, s9
	s_add_u32 s19, s26, s19
	s_addc_u32 s18, 0, s18
	s_add_u32 s9, s19, s9
	s_addc_u32 s9, s18, s67
	s_addc_u32 s18, s25, 0
	s_add_u32 s8, s9, s8
	s_addc_u32 s9, 0, s18
	s_mul_hi_u32 s18, s33, s8
	s_mul_i32 s8, s33, s8
	s_mul_i32 s9, s33, s9
	v_sub_co_u32 v4, s8, s76, s8
	s_add_i32 s18, s18, s9
	s_cmp_lg_u32 s8, 0
	s_delay_alu instid0(VALU_DEP_1) | instskip(SKIP_2) | instid1(VALU_DEP_1)
	v_sub_co_u32 v5, s8, v4, s33
	s_subb_u32 s9, s27, s18
	s_cmp_lg_u32 s8, 0
	v_cmp_le_u32_e32 vcc_lo, s33, v5
	v_sub_co_u32 v6, s8, v5, s33
	s_subb_u32 s18, s9, 0
	s_cmp_lg_u32 s8, 0
	v_cndmask_b32_e64 v7, 0, -1, vcc_lo
	s_subb_u32 s8, s18, 0
	s_cmp_eq_u32 s18, 0
	v_mov_b32_e32 v18, s8
	s_cselect_b32 vcc_lo, -1, 0
	s_cmp_eq_u32 s9, 0
	v_cndmask_b32_e32 v7, -1, v7, vcc_lo
	v_cmp_le_u32_e32 vcc_lo, s33, v4
	s_cselect_b32 s8, -1, 0
	v_cndmask_b32_e64 v12, 0, -1, vcc_lo
	s_delay_alu instid0(VALU_DEP_3) | instskip(NEXT) | instid1(VALU_DEP_2)
	v_cmp_ne_u32_e32 vcc_lo, 0, v7
	v_cndmask_b32_e64 v7, -1, v12, s8
	v_cndmask_b32_e32 v12, s18, v18, vcc_lo
	v_cndmask_b32_e32 v6, v5, v6, vcc_lo
	s_delay_alu instid0(VALU_DEP_3) | instskip(NEXT) | instid1(VALU_DEP_3)
	v_cmp_ne_u32_e32 vcc_lo, 0, v7
	v_cndmask_b32_e32 v5, s9, v12, vcc_lo
	s_delay_alu instid0(VALU_DEP_3)
	v_cndmask_b32_e32 v4, v4, v6, vcc_lo
	s_cbranch_execnz .LBB135_152
.LBB135_151:                            ;   in Loop: Header=BB135_12 Depth=1
	v_cvt_f32_u32_e32 v4, s33
	s_sub_i32 s8, 0, s33
	s_delay_alu instid0(VALU_DEP_1) | instskip(SKIP_2) | instid1(VALU_DEP_1)
	v_rcp_iflag_f32_e32 v4, v4
	s_waitcnt_depctr 0xfff
	v_mul_f32_e32 v4, 0x4f7ffffe, v4
	v_cvt_u32_f32_e32 v4, v4
	s_delay_alu instid0(VALU_DEP_1) | instskip(NEXT) | instid1(VALU_DEP_1)
	v_mul_lo_u32 v5, s8, v4
	v_mul_hi_u32 v5, v4, v5
	s_delay_alu instid0(VALU_DEP_1) | instskip(NEXT) | instid1(VALU_DEP_1)
	v_add_nc_u32_e32 v4, v4, v5
	v_mul_hi_u32 v4, s76, v4
	s_delay_alu instid0(VALU_DEP_1) | instskip(NEXT) | instid1(VALU_DEP_1)
	v_mul_lo_u32 v4, v4, s33
	v_sub_nc_u32_e32 v4, s76, v4
	s_delay_alu instid0(VALU_DEP_1) | instskip(SKIP_1) | instid1(VALU_DEP_2)
	v_subrev_nc_u32_e32 v5, s33, v4
	v_cmp_le_u32_e32 vcc_lo, s33, v4
	v_cndmask_b32_e32 v4, v4, v5, vcc_lo
	s_delay_alu instid0(VALU_DEP_1) | instskip(SKIP_1) | instid1(VALU_DEP_2)
	v_subrev_nc_u32_e32 v5, s33, v4
	v_cmp_le_u32_e32 vcc_lo, s33, v4
	v_cndmask_b32_e32 v12, v4, v5, vcc_lo
	s_delay_alu instid0(VALU_DEP_1)
	v_dual_mov_b32 v4, v12 :: v_dual_mov_b32 v5, v13
.LBB135_152:                            ;   in Loop: Header=BB135_12 Depth=1
	s_delay_alu instid0(VALU_DEP_1) | instskip(NEXT) | instid1(VALU_DEP_2)
	v_sub_co_u32 v4, vcc_lo, s76, v4
	v_sub_co_ci_u32_e32 v5, vcc_lo, s27, v5, vcc_lo
	s_mov_b32 s8, 0
	s_mov_b32 s9, exec_lo
                                        ; implicit-def: $vgpr18
	s_delay_alu instid0(VALU_DEP_1)
	v_cmpx_gt_u64_e64 v[4:5], v[0:1]
	s_cbranch_execz .LBB135_161
; %bb.153:                              ;   in Loop: Header=BB135_12 Depth=1
	v_dual_mov_b32 v7, v1 :: v_dual_mov_b32 v6, v0
	s_mov_b32 s18, 0
                                        ; implicit-def: $sgpr19
	s_branch .LBB135_155
.LBB135_154:                            ;   in Loop: Header=BB135_155 Depth=2
	s_or_b32 exec_lo, exec_lo, s8
	s_waitcnt vmcnt(0) lgkmcnt(0)
	s_barrier
	buffer_gl0_inv
	ds_load_u16 v12, v13 offset:3072
	v_add_co_u32 v6, vcc_lo, v6, s33
	v_add_co_ci_u32_e32 v7, vcc_lo, 0, v7, vcc_lo
	s_waitcnt lgkmcnt(0)
	s_barrier
	buffer_gl0_inv
	v_cmp_ge_u64_e32 vcc_lo, v[6:7], v[4:5]
	v_and_b32_e32 v18, 0xff, v12
	s_delay_alu instid0(VALU_DEP_1) | instskip(NEXT) | instid1(VALU_DEP_1)
	v_cmp_ne_u16_e64 s8, 0, v18
	s_or_b32 s25, vcc_lo, s8
	s_delay_alu instid0(SALU_CYCLE_1) | instskip(NEXT) | instid1(SALU_CYCLE_1)
	s_and_b32 s25, exec_lo, s25
	s_or_b32 s18, s25, s18
	s_and_not1_b32 s19, s19, exec_lo
	s_and_b32 s8, s8, exec_lo
	s_delay_alu instid0(SALU_CYCLE_1)
	s_or_b32 s19, s19, s8
	s_and_not1_b32 exec_lo, exec_lo, s18
	s_cbranch_execz .LBB135_160
.LBB135_155:                            ;   Parent Loop BB135_12 Depth=1
                                        ; =>  This Inner Loop Header: Depth=2
	s_delay_alu instid0(VALU_DEP_1)
	v_cmp_gt_u64_e32 vcc_lo, s[36:37], v[6:7]
	v_mov_b32_e32 v12, 0
	s_and_saveexec_b32 s8, vcc_lo
	s_cbranch_execz .LBB135_157
; %bb.156:                              ;   in Loop: Header=BB135_155 Depth=2
	v_mad_u64_u32 v[18:19], null, v6, s30, s[28:29]
	v_mul_lo_u32 v12, v6, s31
	v_mul_lo_u32 v20, v7, s30
	s_delay_alu instid0(VALU_DEP_1)
	v_add3_u32 v19, v20, v19, v12
	global_load_u8 v12, v[18:19], off
.LBB135_157:                            ;   in Loop: Header=BB135_155 Depth=2
	s_or_b32 exec_lo, exec_lo, s8
	s_and_saveexec_b32 s8, vcc_lo
	s_cbranch_execz .LBB135_154
; %bb.158:                              ;   in Loop: Header=BB135_155 Depth=2
	s_waitcnt vmcnt(0)
	v_bfe_i32 v18, v12, 0, 8
	s_delay_alu instid0(VALU_DEP_1) | instskip(NEXT) | instid1(VALU_DEP_1)
	v_add_nc_u32_e32 v18, 0x80, v18
	v_and_b32_e32 v18, v18, v9
	s_delay_alu instid0(VALU_DEP_1)
	v_cmp_eq_u32_e32 vcc_lo, v18, v8
	s_and_b32 exec_lo, exec_lo, vcc_lo
	s_cbranch_execz .LBB135_154
; %bb.159:                              ;   in Loop: Header=BB135_155 Depth=2
	v_lshlrev_b16 v12, 8, v12
	s_delay_alu instid0(VALU_DEP_1)
	v_or_b32_e32 v12, 1, v12
	ds_store_b16 v13, v12 offset:3072
	s_branch .LBB135_154
.LBB135_160:                            ;   in Loop: Header=BB135_12 Depth=1
	s_or_b32 exec_lo, exec_lo, s18
	v_lshrrev_b16 v18, 8, v12
	s_and_b32 s8, s19, exec_lo
.LBB135_161:                            ;   in Loop: Header=BB135_12 Depth=1
	s_or_b32 exec_lo, exec_lo, s9
	s_mov_b32 s68, -1
	s_mov_b32 s25, 0
	s_mov_b32 s67, 0
.LBB135_162:                            ;   in Loop: Header=BB135_12 Depth=1
	s_or_not1_b32 s8, s8, exec_lo
.LBB135_163:                            ;   in Loop: Header=BB135_12 Depth=1
	s_or_b32 exec_lo, exec_lo, s69
	s_mov_b32 s26, 0
                                        ; implicit-def: $vgpr6
	s_and_saveexec_b32 s69, s8
	s_cbranch_execz .LBB135_276
; %bb.164:                              ;   in Loop: Header=BB135_12 Depth=1
	v_mov_b32_e32 v4, 1
	v_dual_mov_b32 v5, 0 :: v_dual_mov_b32 v6, 1
	s_xor_b32 s9, s70, -1
	s_delay_alu instid0(SALU_CYCLE_1)
	s_and_saveexec_b32 s8, s9
	s_cbranch_execz .LBB135_174
; %bb.165:                              ;   in Loop: Header=BB135_12 Depth=1
	s_mov_b32 s18, exec_lo
                                        ; implicit-def: $sgpr19
                                        ; implicit-def: $sgpr9
	v_cmpx_ge_u64_e64 s[12:13], v[2:3]
	s_xor_b32 s18, exec_lo, s18
	s_cbranch_execz .LBB135_171
; %bb.166:                              ;   in Loop: Header=BB135_12 Depth=1
	ds_load_b64 v[4:5], v13 offset:5120
	s_waitcnt lgkmcnt(0)
	v_cmp_ne_u64_e32 vcc_lo, 0, v[4:5]
	s_cbranch_vccnz .LBB135_170
; %bb.167:                              ;   in Loop: Header=BB135_12 Depth=1
	s_and_saveexec_b32 s9, s5
	s_cbranch_execz .LBB135_169
; %bb.168:                              ;   in Loop: Header=BB135_12 Depth=1
	v_dual_mov_b32 v4, s12 :: v_dual_mov_b32 v5, s13
	ds_store_b64 v13, v[4:5] offset:5128
.LBB135_169:                            ;   in Loop: Header=BB135_12 Depth=1
	s_or_b32 exec_lo, exec_lo, s9
	s_waitcnt lgkmcnt(0)
	s_barrier
	buffer_gl0_inv
.LBB135_170:                            ;   in Loop: Header=BB135_12 Depth=1
	s_lshl_b32 s9, 1, s22
	v_or_b32_e32 v9, s20, v9
	v_and_or_b32 v8, v8, s21, s9
	s_mov_b32 s9, 0
	s_mov_b32 s19, 8
.LBB135_171:                            ;   in Loop: Header=BB135_12 Depth=1
	s_or_saveexec_b32 s18, s18
	v_mov_b32_e32 v6, s19
	s_xor_b32 exec_lo, exec_lo, s18
; %bb.172:                              ;   in Loop: Header=BB135_12 Depth=1
	v_sub_co_u32 v2, vcc_lo, v2, s12
	v_subrev_co_ci_u32_e32 v3, vcc_lo, s13, v3, vcc_lo
	v_mov_b32_e32 v6, 0
	s_or_b32 s9, s9, exec_lo
; %bb.173:                              ;   in Loop: Header=BB135_12 Depth=1
	s_or_b32 exec_lo, exec_lo, s18
	s_delay_alu instid0(VALU_DEP_2)
	v_dual_mov_b32 v5, v3 :: v_dual_mov_b32 v4, v2
	s_and_b32 s26, s9, exec_lo
.LBB135_174:                            ;   in Loop: Header=BB135_12 Depth=1
	s_or_b32 exec_lo, exec_lo, s8
	s_mov_b32 s8, -1
                                        ; implicit-def: $sgpr9
                                        ; implicit-def: $sgpr18
                                        ; implicit-def: $sgpr19
	s_and_saveexec_b32 s70, s26
	s_cbranch_execz .LBB135_275
; %bb.175:                              ;   in Loop: Header=BB135_12 Depth=1
	v_cmp_eq_u64_e32 vcc_lo, 1, v[4:5]
	s_cmp_eq_u64 s[14:15], 1
                                        ; implicit-def: $sgpr71
                                        ; implicit-def: $sgpr73
                                        ; implicit-def: $sgpr72
	s_cselect_b32 s8, -1, 0
	s_delay_alu instid0(SALU_CYCLE_1)
	s_and_b32 s96, s8, vcc_lo
	s_mov_b32 s8, -1
	s_and_saveexec_b32 s95, s96
	s_cbranch_execz .LBB135_209
; %bb.176:                              ;   in Loop: Header=BB135_12 Depth=1
	ds_load_b64 v[2:3], v13 offset:5120
	s_waitcnt lgkmcnt(0)
	s_barrier
	buffer_gl0_inv
	v_readfirstlane_b32 s18, v2
	v_readfirstlane_b32 s19, v3
	s_and_saveexec_b32 s8, s6
	s_cbranch_execz .LBB135_178
; %bb.177:                              ;   in Loop: Header=BB135_12 Depth=1
	ds_store_b8 v0, v13 offset:3072
.LBB135_178:                            ;   in Loop: Header=BB135_12 Depth=1
	s_or_b32 exec_lo, exec_lo, s8
	s_lshl_b32 s8, 2, s22
	v_or_b32_e32 v9, s20, v9
	v_and_or_b32 v8, v8, s21, s8
	s_cmp_eq_u64 s[18:19], 0
	s_waitcnt lgkmcnt(0)
	s_barrier
	buffer_gl0_inv
	s_cbranch_scc1 .LBB135_192
; %bb.179:                              ;   in Loop: Header=BB135_12 Depth=1
	s_add_u32 s26, s74, s18
	s_addc_u32 s9, s75, s19
	s_mov_b32 s8, s61
	s_mov_b64 s[56:57], s[102:103]
	s_cmp_lg_u64 s[8:9], 0
	s_cbranch_scc0 .LBB135_227
; %bb.180:                              ;   in Loop: Header=BB135_12 Depth=1
	v_cvt_f32_u32_e32 v2, s33
	s_sub_u32 s72, 0, s33
	s_subb_u32 s73, 0, 0
	s_delay_alu instid0(VALU_DEP_1) | instskip(NEXT) | instid1(VALU_DEP_1)
	v_fmac_f32_e64 v2, 0, 0x4f800000
	v_rcp_f32_e32 v2, v2
	s_waitcnt_depctr 0xfff
	v_mul_f32_e32 v2, 0x5f7ffffc, v2
	s_delay_alu instid0(VALU_DEP_1) | instskip(NEXT) | instid1(VALU_DEP_1)
	v_mul_f32_e32 v3, 0x2f800000, v2
	v_trunc_f32_e32 v3, v3
	s_delay_alu instid0(VALU_DEP_1) | instskip(SKIP_1) | instid1(VALU_DEP_2)
	v_fmac_f32_e32 v2, 0xcf800000, v3
	v_cvt_u32_f32_e32 v3, v3
	v_cvt_u32_f32_e32 v2, v2
	s_delay_alu instid0(VALU_DEP_2) | instskip(NEXT) | instid1(VALU_DEP_2)
	v_readfirstlane_b32 s8, v3
	v_readfirstlane_b32 s71, v2
	s_delay_alu instid0(VALU_DEP_2) | instskip(NEXT) | instid1(VALU_DEP_1)
	s_mul_i32 s97, s72, s8
	s_mul_hi_u32 s99, s72, s71
	s_mul_i32 s98, s73, s71
	s_add_i32 s97, s99, s97
	s_mul_i32 s100, s72, s71
	s_add_i32 s97, s97, s98
	s_mul_hi_u32 s99, s71, s100
	s_mul_hi_u32 s101, s8, s100
	s_mul_i32 s98, s8, s100
	s_mul_hi_u32 s100, s71, s97
	s_mul_i32 s71, s71, s97
	s_mul_hi_u32 s102, s8, s97
	s_add_u32 s71, s99, s71
	s_addc_u32 s99, 0, s100
	s_add_u32 s71, s71, s98
	s_mul_i32 s97, s8, s97
	s_addc_u32 s71, s99, s101
	s_addc_u32 s98, s102, 0
	s_add_u32 s71, s71, s97
	s_addc_u32 s97, 0, s98
	v_add_co_u32 v2, s71, v2, s71
	s_delay_alu instid0(VALU_DEP_1) | instskip(SKIP_1) | instid1(VALU_DEP_1)
	s_cmp_lg_u32 s71, 0
	s_addc_u32 s8, s8, s97
	v_readfirstlane_b32 s71, v2
	s_mul_i32 s97, s72, s8
	s_delay_alu instid0(VALU_DEP_1)
	s_mul_hi_u32 s98, s72, s71
	s_mul_i32 s73, s73, s71
	s_add_i32 s97, s98, s97
	s_mul_i32 s72, s72, s71
	s_add_i32 s97, s97, s73
	s_mul_hi_u32 s98, s8, s72
	s_mul_i32 s99, s8, s72
	s_mul_hi_u32 s72, s71, s72
	s_mul_hi_u32 s100, s71, s97
	s_mul_i32 s71, s71, s97
	s_mul_hi_u32 s73, s8, s97
	s_add_u32 s71, s72, s71
	s_addc_u32 s72, 0, s100
	s_add_u32 s71, s71, s99
	s_mul_i32 s97, s8, s97
	s_addc_u32 s71, s72, s98
	s_addc_u32 s72, s73, 0
	s_add_u32 s71, s71, s97
	s_addc_u32 s72, 0, s72
	v_add_co_u32 v2, s71, v2, s71
	s_delay_alu instid0(VALU_DEP_1) | instskip(SKIP_1) | instid1(VALU_DEP_1)
	s_cmp_lg_u32 s71, 0
	s_addc_u32 s8, s8, s72
	v_readfirstlane_b32 s71, v2
	s_mul_i32 s73, s26, s8
	s_mul_hi_u32 s72, s26, s8
	s_mul_hi_u32 s97, s9, s8
	s_mul_i32 s8, s9, s8
	s_mul_hi_u32 s98, s26, s71
	s_mul_hi_u32 s99, s9, s71
	s_mul_i32 s71, s9, s71
	s_add_u32 s73, s98, s73
	s_addc_u32 s72, 0, s72
	s_add_u32 s71, s73, s71
	s_addc_u32 s71, s72, s99
	s_addc_u32 s72, s97, 0
	s_add_u32 s8, s71, s8
	s_addc_u32 s71, 0, s72
	s_mul_hi_u32 s72, s33, s8
	s_mul_i32 s8, s33, s8
	s_mul_i32 s71, s33, s71
	v_sub_co_u32 v2, s8, s26, s8
	s_add_i32 s72, s72, s71
	s_cmp_lg_u32 s8, 0
	s_delay_alu instid0(VALU_DEP_1) | instskip(SKIP_2) | instid1(VALU_DEP_1)
	v_sub_co_u32 v3, s8, v2, s33
	s_subb_u32 s71, s9, s72
	s_cmp_lg_u32 s8, 0
	v_cmp_le_u32_e32 vcc_lo, s33, v3
	v_sub_co_u32 v6, s8, v3, s33
	s_subb_u32 s72, s71, 0
	s_cmp_lg_u32 s8, 0
	v_cndmask_b32_e64 v7, 0, -1, vcc_lo
	s_subb_u32 s8, s72, 0
	s_cmp_eq_u32 s72, 0
	v_mov_b32_e32 v18, s8
	s_cselect_b32 vcc_lo, -1, 0
	s_cmp_eq_u32 s71, 0
	v_cndmask_b32_e32 v7, -1, v7, vcc_lo
	v_cmp_le_u32_e32 vcc_lo, s33, v2
	s_cselect_b32 s8, -1, 0
	v_cndmask_b32_e64 v12, 0, -1, vcc_lo
	s_delay_alu instid0(VALU_DEP_3) | instskip(NEXT) | instid1(VALU_DEP_2)
	v_cmp_ne_u32_e32 vcc_lo, 0, v7
	v_cndmask_b32_e64 v7, -1, v12, s8
	v_cndmask_b32_e32 v12, s72, v18, vcc_lo
	v_cndmask_b32_e32 v6, v3, v6, vcc_lo
	s_delay_alu instid0(VALU_DEP_3) | instskip(NEXT) | instid1(VALU_DEP_3)
	v_cmp_ne_u32_e32 vcc_lo, 0, v7
	v_cndmask_b32_e32 v3, s71, v12, vcc_lo
	s_delay_alu instid0(VALU_DEP_3)
	v_cndmask_b32_e32 v2, v2, v6, vcc_lo
	s_cbranch_execnz .LBB135_182
.LBB135_181:                            ;   in Loop: Header=BB135_12 Depth=1
	v_cvt_f32_u32_e32 v2, s33
	s_sub_i32 s8, 0, s33
	s_delay_alu instid0(VALU_DEP_1) | instskip(SKIP_2) | instid1(VALU_DEP_1)
	v_rcp_iflag_f32_e32 v2, v2
	s_waitcnt_depctr 0xfff
	v_mul_f32_e32 v2, 0x4f7ffffe, v2
	v_cvt_u32_f32_e32 v2, v2
	s_delay_alu instid0(VALU_DEP_1) | instskip(NEXT) | instid1(VALU_DEP_1)
	v_mul_lo_u32 v3, s8, v2
	v_mul_hi_u32 v3, v2, v3
	s_delay_alu instid0(VALU_DEP_1) | instskip(NEXT) | instid1(VALU_DEP_1)
	v_add_nc_u32_e32 v2, v2, v3
	v_mul_hi_u32 v2, s26, v2
	s_delay_alu instid0(VALU_DEP_1) | instskip(NEXT) | instid1(VALU_DEP_1)
	v_mul_lo_u32 v2, v2, s33
	v_sub_nc_u32_e32 v2, s26, v2
	s_delay_alu instid0(VALU_DEP_1) | instskip(SKIP_1) | instid1(VALU_DEP_2)
	v_subrev_nc_u32_e32 v3, s33, v2
	v_cmp_le_u32_e32 vcc_lo, s33, v2
	v_cndmask_b32_e32 v2, v2, v3, vcc_lo
	s_delay_alu instid0(VALU_DEP_1) | instskip(SKIP_1) | instid1(VALU_DEP_2)
	v_subrev_nc_u32_e32 v3, s33, v2
	v_cmp_le_u32_e32 vcc_lo, s33, v2
	v_cndmask_b32_e32 v12, v2, v3, vcc_lo
	s_delay_alu instid0(VALU_DEP_1)
	v_dual_mov_b32 v2, v12 :: v_dual_mov_b32 v3, v13
.LBB135_182:                            ;   in Loop: Header=BB135_12 Depth=1
	s_delay_alu instid0(VALU_DEP_1) | instskip(NEXT) | instid1(VALU_DEP_2)
	v_sub_co_u32 v2, vcc_lo, s26, v2
	v_sub_co_ci_u32_e32 v3, vcc_lo, s9, v3, vcc_lo
	s_mov_b32 s8, 0
	s_mov_b32 s9, exec_lo
                                        ; implicit-def: $vgpr18
	s_delay_alu instid0(VALU_DEP_1)
	v_cmpx_gt_u64_e64 v[2:3], v[0:1]
	s_mov_b64 s[102:103], s[56:57]
	s_cbranch_execz .LBB135_194
; %bb.183:                              ;   in Loop: Header=BB135_12 Depth=1
	v_dual_mov_b32 v12, v0 :: v_dual_mov_b32 v7, v1
	v_mov_b32_e32 v6, v0
	s_mov_b32 s26, 0
                                        ; implicit-def: $sgpr71
	s_set_inst_prefetch_distance 0x1
	s_branch .LBB135_185
	.p2align	6
.LBB135_184:                            ;   in Loop: Header=BB135_185 Depth=2
	s_or_b32 exec_lo, exec_lo, s8
	s_waitcnt lgkmcnt(0)
	s_barrier
	buffer_gl0_inv
	ds_load_u16 v18, v13 offset:3072
	v_add_co_u32 v6, vcc_lo, v6, s33
	v_add_co_ci_u32_e32 v7, vcc_lo, 0, v7, vcc_lo
	v_add_nc_u32_e32 v12, s33, v12
	s_waitcnt lgkmcnt(0)
	s_barrier
	s_delay_alu instid0(VALU_DEP_2) | instskip(SKIP_2) | instid1(VALU_DEP_1)
	v_cmp_ge_u64_e32 vcc_lo, v[6:7], v[2:3]
	buffer_gl0_inv
	v_and_b32_e32 v19, 0xff, v18
	v_cmp_ne_u16_e64 s8, 0, v19
	s_delay_alu instid0(VALU_DEP_1) | instskip(NEXT) | instid1(SALU_CYCLE_1)
	s_or_b32 s72, vcc_lo, s8
	s_and_b32 s72, exec_lo, s72
	s_delay_alu instid0(SALU_CYCLE_1) | instskip(SKIP_2) | instid1(SALU_CYCLE_1)
	s_or_b32 s26, s72, s26
	s_and_not1_b32 s71, s71, exec_lo
	s_and_b32 s8, s8, exec_lo
	s_or_b32 s71, s71, s8
	s_and_not1_b32 exec_lo, exec_lo, s26
	s_cbranch_execz .LBB135_193
.LBB135_185:                            ;   Parent Loop BB135_12 Depth=1
                                        ; =>  This Inner Loop Header: Depth=2
	s_delay_alu instid0(VALU_DEP_1)
	v_cmp_gt_u64_e32 vcc_lo, s[18:19], v[6:7]
	v_mov_b32_e32 v18, 0
	s_and_saveexec_b32 s8, vcc_lo
	s_cbranch_execz .LBB135_187
; %bb.186:                              ;   in Loop: Header=BB135_185 Depth=2
	ds_load_u8 v18, v12
.LBB135_187:                            ;   in Loop: Header=BB135_185 Depth=2
	s_or_b32 exec_lo, exec_lo, s8
	s_and_saveexec_b32 s8, vcc_lo
	s_cbranch_execz .LBB135_184
; %bb.188:                              ;   in Loop: Header=BB135_185 Depth=2
	s_waitcnt lgkmcnt(0)
	v_bfe_i32 v19, v18, 0, 8
	s_delay_alu instid0(VALU_DEP_1) | instskip(NEXT) | instid1(VALU_DEP_1)
	v_add_nc_u32_e32 v19, 0x80, v19
	v_and_b32_e32 v19, v19, v9
	s_delay_alu instid0(VALU_DEP_1)
	v_cmp_eq_u32_e32 vcc_lo, v19, v8
	s_and_b32 exec_lo, exec_lo, vcc_lo
	s_cbranch_execz .LBB135_184
; %bb.189:                              ;   in Loop: Header=BB135_185 Depth=2
	v_lshlrev_b16 v18, 8, v18
	s_delay_alu instid0(VALU_DEP_1)
	v_or_b32_e32 v18, 1, v18
	ds_store_b16 v13, v18 offset:3072
	s_branch .LBB135_184
.LBB135_190:                            ;   in Loop: Header=BB135_12 Depth=1
                                        ; implicit-def: $vgpr4_vgpr5
	s_branch .LBB135_135
.LBB135_191:                            ;   in Loop: Header=BB135_12 Depth=1
                                        ; implicit-def: $vgpr4_vgpr5
	s_branch .LBB135_151
.LBB135_192:                            ;   in Loop: Header=BB135_12 Depth=1
	s_mov_b32 s71, -1
	s_mov_b32 s8, 0
                                        ; implicit-def: $sgpr72
                                        ; implicit-def: $vgpr18
	s_mov_b32 s73, s71
	s_cbranch_execnz .LBB135_195
	s_branch .LBB135_208
.LBB135_193:                            ;   in Loop: Header=BB135_12 Depth=1
	s_set_inst_prefetch_distance 0x2
	s_or_b32 exec_lo, exec_lo, s26
	v_lshrrev_b16 v18, 8, v18
	s_and_b32 s8, s71, exec_lo
.LBB135_194:                            ;   in Loop: Header=BB135_12 Depth=1
	s_or_b32 exec_lo, exec_lo, s9
	s_mov_b32 s72, -1
	s_mov_b32 s71, 0
	s_delay_alu instid0(SALU_CYCLE_1)
	s_mov_b32 s73, s71
	s_branch .LBB135_208
.LBB135_195:                            ;   in Loop: Header=BB135_12 Depth=1
	s_mov_b32 s26, s61
	s_delay_alu instid0(SALU_CYCLE_1)
	s_cmp_lg_u64 s[26:27], 0
	s_cbranch_scc0 .LBB135_228
; %bb.196:                              ;   in Loop: Header=BB135_12 Depth=1
	v_cvt_f32_u32_e32 v2, s33
	s_sub_u32 s18, 0, s33
	s_subb_u32 s19, 0, 0
	s_delay_alu instid0(VALU_DEP_1) | instskip(NEXT) | instid1(VALU_DEP_1)
	v_fmac_f32_e64 v2, 0, 0x4f800000
	v_rcp_f32_e32 v2, v2
	s_waitcnt_depctr 0xfff
	v_mul_f32_e32 v2, 0x5f7ffffc, v2
	s_delay_alu instid0(VALU_DEP_1) | instskip(NEXT) | instid1(VALU_DEP_1)
	v_mul_f32_e32 v3, 0x2f800000, v2
	v_trunc_f32_e32 v3, v3
	s_delay_alu instid0(VALU_DEP_1) | instskip(SKIP_1) | instid1(VALU_DEP_2)
	v_fmac_f32_e32 v2, 0xcf800000, v3
	v_cvt_u32_f32_e32 v3, v3
	v_cvt_u32_f32_e32 v2, v2
	s_delay_alu instid0(VALU_DEP_2) | instskip(NEXT) | instid1(VALU_DEP_2)
	v_readfirstlane_b32 s8, v3
	v_readfirstlane_b32 s9, v2
	s_delay_alu instid0(VALU_DEP_2) | instskip(NEXT) | instid1(VALU_DEP_1)
	s_mul_i32 s26, s18, s8
	s_mul_hi_u32 s72, s18, s9
	s_mul_i32 s71, s19, s9
	s_add_i32 s26, s72, s26
	s_mul_i32 s73, s18, s9
	s_add_i32 s26, s26, s71
	s_mul_hi_u32 s72, s9, s73
	s_mul_hi_u32 s97, s8, s73
	s_mul_i32 s71, s8, s73
	s_mul_hi_u32 s73, s9, s26
	s_mul_i32 s9, s9, s26
	s_mul_hi_u32 s98, s8, s26
	s_add_u32 s9, s72, s9
	s_addc_u32 s72, 0, s73
	s_add_u32 s9, s9, s71
	s_mul_i32 s26, s8, s26
	s_addc_u32 s9, s72, s97
	s_addc_u32 s71, s98, 0
	s_add_u32 s9, s9, s26
	s_addc_u32 s26, 0, s71
	v_add_co_u32 v2, s9, v2, s9
	s_delay_alu instid0(VALU_DEP_1) | instskip(SKIP_1) | instid1(VALU_DEP_1)
	s_cmp_lg_u32 s9, 0
	s_addc_u32 s8, s8, s26
	v_readfirstlane_b32 s9, v2
	s_mul_i32 s26, s18, s8
	s_delay_alu instid0(VALU_DEP_1)
	s_mul_hi_u32 s71, s18, s9
	s_mul_i32 s19, s19, s9
	s_add_i32 s26, s71, s26
	s_mul_i32 s18, s18, s9
	s_add_i32 s26, s26, s19
	s_mul_hi_u32 s71, s8, s18
	s_mul_i32 s72, s8, s18
	s_mul_hi_u32 s18, s9, s18
	s_mul_hi_u32 s73, s9, s26
	s_mul_i32 s9, s9, s26
	s_mul_hi_u32 s19, s8, s26
	s_add_u32 s9, s18, s9
	s_addc_u32 s18, 0, s73
	s_add_u32 s9, s9, s72
	s_mul_i32 s26, s8, s26
	s_addc_u32 s9, s18, s71
	s_addc_u32 s18, s19, 0
	s_add_u32 s9, s9, s26
	s_addc_u32 s18, 0, s18
	v_add_co_u32 v2, s9, v2, s9
	s_delay_alu instid0(VALU_DEP_1) | instskip(SKIP_1) | instid1(VALU_DEP_1)
	s_cmp_lg_u32 s9, 0
	s_addc_u32 s8, s8, s18
	v_readfirstlane_b32 s9, v2
	s_mul_i32 s19, s76, s8
	s_mul_hi_u32 s18, s76, s8
	s_mul_hi_u32 s26, s27, s8
	s_mul_i32 s8, s27, s8
	s_mul_hi_u32 s71, s76, s9
	s_mul_hi_u32 s72, s27, s9
	s_mul_i32 s9, s27, s9
	s_add_u32 s19, s71, s19
	s_addc_u32 s18, 0, s18
	s_add_u32 s9, s19, s9
	s_addc_u32 s9, s18, s72
	s_addc_u32 s18, s26, 0
	s_add_u32 s8, s9, s8
	s_addc_u32 s9, 0, s18
	s_mul_hi_u32 s18, s33, s8
	s_mul_i32 s8, s33, s8
	s_mul_i32 s9, s33, s9
	v_sub_co_u32 v2, s8, s76, s8
	s_add_i32 s18, s18, s9
	s_cmp_lg_u32 s8, 0
	s_delay_alu instid0(VALU_DEP_1) | instskip(SKIP_2) | instid1(VALU_DEP_1)
	v_sub_co_u32 v3, s8, v2, s33
	s_subb_u32 s9, s27, s18
	s_cmp_lg_u32 s8, 0
	v_cmp_le_u32_e32 vcc_lo, s33, v3
	v_sub_co_u32 v6, s8, v3, s33
	s_subb_u32 s18, s9, 0
	s_cmp_lg_u32 s8, 0
	v_cndmask_b32_e64 v7, 0, -1, vcc_lo
	s_subb_u32 s8, s18, 0
	s_cmp_eq_u32 s18, 0
	v_mov_b32_e32 v18, s8
	s_cselect_b32 vcc_lo, -1, 0
	s_cmp_eq_u32 s9, 0
	v_cndmask_b32_e32 v7, -1, v7, vcc_lo
	v_cmp_le_u32_e32 vcc_lo, s33, v2
	s_cselect_b32 s8, -1, 0
	v_cndmask_b32_e64 v12, 0, -1, vcc_lo
	s_delay_alu instid0(VALU_DEP_3) | instskip(NEXT) | instid1(VALU_DEP_2)
	v_cmp_ne_u32_e32 vcc_lo, 0, v7
	v_cndmask_b32_e64 v7, -1, v12, s8
	v_cndmask_b32_e32 v12, s18, v18, vcc_lo
	v_cndmask_b32_e32 v6, v3, v6, vcc_lo
	s_delay_alu instid0(VALU_DEP_3) | instskip(NEXT) | instid1(VALU_DEP_3)
	v_cmp_ne_u32_e32 vcc_lo, 0, v7
	v_cndmask_b32_e32 v3, s9, v12, vcc_lo
	s_delay_alu instid0(VALU_DEP_3)
	v_cndmask_b32_e32 v2, v2, v6, vcc_lo
	s_cbranch_execnz .LBB135_198
.LBB135_197:                            ;   in Loop: Header=BB135_12 Depth=1
	v_cvt_f32_u32_e32 v2, s33
	s_sub_i32 s8, 0, s33
	s_delay_alu instid0(VALU_DEP_1) | instskip(SKIP_2) | instid1(VALU_DEP_1)
	v_rcp_iflag_f32_e32 v2, v2
	s_waitcnt_depctr 0xfff
	v_mul_f32_e32 v2, 0x4f7ffffe, v2
	v_cvt_u32_f32_e32 v2, v2
	s_delay_alu instid0(VALU_DEP_1) | instskip(NEXT) | instid1(VALU_DEP_1)
	v_mul_lo_u32 v3, s8, v2
	v_mul_hi_u32 v3, v2, v3
	s_delay_alu instid0(VALU_DEP_1) | instskip(NEXT) | instid1(VALU_DEP_1)
	v_add_nc_u32_e32 v2, v2, v3
	v_mul_hi_u32 v2, s76, v2
	s_delay_alu instid0(VALU_DEP_1) | instskip(NEXT) | instid1(VALU_DEP_1)
	v_mul_lo_u32 v2, v2, s33
	v_sub_nc_u32_e32 v2, s76, v2
	s_delay_alu instid0(VALU_DEP_1) | instskip(SKIP_1) | instid1(VALU_DEP_2)
	v_subrev_nc_u32_e32 v3, s33, v2
	v_cmp_le_u32_e32 vcc_lo, s33, v2
	v_cndmask_b32_e32 v2, v2, v3, vcc_lo
	s_delay_alu instid0(VALU_DEP_1) | instskip(SKIP_1) | instid1(VALU_DEP_2)
	v_subrev_nc_u32_e32 v3, s33, v2
	v_cmp_le_u32_e32 vcc_lo, s33, v2
	v_cndmask_b32_e32 v12, v2, v3, vcc_lo
	s_delay_alu instid0(VALU_DEP_1)
	v_dual_mov_b32 v2, v12 :: v_dual_mov_b32 v3, v13
.LBB135_198:                            ;   in Loop: Header=BB135_12 Depth=1
	s_delay_alu instid0(VALU_DEP_1) | instskip(NEXT) | instid1(VALU_DEP_2)
	v_sub_co_u32 v2, vcc_lo, s76, v2
	v_sub_co_ci_u32_e32 v3, vcc_lo, s27, v3, vcc_lo
	s_mov_b32 s8, 0
	s_mov_b32 s9, exec_lo
                                        ; implicit-def: $vgpr18
	s_delay_alu instid0(VALU_DEP_1)
	v_cmpx_gt_u64_e64 v[2:3], v[0:1]
	s_cbranch_execz .LBB135_207
; %bb.199:                              ;   in Loop: Header=BB135_12 Depth=1
	v_dual_mov_b32 v7, v1 :: v_dual_mov_b32 v6, v0
	s_mov_b32 s18, 0
                                        ; implicit-def: $sgpr19
	s_branch .LBB135_201
.LBB135_200:                            ;   in Loop: Header=BB135_201 Depth=2
	s_or_b32 exec_lo, exec_lo, s8
	s_waitcnt vmcnt(0) lgkmcnt(0)
	s_barrier
	buffer_gl0_inv
	ds_load_u16 v12, v13 offset:3072
	v_add_co_u32 v6, vcc_lo, v6, s33
	v_add_co_ci_u32_e32 v7, vcc_lo, 0, v7, vcc_lo
	s_waitcnt lgkmcnt(0)
	s_barrier
	buffer_gl0_inv
	v_cmp_ge_u64_e32 vcc_lo, v[6:7], v[2:3]
	v_and_b32_e32 v18, 0xff, v12
	s_delay_alu instid0(VALU_DEP_1) | instskip(NEXT) | instid1(VALU_DEP_1)
	v_cmp_ne_u16_e64 s8, 0, v18
	s_or_b32 s26, vcc_lo, s8
	s_delay_alu instid0(SALU_CYCLE_1) | instskip(NEXT) | instid1(SALU_CYCLE_1)
	s_and_b32 s26, exec_lo, s26
	s_or_b32 s18, s26, s18
	s_and_not1_b32 s19, s19, exec_lo
	s_and_b32 s8, s8, exec_lo
	s_delay_alu instid0(SALU_CYCLE_1)
	s_or_b32 s19, s19, s8
	s_and_not1_b32 exec_lo, exec_lo, s18
	s_cbranch_execz .LBB135_206
.LBB135_201:                            ;   Parent Loop BB135_12 Depth=1
                                        ; =>  This Inner Loop Header: Depth=2
	s_delay_alu instid0(VALU_DEP_1)
	v_cmp_gt_u64_e32 vcc_lo, s[36:37], v[6:7]
	v_mov_b32_e32 v12, 0
	s_and_saveexec_b32 s8, vcc_lo
	s_cbranch_execz .LBB135_203
; %bb.202:                              ;   in Loop: Header=BB135_201 Depth=2
	v_mad_u64_u32 v[18:19], null, v6, s30, s[28:29]
	v_mul_lo_u32 v12, v6, s31
	v_mul_lo_u32 v20, v7, s30
	s_delay_alu instid0(VALU_DEP_1)
	v_add3_u32 v19, v20, v19, v12
	global_load_u8 v12, v[18:19], off
.LBB135_203:                            ;   in Loop: Header=BB135_201 Depth=2
	s_or_b32 exec_lo, exec_lo, s8
	s_and_saveexec_b32 s8, vcc_lo
	s_cbranch_execz .LBB135_200
; %bb.204:                              ;   in Loop: Header=BB135_201 Depth=2
	s_waitcnt vmcnt(0)
	v_bfe_i32 v18, v12, 0, 8
	s_delay_alu instid0(VALU_DEP_1) | instskip(NEXT) | instid1(VALU_DEP_1)
	v_add_nc_u32_e32 v18, 0x80, v18
	v_and_b32_e32 v18, v18, v9
	s_delay_alu instid0(VALU_DEP_1)
	v_cmp_eq_u32_e32 vcc_lo, v18, v8
	s_and_b32 exec_lo, exec_lo, vcc_lo
	s_cbranch_execz .LBB135_200
; %bb.205:                              ;   in Loop: Header=BB135_201 Depth=2
	v_lshlrev_b16 v12, 8, v12
	s_delay_alu instid0(VALU_DEP_1)
	v_or_b32_e32 v12, 1, v12
	ds_store_b16 v13, v12 offset:3072
	s_branch .LBB135_200
.LBB135_206:                            ;   in Loop: Header=BB135_12 Depth=1
	s_or_b32 exec_lo, exec_lo, s18
	v_lshrrev_b16 v18, 8, v12
	s_and_b32 s8, s19, exec_lo
.LBB135_207:                            ;   in Loop: Header=BB135_12 Depth=1
	s_or_b32 exec_lo, exec_lo, s9
	s_mov_b32 s73, -1
	s_mov_b32 s71, 0
	s_mov_b32 s72, 0
.LBB135_208:                            ;   in Loop: Header=BB135_12 Depth=1
	s_or_not1_b32 s8, s8, exec_lo
.LBB135_209:                            ;   in Loop: Header=BB135_12 Depth=1
	s_or_b32 exec_lo, exec_lo, s95
	s_mov_b32 s26, 0
                                        ; implicit-def: $vgpr6
	s_and_saveexec_b32 s95, s8
	s_cbranch_execz .LBB135_274
; %bb.210:                              ;   in Loop: Header=BB135_12 Depth=1
	v_mov_b32_e32 v2, 1
	v_dual_mov_b32 v3, 0 :: v_dual_mov_b32 v6, 1
	s_xor_b32 s9, s96, -1
	s_delay_alu instid0(SALU_CYCLE_1)
	s_and_saveexec_b32 s8, s9
	s_cbranch_execz .LBB135_220
; %bb.211:                              ;   in Loop: Header=BB135_12 Depth=1
	s_mov_b32 s18, exec_lo
                                        ; implicit-def: $sgpr19
                                        ; implicit-def: $sgpr9
	v_cmpx_ge_u64_e64 s[14:15], v[4:5]
	s_xor_b32 s18, exec_lo, s18
	s_cbranch_execz .LBB135_217
; %bb.212:                              ;   in Loop: Header=BB135_12 Depth=1
	ds_load_b64 v[2:3], v13 offset:5120
	s_waitcnt lgkmcnt(0)
	v_cmp_ne_u64_e32 vcc_lo, 0, v[2:3]
	s_cbranch_vccnz .LBB135_216
; %bb.213:                              ;   in Loop: Header=BB135_12 Depth=1
	s_and_saveexec_b32 s9, s5
	s_cbranch_execz .LBB135_215
; %bb.214:                              ;   in Loop: Header=BB135_12 Depth=1
	v_dual_mov_b32 v2, s14 :: v_dual_mov_b32 v3, s15
	ds_store_b64 v13, v[2:3] offset:5128
.LBB135_215:                            ;   in Loop: Header=BB135_12 Depth=1
	s_or_b32 exec_lo, exec_lo, s9
	s_waitcnt lgkmcnt(0)
	s_barrier
	buffer_gl0_inv
.LBB135_216:                            ;   in Loop: Header=BB135_12 Depth=1
	s_lshl_b32 s9, 2, s22
	v_or_b32_e32 v9, s20, v9
	v_and_or_b32 v8, v8, s21, s9
	s_mov_b32 s9, 0
	s_mov_b32 s19, 8
.LBB135_217:                            ;   in Loop: Header=BB135_12 Depth=1
	s_or_saveexec_b32 s18, s18
	v_mov_b32_e32 v6, s19
	s_xor_b32 exec_lo, exec_lo, s18
; %bb.218:                              ;   in Loop: Header=BB135_12 Depth=1
	v_sub_co_u32 v4, vcc_lo, v4, s14
	v_subrev_co_ci_u32_e32 v5, vcc_lo, s15, v5, vcc_lo
	v_mov_b32_e32 v6, 0
	s_or_b32 s9, s9, exec_lo
; %bb.219:                              ;   in Loop: Header=BB135_12 Depth=1
	s_or_b32 exec_lo, exec_lo, s18
	s_delay_alu instid0(VALU_DEP_2)
	v_dual_mov_b32 v2, v4 :: v_dual_mov_b32 v3, v5
	s_and_b32 s26, s9, exec_lo
.LBB135_220:                            ;   in Loop: Header=BB135_12 Depth=1
	s_or_b32 exec_lo, exec_lo, s8
	s_mov_b32 s19, -1
                                        ; implicit-def: $sgpr8
                                        ; implicit-def: $sgpr18
                                        ; implicit-def: $sgpr9
	s_and_saveexec_b32 s96, s26
	s_cbranch_execz .LBB135_273
; %bb.221:                              ;   in Loop: Header=BB135_12 Depth=1
	v_cmp_eq_u64_e32 vcc_lo, 1, v[2:3]
	s_cmp_eq_u64 s[16:17], 1
	s_mov_b32 s26, -1
	s_cselect_b32 s8, -1, 0
                                        ; implicit-def: $sgpr18
                                        ; implicit-def: $sgpr9
	s_delay_alu instid0(SALU_CYCLE_1) | instskip(NEXT) | instid1(SALU_CYCLE_1)
	s_and_b32 s97, s8, vcc_lo
                                        ; implicit-def: $sgpr8
	s_and_saveexec_b32 s98, s97
	s_cbranch_execz .LBB135_260
; %bb.222:                              ;   in Loop: Header=BB135_12 Depth=1
	ds_load_b64 v[4:5], v13 offset:5120
	s_waitcnt lgkmcnt(0)
	s_barrier
	buffer_gl0_inv
	v_readfirstlane_b32 s18, v4
	v_readfirstlane_b32 s19, v5
	s_and_saveexec_b32 s8, s6
	s_cbranch_execz .LBB135_224
; %bb.223:                              ;   in Loop: Header=BB135_12 Depth=1
	ds_store_b8 v0, v13 offset:3072
.LBB135_224:                            ;   in Loop: Header=BB135_12 Depth=1
	s_or_b32 exec_lo, exec_lo, s8
	v_or_b32_e32 v8, s20, v8
	v_or_b32_e32 v9, s20, v9
	s_cmp_eq_u64 s[18:19], 0
	s_waitcnt lgkmcnt(0)
	s_barrier
	buffer_gl0_inv
	s_cbranch_scc1 .LBB135_229
; %bb.225:                              ;   in Loop: Header=BB135_12 Depth=1
	s_add_u32 s26, s74, s18
	s_addc_u32 s9, s75, s19
	s_mov_b32 s8, s61
	s_mov_b64 s[46:47], s[42:43]
	s_mov_b64 s[44:45], s[40:41]
	;; [unrolled: 1-line block ×4, first 2 shown]
	s_cmp_lg_u64 s[8:9], 0
	s_cbranch_scc0 .LBB135_230
; %bb.226:                              ;   in Loop: Header=BB135_12 Depth=1
	v_cvt_f32_u32_e32 v4, s33
	s_sub_u32 s100, 0, s33
	s_subb_u32 s101, 0, 0
	s_delay_alu instid0(VALU_DEP_1) | instskip(NEXT) | instid1(VALU_DEP_1)
	v_fmac_f32_e64 v4, 0, 0x4f800000
	v_rcp_f32_e32 v4, v4
	s_waitcnt_depctr 0xfff
	v_mul_f32_e32 v4, 0x5f7ffffc, v4
	s_delay_alu instid0(VALU_DEP_1) | instskip(NEXT) | instid1(VALU_DEP_1)
	v_mul_f32_e32 v5, 0x2f800000, v4
	v_trunc_f32_e32 v5, v5
	s_delay_alu instid0(VALU_DEP_1) | instskip(SKIP_1) | instid1(VALU_DEP_2)
	v_fmac_f32_e32 v4, 0xcf800000, v5
	v_cvt_u32_f32_e32 v5, v5
	v_cvt_u32_f32_e32 v4, v4
	s_delay_alu instid0(VALU_DEP_2) | instskip(NEXT) | instid1(VALU_DEP_2)
	v_readfirstlane_b32 s8, v5
	v_readfirstlane_b32 s99, v4
	s_delay_alu instid0(VALU_DEP_2) | instskip(NEXT) | instid1(VALU_DEP_1)
	s_mul_i32 s102, s100, s8
	s_mul_hi_u32 s104, s100, s99
	s_mul_i32 s103, s101, s99
	s_add_i32 s102, s104, s102
	s_mul_i32 vcc_lo, s100, s99
	s_add_i32 s102, s102, s103
	s_mul_hi_u32 s104, s99, vcc_lo
	s_mul_hi_u32 vcc_hi, s8, vcc_lo
	s_mul_i32 s103, s8, vcc_lo
	s_mul_hi_u32 vcc_lo, s99, s102
	s_mul_i32 s99, s99, s102
	s_mul_hi_u32 s56, s8, s102
	s_add_u32 s99, s104, s99
	s_mul_i32 s57, s8, s102
	s_addc_u32 s102, 0, vcc_lo
	s_add_u32 s99, s99, s103
	s_addc_u32 s99, s102, vcc_hi
	s_addc_u32 s56, s56, 0
	s_add_u32 s57, s99, s57
	s_addc_u32 s56, 0, s56
	v_add_co_u32 v4, s57, v4, s57
	s_delay_alu instid0(VALU_DEP_1) | instskip(SKIP_1) | instid1(VALU_DEP_1)
	s_cmp_lg_u32 s57, 0
	s_addc_u32 s8, s8, s56
	v_readfirstlane_b32 s57, v4
	s_mul_i32 s56, s100, s8
	s_delay_alu instid0(VALU_DEP_1)
	s_mul_hi_u32 s99, s100, s57
	s_mul_i32 s101, s101, s57
	s_add_i32 s56, s99, s56
	s_mul_i32 s100, s100, s57
	s_add_i32 s56, s56, s101
	s_mul_hi_u32 s99, s8, s100
	s_mul_i32 s102, s8, s100
	s_mul_hi_u32 s100, s57, s100
	s_mul_hi_u32 s103, s57, s56
	s_mul_i32 s57, s57, s56
	s_mul_hi_u32 s101, s8, s56
	s_add_u32 s57, s100, s57
	s_addc_u32 s100, 0, s103
	s_add_u32 s57, s57, s102
	s_mul_i32 s56, s8, s56
	s_addc_u32 s57, s100, s99
	s_addc_u32 s99, s101, 0
	s_add_u32 s56, s57, s56
	s_addc_u32 s57, 0, s99
	v_add_co_u32 v4, s56, v4, s56
	s_delay_alu instid0(VALU_DEP_1) | instskip(SKIP_1) | instid1(VALU_DEP_1)
	s_cmp_lg_u32 s56, 0
	s_addc_u32 s8, s8, s57
	v_readfirstlane_b32 s56, v4
	s_mul_i32 s99, s26, s8
	s_mul_hi_u32 s57, s26, s8
	s_mul_hi_u32 s100, s9, s8
	s_mul_i32 s8, s9, s8
	s_mul_hi_u32 s101, s26, s56
	s_mul_hi_u32 s102, s9, s56
	s_mul_i32 s56, s9, s56
	s_add_u32 s99, s101, s99
	s_addc_u32 s57, 0, s57
	s_add_u32 s56, s99, s56
	s_addc_u32 s56, s57, s102
	s_addc_u32 s57, s100, 0
	s_add_u32 s8, s56, s8
	s_addc_u32 s56, 0, s57
	s_mul_hi_u32 s57, s33, s8
	s_mul_i32 s8, s33, s8
	s_mul_i32 s56, s33, s56
	v_sub_co_u32 v4, s8, s26, s8
	s_add_i32 s57, s57, s56
	s_cmp_lg_u32 s8, 0
	s_delay_alu instid0(VALU_DEP_1) | instskip(SKIP_3) | instid1(VALU_DEP_2)
	v_sub_co_u32 v5, s8, v4, s33
	s_subb_u32 s56, s9, s57
	s_cmp_lg_u32 s8, 0
	v_cmp_le_u32_e32 vcc_lo, s33, v4
	v_cmp_le_u32_e64 s8, s33, v5
	v_sub_co_u32 v6, s57, v5, s33
	s_subb_u32 s99, s56, 0
	s_cmp_lg_u32 s57, 0
	s_delay_alu instid0(VALU_DEP_2)
	v_cndmask_b32_e64 v7, 0, -1, s8
	s_subb_u32 s57, s99, 0
	s_cmp_eq_u32 s99, 0
	v_mov_b32_e32 v18, s57
	v_cndmask_b32_e64 v12, 0, -1, vcc_lo
	s_cselect_b32 vcc_lo, -1, 0
	s_cmp_eq_u32 s56, 0
	v_cndmask_b32_e32 v7, -1, v7, vcc_lo
	s_cselect_b32 vcc_lo, -1, 0
	v_cndmask_b32_e32 v12, -1, v12, vcc_lo
	s_delay_alu instid0(VALU_DEP_2) | instskip(NEXT) | instid1(VALU_DEP_2)
	v_cmp_ne_u32_e32 vcc_lo, 0, v7
	v_cmp_ne_u32_e64 s8, 0, v12
	v_cndmask_b32_e32 v7, s99, v18, vcc_lo
	v_cndmask_b32_e32 v6, v5, v6, vcc_lo
	s_delay_alu instid0(VALU_DEP_2) | instskip(NEXT) | instid1(VALU_DEP_2)
	v_cndmask_b32_e64 v5, s56, v7, s8
	v_cndmask_b32_e64 v4, v4, v6, s8
	s_mov_b32 s8, 0
	s_branch .LBB135_231
.LBB135_227:                            ;   in Loop: Header=BB135_12 Depth=1
                                        ; implicit-def: $vgpr2_vgpr3
	s_branch .LBB135_181
.LBB135_228:                            ;   in Loop: Header=BB135_12 Depth=1
                                        ; implicit-def: $vgpr2_vgpr3
	s_branch .LBB135_197
.LBB135_229:                            ;   in Loop: Header=BB135_12 Depth=1
	s_mov_b32 s8, -1
	s_mov_b32 s26, 0
                                        ; implicit-def: $sgpr9
                                        ; implicit-def: $vgpr18
	s_branch .LBB135_243
.LBB135_230:                            ;   in Loop: Header=BB135_12 Depth=1
	s_mov_b32 s8, -1
                                        ; implicit-def: $vgpr4_vgpr5
.LBB135_231:                            ;   in Loop: Header=BB135_12 Depth=1
	s_delay_alu instid0(SALU_CYCLE_1)
	s_and_not1_b32 vcc_lo, exec_lo, s8
	s_cbranch_vccnz .LBB135_233
; %bb.232:                              ;   in Loop: Header=BB135_12 Depth=1
	v_cvt_f32_u32_e32 v4, s33
	s_sub_i32 s8, 0, s33
	s_delay_alu instid0(VALU_DEP_1) | instskip(SKIP_2) | instid1(VALU_DEP_1)
	v_rcp_iflag_f32_e32 v4, v4
	s_waitcnt_depctr 0xfff
	v_mul_f32_e32 v4, 0x4f7ffffe, v4
	v_cvt_u32_f32_e32 v4, v4
	s_delay_alu instid0(VALU_DEP_1) | instskip(NEXT) | instid1(VALU_DEP_1)
	v_mul_lo_u32 v5, s8, v4
	v_mul_hi_u32 v5, v4, v5
	s_delay_alu instid0(VALU_DEP_1) | instskip(NEXT) | instid1(VALU_DEP_1)
	v_add_nc_u32_e32 v4, v4, v5
	v_mul_hi_u32 v4, s26, v4
	s_delay_alu instid0(VALU_DEP_1) | instskip(NEXT) | instid1(VALU_DEP_1)
	v_mul_lo_u32 v4, v4, s33
	v_sub_nc_u32_e32 v4, s26, v4
	s_delay_alu instid0(VALU_DEP_1) | instskip(SKIP_1) | instid1(VALU_DEP_2)
	v_subrev_nc_u32_e32 v5, s33, v4
	v_cmp_le_u32_e32 vcc_lo, s33, v4
	v_cndmask_b32_e32 v4, v4, v5, vcc_lo
	s_delay_alu instid0(VALU_DEP_1) | instskip(SKIP_1) | instid1(VALU_DEP_2)
	v_subrev_nc_u32_e32 v5, s33, v4
	v_cmp_le_u32_e32 vcc_lo, s33, v4
	v_cndmask_b32_e32 v12, v4, v5, vcc_lo
	s_delay_alu instid0(VALU_DEP_1)
	v_dual_mov_b32 v4, v12 :: v_dual_mov_b32 v5, v13
.LBB135_233:                            ;   in Loop: Header=BB135_12 Depth=1
	s_delay_alu instid0(VALU_DEP_1) | instskip(NEXT) | instid1(VALU_DEP_2)
	v_sub_co_u32 v4, vcc_lo, s26, v4
	v_sub_co_ci_u32_e32 v5, vcc_lo, s9, v5, vcc_lo
	s_mov_b32 s26, 0
	s_mov_b32 s9, exec_lo
                                        ; implicit-def: $vgpr18
	s_delay_alu instid0(VALU_DEP_1)
	v_cmpx_gt_u64_e64 v[4:5], v[0:1]
	s_mov_b64 s[102:103], s[58:59]
	s_mov_b64 s[58:59], s[40:41]
	;; [unrolled: 1-line block ×4, first 2 shown]
	s_load_b128 s[44:47], s[0:1], 0x298
	s_cbranch_execz .LBB135_242
; %bb.234:                              ;   in Loop: Header=BB135_12 Depth=1
	v_dual_mov_b32 v12, v0 :: v_dual_mov_b32 v7, v1
	v_mov_b32_e32 v6, v0
                                        ; implicit-def: $sgpr99
	s_set_inst_prefetch_distance 0x1
	s_branch .LBB135_236
	.p2align	6
.LBB135_235:                            ;   in Loop: Header=BB135_236 Depth=2
	s_or_b32 exec_lo, exec_lo, s8
	s_waitcnt lgkmcnt(0)
	s_barrier
	buffer_gl0_inv
	ds_load_u16 v18, v13 offset:3072
	v_add_co_u32 v6, vcc_lo, v6, s33
	v_add_co_ci_u32_e32 v7, vcc_lo, 0, v7, vcc_lo
	v_add_nc_u32_e32 v12, s33, v12
	s_waitcnt lgkmcnt(0)
	s_barrier
	s_delay_alu instid0(VALU_DEP_2) | instskip(SKIP_2) | instid1(VALU_DEP_1)
	v_cmp_ge_u64_e32 vcc_lo, v[6:7], v[4:5]
	buffer_gl0_inv
	v_and_b32_e32 v19, 0xff, v18
	v_cmp_ne_u16_e64 s8, 0, v19
	s_delay_alu instid0(VALU_DEP_1) | instskip(NEXT) | instid1(SALU_CYCLE_1)
	s_or_b32 s56, vcc_lo, s8
	s_and_b32 s56, exec_lo, s56
	s_delay_alu instid0(SALU_CYCLE_1) | instskip(SKIP_2) | instid1(SALU_CYCLE_1)
	s_or_b32 s26, s56, s26
	s_and_not1_b32 s56, s99, exec_lo
	s_and_b32 s8, s8, exec_lo
	s_or_b32 s99, s56, s8
	s_and_not1_b32 exec_lo, exec_lo, s26
	s_cbranch_execz .LBB135_241
.LBB135_236:                            ;   Parent Loop BB135_12 Depth=1
                                        ; =>  This Inner Loop Header: Depth=2
	s_delay_alu instid0(VALU_DEP_1)
	v_cmp_gt_u64_e32 vcc_lo, s[18:19], v[6:7]
	v_mov_b32_e32 v18, 0
	s_and_saveexec_b32 s8, vcc_lo
	s_cbranch_execz .LBB135_238
; %bb.237:                              ;   in Loop: Header=BB135_236 Depth=2
	ds_load_u8 v18, v12
.LBB135_238:                            ;   in Loop: Header=BB135_236 Depth=2
	s_or_b32 exec_lo, exec_lo, s8
	s_and_saveexec_b32 s8, vcc_lo
	s_cbranch_execz .LBB135_235
; %bb.239:                              ;   in Loop: Header=BB135_236 Depth=2
	s_waitcnt lgkmcnt(0)
	v_bfe_i32 v19, v18, 0, 8
	s_delay_alu instid0(VALU_DEP_1) | instskip(NEXT) | instid1(VALU_DEP_1)
	v_add_nc_u32_e32 v19, 0x80, v19
	v_and_b32_e32 v19, v19, v9
	s_delay_alu instid0(VALU_DEP_1)
	v_cmp_eq_u32_e32 vcc_lo, v19, v8
	s_and_b32 exec_lo, exec_lo, vcc_lo
	s_cbranch_execz .LBB135_235
; %bb.240:                              ;   in Loop: Header=BB135_236 Depth=2
	v_lshlrev_b16 v18, 8, v18
	s_delay_alu instid0(VALU_DEP_1)
	v_or_b32_e32 v18, 1, v18
	ds_store_b16 v13, v18 offset:3072
	s_branch .LBB135_235
.LBB135_241:                            ;   in Loop: Header=BB135_12 Depth=1
	s_set_inst_prefetch_distance 0x2
	s_or_b32 exec_lo, exec_lo, s26
	v_lshrrev_b16 v18, 8, v18
	s_and_b32 s26, s99, exec_lo
.LBB135_242:                            ;   in Loop: Header=BB135_12 Depth=1
	s_or_b32 exec_lo, exec_lo, s9
	s_mov_b32 s9, -1
	s_mov_b32 s8, 0
.LBB135_243:                            ;   in Loop: Header=BB135_12 Depth=1
	s_delay_alu instid0(SALU_CYCLE_1)
	s_and_b32 vcc_lo, exec_lo, s8
	s_mov_b32 s18, s8
	s_cbranch_vccz .LBB135_259
; %bb.244:                              ;   in Loop: Header=BB135_12 Depth=1
	s_mov_b32 s26, s61
	s_delay_alu instid0(SALU_CYCLE_1)
	s_cmp_lg_u64 s[26:27], 0
	s_cbranch_scc0 .LBB135_246
; %bb.245:                              ;   in Loop: Header=BB135_12 Depth=1
	v_cvt_f32_u32_e32 v4, s33
	s_sub_u32 s18, 0, s33
	s_subb_u32 s19, 0, 0
	s_delay_alu instid0(VALU_DEP_1) | instskip(NEXT) | instid1(VALU_DEP_1)
	v_fmac_f32_e64 v4, 0, 0x4f800000
	v_rcp_f32_e32 v4, v4
	s_waitcnt_depctr 0xfff
	v_mul_f32_e32 v4, 0x5f7ffffc, v4
	s_delay_alu instid0(VALU_DEP_1) | instskip(NEXT) | instid1(VALU_DEP_1)
	v_mul_f32_e32 v5, 0x2f800000, v4
	v_trunc_f32_e32 v5, v5
	s_delay_alu instid0(VALU_DEP_1) | instskip(SKIP_1) | instid1(VALU_DEP_2)
	v_fmac_f32_e32 v4, 0xcf800000, v5
	v_cvt_u32_f32_e32 v5, v5
	v_cvt_u32_f32_e32 v4, v4
	s_delay_alu instid0(VALU_DEP_2) | instskip(NEXT) | instid1(VALU_DEP_2)
	v_readfirstlane_b32 s8, v5
	v_readfirstlane_b32 s9, v4
	s_delay_alu instid0(VALU_DEP_2) | instskip(NEXT) | instid1(VALU_DEP_1)
	s_mul_i32 s26, s18, s8
	s_mul_hi_u32 s57, s18, s9
	s_mul_i32 s56, s19, s9
	s_add_i32 s26, s57, s26
	s_mul_i32 s99, s18, s9
	s_add_i32 s26, s26, s56
	s_mul_hi_u32 s57, s9, s99
	s_mul_hi_u32 s100, s8, s99
	s_mul_i32 s56, s8, s99
	s_mul_hi_u32 s99, s9, s26
	s_mul_i32 s9, s9, s26
	s_mul_hi_u32 s101, s8, s26
	s_add_u32 s9, s57, s9
	s_addc_u32 s57, 0, s99
	s_add_u32 s9, s9, s56
	s_mul_i32 s26, s8, s26
	s_addc_u32 s9, s57, s100
	s_addc_u32 s56, s101, 0
	s_add_u32 s9, s9, s26
	s_addc_u32 s26, 0, s56
	v_add_co_u32 v4, s9, v4, s9
	s_delay_alu instid0(VALU_DEP_1) | instskip(SKIP_1) | instid1(VALU_DEP_1)
	s_cmp_lg_u32 s9, 0
	s_addc_u32 s8, s8, s26
	v_readfirstlane_b32 s9, v4
	s_mul_i32 s26, s18, s8
	s_delay_alu instid0(VALU_DEP_1)
	s_mul_hi_u32 s56, s18, s9
	s_mul_i32 s19, s19, s9
	s_add_i32 s26, s56, s26
	s_mul_i32 s18, s18, s9
	s_add_i32 s26, s26, s19
	s_mul_hi_u32 s56, s8, s18
	s_mul_i32 s57, s8, s18
	s_mul_hi_u32 s18, s9, s18
	s_mul_hi_u32 s99, s9, s26
	s_mul_i32 s9, s9, s26
	s_mul_hi_u32 s19, s8, s26
	s_add_u32 s9, s18, s9
	s_addc_u32 s18, 0, s99
	s_add_u32 s9, s9, s57
	s_mul_i32 s26, s8, s26
	s_addc_u32 s9, s18, s56
	s_addc_u32 s18, s19, 0
	s_add_u32 s9, s9, s26
	s_addc_u32 s18, 0, s18
	v_add_co_u32 v4, s9, v4, s9
	s_delay_alu instid0(VALU_DEP_1) | instskip(SKIP_1) | instid1(VALU_DEP_1)
	s_cmp_lg_u32 s9, 0
	s_addc_u32 s8, s8, s18
	v_readfirstlane_b32 s9, v4
	s_mul_i32 s19, s76, s8
	s_mul_hi_u32 s18, s76, s8
	s_mul_hi_u32 s26, s27, s8
	s_mul_i32 s8, s27, s8
	s_mul_hi_u32 s56, s76, s9
	s_mul_hi_u32 s57, s27, s9
	s_mul_i32 s9, s27, s9
	s_add_u32 s19, s56, s19
	s_addc_u32 s18, 0, s18
	s_add_u32 s9, s19, s9
	s_addc_u32 s9, s18, s57
	s_addc_u32 s18, s26, 0
	s_add_u32 s8, s9, s8
	s_addc_u32 s9, 0, s18
	s_mul_hi_u32 s18, s33, s8
	s_mul_i32 s8, s33, s8
	s_mul_i32 s9, s33, s9
	v_sub_co_u32 v4, s8, s76, s8
	s_add_i32 s18, s18, s9
	s_cmp_lg_u32 s8, 0
	s_delay_alu instid0(VALU_DEP_1) | instskip(SKIP_2) | instid1(VALU_DEP_1)
	v_sub_co_u32 v5, s8, v4, s33
	s_subb_u32 s9, s27, s18
	s_cmp_lg_u32 s8, 0
	v_cmp_le_u32_e32 vcc_lo, s33, v5
	v_sub_co_u32 v6, s8, v5, s33
	s_subb_u32 s18, s9, 0
	s_cmp_lg_u32 s8, 0
	v_cndmask_b32_e64 v7, 0, -1, vcc_lo
	s_subb_u32 s8, s18, 0
	s_cmp_eq_u32 s18, 0
	v_mov_b32_e32 v18, s8
	s_cselect_b32 vcc_lo, -1, 0
	s_cmp_eq_u32 s9, 0
	v_cndmask_b32_e32 v7, -1, v7, vcc_lo
	v_cmp_le_u32_e32 vcc_lo, s33, v4
	s_cselect_b32 s8, -1, 0
	v_cndmask_b32_e64 v12, 0, -1, vcc_lo
	s_delay_alu instid0(VALU_DEP_3) | instskip(NEXT) | instid1(VALU_DEP_2)
	v_cmp_ne_u32_e32 vcc_lo, 0, v7
	v_cndmask_b32_e64 v7, -1, v12, s8
	v_cndmask_b32_e32 v12, s18, v18, vcc_lo
	v_cndmask_b32_e32 v6, v5, v6, vcc_lo
	s_mov_b32 s8, 0
	s_delay_alu instid0(VALU_DEP_3) | instskip(NEXT) | instid1(VALU_DEP_3)
	v_cmp_ne_u32_e32 vcc_lo, 0, v7
	v_cndmask_b32_e32 v5, s9, v12, vcc_lo
	s_delay_alu instid0(VALU_DEP_3)
	v_cndmask_b32_e32 v4, v4, v6, vcc_lo
	s_branch .LBB135_247
.LBB135_246:                            ;   in Loop: Header=BB135_12 Depth=1
	s_mov_b32 s8, -1
                                        ; implicit-def: $vgpr4_vgpr5
.LBB135_247:                            ;   in Loop: Header=BB135_12 Depth=1
	s_delay_alu instid0(SALU_CYCLE_1)
	s_and_not1_b32 vcc_lo, exec_lo, s8
	s_cbranch_vccnz .LBB135_249
; %bb.248:                              ;   in Loop: Header=BB135_12 Depth=1
	v_cvt_f32_u32_e32 v4, s33
	s_sub_i32 s8, 0, s33
	s_delay_alu instid0(VALU_DEP_1) | instskip(SKIP_2) | instid1(VALU_DEP_1)
	v_rcp_iflag_f32_e32 v4, v4
	s_waitcnt_depctr 0xfff
	v_mul_f32_e32 v4, 0x4f7ffffe, v4
	v_cvt_u32_f32_e32 v4, v4
	s_delay_alu instid0(VALU_DEP_1) | instskip(NEXT) | instid1(VALU_DEP_1)
	v_mul_lo_u32 v5, s8, v4
	v_mul_hi_u32 v5, v4, v5
	s_delay_alu instid0(VALU_DEP_1) | instskip(NEXT) | instid1(VALU_DEP_1)
	v_add_nc_u32_e32 v4, v4, v5
	v_mul_hi_u32 v4, s76, v4
	s_delay_alu instid0(VALU_DEP_1) | instskip(NEXT) | instid1(VALU_DEP_1)
	v_mul_lo_u32 v4, v4, s33
	v_sub_nc_u32_e32 v4, s76, v4
	s_delay_alu instid0(VALU_DEP_1) | instskip(SKIP_1) | instid1(VALU_DEP_2)
	v_subrev_nc_u32_e32 v5, s33, v4
	v_cmp_le_u32_e32 vcc_lo, s33, v4
	v_cndmask_b32_e32 v4, v4, v5, vcc_lo
	s_delay_alu instid0(VALU_DEP_1) | instskip(SKIP_1) | instid1(VALU_DEP_2)
	v_subrev_nc_u32_e32 v5, s33, v4
	v_cmp_le_u32_e32 vcc_lo, s33, v4
	v_cndmask_b32_e32 v12, v4, v5, vcc_lo
	s_delay_alu instid0(VALU_DEP_1)
	v_dual_mov_b32 v4, v12 :: v_dual_mov_b32 v5, v13
.LBB135_249:                            ;   in Loop: Header=BB135_12 Depth=1
	s_delay_alu instid0(VALU_DEP_1) | instskip(NEXT) | instid1(VALU_DEP_2)
	v_sub_co_u32 v4, vcc_lo, s76, v4
	v_sub_co_ci_u32_e32 v5, vcc_lo, s27, v5, vcc_lo
	s_mov_b32 s26, 0
	s_mov_b32 s9, exec_lo
                                        ; implicit-def: $vgpr18
	s_delay_alu instid0(VALU_DEP_1)
	v_cmpx_gt_u64_e64 v[4:5], v[0:1]
	s_cbranch_execz .LBB135_258
; %bb.250:                              ;   in Loop: Header=BB135_12 Depth=1
	v_dual_mov_b32 v7, v1 :: v_dual_mov_b32 v6, v0
	s_mov_b32 s18, 0
                                        ; implicit-def: $sgpr19
	s_branch .LBB135_252
.LBB135_251:                            ;   in Loop: Header=BB135_252 Depth=2
	s_or_b32 exec_lo, exec_lo, s8
	s_waitcnt vmcnt(0) lgkmcnt(0)
	s_barrier
	buffer_gl0_inv
	ds_load_u16 v12, v13 offset:3072
	v_add_co_u32 v6, vcc_lo, v6, s33
	v_add_co_ci_u32_e32 v7, vcc_lo, 0, v7, vcc_lo
	s_waitcnt lgkmcnt(0)
	s_barrier
	buffer_gl0_inv
	v_cmp_ge_u64_e32 vcc_lo, v[6:7], v[4:5]
	v_and_b32_e32 v18, 0xff, v12
	s_delay_alu instid0(VALU_DEP_1) | instskip(NEXT) | instid1(VALU_DEP_1)
	v_cmp_ne_u16_e64 s8, 0, v18
	s_or_b32 s26, vcc_lo, s8
	s_delay_alu instid0(SALU_CYCLE_1) | instskip(NEXT) | instid1(SALU_CYCLE_1)
	s_and_b32 s26, exec_lo, s26
	s_or_b32 s18, s26, s18
	s_and_not1_b32 s19, s19, exec_lo
	s_and_b32 s8, s8, exec_lo
	s_delay_alu instid0(SALU_CYCLE_1)
	s_or_b32 s19, s19, s8
	s_and_not1_b32 exec_lo, exec_lo, s18
	s_cbranch_execz .LBB135_257
.LBB135_252:                            ;   Parent Loop BB135_12 Depth=1
                                        ; =>  This Inner Loop Header: Depth=2
	s_delay_alu instid0(VALU_DEP_1)
	v_cmp_gt_u64_e32 vcc_lo, s[36:37], v[6:7]
	v_mov_b32_e32 v12, 0
	s_and_saveexec_b32 s8, vcc_lo
	s_cbranch_execz .LBB135_254
; %bb.253:                              ;   in Loop: Header=BB135_252 Depth=2
	v_mad_u64_u32 v[18:19], null, v6, s30, s[28:29]
	v_mul_lo_u32 v12, v6, s31
	v_mul_lo_u32 v20, v7, s30
	s_delay_alu instid0(VALU_DEP_1)
	v_add3_u32 v19, v20, v19, v12
	global_load_u8 v12, v[18:19], off
.LBB135_254:                            ;   in Loop: Header=BB135_252 Depth=2
	s_or_b32 exec_lo, exec_lo, s8
	s_and_saveexec_b32 s8, vcc_lo
	s_cbranch_execz .LBB135_251
; %bb.255:                              ;   in Loop: Header=BB135_252 Depth=2
	s_waitcnt vmcnt(0)
	v_bfe_i32 v18, v12, 0, 8
	s_delay_alu instid0(VALU_DEP_1) | instskip(NEXT) | instid1(VALU_DEP_1)
	v_add_nc_u32_e32 v18, 0x80, v18
	v_and_b32_e32 v18, v18, v9
	s_delay_alu instid0(VALU_DEP_1)
	v_cmp_eq_u32_e32 vcc_lo, v18, v8
	s_and_b32 exec_lo, exec_lo, vcc_lo
	s_cbranch_execz .LBB135_251
; %bb.256:                              ;   in Loop: Header=BB135_252 Depth=2
	v_lshlrev_b16 v12, 8, v12
	s_delay_alu instid0(VALU_DEP_1)
	v_or_b32_e32 v12, 1, v12
	ds_store_b16 v13, v12 offset:3072
	s_branch .LBB135_251
.LBB135_257:                            ;   in Loop: Header=BB135_12 Depth=1
	s_or_b32 exec_lo, exec_lo, s18
	v_lshrrev_b16 v18, 8, v12
	s_and_b32 s26, s19, exec_lo
.LBB135_258:                            ;   in Loop: Header=BB135_12 Depth=1
	s_or_b32 exec_lo, exec_lo, s9
	s_mov_b32 s18, -1
	s_mov_b32 s8, 0
	s_mov_b32 s9, 0
.LBB135_259:                            ;   in Loop: Header=BB135_12 Depth=1
	s_or_not1_b32 s26, s26, exec_lo
.LBB135_260:                            ;   in Loop: Header=BB135_12 Depth=1
	s_or_b32 exec_lo, exec_lo, s98
	s_mov_b32 s98, 0
                                        ; implicit-def: $vgpr6
                                        ; implicit-def: $vgpr4_vgpr5
	s_and_saveexec_b32 s19, s26
	s_cbranch_execz .LBB135_272
; %bb.261:                              ;   in Loop: Header=BB135_12 Depth=1
	v_mov_b32_e32 v4, 1
	v_dual_mov_b32 v5, 0 :: v_dual_mov_b32 v6, 1
	s_xor_b32 s56, s97, -1
	s_delay_alu instid0(SALU_CYCLE_1)
	s_and_saveexec_b32 s26, s56
	s_cbranch_execz .LBB135_271
; %bb.262:                              ;   in Loop: Header=BB135_12 Depth=1
                                        ; implicit-def: $sgpr98
	s_mov_b32 s56, exec_lo
	v_cmpx_ge_u64_e64 s[16:17], v[2:3]
	s_xor_b32 s97, exec_lo, s56
	s_cbranch_execz .LBB135_268
; %bb.263:                              ;   in Loop: Header=BB135_12 Depth=1
	ds_load_b64 v[4:5], v13 offset:5120
	s_waitcnt lgkmcnt(0)
	v_cmp_ne_u64_e32 vcc_lo, 0, v[4:5]
	s_cbranch_vccnz .LBB135_267
; %bb.264:                              ;   in Loop: Header=BB135_12 Depth=1
	s_and_saveexec_b32 s98, s5
	s_cbranch_execz .LBB135_266
; %bb.265:                              ;   in Loop: Header=BB135_12 Depth=1
	v_dual_mov_b32 v4, s16 :: v_dual_mov_b32 v5, s17
	ds_store_b64 v13, v[4:5] offset:5128
.LBB135_266:                            ;   in Loop: Header=BB135_12 Depth=1
	s_or_b32 exec_lo, exec_lo, s98
	s_waitcnt lgkmcnt(0)
	s_barrier
	buffer_gl0_inv
.LBB135_267:                            ;   in Loop: Header=BB135_12 Depth=1
	v_or_b32_e32 v8, s20, v8
	v_or_b32_e32 v9, s20, v9
	s_mov_b32 s98, 8
.LBB135_268:                            ;   in Loop: Header=BB135_12 Depth=1
	s_or_saveexec_b32 s97, s97
	v_mov_b32_e32 v6, s98
	s_xor_b32 exec_lo, exec_lo, s97
; %bb.269:                              ;   in Loop: Header=BB135_12 Depth=1
	v_sub_co_u32 v2, vcc_lo, v2, s16
	v_subrev_co_ci_u32_e32 v3, vcc_lo, s17, v3, vcc_lo
	v_mov_b32_e32 v6, 8
; %bb.270:                              ;   in Loop: Header=BB135_12 Depth=1
	s_or_b32 exec_lo, exec_lo, s97
	s_delay_alu instid0(VALU_DEP_2)
	v_dual_mov_b32 v5, v3 :: v_dual_mov_b32 v4, v2
.LBB135_271:                            ;   in Loop: Header=BB135_12 Depth=1
	s_or_b32 exec_lo, exec_lo, s26
	s_delay_alu instid0(SALU_CYCLE_1)
	s_mov_b32 s98, exec_lo
.LBB135_272:                            ;   in Loop: Header=BB135_12 Depth=1
	s_or_b32 exec_lo, exec_lo, s19
	s_delay_alu instid0(VALU_DEP_1)
	v_dual_mov_b32 v2, v4 :: v_dual_mov_b32 v3, v5
	s_or_not1_b32 s19, s98, exec_lo
.LBB135_273:                            ;   in Loop: Header=BB135_12 Depth=1
	s_or_b32 exec_lo, exec_lo, s96
	s_delay_alu instid0(SALU_CYCLE_1)
	s_and_not1_b32 s26, s71, exec_lo
	s_and_b32 s8, s8, exec_lo
	v_dual_mov_b32 v5, v3 :: v_dual_mov_b32 v4, v2
	s_or_b32 s71, s26, s8
	s_and_not1_b32 s8, s73, exec_lo
	s_and_b32 s18, s18, exec_lo
	s_and_not1_b32 s26, s72, exec_lo
	s_and_b32 s9, s9, exec_lo
	s_or_b32 s73, s8, s18
	s_or_b32 s72, s26, s9
	s_and_b32 s26, s19, exec_lo
.LBB135_274:                            ;   in Loop: Header=BB135_12 Depth=1
	s_or_b32 exec_lo, exec_lo, s95
	s_delay_alu instid0(SALU_CYCLE_1)
	s_and_b32 s19, s71, exec_lo
	s_and_b32 s18, s73, exec_lo
	;; [unrolled: 1-line block ×3, first 2 shown]
	s_or_not1_b32 s8, s26, exec_lo
.LBB135_275:                            ;   in Loop: Header=BB135_12 Depth=1
	s_or_b32 exec_lo, exec_lo, s70
	s_delay_alu instid0(SALU_CYCLE_1)
	s_and_not1_b32 s25, s25, exec_lo
	s_and_b32 s19, s19, exec_lo
	v_dual_mov_b32 v2, v4 :: v_dual_mov_b32 v3, v5
	s_or_b32 s25, s25, s19
	s_and_not1_b32 s19, s68, exec_lo
	s_and_b32 s18, s18, exec_lo
	s_and_not1_b32 s26, s67, exec_lo
	s_and_b32 s9, s9, exec_lo
	s_or_b32 s68, s19, s18
	s_or_b32 s67, s26, s9
	s_and_b32 s26, s8, exec_lo
.LBB135_276:                            ;   in Loop: Header=BB135_12 Depth=1
	s_or_b32 exec_lo, exec_lo, s69
	s_delay_alu instid0(SALU_CYCLE_1)
	s_and_b32 s19, s25, exec_lo
	s_and_b32 s18, s68, exec_lo
	;; [unrolled: 1-line block ×3, first 2 shown]
	s_or_not1_b32 s25, s26, exec_lo
.LBB135_277:                            ;   in Loop: Header=BB135_12 Depth=1
	s_or_b32 exec_lo, exec_lo, s24
	s_mov_b32 s8, 0
	s_mov_b32 s24, 0
	s_and_saveexec_b32 s26, s25
	s_delay_alu instid0(SALU_CYCLE_1)
	s_xor_b32 s25, exec_lo, s26
; %bb.278:                              ;   in Loop: Header=BB135_12 Depth=1
	v_cmp_ne_u32_e32 vcc_lo, 8, v6
	v_cmp_eq_u32_e64 s8, 8, v6
	s_and_not1_b32 s19, s19, exec_lo
	s_and_not1_b32 s18, s18, exec_lo
	;; [unrolled: 1-line block ×3, first 2 shown]
	s_and_b32 s24, vcc_lo, exec_lo
	s_and_b32 s8, s8, exec_lo
; %bb.279:                              ;   in Loop: Header=BB135_12 Depth=1
	s_or_b32 exec_lo, exec_lo, s25
	s_delay_alu instid0(SALU_CYCLE_1)
	s_and_not1_b32 s23, s23, exec_lo
	s_and_b32 s19, s19, exec_lo
	s_and_b32 s18, s18, exec_lo
	s_or_b32 s23, s23, s19
	s_and_not1_b32 s19, s64, exec_lo
	s_and_not1_b32 s25, s60, exec_lo
	s_and_b32 s9, s9, exec_lo
	s_or_b32 s64, s19, s18
	s_or_b32 s60, s25, s9
	s_and_b32 s24, s24, exec_lo
	s_and_b32 s25, s8, exec_lo
.LBB135_280:                            ;   in Loop: Header=BB135_12 Depth=1
	s_or_b32 exec_lo, exec_lo, s66
	s_delay_alu instid0(SALU_CYCLE_1)
	s_and_b32 vcc_lo, exec_lo, s65
	s_cbranch_vccz .LBB135_99
.LBB135_281:                            ;   in Loop: Header=BB135_12 Depth=1
	s_cmp_eq_u64 s[16:17], 1
                                        ; implicit-def: $sgpr18
                                        ; implicit-def: $sgpr19
                                        ; implicit-def: $sgpr23
	s_cselect_b32 s8, -1, 0
	s_delay_alu instid0(SALU_CYCLE_1)
	s_and_b32 s64, s8, s7
	s_mov_b32 s7, -1
	s_and_saveexec_b32 s60, s64
	s_cbranch_execz .LBB135_313
; %bb.282:                              ;   in Loop: Header=BB135_12 Depth=1
	ds_load_b64 v[2:3], v13 offset:5120
	s_waitcnt lgkmcnt(0)
	s_barrier
	buffer_gl0_inv
	v_readfirstlane_b32 s8, v2
	v_readfirstlane_b32 s9, v3
	s_and_saveexec_b32 s7, s6
	s_cbranch_execz .LBB135_284
; %bb.283:                              ;   in Loop: Header=BB135_12 Depth=1
	ds_store_b8 v0, v13 offset:3072
.LBB135_284:                            ;   in Loop: Header=BB135_12 Depth=1
	s_or_b32 exec_lo, exec_lo, s7
	v_or_b32_e32 v27, s20, v27
	v_or_b32_e32 v26, s20, v26
	s_cmp_eq_u64 s[8:9], 0
	s_waitcnt lgkmcnt(0)
	s_barrier
	buffer_gl0_inv
	s_cbranch_scc1 .LBB135_296
; %bb.285:                              ;   in Loop: Header=BB135_12 Depth=1
	s_add_u32 s23, s74, s8
	s_addc_u32 s19, s75, s9
	s_mov_b32 s18, s61
	s_delay_alu instid0(SALU_CYCLE_1)
	s_cmp_lg_u64 s[18:19], 0
	s_cbranch_scc0 .LBB135_340
; %bb.286:                              ;   in Loop: Header=BB135_12 Depth=1
	v_cvt_f32_u32_e32 v2, s33
	s_sub_u32 s26, 0, s33
	s_subb_u32 s65, 0, 0
	s_delay_alu instid0(VALU_DEP_1) | instskip(NEXT) | instid1(VALU_DEP_1)
	v_fmac_f32_e64 v2, 0, 0x4f800000
	v_rcp_f32_e32 v2, v2
	s_waitcnt_depctr 0xfff
	v_mul_f32_e32 v2, 0x5f7ffffc, v2
	s_delay_alu instid0(VALU_DEP_1) | instskip(NEXT) | instid1(VALU_DEP_1)
	v_mul_f32_e32 v3, 0x2f800000, v2
	v_trunc_f32_e32 v3, v3
	s_delay_alu instid0(VALU_DEP_1) | instskip(SKIP_1) | instid1(VALU_DEP_2)
	v_fmac_f32_e32 v2, 0xcf800000, v3
	v_cvt_u32_f32_e32 v3, v3
	v_cvt_u32_f32_e32 v2, v2
	s_delay_alu instid0(VALU_DEP_2) | instskip(NEXT) | instid1(VALU_DEP_2)
	v_readfirstlane_b32 s7, v3
	v_readfirstlane_b32 s18, v2
	s_delay_alu instid0(VALU_DEP_2) | instskip(NEXT) | instid1(VALU_DEP_1)
	s_mul_i32 s66, s26, s7
	s_mul_hi_u32 s68, s26, s18
	s_mul_i32 s67, s65, s18
	s_add_i32 s66, s68, s66
	s_mul_i32 s69, s26, s18
	s_add_i32 s66, s66, s67
	s_mul_hi_u32 s68, s18, s69
	s_mul_hi_u32 s70, s7, s69
	s_mul_i32 s67, s7, s69
	s_mul_hi_u32 s69, s18, s66
	s_mul_i32 s18, s18, s66
	s_mul_hi_u32 s71, s7, s66
	s_add_u32 s18, s68, s18
	s_addc_u32 s68, 0, s69
	s_add_u32 s18, s18, s67
	s_mul_i32 s66, s7, s66
	s_addc_u32 s18, s68, s70
	s_addc_u32 s67, s71, 0
	s_add_u32 s18, s18, s66
	s_addc_u32 s66, 0, s67
	v_add_co_u32 v2, s18, v2, s18
	s_delay_alu instid0(VALU_DEP_1) | instskip(SKIP_1) | instid1(VALU_DEP_1)
	s_cmp_lg_u32 s18, 0
	s_addc_u32 s7, s7, s66
	v_readfirstlane_b32 s18, v2
	s_mul_i32 s66, s26, s7
	s_delay_alu instid0(VALU_DEP_1)
	s_mul_hi_u32 s67, s26, s18
	s_mul_i32 s65, s65, s18
	s_add_i32 s66, s67, s66
	s_mul_i32 s26, s26, s18
	s_add_i32 s66, s66, s65
	s_mul_hi_u32 s67, s7, s26
	s_mul_i32 s68, s7, s26
	s_mul_hi_u32 s26, s18, s26
	s_mul_hi_u32 s69, s18, s66
	s_mul_i32 s18, s18, s66
	s_mul_hi_u32 s65, s7, s66
	s_add_u32 s18, s26, s18
	s_addc_u32 s26, 0, s69
	s_add_u32 s18, s18, s68
	s_mul_i32 s66, s7, s66
	s_addc_u32 s18, s26, s67
	s_addc_u32 s26, s65, 0
	s_add_u32 s18, s18, s66
	s_addc_u32 s26, 0, s26
	v_add_co_u32 v2, s18, v2, s18
	s_delay_alu instid0(VALU_DEP_1) | instskip(SKIP_1) | instid1(VALU_DEP_1)
	s_cmp_lg_u32 s18, 0
	s_addc_u32 s7, s7, s26
	v_readfirstlane_b32 s18, v2
	s_mul_i32 s65, s23, s7
	s_mul_hi_u32 s26, s23, s7
	s_mul_hi_u32 s66, s19, s7
	s_mul_i32 s7, s19, s7
	s_mul_hi_u32 s67, s23, s18
	s_mul_hi_u32 s68, s19, s18
	s_mul_i32 s18, s19, s18
	s_add_u32 s65, s67, s65
	s_addc_u32 s26, 0, s26
	s_add_u32 s18, s65, s18
	s_addc_u32 s18, s26, s68
	s_addc_u32 s26, s66, 0
	s_add_u32 s7, s18, s7
	s_addc_u32 s18, 0, s26
	s_mul_hi_u32 s26, s33, s7
	s_mul_i32 s7, s33, s7
	s_mul_i32 s18, s33, s18
	v_sub_co_u32 v2, s7, s23, s7
	s_add_i32 s26, s26, s18
	s_cmp_lg_u32 s7, 0
	s_delay_alu instid0(VALU_DEP_1) | instskip(SKIP_2) | instid1(VALU_DEP_1)
	v_sub_co_u32 v3, s7, v2, s33
	s_subb_u32 s18, s19, s26
	s_cmp_lg_u32 s7, 0
	v_cmp_le_u32_e32 vcc_lo, s33, v3
	v_sub_co_u32 v4, s7, v3, s33
	s_subb_u32 s26, s18, 0
	s_cmp_lg_u32 s7, 0
	v_cndmask_b32_e64 v5, 0, -1, vcc_lo
	s_subb_u32 s7, s26, 0
	s_cmp_eq_u32 s26, 0
	v_mov_b32_e32 v7, s7
	s_cselect_b32 vcc_lo, -1, 0
	s_cmp_eq_u32 s18, 0
	v_cndmask_b32_e32 v5, -1, v5, vcc_lo
	v_cmp_le_u32_e32 vcc_lo, s33, v2
	s_cselect_b32 s7, -1, 0
	v_cndmask_b32_e64 v6, 0, -1, vcc_lo
	s_delay_alu instid0(VALU_DEP_3) | instskip(NEXT) | instid1(VALU_DEP_2)
	v_cmp_ne_u32_e32 vcc_lo, 0, v5
	v_cndmask_b32_e64 v5, -1, v6, s7
	v_cndmask_b32_e32 v6, s26, v7, vcc_lo
	v_cndmask_b32_e32 v4, v3, v4, vcc_lo
	s_delay_alu instid0(VALU_DEP_3) | instskip(NEXT) | instid1(VALU_DEP_3)
	v_cmp_ne_u32_e32 vcc_lo, 0, v5
	v_cndmask_b32_e32 v3, s18, v6, vcc_lo
	s_delay_alu instid0(VALU_DEP_3)
	v_cndmask_b32_e32 v2, v2, v4, vcc_lo
	s_cbranch_execnz .LBB135_288
.LBB135_287:                            ;   in Loop: Header=BB135_12 Depth=1
	v_cvt_f32_u32_e32 v2, s33
	s_sub_i32 s7, 0, s33
	s_delay_alu instid0(VALU_DEP_1) | instskip(SKIP_2) | instid1(VALU_DEP_1)
	v_rcp_iflag_f32_e32 v2, v2
	s_waitcnt_depctr 0xfff
	v_mul_f32_e32 v2, 0x4f7ffffe, v2
	v_cvt_u32_f32_e32 v2, v2
	s_delay_alu instid0(VALU_DEP_1) | instskip(NEXT) | instid1(VALU_DEP_1)
	v_mul_lo_u32 v3, s7, v2
	v_mul_hi_u32 v3, v2, v3
	s_delay_alu instid0(VALU_DEP_1) | instskip(NEXT) | instid1(VALU_DEP_1)
	v_add_nc_u32_e32 v2, v2, v3
	v_mul_hi_u32 v2, s23, v2
	s_delay_alu instid0(VALU_DEP_1) | instskip(NEXT) | instid1(VALU_DEP_1)
	v_mul_lo_u32 v2, v2, s33
	v_sub_nc_u32_e32 v2, s23, v2
	s_delay_alu instid0(VALU_DEP_1) | instskip(SKIP_1) | instid1(VALU_DEP_2)
	v_subrev_nc_u32_e32 v3, s33, v2
	v_cmp_le_u32_e32 vcc_lo, s33, v2
	v_cndmask_b32_e32 v2, v2, v3, vcc_lo
	s_delay_alu instid0(VALU_DEP_1) | instskip(SKIP_1) | instid1(VALU_DEP_2)
	v_subrev_nc_u32_e32 v3, s33, v2
	v_cmp_le_u32_e32 vcc_lo, s33, v2
	v_cndmask_b32_e32 v12, v2, v3, vcc_lo
	s_delay_alu instid0(VALU_DEP_1)
	v_dual_mov_b32 v2, v12 :: v_dual_mov_b32 v3, v13
.LBB135_288:                            ;   in Loop: Header=BB135_12 Depth=1
	s_delay_alu instid0(VALU_DEP_1) | instskip(NEXT) | instid1(VALU_DEP_2)
	v_sub_co_u32 v2, vcc_lo, s23, v2
	v_sub_co_ci_u32_e32 v3, vcc_lo, s19, v3, vcc_lo
	s_mov_b32 s7, 0
	s_mov_b32 s18, exec_lo
                                        ; implicit-def: $vgpr28
	s_delay_alu instid0(VALU_DEP_1)
	v_cmpx_gt_u64_e64 v[2:3], v[0:1]
	s_cbranch_execz .LBB135_298
; %bb.289:                              ;   in Loop: Header=BB135_12 Depth=1
	v_dual_mov_b32 v6, v0 :: v_dual_mov_b32 v5, v1
	v_mov_b32_e32 v4, v0
	s_mov_b32 s19, 0
                                        ; implicit-def: $sgpr23
	s_set_inst_prefetch_distance 0x1
	s_branch .LBB135_291
	.p2align	6
.LBB135_290:                            ;   in Loop: Header=BB135_291 Depth=2
	s_or_b32 exec_lo, exec_lo, s7
	s_waitcnt lgkmcnt(0)
	s_barrier
	buffer_gl0_inv
	ds_load_u16 v7, v13 offset:3072
	v_add_co_u32 v4, vcc_lo, v4, s33
	v_add_co_ci_u32_e32 v5, vcc_lo, 0, v5, vcc_lo
	v_add_nc_u32_e32 v6, s33, v6
	s_waitcnt lgkmcnt(0)
	s_barrier
	s_delay_alu instid0(VALU_DEP_2) | instskip(SKIP_2) | instid1(VALU_DEP_1)
	v_cmp_ge_u64_e32 vcc_lo, v[4:5], v[2:3]
	buffer_gl0_inv
	v_and_b32_e32 v8, 0xff, v7
	v_cmp_ne_u16_e64 s7, 0, v8
	s_delay_alu instid0(VALU_DEP_1) | instskip(NEXT) | instid1(SALU_CYCLE_1)
	s_or_b32 s26, vcc_lo, s7
	s_and_b32 s26, exec_lo, s26
	s_delay_alu instid0(SALU_CYCLE_1) | instskip(SKIP_2) | instid1(SALU_CYCLE_1)
	s_or_b32 s19, s26, s19
	s_and_not1_b32 s23, s23, exec_lo
	s_and_b32 s7, s7, exec_lo
	s_or_b32 s23, s23, s7
	s_and_not1_b32 exec_lo, exec_lo, s19
	s_cbranch_execz .LBB135_297
.LBB135_291:                            ;   Parent Loop BB135_12 Depth=1
                                        ; =>  This Inner Loop Header: Depth=2
	s_delay_alu instid0(VALU_DEP_1)
	v_cmp_gt_u64_e32 vcc_lo, s[8:9], v[4:5]
	v_mov_b32_e32 v7, 0
	s_and_saveexec_b32 s7, vcc_lo
	s_cbranch_execz .LBB135_293
; %bb.292:                              ;   in Loop: Header=BB135_291 Depth=2
	ds_load_u8 v7, v6
.LBB135_293:                            ;   in Loop: Header=BB135_291 Depth=2
	s_or_b32 exec_lo, exec_lo, s7
	s_and_saveexec_b32 s7, vcc_lo
	s_cbranch_execz .LBB135_290
; %bb.294:                              ;   in Loop: Header=BB135_291 Depth=2
	s_waitcnt lgkmcnt(0)
	v_bfe_i32 v8, v7, 0, 8
	s_delay_alu instid0(VALU_DEP_1) | instskip(NEXT) | instid1(VALU_DEP_1)
	v_add_nc_u32_e32 v8, 0x80, v8
	v_and_b32_e32 v8, v8, v26
	s_delay_alu instid0(VALU_DEP_1)
	v_cmp_eq_u32_e32 vcc_lo, v8, v27
	s_and_b32 exec_lo, exec_lo, vcc_lo
	s_cbranch_execz .LBB135_290
; %bb.295:                              ;   in Loop: Header=BB135_291 Depth=2
	v_lshlrev_b16 v7, 8, v7
	s_delay_alu instid0(VALU_DEP_1)
	v_or_b32_e32 v7, 1, v7
	ds_store_b16 v13, v7 offset:3072
	s_branch .LBB135_290
.LBB135_296:                            ;   in Loop: Header=BB135_12 Depth=1
	s_mov_b32 s18, -1
	s_mov_b32 s7, 0
                                        ; implicit-def: $sgpr19
                                        ; implicit-def: $vgpr28
	s_mov_b32 s23, s18
	s_cbranch_execnz .LBB135_299
	s_branch .LBB135_312
.LBB135_297:                            ;   in Loop: Header=BB135_12 Depth=1
	s_set_inst_prefetch_distance 0x2
	s_or_b32 exec_lo, exec_lo, s19
	v_lshrrev_b16 v28, 8, v7
	s_and_b32 s7, s23, exec_lo
.LBB135_298:                            ;   in Loop: Header=BB135_12 Depth=1
	s_or_b32 exec_lo, exec_lo, s18
	s_mov_b32 s18, 0
	s_mov_b32 s19, -1
	s_mov_b32 s23, s18
	s_branch .LBB135_312
.LBB135_299:                            ;   in Loop: Header=BB135_12 Depth=1
	s_mov_b32 s26, s61
	s_delay_alu instid0(SALU_CYCLE_1)
	s_cmp_lg_u64 s[26:27], 0
	s_cbranch_scc0 .LBB135_341
; %bb.300:                              ;   in Loop: Header=BB135_12 Depth=1
	v_cvt_f32_u32_e32 v2, s33
	s_sub_u32 s9, 0, s33
	s_subb_u32 s18, 0, 0
	s_delay_alu instid0(VALU_DEP_1) | instskip(NEXT) | instid1(VALU_DEP_1)
	v_fmac_f32_e64 v2, 0, 0x4f800000
	v_rcp_f32_e32 v2, v2
	s_waitcnt_depctr 0xfff
	v_mul_f32_e32 v2, 0x5f7ffffc, v2
	s_delay_alu instid0(VALU_DEP_1) | instskip(NEXT) | instid1(VALU_DEP_1)
	v_mul_f32_e32 v3, 0x2f800000, v2
	v_trunc_f32_e32 v3, v3
	s_delay_alu instid0(VALU_DEP_1) | instskip(SKIP_1) | instid1(VALU_DEP_2)
	v_fmac_f32_e32 v2, 0xcf800000, v3
	v_cvt_u32_f32_e32 v3, v3
	v_cvt_u32_f32_e32 v2, v2
	s_delay_alu instid0(VALU_DEP_2) | instskip(NEXT) | instid1(VALU_DEP_2)
	v_readfirstlane_b32 s7, v3
	v_readfirstlane_b32 s8, v2
	s_delay_alu instid0(VALU_DEP_2) | instskip(NEXT) | instid1(VALU_DEP_1)
	s_mul_i32 s19, s9, s7
	s_mul_hi_u32 s26, s9, s8
	s_mul_i32 s23, s18, s8
	s_add_i32 s19, s26, s19
	s_mul_i32 s65, s9, s8
	s_add_i32 s19, s19, s23
	s_mul_hi_u32 s26, s8, s65
	s_mul_hi_u32 s66, s7, s65
	s_mul_i32 s23, s7, s65
	s_mul_hi_u32 s65, s8, s19
	s_mul_i32 s8, s8, s19
	s_mul_hi_u32 s67, s7, s19
	s_add_u32 s8, s26, s8
	s_addc_u32 s26, 0, s65
	s_add_u32 s8, s8, s23
	s_mul_i32 s19, s7, s19
	s_addc_u32 s8, s26, s66
	s_addc_u32 s23, s67, 0
	s_add_u32 s8, s8, s19
	s_addc_u32 s19, 0, s23
	v_add_co_u32 v2, s8, v2, s8
	s_delay_alu instid0(VALU_DEP_1) | instskip(SKIP_1) | instid1(VALU_DEP_1)
	s_cmp_lg_u32 s8, 0
	s_addc_u32 s7, s7, s19
	v_readfirstlane_b32 s8, v2
	s_mul_i32 s19, s9, s7
	s_delay_alu instid0(VALU_DEP_1)
	s_mul_hi_u32 s23, s9, s8
	s_mul_i32 s18, s18, s8
	s_add_i32 s19, s23, s19
	s_mul_i32 s9, s9, s8
	s_add_i32 s19, s19, s18
	s_mul_hi_u32 s23, s7, s9
	s_mul_i32 s26, s7, s9
	s_mul_hi_u32 s9, s8, s9
	s_mul_hi_u32 s65, s8, s19
	s_mul_i32 s8, s8, s19
	s_mul_hi_u32 s18, s7, s19
	s_add_u32 s8, s9, s8
	s_addc_u32 s9, 0, s65
	s_add_u32 s8, s8, s26
	s_mul_i32 s19, s7, s19
	s_addc_u32 s8, s9, s23
	s_addc_u32 s9, s18, 0
	s_add_u32 s8, s8, s19
	s_addc_u32 s9, 0, s9
	v_add_co_u32 v2, s8, v2, s8
	s_delay_alu instid0(VALU_DEP_1) | instskip(SKIP_1) | instid1(VALU_DEP_1)
	s_cmp_lg_u32 s8, 0
	s_addc_u32 s7, s7, s9
	v_readfirstlane_b32 s8, v2
	s_mul_i32 s18, s76, s7
	s_mul_hi_u32 s9, s76, s7
	s_mul_hi_u32 s19, s27, s7
	s_mul_i32 s7, s27, s7
	s_mul_hi_u32 s23, s76, s8
	s_mul_hi_u32 s26, s27, s8
	s_mul_i32 s8, s27, s8
	s_add_u32 s18, s23, s18
	s_addc_u32 s9, 0, s9
	s_add_u32 s8, s18, s8
	s_addc_u32 s8, s9, s26
	s_addc_u32 s9, s19, 0
	s_add_u32 s7, s8, s7
	s_addc_u32 s8, 0, s9
	s_mul_hi_u32 s9, s33, s7
	s_mul_i32 s7, s33, s7
	s_mul_i32 s8, s33, s8
	v_sub_co_u32 v2, s7, s76, s7
	s_add_i32 s9, s9, s8
	s_cmp_lg_u32 s7, 0
	s_delay_alu instid0(VALU_DEP_1) | instskip(SKIP_2) | instid1(VALU_DEP_1)
	v_sub_co_u32 v3, s7, v2, s33
	s_subb_u32 s8, s27, s9
	s_cmp_lg_u32 s7, 0
	v_cmp_le_u32_e32 vcc_lo, s33, v3
	v_sub_co_u32 v4, s7, v3, s33
	s_subb_u32 s9, s8, 0
	s_cmp_lg_u32 s7, 0
	v_cndmask_b32_e64 v5, 0, -1, vcc_lo
	s_subb_u32 s7, s9, 0
	s_cmp_eq_u32 s9, 0
	v_mov_b32_e32 v7, s7
	s_cselect_b32 vcc_lo, -1, 0
	s_cmp_eq_u32 s8, 0
	v_cndmask_b32_e32 v5, -1, v5, vcc_lo
	v_cmp_le_u32_e32 vcc_lo, s33, v2
	s_cselect_b32 s7, -1, 0
	v_cndmask_b32_e64 v6, 0, -1, vcc_lo
	s_delay_alu instid0(VALU_DEP_3) | instskip(NEXT) | instid1(VALU_DEP_2)
	v_cmp_ne_u32_e32 vcc_lo, 0, v5
	v_cndmask_b32_e64 v5, -1, v6, s7
	v_cndmask_b32_e32 v6, s9, v7, vcc_lo
	v_cndmask_b32_e32 v4, v3, v4, vcc_lo
	s_delay_alu instid0(VALU_DEP_3) | instskip(NEXT) | instid1(VALU_DEP_3)
	v_cmp_ne_u32_e32 vcc_lo, 0, v5
	v_cndmask_b32_e32 v3, s8, v6, vcc_lo
	s_delay_alu instid0(VALU_DEP_3)
	v_cndmask_b32_e32 v2, v2, v4, vcc_lo
	s_cbranch_execnz .LBB135_302
.LBB135_301:                            ;   in Loop: Header=BB135_12 Depth=1
	v_cvt_f32_u32_e32 v2, s33
	s_sub_i32 s7, 0, s33
	s_delay_alu instid0(VALU_DEP_1) | instskip(SKIP_2) | instid1(VALU_DEP_1)
	v_rcp_iflag_f32_e32 v2, v2
	s_waitcnt_depctr 0xfff
	v_mul_f32_e32 v2, 0x4f7ffffe, v2
	v_cvt_u32_f32_e32 v2, v2
	s_delay_alu instid0(VALU_DEP_1) | instskip(NEXT) | instid1(VALU_DEP_1)
	v_mul_lo_u32 v3, s7, v2
	v_mul_hi_u32 v3, v2, v3
	s_delay_alu instid0(VALU_DEP_1) | instskip(NEXT) | instid1(VALU_DEP_1)
	v_add_nc_u32_e32 v2, v2, v3
	v_mul_hi_u32 v2, s76, v2
	s_delay_alu instid0(VALU_DEP_1) | instskip(NEXT) | instid1(VALU_DEP_1)
	v_mul_lo_u32 v2, v2, s33
	v_sub_nc_u32_e32 v2, s76, v2
	s_delay_alu instid0(VALU_DEP_1) | instskip(SKIP_1) | instid1(VALU_DEP_2)
	v_subrev_nc_u32_e32 v3, s33, v2
	v_cmp_le_u32_e32 vcc_lo, s33, v2
	v_cndmask_b32_e32 v2, v2, v3, vcc_lo
	s_delay_alu instid0(VALU_DEP_1) | instskip(SKIP_1) | instid1(VALU_DEP_2)
	v_subrev_nc_u32_e32 v3, s33, v2
	v_cmp_le_u32_e32 vcc_lo, s33, v2
	v_cndmask_b32_e32 v12, v2, v3, vcc_lo
	s_delay_alu instid0(VALU_DEP_1)
	v_dual_mov_b32 v2, v12 :: v_dual_mov_b32 v3, v13
.LBB135_302:                            ;   in Loop: Header=BB135_12 Depth=1
	s_delay_alu instid0(VALU_DEP_1) | instskip(NEXT) | instid1(VALU_DEP_2)
	v_sub_co_u32 v2, vcc_lo, s76, v2
	v_sub_co_ci_u32_e32 v3, vcc_lo, s27, v3, vcc_lo
	s_mov_b32 s7, 0
	s_mov_b32 s8, exec_lo
                                        ; implicit-def: $vgpr28
	s_delay_alu instid0(VALU_DEP_1)
	v_cmpx_gt_u64_e64 v[2:3], v[0:1]
	s_cbranch_execz .LBB135_311
; %bb.303:                              ;   in Loop: Header=BB135_12 Depth=1
	v_dual_mov_b32 v5, v1 :: v_dual_mov_b32 v4, v0
	s_mov_b32 s9, 0
                                        ; implicit-def: $sgpr18
	s_branch .LBB135_305
.LBB135_304:                            ;   in Loop: Header=BB135_305 Depth=2
	s_or_b32 exec_lo, exec_lo, s7
	s_waitcnt vmcnt(0) lgkmcnt(0)
	s_barrier
	buffer_gl0_inv
	ds_load_u16 v6, v13 offset:3072
	v_add_co_u32 v4, vcc_lo, v4, s33
	v_add_co_ci_u32_e32 v5, vcc_lo, 0, v5, vcc_lo
	s_waitcnt lgkmcnt(0)
	s_barrier
	buffer_gl0_inv
	v_cmp_ge_u64_e32 vcc_lo, v[4:5], v[2:3]
	v_and_b32_e32 v7, 0xff, v6
	s_delay_alu instid0(VALU_DEP_1) | instskip(NEXT) | instid1(VALU_DEP_1)
	v_cmp_ne_u16_e64 s7, 0, v7
	s_or_b32 s19, vcc_lo, s7
	s_delay_alu instid0(SALU_CYCLE_1) | instskip(NEXT) | instid1(SALU_CYCLE_1)
	s_and_b32 s19, exec_lo, s19
	s_or_b32 s9, s19, s9
	s_and_not1_b32 s18, s18, exec_lo
	s_and_b32 s7, s7, exec_lo
	s_delay_alu instid0(SALU_CYCLE_1)
	s_or_b32 s18, s18, s7
	s_and_not1_b32 exec_lo, exec_lo, s9
	s_cbranch_execz .LBB135_310
.LBB135_305:                            ;   Parent Loop BB135_12 Depth=1
                                        ; =>  This Inner Loop Header: Depth=2
	s_delay_alu instid0(VALU_DEP_1)
	v_cmp_gt_u64_e32 vcc_lo, s[36:37], v[4:5]
	v_mov_b32_e32 v6, 0
	s_and_saveexec_b32 s7, vcc_lo
	s_cbranch_execz .LBB135_307
; %bb.306:                              ;   in Loop: Header=BB135_305 Depth=2
	v_mad_u64_u32 v[6:7], null, v4, s30, s[28:29]
	v_mul_lo_u32 v8, v4, s31
	v_mul_lo_u32 v9, v5, s30
	s_delay_alu instid0(VALU_DEP_1)
	v_add3_u32 v7, v9, v7, v8
	global_load_u8 v6, v[6:7], off
.LBB135_307:                            ;   in Loop: Header=BB135_305 Depth=2
	s_or_b32 exec_lo, exec_lo, s7
	s_and_saveexec_b32 s7, vcc_lo
	s_cbranch_execz .LBB135_304
; %bb.308:                              ;   in Loop: Header=BB135_305 Depth=2
	s_waitcnt vmcnt(0)
	v_bfe_i32 v7, v6, 0, 8
	s_delay_alu instid0(VALU_DEP_1) | instskip(NEXT) | instid1(VALU_DEP_1)
	v_add_nc_u32_e32 v7, 0x80, v7
	v_and_b32_e32 v7, v7, v26
	s_delay_alu instid0(VALU_DEP_1)
	v_cmp_eq_u32_e32 vcc_lo, v7, v27
	s_and_b32 exec_lo, exec_lo, vcc_lo
	s_cbranch_execz .LBB135_304
; %bb.309:                              ;   in Loop: Header=BB135_305 Depth=2
	v_lshlrev_b16 v6, 8, v6
	s_delay_alu instid0(VALU_DEP_1)
	v_or_b32_e32 v6, 1, v6
	ds_store_b16 v13, v6 offset:3072
	s_branch .LBB135_304
.LBB135_310:                            ;   in Loop: Header=BB135_12 Depth=1
	s_or_b32 exec_lo, exec_lo, s9
	v_lshrrev_b16 v28, 8, v6
	s_and_b32 s7, s18, exec_lo
.LBB135_311:                            ;   in Loop: Header=BB135_12 Depth=1
	s_or_b32 exec_lo, exec_lo, s8
	s_mov_b32 s19, 0
	s_mov_b32 s18, -1
	s_mov_b32 s23, 0
.LBB135_312:                            ;   in Loop: Header=BB135_12 Depth=1
	s_or_not1_b32 s7, s7, exec_lo
.LBB135_313:                            ;   in Loop: Header=BB135_12 Depth=1
	s_or_b32 exec_lo, exec_lo, s60
                                        ; implicit-def: $vgpr6
                                        ; implicit-def: $vgpr2_vgpr3
                                        ; implicit-def: $vgpr8
                                        ; implicit-def: $vgpr9
                                        ; implicit-def: $vgpr18
	s_and_saveexec_b32 s60, s7
	s_cbranch_execz .LBB135_476
; %bb.314:                              ;   in Loop: Header=BB135_12 Depth=1
	v_mov_b32_e32 v2, 1
	v_dual_mov_b32 v3, 0 :: v_dual_mov_b32 v6, 1
	s_xor_b32 s8, s64, -1
	s_mov_b32 s26, 0
	s_and_saveexec_b32 s7, s8
	s_cbranch_execz .LBB135_324
; %bb.315:                              ;   in Loop: Header=BB135_12 Depth=1
	s_mov_b32 s9, exec_lo
                                        ; implicit-def: $sgpr26
                                        ; implicit-def: $sgpr8
	v_cmpx_ge_u64_e64 s[16:17], v[16:17]
	s_xor_b32 s9, exec_lo, s9
	s_cbranch_execz .LBB135_321
; %bb.316:                              ;   in Loop: Header=BB135_12 Depth=1
	ds_load_b64 v[2:3], v13 offset:5120
	s_waitcnt lgkmcnt(0)
	v_cmp_ne_u64_e32 vcc_lo, 0, v[2:3]
	s_cbranch_vccnz .LBB135_320
; %bb.317:                              ;   in Loop: Header=BB135_12 Depth=1
	s_and_saveexec_b32 s8, s5
	s_cbranch_execz .LBB135_319
; %bb.318:                              ;   in Loop: Header=BB135_12 Depth=1
	v_dual_mov_b32 v2, s16 :: v_dual_mov_b32 v3, s17
	ds_store_b64 v13, v[2:3] offset:5128
.LBB135_319:                            ;   in Loop: Header=BB135_12 Depth=1
	s_or_b32 exec_lo, exec_lo, s8
	s_waitcnt lgkmcnt(0)
	s_barrier
	buffer_gl0_inv
.LBB135_320:                            ;   in Loop: Header=BB135_12 Depth=1
	v_or_b32_e32 v27, s20, v27
	v_or_b32_e32 v26, s20, v26
	s_mov_b32 s8, 0
	s_mov_b32 s26, 5
.LBB135_321:                            ;   in Loop: Header=BB135_12 Depth=1
	s_or_saveexec_b32 s9, s9
	v_mov_b32_e32 v6, s26
	s_xor_b32 exec_lo, exec_lo, s9
; %bb.322:                              ;   in Loop: Header=BB135_12 Depth=1
	v_sub_co_u32 v16, vcc_lo, v16, s16
	v_subrev_co_ci_u32_e32 v17, vcc_lo, s17, v17, vcc_lo
	v_mov_b32_e32 v6, 0
	s_or_b32 s8, s8, exec_lo
; %bb.323:                              ;   in Loop: Header=BB135_12 Depth=1
	s_or_b32 exec_lo, exec_lo, s9
	s_delay_alu instid0(VALU_DEP_2)
	v_dual_mov_b32 v2, v16 :: v_dual_mov_b32 v3, v17
	s_and_b32 s26, s8, exec_lo
.LBB135_324:                            ;   in Loop: Header=BB135_12 Depth=1
	s_or_b32 exec_lo, exec_lo, s7
	s_mov_b32 s17, -1
                                        ; implicit-def: $sgpr8
                                        ; implicit-def: $sgpr9
                                        ; implicit-def: $sgpr16
	s_and_saveexec_b32 s7, s26
	s_delay_alu instid0(SALU_CYCLE_1)
	s_xor_b32 s64, exec_lo, s7
	s_cbranch_execz .LBB135_473
; %bb.325:                              ;   in Loop: Header=BB135_12 Depth=1
	v_cmp_eq_u64_e32 vcc_lo, 1, v[2:3]
	s_cmp_eq_u64 s[14:15], 1
                                        ; implicit-def: $sgpr16
                                        ; implicit-def: $sgpr17
                                        ; implicit-def: $sgpr65
	s_cselect_b32 s7, -1, 0
	s_delay_alu instid0(SALU_CYCLE_1)
	s_and_b32 s67, s7, vcc_lo
	s_mov_b32 s7, -1
	s_and_saveexec_b32 s66, s67
	s_cbranch_execz .LBB135_359
; %bb.326:                              ;   in Loop: Header=BB135_12 Depth=1
	ds_load_b64 v[4:5], v13 offset:5120
	s_waitcnt lgkmcnt(0)
	s_barrier
	buffer_gl0_inv
	v_readfirstlane_b32 s8, v4
	v_readfirstlane_b32 s9, v5
	s_and_saveexec_b32 s7, s6
	s_cbranch_execz .LBB135_328
; %bb.327:                              ;   in Loop: Header=BB135_12 Depth=1
	ds_store_b8 v0, v13 offset:3072
.LBB135_328:                            ;   in Loop: Header=BB135_12 Depth=1
	s_or_b32 exec_lo, exec_lo, s7
	s_lshl_b32 s7, 2, s22
	v_or_b32_e32 v26, s20, v26
	v_and_or_b32 v27, v27, s21, s7
	s_cmp_eq_u64 s[8:9], 0
	s_waitcnt lgkmcnt(0)
	s_barrier
	buffer_gl0_inv
	s_cbranch_scc1 .LBB135_342
; %bb.329:                              ;   in Loop: Header=BB135_12 Depth=1
	s_add_u32 s26, s74, s8
	s_addc_u32 s17, s75, s9
	s_mov_b32 s16, s61
	s_delay_alu instid0(SALU_CYCLE_1)
	s_cmp_lg_u64 s[16:17], 0
	s_cbranch_scc0 .LBB135_386
; %bb.330:                              ;   in Loop: Header=BB135_12 Depth=1
	v_cvt_f32_u32_e32 v4, s33
	s_sub_u32 s65, 0, s33
	s_subb_u32 s68, 0, 0
	s_delay_alu instid0(VALU_DEP_1) | instskip(NEXT) | instid1(VALU_DEP_1)
	v_fmac_f32_e64 v4, 0, 0x4f800000
	v_rcp_f32_e32 v4, v4
	s_waitcnt_depctr 0xfff
	v_mul_f32_e32 v4, 0x5f7ffffc, v4
	s_delay_alu instid0(VALU_DEP_1) | instskip(NEXT) | instid1(VALU_DEP_1)
	v_mul_f32_e32 v5, 0x2f800000, v4
	v_trunc_f32_e32 v5, v5
	s_delay_alu instid0(VALU_DEP_1) | instskip(SKIP_1) | instid1(VALU_DEP_2)
	v_fmac_f32_e32 v4, 0xcf800000, v5
	v_cvt_u32_f32_e32 v5, v5
	v_cvt_u32_f32_e32 v4, v4
	s_delay_alu instid0(VALU_DEP_2) | instskip(NEXT) | instid1(VALU_DEP_2)
	v_readfirstlane_b32 s7, v5
	v_readfirstlane_b32 s16, v4
	s_delay_alu instid0(VALU_DEP_2) | instskip(NEXT) | instid1(VALU_DEP_1)
	s_mul_i32 s69, s65, s7
	s_mul_hi_u32 s71, s65, s16
	s_mul_i32 s70, s68, s16
	s_add_i32 s69, s71, s69
	s_mul_i32 s72, s65, s16
	s_add_i32 s69, s69, s70
	s_mul_hi_u32 s71, s16, s72
	s_mul_hi_u32 s73, s7, s72
	s_mul_i32 s70, s7, s72
	s_mul_hi_u32 s72, s16, s69
	s_mul_i32 s16, s16, s69
	s_mul_hi_u32 s95, s7, s69
	s_add_u32 s16, s71, s16
	s_addc_u32 s71, 0, s72
	s_add_u32 s16, s16, s70
	s_mul_i32 s69, s7, s69
	s_addc_u32 s16, s71, s73
	s_addc_u32 s70, s95, 0
	s_add_u32 s16, s16, s69
	s_addc_u32 s69, 0, s70
	v_add_co_u32 v4, s16, v4, s16
	s_delay_alu instid0(VALU_DEP_1) | instskip(SKIP_1) | instid1(VALU_DEP_1)
	s_cmp_lg_u32 s16, 0
	s_addc_u32 s7, s7, s69
	v_readfirstlane_b32 s16, v4
	s_mul_i32 s69, s65, s7
	s_delay_alu instid0(VALU_DEP_1)
	s_mul_hi_u32 s70, s65, s16
	s_mul_i32 s68, s68, s16
	s_add_i32 s69, s70, s69
	s_mul_i32 s65, s65, s16
	s_add_i32 s69, s69, s68
	s_mul_hi_u32 s70, s7, s65
	s_mul_i32 s71, s7, s65
	s_mul_hi_u32 s65, s16, s65
	s_mul_hi_u32 s72, s16, s69
	s_mul_i32 s16, s16, s69
	s_mul_hi_u32 s68, s7, s69
	s_add_u32 s16, s65, s16
	s_addc_u32 s65, 0, s72
	s_add_u32 s16, s16, s71
	s_mul_i32 s69, s7, s69
	s_addc_u32 s16, s65, s70
	s_addc_u32 s65, s68, 0
	s_add_u32 s16, s16, s69
	s_addc_u32 s65, 0, s65
	v_add_co_u32 v4, s16, v4, s16
	s_delay_alu instid0(VALU_DEP_1) | instskip(SKIP_1) | instid1(VALU_DEP_1)
	s_cmp_lg_u32 s16, 0
	s_addc_u32 s7, s7, s65
	v_readfirstlane_b32 s16, v4
	s_mul_i32 s68, s26, s7
	s_mul_hi_u32 s65, s26, s7
	s_mul_hi_u32 s69, s17, s7
	s_mul_i32 s7, s17, s7
	s_mul_hi_u32 s70, s26, s16
	s_mul_hi_u32 s71, s17, s16
	s_mul_i32 s16, s17, s16
	s_add_u32 s68, s70, s68
	s_addc_u32 s65, 0, s65
	s_add_u32 s16, s68, s16
	s_addc_u32 s16, s65, s71
	s_addc_u32 s65, s69, 0
	s_add_u32 s7, s16, s7
	s_addc_u32 s16, 0, s65
	s_mul_hi_u32 s65, s33, s7
	s_mul_i32 s7, s33, s7
	s_mul_i32 s16, s33, s16
	v_sub_co_u32 v4, s7, s26, s7
	s_add_i32 s65, s65, s16
	s_cmp_lg_u32 s7, 0
	s_delay_alu instid0(VALU_DEP_1) | instskip(SKIP_2) | instid1(VALU_DEP_1)
	v_sub_co_u32 v5, s7, v4, s33
	s_subb_u32 s16, s17, s65
	s_cmp_lg_u32 s7, 0
	v_cmp_le_u32_e32 vcc_lo, s33, v5
	v_sub_co_u32 v6, s7, v5, s33
	s_subb_u32 s65, s16, 0
	s_cmp_lg_u32 s7, 0
	v_cndmask_b32_e64 v7, 0, -1, vcc_lo
	s_subb_u32 s7, s65, 0
	s_cmp_eq_u32 s65, 0
	v_mov_b32_e32 v9, s7
	s_cselect_b32 vcc_lo, -1, 0
	s_cmp_eq_u32 s16, 0
	v_cndmask_b32_e32 v7, -1, v7, vcc_lo
	v_cmp_le_u32_e32 vcc_lo, s33, v4
	s_cselect_b32 s7, -1, 0
	v_cndmask_b32_e64 v8, 0, -1, vcc_lo
	s_delay_alu instid0(VALU_DEP_3) | instskip(NEXT) | instid1(VALU_DEP_2)
	v_cmp_ne_u32_e32 vcc_lo, 0, v7
	v_cndmask_b32_e64 v7, -1, v8, s7
	v_cndmask_b32_e32 v8, s65, v9, vcc_lo
	v_cndmask_b32_e32 v6, v5, v6, vcc_lo
	s_delay_alu instid0(VALU_DEP_3) | instskip(NEXT) | instid1(VALU_DEP_3)
	v_cmp_ne_u32_e32 vcc_lo, 0, v7
	v_cndmask_b32_e32 v5, s16, v8, vcc_lo
	s_delay_alu instid0(VALU_DEP_3)
	v_cndmask_b32_e32 v4, v4, v6, vcc_lo
	s_cbranch_execnz .LBB135_332
.LBB135_331:                            ;   in Loop: Header=BB135_12 Depth=1
	v_cvt_f32_u32_e32 v4, s33
	s_sub_i32 s7, 0, s33
	s_delay_alu instid0(VALU_DEP_1) | instskip(SKIP_2) | instid1(VALU_DEP_1)
	v_rcp_iflag_f32_e32 v4, v4
	s_waitcnt_depctr 0xfff
	v_mul_f32_e32 v4, 0x4f7ffffe, v4
	v_cvt_u32_f32_e32 v4, v4
	s_delay_alu instid0(VALU_DEP_1) | instskip(NEXT) | instid1(VALU_DEP_1)
	v_mul_lo_u32 v5, s7, v4
	v_mul_hi_u32 v5, v4, v5
	s_delay_alu instid0(VALU_DEP_1) | instskip(NEXT) | instid1(VALU_DEP_1)
	v_add_nc_u32_e32 v4, v4, v5
	v_mul_hi_u32 v4, s26, v4
	s_delay_alu instid0(VALU_DEP_1) | instskip(NEXT) | instid1(VALU_DEP_1)
	v_mul_lo_u32 v4, v4, s33
	v_sub_nc_u32_e32 v4, s26, v4
	s_delay_alu instid0(VALU_DEP_1) | instskip(SKIP_1) | instid1(VALU_DEP_2)
	v_subrev_nc_u32_e32 v5, s33, v4
	v_cmp_le_u32_e32 vcc_lo, s33, v4
	v_cndmask_b32_e32 v4, v4, v5, vcc_lo
	s_delay_alu instid0(VALU_DEP_1) | instskip(SKIP_1) | instid1(VALU_DEP_2)
	v_subrev_nc_u32_e32 v5, s33, v4
	v_cmp_le_u32_e32 vcc_lo, s33, v4
	v_cndmask_b32_e32 v12, v4, v5, vcc_lo
	s_delay_alu instid0(VALU_DEP_1)
	v_dual_mov_b32 v4, v12 :: v_dual_mov_b32 v5, v13
.LBB135_332:                            ;   in Loop: Header=BB135_12 Depth=1
	s_delay_alu instid0(VALU_DEP_1) | instskip(NEXT) | instid1(VALU_DEP_2)
	v_sub_co_u32 v4, vcc_lo, s26, v4
	v_sub_co_ci_u32_e32 v5, vcc_lo, s17, v5, vcc_lo
	s_mov_b32 s7, 0
	s_mov_b32 s16, exec_lo
                                        ; implicit-def: $vgpr28
	s_delay_alu instid0(VALU_DEP_1)
	v_cmpx_gt_u64_e64 v[4:5], v[0:1]
	s_cbranch_execz .LBB135_344
; %bb.333:                              ;   in Loop: Header=BB135_12 Depth=1
	v_dual_mov_b32 v8, v0 :: v_dual_mov_b32 v7, v1
	v_mov_b32_e32 v6, v0
	s_mov_b32 s17, 0
                                        ; implicit-def: $sgpr26
	s_set_inst_prefetch_distance 0x1
	s_branch .LBB135_335
	.p2align	6
.LBB135_334:                            ;   in Loop: Header=BB135_335 Depth=2
	s_or_b32 exec_lo, exec_lo, s7
	s_waitcnt lgkmcnt(0)
	s_barrier
	buffer_gl0_inv
	ds_load_u16 v9, v13 offset:3072
	v_add_co_u32 v6, vcc_lo, v6, s33
	v_add_co_ci_u32_e32 v7, vcc_lo, 0, v7, vcc_lo
	v_add_nc_u32_e32 v8, s33, v8
	s_waitcnt lgkmcnt(0)
	s_barrier
	s_delay_alu instid0(VALU_DEP_2) | instskip(SKIP_2) | instid1(VALU_DEP_1)
	v_cmp_ge_u64_e32 vcc_lo, v[6:7], v[4:5]
	buffer_gl0_inv
	v_and_b32_e32 v12, 0xff, v9
	v_cmp_ne_u16_e64 s7, 0, v12
	s_delay_alu instid0(VALU_DEP_1) | instskip(NEXT) | instid1(SALU_CYCLE_1)
	s_or_b32 s65, vcc_lo, s7
	s_and_b32 s65, exec_lo, s65
	s_delay_alu instid0(SALU_CYCLE_1) | instskip(SKIP_2) | instid1(SALU_CYCLE_1)
	s_or_b32 s17, s65, s17
	s_and_not1_b32 s26, s26, exec_lo
	s_and_b32 s7, s7, exec_lo
	s_or_b32 s26, s26, s7
	s_and_not1_b32 exec_lo, exec_lo, s17
	s_cbranch_execz .LBB135_343
.LBB135_335:                            ;   Parent Loop BB135_12 Depth=1
                                        ; =>  This Inner Loop Header: Depth=2
	s_delay_alu instid0(VALU_DEP_1)
	v_cmp_gt_u64_e32 vcc_lo, s[8:9], v[6:7]
	v_mov_b32_e32 v9, 0
	s_and_saveexec_b32 s7, vcc_lo
	s_cbranch_execz .LBB135_337
; %bb.336:                              ;   in Loop: Header=BB135_335 Depth=2
	ds_load_u8 v9, v8
.LBB135_337:                            ;   in Loop: Header=BB135_335 Depth=2
	s_or_b32 exec_lo, exec_lo, s7
	s_and_saveexec_b32 s7, vcc_lo
	s_cbranch_execz .LBB135_334
; %bb.338:                              ;   in Loop: Header=BB135_335 Depth=2
	s_waitcnt lgkmcnt(0)
	v_bfe_i32 v12, v9, 0, 8
	s_delay_alu instid0(VALU_DEP_1) | instskip(NEXT) | instid1(VALU_DEP_1)
	v_add_nc_u32_e32 v12, 0x80, v12
	v_and_b32_e32 v12, v12, v26
	s_delay_alu instid0(VALU_DEP_1)
	v_cmp_eq_u32_e32 vcc_lo, v12, v27
	s_and_b32 exec_lo, exec_lo, vcc_lo
	s_cbranch_execz .LBB135_334
; %bb.339:                              ;   in Loop: Header=BB135_335 Depth=2
	v_lshlrev_b16 v9, 8, v9
	s_delay_alu instid0(VALU_DEP_1)
	v_or_b32_e32 v9, 1, v9
	ds_store_b16 v13, v9 offset:3072
	s_branch .LBB135_334
.LBB135_340:                            ;   in Loop: Header=BB135_12 Depth=1
                                        ; implicit-def: $vgpr2_vgpr3
	s_branch .LBB135_287
.LBB135_341:                            ;   in Loop: Header=BB135_12 Depth=1
                                        ; implicit-def: $vgpr2_vgpr3
	s_branch .LBB135_301
.LBB135_342:                            ;   in Loop: Header=BB135_12 Depth=1
	s_mov_b32 s16, -1
	s_mov_b32 s7, 0
                                        ; implicit-def: $sgpr17
                                        ; implicit-def: $vgpr28
	s_mov_b32 s65, s16
	s_cbranch_execnz .LBB135_345
	s_branch .LBB135_358
.LBB135_343:                            ;   in Loop: Header=BB135_12 Depth=1
	s_set_inst_prefetch_distance 0x2
	s_or_b32 exec_lo, exec_lo, s17
	v_lshrrev_b16 v28, 8, v9
	s_and_b32 s7, s26, exec_lo
.LBB135_344:                            ;   in Loop: Header=BB135_12 Depth=1
	s_or_b32 exec_lo, exec_lo, s16
	s_mov_b32 s16, 0
	s_mov_b32 s17, -1
	s_mov_b32 s65, s16
	s_branch .LBB135_358
.LBB135_345:                            ;   in Loop: Header=BB135_12 Depth=1
	s_mov_b32 s26, s61
	s_delay_alu instid0(SALU_CYCLE_1)
	s_cmp_lg_u64 s[26:27], 0
	s_cbranch_scc0 .LBB135_387
; %bb.346:                              ;   in Loop: Header=BB135_12 Depth=1
	v_cvt_f32_u32_e32 v4, s33
	s_sub_u32 s9, 0, s33
	s_subb_u32 s16, 0, 0
	s_delay_alu instid0(VALU_DEP_1) | instskip(NEXT) | instid1(VALU_DEP_1)
	v_fmac_f32_e64 v4, 0, 0x4f800000
	v_rcp_f32_e32 v4, v4
	s_waitcnt_depctr 0xfff
	v_mul_f32_e32 v4, 0x5f7ffffc, v4
	s_delay_alu instid0(VALU_DEP_1) | instskip(NEXT) | instid1(VALU_DEP_1)
	v_mul_f32_e32 v5, 0x2f800000, v4
	v_trunc_f32_e32 v5, v5
	s_delay_alu instid0(VALU_DEP_1) | instskip(SKIP_1) | instid1(VALU_DEP_2)
	v_fmac_f32_e32 v4, 0xcf800000, v5
	v_cvt_u32_f32_e32 v5, v5
	v_cvt_u32_f32_e32 v4, v4
	s_delay_alu instid0(VALU_DEP_2) | instskip(NEXT) | instid1(VALU_DEP_2)
	v_readfirstlane_b32 s7, v5
	v_readfirstlane_b32 s8, v4
	s_delay_alu instid0(VALU_DEP_2) | instskip(NEXT) | instid1(VALU_DEP_1)
	s_mul_i32 s17, s9, s7
	s_mul_hi_u32 s65, s9, s8
	s_mul_i32 s26, s16, s8
	s_add_i32 s17, s65, s17
	s_mul_i32 s68, s9, s8
	s_add_i32 s17, s17, s26
	s_mul_hi_u32 s65, s8, s68
	s_mul_hi_u32 s69, s7, s68
	s_mul_i32 s26, s7, s68
	s_mul_hi_u32 s68, s8, s17
	s_mul_i32 s8, s8, s17
	s_mul_hi_u32 s70, s7, s17
	s_add_u32 s8, s65, s8
	s_addc_u32 s65, 0, s68
	s_add_u32 s8, s8, s26
	s_mul_i32 s17, s7, s17
	s_addc_u32 s8, s65, s69
	s_addc_u32 s26, s70, 0
	s_add_u32 s8, s8, s17
	s_addc_u32 s17, 0, s26
	v_add_co_u32 v4, s8, v4, s8
	s_delay_alu instid0(VALU_DEP_1) | instskip(SKIP_1) | instid1(VALU_DEP_1)
	s_cmp_lg_u32 s8, 0
	s_addc_u32 s7, s7, s17
	v_readfirstlane_b32 s8, v4
	s_mul_i32 s17, s9, s7
	s_delay_alu instid0(VALU_DEP_1)
	s_mul_hi_u32 s26, s9, s8
	s_mul_i32 s16, s16, s8
	s_add_i32 s17, s26, s17
	s_mul_i32 s9, s9, s8
	s_add_i32 s17, s17, s16
	s_mul_hi_u32 s26, s7, s9
	s_mul_i32 s65, s7, s9
	s_mul_hi_u32 s9, s8, s9
	s_mul_hi_u32 s68, s8, s17
	s_mul_i32 s8, s8, s17
	s_mul_hi_u32 s16, s7, s17
	s_add_u32 s8, s9, s8
	s_addc_u32 s9, 0, s68
	s_add_u32 s8, s8, s65
	s_mul_i32 s17, s7, s17
	s_addc_u32 s8, s9, s26
	s_addc_u32 s9, s16, 0
	s_add_u32 s8, s8, s17
	s_addc_u32 s9, 0, s9
	v_add_co_u32 v4, s8, v4, s8
	s_delay_alu instid0(VALU_DEP_1) | instskip(SKIP_1) | instid1(VALU_DEP_1)
	s_cmp_lg_u32 s8, 0
	s_addc_u32 s7, s7, s9
	v_readfirstlane_b32 s8, v4
	s_mul_i32 s16, s76, s7
	s_mul_hi_u32 s9, s76, s7
	s_mul_hi_u32 s17, s27, s7
	s_mul_i32 s7, s27, s7
	s_mul_hi_u32 s26, s76, s8
	s_mul_hi_u32 s65, s27, s8
	s_mul_i32 s8, s27, s8
	s_add_u32 s16, s26, s16
	s_addc_u32 s9, 0, s9
	s_add_u32 s8, s16, s8
	s_addc_u32 s8, s9, s65
	s_addc_u32 s9, s17, 0
	s_add_u32 s7, s8, s7
	s_addc_u32 s8, 0, s9
	s_mul_hi_u32 s9, s33, s7
	s_mul_i32 s7, s33, s7
	s_mul_i32 s8, s33, s8
	v_sub_co_u32 v4, s7, s76, s7
	s_add_i32 s9, s9, s8
	s_cmp_lg_u32 s7, 0
	s_delay_alu instid0(VALU_DEP_1) | instskip(SKIP_2) | instid1(VALU_DEP_1)
	v_sub_co_u32 v5, s7, v4, s33
	s_subb_u32 s8, s27, s9
	s_cmp_lg_u32 s7, 0
	v_cmp_le_u32_e32 vcc_lo, s33, v5
	v_sub_co_u32 v6, s7, v5, s33
	s_subb_u32 s9, s8, 0
	s_cmp_lg_u32 s7, 0
	v_cndmask_b32_e64 v7, 0, -1, vcc_lo
	s_subb_u32 s7, s9, 0
	s_cmp_eq_u32 s9, 0
	v_mov_b32_e32 v9, s7
	s_cselect_b32 vcc_lo, -1, 0
	s_cmp_eq_u32 s8, 0
	v_cndmask_b32_e32 v7, -1, v7, vcc_lo
	v_cmp_le_u32_e32 vcc_lo, s33, v4
	s_cselect_b32 s7, -1, 0
	v_cndmask_b32_e64 v8, 0, -1, vcc_lo
	s_delay_alu instid0(VALU_DEP_3) | instskip(NEXT) | instid1(VALU_DEP_2)
	v_cmp_ne_u32_e32 vcc_lo, 0, v7
	v_cndmask_b32_e64 v7, -1, v8, s7
	v_cndmask_b32_e32 v8, s9, v9, vcc_lo
	v_cndmask_b32_e32 v6, v5, v6, vcc_lo
	s_delay_alu instid0(VALU_DEP_3) | instskip(NEXT) | instid1(VALU_DEP_3)
	v_cmp_ne_u32_e32 vcc_lo, 0, v7
	v_cndmask_b32_e32 v5, s8, v8, vcc_lo
	s_delay_alu instid0(VALU_DEP_3)
	v_cndmask_b32_e32 v4, v4, v6, vcc_lo
	s_cbranch_execnz .LBB135_348
.LBB135_347:                            ;   in Loop: Header=BB135_12 Depth=1
	v_cvt_f32_u32_e32 v4, s33
	s_sub_i32 s7, 0, s33
	s_delay_alu instid0(VALU_DEP_1) | instskip(SKIP_2) | instid1(VALU_DEP_1)
	v_rcp_iflag_f32_e32 v4, v4
	s_waitcnt_depctr 0xfff
	v_mul_f32_e32 v4, 0x4f7ffffe, v4
	v_cvt_u32_f32_e32 v4, v4
	s_delay_alu instid0(VALU_DEP_1) | instskip(NEXT) | instid1(VALU_DEP_1)
	v_mul_lo_u32 v5, s7, v4
	v_mul_hi_u32 v5, v4, v5
	s_delay_alu instid0(VALU_DEP_1) | instskip(NEXT) | instid1(VALU_DEP_1)
	v_add_nc_u32_e32 v4, v4, v5
	v_mul_hi_u32 v4, s76, v4
	s_delay_alu instid0(VALU_DEP_1) | instskip(NEXT) | instid1(VALU_DEP_1)
	v_mul_lo_u32 v4, v4, s33
	v_sub_nc_u32_e32 v4, s76, v4
	s_delay_alu instid0(VALU_DEP_1) | instskip(SKIP_1) | instid1(VALU_DEP_2)
	v_subrev_nc_u32_e32 v5, s33, v4
	v_cmp_le_u32_e32 vcc_lo, s33, v4
	v_cndmask_b32_e32 v4, v4, v5, vcc_lo
	s_delay_alu instid0(VALU_DEP_1) | instskip(SKIP_1) | instid1(VALU_DEP_2)
	v_subrev_nc_u32_e32 v5, s33, v4
	v_cmp_le_u32_e32 vcc_lo, s33, v4
	v_cndmask_b32_e32 v12, v4, v5, vcc_lo
	s_delay_alu instid0(VALU_DEP_1)
	v_dual_mov_b32 v4, v12 :: v_dual_mov_b32 v5, v13
.LBB135_348:                            ;   in Loop: Header=BB135_12 Depth=1
	s_delay_alu instid0(VALU_DEP_1) | instskip(NEXT) | instid1(VALU_DEP_2)
	v_sub_co_u32 v4, vcc_lo, s76, v4
	v_sub_co_ci_u32_e32 v5, vcc_lo, s27, v5, vcc_lo
	s_mov_b32 s7, 0
	s_mov_b32 s8, exec_lo
                                        ; implicit-def: $vgpr28
	s_delay_alu instid0(VALU_DEP_1)
	v_cmpx_gt_u64_e64 v[4:5], v[0:1]
	s_cbranch_execz .LBB135_357
; %bb.349:                              ;   in Loop: Header=BB135_12 Depth=1
	v_dual_mov_b32 v7, v1 :: v_dual_mov_b32 v6, v0
	s_mov_b32 s9, 0
                                        ; implicit-def: $sgpr16
	s_branch .LBB135_351
.LBB135_350:                            ;   in Loop: Header=BB135_351 Depth=2
	s_or_b32 exec_lo, exec_lo, s7
	s_waitcnt vmcnt(0) lgkmcnt(0)
	s_barrier
	buffer_gl0_inv
	ds_load_u16 v8, v13 offset:3072
	v_add_co_u32 v6, vcc_lo, v6, s33
	v_add_co_ci_u32_e32 v7, vcc_lo, 0, v7, vcc_lo
	s_waitcnt lgkmcnt(0)
	s_barrier
	buffer_gl0_inv
	v_cmp_ge_u64_e32 vcc_lo, v[6:7], v[4:5]
	v_and_b32_e32 v9, 0xff, v8
	s_delay_alu instid0(VALU_DEP_1) | instskip(NEXT) | instid1(VALU_DEP_1)
	v_cmp_ne_u16_e64 s7, 0, v9
	s_or_b32 s17, vcc_lo, s7
	s_delay_alu instid0(SALU_CYCLE_1) | instskip(NEXT) | instid1(SALU_CYCLE_1)
	s_and_b32 s17, exec_lo, s17
	s_or_b32 s9, s17, s9
	s_and_not1_b32 s16, s16, exec_lo
	s_and_b32 s7, s7, exec_lo
	s_delay_alu instid0(SALU_CYCLE_1)
	s_or_b32 s16, s16, s7
	s_and_not1_b32 exec_lo, exec_lo, s9
	s_cbranch_execz .LBB135_356
.LBB135_351:                            ;   Parent Loop BB135_12 Depth=1
                                        ; =>  This Inner Loop Header: Depth=2
	s_delay_alu instid0(VALU_DEP_1)
	v_cmp_gt_u64_e32 vcc_lo, s[36:37], v[6:7]
	v_mov_b32_e32 v8, 0
	s_and_saveexec_b32 s7, vcc_lo
	s_cbranch_execz .LBB135_353
; %bb.352:                              ;   in Loop: Header=BB135_351 Depth=2
	v_mad_u64_u32 v[8:9], null, v6, s30, s[28:29]
	v_mul_lo_u32 v12, v6, s31
	v_mul_lo_u32 v16, v7, s30
	s_delay_alu instid0(VALU_DEP_1)
	v_add3_u32 v9, v16, v9, v12
	global_load_u8 v8, v[8:9], off
.LBB135_353:                            ;   in Loop: Header=BB135_351 Depth=2
	s_or_b32 exec_lo, exec_lo, s7
	s_and_saveexec_b32 s7, vcc_lo
	s_cbranch_execz .LBB135_350
; %bb.354:                              ;   in Loop: Header=BB135_351 Depth=2
	s_waitcnt vmcnt(0)
	v_bfe_i32 v9, v8, 0, 8
	s_delay_alu instid0(VALU_DEP_1) | instskip(NEXT) | instid1(VALU_DEP_1)
	v_add_nc_u32_e32 v9, 0x80, v9
	v_and_b32_e32 v9, v9, v26
	s_delay_alu instid0(VALU_DEP_1)
	v_cmp_eq_u32_e32 vcc_lo, v9, v27
	s_and_b32 exec_lo, exec_lo, vcc_lo
	s_cbranch_execz .LBB135_350
; %bb.355:                              ;   in Loop: Header=BB135_351 Depth=2
	v_lshlrev_b16 v8, 8, v8
	s_delay_alu instid0(VALU_DEP_1)
	v_or_b32_e32 v8, 1, v8
	ds_store_b16 v13, v8 offset:3072
	s_branch .LBB135_350
.LBB135_356:                            ;   in Loop: Header=BB135_12 Depth=1
	s_or_b32 exec_lo, exec_lo, s9
	v_lshrrev_b16 v28, 8, v8
	s_and_b32 s7, s16, exec_lo
.LBB135_357:                            ;   in Loop: Header=BB135_12 Depth=1
	s_or_b32 exec_lo, exec_lo, s8
	s_mov_b32 s17, 0
	s_mov_b32 s16, -1
	s_mov_b32 s65, 0
.LBB135_358:                            ;   in Loop: Header=BB135_12 Depth=1
	s_or_not1_b32 s7, s7, exec_lo
.LBB135_359:                            ;   in Loop: Header=BB135_12 Depth=1
	s_or_b32 exec_lo, exec_lo, s66
	s_mov_b32 s26, 0
                                        ; implicit-def: $vgpr6
	s_and_saveexec_b32 s66, s7
	s_cbranch_execz .LBB135_472
; %bb.360:                              ;   in Loop: Header=BB135_12 Depth=1
	v_mov_b32_e32 v4, 1
	v_dual_mov_b32 v5, 0 :: v_dual_mov_b32 v6, 1
	s_xor_b32 s8, s67, -1
	s_delay_alu instid0(SALU_CYCLE_1)
	s_and_saveexec_b32 s7, s8
	s_cbranch_execz .LBB135_370
; %bb.361:                              ;   in Loop: Header=BB135_12 Depth=1
	s_mov_b32 s9, exec_lo
                                        ; implicit-def: $sgpr26
                                        ; implicit-def: $sgpr8
	v_cmpx_ge_u64_e64 s[14:15], v[2:3]
	s_xor_b32 s9, exec_lo, s9
	s_cbranch_execz .LBB135_367
; %bb.362:                              ;   in Loop: Header=BB135_12 Depth=1
	ds_load_b64 v[4:5], v13 offset:5120
	s_waitcnt lgkmcnt(0)
	v_cmp_ne_u64_e32 vcc_lo, 0, v[4:5]
	s_cbranch_vccnz .LBB135_366
; %bb.363:                              ;   in Loop: Header=BB135_12 Depth=1
	s_and_saveexec_b32 s8, s5
	s_cbranch_execz .LBB135_365
; %bb.364:                              ;   in Loop: Header=BB135_12 Depth=1
	v_dual_mov_b32 v4, s14 :: v_dual_mov_b32 v5, s15
	ds_store_b64 v13, v[4:5] offset:5128
.LBB135_365:                            ;   in Loop: Header=BB135_12 Depth=1
	s_or_b32 exec_lo, exec_lo, s8
	s_waitcnt lgkmcnt(0)
	s_barrier
	buffer_gl0_inv
.LBB135_366:                            ;   in Loop: Header=BB135_12 Depth=1
	s_lshl_b32 s8, 2, s22
	v_or_b32_e32 v26, s20, v26
	v_and_or_b32 v27, v27, s21, s8
	s_mov_b32 s8, 0
	s_mov_b32 s26, 5
.LBB135_367:                            ;   in Loop: Header=BB135_12 Depth=1
	s_or_saveexec_b32 s9, s9
	v_mov_b32_e32 v6, s26
	s_xor_b32 exec_lo, exec_lo, s9
; %bb.368:                              ;   in Loop: Header=BB135_12 Depth=1
	v_sub_co_u32 v2, vcc_lo, v2, s14
	v_subrev_co_ci_u32_e32 v3, vcc_lo, s15, v3, vcc_lo
	v_mov_b32_e32 v6, 0
	s_or_b32 s8, s8, exec_lo
; %bb.369:                              ;   in Loop: Header=BB135_12 Depth=1
	s_or_b32 exec_lo, exec_lo, s9
	s_delay_alu instid0(VALU_DEP_2)
	v_dual_mov_b32 v5, v3 :: v_dual_mov_b32 v4, v2
	s_and_b32 s26, s8, exec_lo
.LBB135_370:                            ;   in Loop: Header=BB135_12 Depth=1
	s_or_b32 exec_lo, exec_lo, s7
	s_mov_b32 s7, -1
                                        ; implicit-def: $sgpr8
                                        ; implicit-def: $sgpr9
                                        ; implicit-def: $sgpr14
	s_and_saveexec_b32 s67, s26
	s_cbranch_execz .LBB135_471
; %bb.371:                              ;   in Loop: Header=BB135_12 Depth=1
	v_cmp_eq_u64_e32 vcc_lo, 1, v[4:5]
	s_cmp_eq_u64 s[12:13], 1
                                        ; implicit-def: $sgpr14
                                        ; implicit-def: $sgpr15
                                        ; implicit-def: $sgpr68
	s_cselect_b32 s7, -1, 0
	s_delay_alu instid0(SALU_CYCLE_1)
	s_and_b32 s70, s7, vcc_lo
	s_mov_b32 s7, -1
	s_and_saveexec_b32 s69, s70
	s_cbranch_execz .LBB135_405
; %bb.372:                              ;   in Loop: Header=BB135_12 Depth=1
	ds_load_b64 v[2:3], v13 offset:5120
	s_waitcnt lgkmcnt(0)
	s_barrier
	buffer_gl0_inv
	v_readfirstlane_b32 s8, v2
	v_readfirstlane_b32 s9, v3
	s_and_saveexec_b32 s7, s6
	s_cbranch_execz .LBB135_374
; %bb.373:                              ;   in Loop: Header=BB135_12 Depth=1
	ds_store_b8 v0, v13 offset:3072
.LBB135_374:                            ;   in Loop: Header=BB135_12 Depth=1
	s_or_b32 exec_lo, exec_lo, s7
	s_lshl_b32 s7, 1, s22
	v_or_b32_e32 v26, s20, v26
	v_and_or_b32 v27, v27, s21, s7
	s_cmp_eq_u64 s[8:9], 0
	s_waitcnt lgkmcnt(0)
	s_barrier
	buffer_gl0_inv
	s_cbranch_scc1 .LBB135_388
; %bb.375:                              ;   in Loop: Header=BB135_12 Depth=1
	s_add_u32 s26, s74, s8
	s_addc_u32 s15, s75, s9
	s_mov_b32 s14, s61
	s_delay_alu instid0(SALU_CYCLE_1)
	s_cmp_lg_u64 s[14:15], 0
	s_cbranch_scc0 .LBB135_423
; %bb.376:                              ;   in Loop: Header=BB135_12 Depth=1
	v_cvt_f32_u32_e32 v2, s33
	s_sub_u32 s68, 0, s33
	s_subb_u32 s71, 0, 0
	s_delay_alu instid0(VALU_DEP_1) | instskip(NEXT) | instid1(VALU_DEP_1)
	v_fmac_f32_e64 v2, 0, 0x4f800000
	v_rcp_f32_e32 v2, v2
	s_waitcnt_depctr 0xfff
	v_mul_f32_e32 v2, 0x5f7ffffc, v2
	s_delay_alu instid0(VALU_DEP_1) | instskip(NEXT) | instid1(VALU_DEP_1)
	v_mul_f32_e32 v3, 0x2f800000, v2
	v_trunc_f32_e32 v3, v3
	s_delay_alu instid0(VALU_DEP_1) | instskip(SKIP_1) | instid1(VALU_DEP_2)
	v_fmac_f32_e32 v2, 0xcf800000, v3
	v_cvt_u32_f32_e32 v3, v3
	v_cvt_u32_f32_e32 v2, v2
	s_delay_alu instid0(VALU_DEP_2) | instskip(NEXT) | instid1(VALU_DEP_2)
	v_readfirstlane_b32 s7, v3
	v_readfirstlane_b32 s14, v2
	s_delay_alu instid0(VALU_DEP_2) | instskip(NEXT) | instid1(VALU_DEP_1)
	s_mul_i32 s72, s68, s7
	s_mul_hi_u32 s95, s68, s14
	s_mul_i32 s73, s71, s14
	s_add_i32 s72, s95, s72
	s_mul_i32 s96, s68, s14
	s_add_i32 s72, s72, s73
	s_mul_hi_u32 s95, s14, s96
	s_mul_hi_u32 s97, s7, s96
	s_mul_i32 s73, s7, s96
	s_mul_hi_u32 s96, s14, s72
	s_mul_i32 s14, s14, s72
	s_mul_hi_u32 s98, s7, s72
	s_add_u32 s14, s95, s14
	s_addc_u32 s95, 0, s96
	s_add_u32 s14, s14, s73
	s_mul_i32 s72, s7, s72
	s_addc_u32 s14, s95, s97
	s_addc_u32 s73, s98, 0
	s_add_u32 s14, s14, s72
	s_addc_u32 s72, 0, s73
	v_add_co_u32 v2, s14, v2, s14
	s_delay_alu instid0(VALU_DEP_1) | instskip(SKIP_1) | instid1(VALU_DEP_1)
	s_cmp_lg_u32 s14, 0
	s_addc_u32 s7, s7, s72
	v_readfirstlane_b32 s14, v2
	s_mul_i32 s72, s68, s7
	s_delay_alu instid0(VALU_DEP_1)
	s_mul_hi_u32 s73, s68, s14
	s_mul_i32 s71, s71, s14
	s_add_i32 s72, s73, s72
	s_mul_i32 s68, s68, s14
	s_add_i32 s72, s72, s71
	s_mul_hi_u32 s73, s7, s68
	s_mul_i32 s95, s7, s68
	s_mul_hi_u32 s68, s14, s68
	s_mul_hi_u32 s96, s14, s72
	s_mul_i32 s14, s14, s72
	s_mul_hi_u32 s71, s7, s72
	s_add_u32 s14, s68, s14
	s_addc_u32 s68, 0, s96
	s_add_u32 s14, s14, s95
	s_mul_i32 s72, s7, s72
	s_addc_u32 s14, s68, s73
	s_addc_u32 s68, s71, 0
	s_add_u32 s14, s14, s72
	s_addc_u32 s68, 0, s68
	v_add_co_u32 v2, s14, v2, s14
	s_delay_alu instid0(VALU_DEP_1) | instskip(SKIP_1) | instid1(VALU_DEP_1)
	s_cmp_lg_u32 s14, 0
	s_addc_u32 s7, s7, s68
	v_readfirstlane_b32 s14, v2
	s_mul_i32 s71, s26, s7
	s_mul_hi_u32 s68, s26, s7
	s_mul_hi_u32 s72, s15, s7
	s_mul_i32 s7, s15, s7
	s_mul_hi_u32 s73, s26, s14
	s_mul_hi_u32 s95, s15, s14
	s_mul_i32 s14, s15, s14
	s_add_u32 s71, s73, s71
	s_addc_u32 s68, 0, s68
	s_add_u32 s14, s71, s14
	s_addc_u32 s14, s68, s95
	s_addc_u32 s68, s72, 0
	s_add_u32 s7, s14, s7
	s_addc_u32 s14, 0, s68
	s_mul_hi_u32 s68, s33, s7
	s_mul_i32 s7, s33, s7
	s_mul_i32 s14, s33, s14
	v_sub_co_u32 v2, s7, s26, s7
	s_add_i32 s68, s68, s14
	s_cmp_lg_u32 s7, 0
	s_delay_alu instid0(VALU_DEP_1) | instskip(SKIP_2) | instid1(VALU_DEP_1)
	v_sub_co_u32 v3, s7, v2, s33
	s_subb_u32 s14, s15, s68
	s_cmp_lg_u32 s7, 0
	v_cmp_le_u32_e32 vcc_lo, s33, v3
	v_sub_co_u32 v6, s7, v3, s33
	s_subb_u32 s68, s14, 0
	s_cmp_lg_u32 s7, 0
	v_cndmask_b32_e64 v7, 0, -1, vcc_lo
	s_subb_u32 s7, s68, 0
	s_cmp_eq_u32 s68, 0
	v_mov_b32_e32 v9, s7
	s_cselect_b32 vcc_lo, -1, 0
	s_cmp_eq_u32 s14, 0
	v_cndmask_b32_e32 v7, -1, v7, vcc_lo
	v_cmp_le_u32_e32 vcc_lo, s33, v2
	s_cselect_b32 s7, -1, 0
	v_cndmask_b32_e64 v8, 0, -1, vcc_lo
	s_delay_alu instid0(VALU_DEP_3) | instskip(NEXT) | instid1(VALU_DEP_2)
	v_cmp_ne_u32_e32 vcc_lo, 0, v7
	v_cndmask_b32_e64 v7, -1, v8, s7
	v_cndmask_b32_e32 v8, s68, v9, vcc_lo
	v_cndmask_b32_e32 v6, v3, v6, vcc_lo
	s_delay_alu instid0(VALU_DEP_3) | instskip(NEXT) | instid1(VALU_DEP_3)
	v_cmp_ne_u32_e32 vcc_lo, 0, v7
	v_cndmask_b32_e32 v3, s14, v8, vcc_lo
	s_delay_alu instid0(VALU_DEP_3)
	v_cndmask_b32_e32 v2, v2, v6, vcc_lo
	s_cbranch_execnz .LBB135_378
.LBB135_377:                            ;   in Loop: Header=BB135_12 Depth=1
	v_cvt_f32_u32_e32 v2, s33
	s_sub_i32 s7, 0, s33
	s_delay_alu instid0(VALU_DEP_1) | instskip(SKIP_2) | instid1(VALU_DEP_1)
	v_rcp_iflag_f32_e32 v2, v2
	s_waitcnt_depctr 0xfff
	v_mul_f32_e32 v2, 0x4f7ffffe, v2
	v_cvt_u32_f32_e32 v2, v2
	s_delay_alu instid0(VALU_DEP_1) | instskip(NEXT) | instid1(VALU_DEP_1)
	v_mul_lo_u32 v3, s7, v2
	v_mul_hi_u32 v3, v2, v3
	s_delay_alu instid0(VALU_DEP_1) | instskip(NEXT) | instid1(VALU_DEP_1)
	v_add_nc_u32_e32 v2, v2, v3
	v_mul_hi_u32 v2, s26, v2
	s_delay_alu instid0(VALU_DEP_1) | instskip(NEXT) | instid1(VALU_DEP_1)
	v_mul_lo_u32 v2, v2, s33
	v_sub_nc_u32_e32 v2, s26, v2
	s_delay_alu instid0(VALU_DEP_1) | instskip(SKIP_1) | instid1(VALU_DEP_2)
	v_subrev_nc_u32_e32 v3, s33, v2
	v_cmp_le_u32_e32 vcc_lo, s33, v2
	v_cndmask_b32_e32 v2, v2, v3, vcc_lo
	s_delay_alu instid0(VALU_DEP_1) | instskip(SKIP_1) | instid1(VALU_DEP_2)
	v_subrev_nc_u32_e32 v3, s33, v2
	v_cmp_le_u32_e32 vcc_lo, s33, v2
	v_cndmask_b32_e32 v12, v2, v3, vcc_lo
	s_delay_alu instid0(VALU_DEP_1)
	v_dual_mov_b32 v2, v12 :: v_dual_mov_b32 v3, v13
.LBB135_378:                            ;   in Loop: Header=BB135_12 Depth=1
	s_delay_alu instid0(VALU_DEP_1) | instskip(NEXT) | instid1(VALU_DEP_2)
	v_sub_co_u32 v2, vcc_lo, s26, v2
	v_sub_co_ci_u32_e32 v3, vcc_lo, s15, v3, vcc_lo
	s_mov_b32 s7, 0
	s_mov_b32 s14, exec_lo
                                        ; implicit-def: $vgpr28
	s_delay_alu instid0(VALU_DEP_1)
	v_cmpx_gt_u64_e64 v[2:3], v[0:1]
	s_cbranch_execz .LBB135_390
; %bb.379:                              ;   in Loop: Header=BB135_12 Depth=1
	v_dual_mov_b32 v8, v0 :: v_dual_mov_b32 v7, v1
	v_mov_b32_e32 v6, v0
	s_mov_b32 s15, 0
                                        ; implicit-def: $sgpr26
	s_set_inst_prefetch_distance 0x1
	s_branch .LBB135_381
	.p2align	6
.LBB135_380:                            ;   in Loop: Header=BB135_381 Depth=2
	s_or_b32 exec_lo, exec_lo, s7
	s_waitcnt lgkmcnt(0)
	s_barrier
	buffer_gl0_inv
	ds_load_u16 v9, v13 offset:3072
	v_add_co_u32 v6, vcc_lo, v6, s33
	v_add_co_ci_u32_e32 v7, vcc_lo, 0, v7, vcc_lo
	v_add_nc_u32_e32 v8, s33, v8
	s_waitcnt lgkmcnt(0)
	s_barrier
	s_delay_alu instid0(VALU_DEP_2) | instskip(SKIP_2) | instid1(VALU_DEP_1)
	v_cmp_ge_u64_e32 vcc_lo, v[6:7], v[2:3]
	buffer_gl0_inv
	v_and_b32_e32 v12, 0xff, v9
	v_cmp_ne_u16_e64 s7, 0, v12
	s_delay_alu instid0(VALU_DEP_1) | instskip(NEXT) | instid1(SALU_CYCLE_1)
	s_or_b32 s68, vcc_lo, s7
	s_and_b32 s68, exec_lo, s68
	s_delay_alu instid0(SALU_CYCLE_1) | instskip(SKIP_2) | instid1(SALU_CYCLE_1)
	s_or_b32 s15, s68, s15
	s_and_not1_b32 s26, s26, exec_lo
	s_and_b32 s7, s7, exec_lo
	s_or_b32 s26, s26, s7
	s_and_not1_b32 exec_lo, exec_lo, s15
	s_cbranch_execz .LBB135_389
.LBB135_381:                            ;   Parent Loop BB135_12 Depth=1
                                        ; =>  This Inner Loop Header: Depth=2
	s_delay_alu instid0(VALU_DEP_1)
	v_cmp_gt_u64_e32 vcc_lo, s[8:9], v[6:7]
	v_mov_b32_e32 v9, 0
	s_and_saveexec_b32 s7, vcc_lo
	s_cbranch_execz .LBB135_383
; %bb.382:                              ;   in Loop: Header=BB135_381 Depth=2
	ds_load_u8 v9, v8
.LBB135_383:                            ;   in Loop: Header=BB135_381 Depth=2
	s_or_b32 exec_lo, exec_lo, s7
	s_and_saveexec_b32 s7, vcc_lo
	s_cbranch_execz .LBB135_380
; %bb.384:                              ;   in Loop: Header=BB135_381 Depth=2
	s_waitcnt lgkmcnt(0)
	v_bfe_i32 v12, v9, 0, 8
	s_delay_alu instid0(VALU_DEP_1) | instskip(NEXT) | instid1(VALU_DEP_1)
	v_add_nc_u32_e32 v12, 0x80, v12
	v_and_b32_e32 v12, v12, v26
	s_delay_alu instid0(VALU_DEP_1)
	v_cmp_eq_u32_e32 vcc_lo, v12, v27
	s_and_b32 exec_lo, exec_lo, vcc_lo
	s_cbranch_execz .LBB135_380
; %bb.385:                              ;   in Loop: Header=BB135_381 Depth=2
	v_lshlrev_b16 v9, 8, v9
	s_delay_alu instid0(VALU_DEP_1)
	v_or_b32_e32 v9, 1, v9
	ds_store_b16 v13, v9 offset:3072
	s_branch .LBB135_380
.LBB135_386:                            ;   in Loop: Header=BB135_12 Depth=1
                                        ; implicit-def: $vgpr4_vgpr5
	s_branch .LBB135_331
.LBB135_387:                            ;   in Loop: Header=BB135_12 Depth=1
                                        ; implicit-def: $vgpr4_vgpr5
	s_branch .LBB135_347
.LBB135_388:                            ;   in Loop: Header=BB135_12 Depth=1
	s_mov_b32 s14, -1
	s_mov_b32 s7, 0
                                        ; implicit-def: $sgpr15
                                        ; implicit-def: $vgpr28
	s_mov_b32 s68, s14
	s_cbranch_execnz .LBB135_391
	s_branch .LBB135_404
.LBB135_389:                            ;   in Loop: Header=BB135_12 Depth=1
	s_set_inst_prefetch_distance 0x2
	s_or_b32 exec_lo, exec_lo, s15
	v_lshrrev_b16 v28, 8, v9
	s_and_b32 s7, s26, exec_lo
.LBB135_390:                            ;   in Loop: Header=BB135_12 Depth=1
	s_or_b32 exec_lo, exec_lo, s14
	s_mov_b32 s14, 0
	s_mov_b32 s15, -1
	s_mov_b32 s68, s14
	s_branch .LBB135_404
.LBB135_391:                            ;   in Loop: Header=BB135_12 Depth=1
	s_mov_b32 s26, s61
	s_delay_alu instid0(SALU_CYCLE_1)
	s_cmp_lg_u64 s[26:27], 0
	s_cbranch_scc0 .LBB135_424
; %bb.392:                              ;   in Loop: Header=BB135_12 Depth=1
	v_cvt_f32_u32_e32 v2, s33
	s_sub_u32 s9, 0, s33
	s_subb_u32 s14, 0, 0
	s_delay_alu instid0(VALU_DEP_1) | instskip(NEXT) | instid1(VALU_DEP_1)
	v_fmac_f32_e64 v2, 0, 0x4f800000
	v_rcp_f32_e32 v2, v2
	s_waitcnt_depctr 0xfff
	v_mul_f32_e32 v2, 0x5f7ffffc, v2
	s_delay_alu instid0(VALU_DEP_1) | instskip(NEXT) | instid1(VALU_DEP_1)
	v_mul_f32_e32 v3, 0x2f800000, v2
	v_trunc_f32_e32 v3, v3
	s_delay_alu instid0(VALU_DEP_1) | instskip(SKIP_1) | instid1(VALU_DEP_2)
	v_fmac_f32_e32 v2, 0xcf800000, v3
	v_cvt_u32_f32_e32 v3, v3
	v_cvt_u32_f32_e32 v2, v2
	s_delay_alu instid0(VALU_DEP_2) | instskip(NEXT) | instid1(VALU_DEP_2)
	v_readfirstlane_b32 s7, v3
	v_readfirstlane_b32 s8, v2
	s_delay_alu instid0(VALU_DEP_2) | instskip(NEXT) | instid1(VALU_DEP_1)
	s_mul_i32 s15, s9, s7
	s_mul_hi_u32 s68, s9, s8
	s_mul_i32 s26, s14, s8
	s_add_i32 s15, s68, s15
	s_mul_i32 s71, s9, s8
	s_add_i32 s15, s15, s26
	s_mul_hi_u32 s68, s8, s71
	s_mul_hi_u32 s72, s7, s71
	s_mul_i32 s26, s7, s71
	s_mul_hi_u32 s71, s8, s15
	s_mul_i32 s8, s8, s15
	s_mul_hi_u32 s73, s7, s15
	s_add_u32 s8, s68, s8
	s_addc_u32 s68, 0, s71
	s_add_u32 s8, s8, s26
	s_mul_i32 s15, s7, s15
	s_addc_u32 s8, s68, s72
	s_addc_u32 s26, s73, 0
	s_add_u32 s8, s8, s15
	s_addc_u32 s15, 0, s26
	v_add_co_u32 v2, s8, v2, s8
	s_delay_alu instid0(VALU_DEP_1) | instskip(SKIP_1) | instid1(VALU_DEP_1)
	s_cmp_lg_u32 s8, 0
	s_addc_u32 s7, s7, s15
	v_readfirstlane_b32 s8, v2
	s_mul_i32 s15, s9, s7
	s_delay_alu instid0(VALU_DEP_1)
	s_mul_hi_u32 s26, s9, s8
	s_mul_i32 s14, s14, s8
	s_add_i32 s15, s26, s15
	s_mul_i32 s9, s9, s8
	s_add_i32 s15, s15, s14
	s_mul_hi_u32 s26, s7, s9
	s_mul_i32 s68, s7, s9
	s_mul_hi_u32 s9, s8, s9
	s_mul_hi_u32 s71, s8, s15
	s_mul_i32 s8, s8, s15
	s_mul_hi_u32 s14, s7, s15
	s_add_u32 s8, s9, s8
	s_addc_u32 s9, 0, s71
	s_add_u32 s8, s8, s68
	s_mul_i32 s15, s7, s15
	s_addc_u32 s8, s9, s26
	s_addc_u32 s9, s14, 0
	s_add_u32 s8, s8, s15
	s_addc_u32 s9, 0, s9
	v_add_co_u32 v2, s8, v2, s8
	s_delay_alu instid0(VALU_DEP_1) | instskip(SKIP_1) | instid1(VALU_DEP_1)
	s_cmp_lg_u32 s8, 0
	s_addc_u32 s7, s7, s9
	v_readfirstlane_b32 s8, v2
	s_mul_i32 s14, s76, s7
	s_mul_hi_u32 s9, s76, s7
	s_mul_hi_u32 s15, s27, s7
	s_mul_i32 s7, s27, s7
	s_mul_hi_u32 s26, s76, s8
	s_mul_hi_u32 s68, s27, s8
	s_mul_i32 s8, s27, s8
	s_add_u32 s14, s26, s14
	s_addc_u32 s9, 0, s9
	s_add_u32 s8, s14, s8
	s_addc_u32 s8, s9, s68
	s_addc_u32 s9, s15, 0
	s_add_u32 s7, s8, s7
	s_addc_u32 s8, 0, s9
	s_mul_hi_u32 s9, s33, s7
	s_mul_i32 s7, s33, s7
	s_mul_i32 s8, s33, s8
	v_sub_co_u32 v2, s7, s76, s7
	s_add_i32 s9, s9, s8
	s_cmp_lg_u32 s7, 0
	s_delay_alu instid0(VALU_DEP_1) | instskip(SKIP_2) | instid1(VALU_DEP_1)
	v_sub_co_u32 v3, s7, v2, s33
	s_subb_u32 s8, s27, s9
	s_cmp_lg_u32 s7, 0
	v_cmp_le_u32_e32 vcc_lo, s33, v3
	v_sub_co_u32 v6, s7, v3, s33
	s_subb_u32 s9, s8, 0
	s_cmp_lg_u32 s7, 0
	v_cndmask_b32_e64 v7, 0, -1, vcc_lo
	s_subb_u32 s7, s9, 0
	s_cmp_eq_u32 s9, 0
	v_mov_b32_e32 v9, s7
	s_cselect_b32 vcc_lo, -1, 0
	s_cmp_eq_u32 s8, 0
	v_cndmask_b32_e32 v7, -1, v7, vcc_lo
	v_cmp_le_u32_e32 vcc_lo, s33, v2
	s_cselect_b32 s7, -1, 0
	v_cndmask_b32_e64 v8, 0, -1, vcc_lo
	s_delay_alu instid0(VALU_DEP_3) | instskip(NEXT) | instid1(VALU_DEP_2)
	v_cmp_ne_u32_e32 vcc_lo, 0, v7
	v_cndmask_b32_e64 v7, -1, v8, s7
	v_cndmask_b32_e32 v8, s9, v9, vcc_lo
	v_cndmask_b32_e32 v6, v3, v6, vcc_lo
	s_delay_alu instid0(VALU_DEP_3) | instskip(NEXT) | instid1(VALU_DEP_3)
	v_cmp_ne_u32_e32 vcc_lo, 0, v7
	v_cndmask_b32_e32 v3, s8, v8, vcc_lo
	s_delay_alu instid0(VALU_DEP_3)
	v_cndmask_b32_e32 v2, v2, v6, vcc_lo
	s_cbranch_execnz .LBB135_394
.LBB135_393:                            ;   in Loop: Header=BB135_12 Depth=1
	v_cvt_f32_u32_e32 v2, s33
	s_sub_i32 s7, 0, s33
	s_delay_alu instid0(VALU_DEP_1) | instskip(SKIP_2) | instid1(VALU_DEP_1)
	v_rcp_iflag_f32_e32 v2, v2
	s_waitcnt_depctr 0xfff
	v_mul_f32_e32 v2, 0x4f7ffffe, v2
	v_cvt_u32_f32_e32 v2, v2
	s_delay_alu instid0(VALU_DEP_1) | instskip(NEXT) | instid1(VALU_DEP_1)
	v_mul_lo_u32 v3, s7, v2
	v_mul_hi_u32 v3, v2, v3
	s_delay_alu instid0(VALU_DEP_1) | instskip(NEXT) | instid1(VALU_DEP_1)
	v_add_nc_u32_e32 v2, v2, v3
	v_mul_hi_u32 v2, s76, v2
	s_delay_alu instid0(VALU_DEP_1) | instskip(NEXT) | instid1(VALU_DEP_1)
	v_mul_lo_u32 v2, v2, s33
	v_sub_nc_u32_e32 v2, s76, v2
	s_delay_alu instid0(VALU_DEP_1) | instskip(SKIP_1) | instid1(VALU_DEP_2)
	v_subrev_nc_u32_e32 v3, s33, v2
	v_cmp_le_u32_e32 vcc_lo, s33, v2
	v_cndmask_b32_e32 v2, v2, v3, vcc_lo
	s_delay_alu instid0(VALU_DEP_1) | instskip(SKIP_1) | instid1(VALU_DEP_2)
	v_subrev_nc_u32_e32 v3, s33, v2
	v_cmp_le_u32_e32 vcc_lo, s33, v2
	v_cndmask_b32_e32 v12, v2, v3, vcc_lo
	s_delay_alu instid0(VALU_DEP_1)
	v_dual_mov_b32 v2, v12 :: v_dual_mov_b32 v3, v13
.LBB135_394:                            ;   in Loop: Header=BB135_12 Depth=1
	s_delay_alu instid0(VALU_DEP_1) | instskip(NEXT) | instid1(VALU_DEP_2)
	v_sub_co_u32 v2, vcc_lo, s76, v2
	v_sub_co_ci_u32_e32 v3, vcc_lo, s27, v3, vcc_lo
	s_mov_b32 s7, 0
	s_mov_b32 s8, exec_lo
                                        ; implicit-def: $vgpr28
	s_delay_alu instid0(VALU_DEP_1)
	v_cmpx_gt_u64_e64 v[2:3], v[0:1]
	s_cbranch_execz .LBB135_403
; %bb.395:                              ;   in Loop: Header=BB135_12 Depth=1
	v_dual_mov_b32 v7, v1 :: v_dual_mov_b32 v6, v0
	s_mov_b32 s9, 0
                                        ; implicit-def: $sgpr14
	s_branch .LBB135_397
.LBB135_396:                            ;   in Loop: Header=BB135_397 Depth=2
	s_or_b32 exec_lo, exec_lo, s7
	s_waitcnt vmcnt(0) lgkmcnt(0)
	s_barrier
	buffer_gl0_inv
	ds_load_u16 v8, v13 offset:3072
	v_add_co_u32 v6, vcc_lo, v6, s33
	v_add_co_ci_u32_e32 v7, vcc_lo, 0, v7, vcc_lo
	s_waitcnt lgkmcnt(0)
	s_barrier
	buffer_gl0_inv
	v_cmp_ge_u64_e32 vcc_lo, v[6:7], v[2:3]
	v_and_b32_e32 v9, 0xff, v8
	s_delay_alu instid0(VALU_DEP_1) | instskip(NEXT) | instid1(VALU_DEP_1)
	v_cmp_ne_u16_e64 s7, 0, v9
	s_or_b32 s15, vcc_lo, s7
	s_delay_alu instid0(SALU_CYCLE_1) | instskip(NEXT) | instid1(SALU_CYCLE_1)
	s_and_b32 s15, exec_lo, s15
	s_or_b32 s9, s15, s9
	s_and_not1_b32 s14, s14, exec_lo
	s_and_b32 s7, s7, exec_lo
	s_delay_alu instid0(SALU_CYCLE_1)
	s_or_b32 s14, s14, s7
	s_and_not1_b32 exec_lo, exec_lo, s9
	s_cbranch_execz .LBB135_402
.LBB135_397:                            ;   Parent Loop BB135_12 Depth=1
                                        ; =>  This Inner Loop Header: Depth=2
	s_delay_alu instid0(VALU_DEP_1)
	v_cmp_gt_u64_e32 vcc_lo, s[36:37], v[6:7]
	v_mov_b32_e32 v8, 0
	s_and_saveexec_b32 s7, vcc_lo
	s_cbranch_execz .LBB135_399
; %bb.398:                              ;   in Loop: Header=BB135_397 Depth=2
	v_mad_u64_u32 v[8:9], null, v6, s30, s[28:29]
	v_mul_lo_u32 v12, v6, s31
	v_mul_lo_u32 v16, v7, s30
	s_delay_alu instid0(VALU_DEP_1)
	v_add3_u32 v9, v16, v9, v12
	global_load_u8 v8, v[8:9], off
.LBB135_399:                            ;   in Loop: Header=BB135_397 Depth=2
	s_or_b32 exec_lo, exec_lo, s7
	s_and_saveexec_b32 s7, vcc_lo
	s_cbranch_execz .LBB135_396
; %bb.400:                              ;   in Loop: Header=BB135_397 Depth=2
	s_waitcnt vmcnt(0)
	v_bfe_i32 v9, v8, 0, 8
	s_delay_alu instid0(VALU_DEP_1) | instskip(NEXT) | instid1(VALU_DEP_1)
	v_add_nc_u32_e32 v9, 0x80, v9
	v_and_b32_e32 v9, v9, v26
	s_delay_alu instid0(VALU_DEP_1)
	v_cmp_eq_u32_e32 vcc_lo, v9, v27
	s_and_b32 exec_lo, exec_lo, vcc_lo
	s_cbranch_execz .LBB135_396
; %bb.401:                              ;   in Loop: Header=BB135_397 Depth=2
	v_lshlrev_b16 v8, 8, v8
	s_delay_alu instid0(VALU_DEP_1)
	v_or_b32_e32 v8, 1, v8
	ds_store_b16 v13, v8 offset:3072
	s_branch .LBB135_396
.LBB135_402:                            ;   in Loop: Header=BB135_12 Depth=1
	s_or_b32 exec_lo, exec_lo, s9
	v_lshrrev_b16 v28, 8, v8
	s_and_b32 s7, s14, exec_lo
.LBB135_403:                            ;   in Loop: Header=BB135_12 Depth=1
	s_or_b32 exec_lo, exec_lo, s8
	s_mov_b32 s15, 0
	s_mov_b32 s14, -1
	s_mov_b32 s68, 0
.LBB135_404:                            ;   in Loop: Header=BB135_12 Depth=1
	s_or_not1_b32 s7, s7, exec_lo
.LBB135_405:                            ;   in Loop: Header=BB135_12 Depth=1
	s_or_b32 exec_lo, exec_lo, s69
	s_mov_b32 s26, 0
                                        ; implicit-def: $vgpr6
	s_and_saveexec_b32 s69, s7
	s_cbranch_execz .LBB135_470
; %bb.406:                              ;   in Loop: Header=BB135_12 Depth=1
	v_mov_b32_e32 v2, 1
	v_dual_mov_b32 v3, 0 :: v_dual_mov_b32 v6, 1
	s_xor_b32 s8, s70, -1
	s_delay_alu instid0(SALU_CYCLE_1)
	s_and_saveexec_b32 s7, s8
	s_cbranch_execz .LBB135_416
; %bb.407:                              ;   in Loop: Header=BB135_12 Depth=1
	s_mov_b32 s9, exec_lo
                                        ; implicit-def: $sgpr26
                                        ; implicit-def: $sgpr8
	v_cmpx_ge_u64_e64 s[12:13], v[4:5]
	s_xor_b32 s9, exec_lo, s9
	s_cbranch_execz .LBB135_413
; %bb.408:                              ;   in Loop: Header=BB135_12 Depth=1
	ds_load_b64 v[2:3], v13 offset:5120
	s_waitcnt lgkmcnt(0)
	v_cmp_ne_u64_e32 vcc_lo, 0, v[2:3]
	s_cbranch_vccnz .LBB135_412
; %bb.409:                              ;   in Loop: Header=BB135_12 Depth=1
	s_and_saveexec_b32 s8, s5
	s_cbranch_execz .LBB135_411
; %bb.410:                              ;   in Loop: Header=BB135_12 Depth=1
	v_dual_mov_b32 v2, s12 :: v_dual_mov_b32 v3, s13
	ds_store_b64 v13, v[2:3] offset:5128
.LBB135_411:                            ;   in Loop: Header=BB135_12 Depth=1
	s_or_b32 exec_lo, exec_lo, s8
	s_waitcnt lgkmcnt(0)
	s_barrier
	buffer_gl0_inv
.LBB135_412:                            ;   in Loop: Header=BB135_12 Depth=1
	s_lshl_b32 s8, 1, s22
	v_or_b32_e32 v26, s20, v26
	v_and_or_b32 v27, v27, s21, s8
	s_mov_b32 s8, 0
	s_mov_b32 s26, 5
.LBB135_413:                            ;   in Loop: Header=BB135_12 Depth=1
	s_or_saveexec_b32 s9, s9
	v_mov_b32_e32 v6, s26
	s_xor_b32 exec_lo, exec_lo, s9
; %bb.414:                              ;   in Loop: Header=BB135_12 Depth=1
	v_sub_co_u32 v4, vcc_lo, v4, s12
	v_subrev_co_ci_u32_e32 v5, vcc_lo, s13, v5, vcc_lo
	v_mov_b32_e32 v6, 0
	s_or_b32 s8, s8, exec_lo
; %bb.415:                              ;   in Loop: Header=BB135_12 Depth=1
	s_or_b32 exec_lo, exec_lo, s9
	s_delay_alu instid0(VALU_DEP_2)
	v_dual_mov_b32 v2, v4 :: v_dual_mov_b32 v3, v5
	s_and_b32 s26, s8, exec_lo
.LBB135_416:                            ;   in Loop: Header=BB135_12 Depth=1
	s_or_b32 exec_lo, exec_lo, s7
	s_mov_b32 s12, -1
                                        ; implicit-def: $sgpr7
                                        ; implicit-def: $sgpr8
                                        ; implicit-def: $sgpr9
	s_and_saveexec_b32 s22, s26
	s_cbranch_execz .LBB135_469
; %bb.417:                              ;   in Loop: Header=BB135_12 Depth=1
	v_cmp_eq_u64_e32 vcc_lo, 1, v[2:3]
	s_cmp_eq_u64 s[10:11], 1
	s_mov_b32 s13, -1
	s_cselect_b32 s7, -1, 0
                                        ; implicit-def: $sgpr8
                                        ; implicit-def: $sgpr9
	s_delay_alu instid0(SALU_CYCLE_1) | instskip(NEXT) | instid1(SALU_CYCLE_1)
	s_and_b32 s70, s7, vcc_lo
                                        ; implicit-def: $sgpr7
	s_and_saveexec_b32 s71, s70
	s_cbranch_execz .LBB135_456
; %bb.418:                              ;   in Loop: Header=BB135_12 Depth=1
	ds_load_b64 v[4:5], v13 offset:5120
	s_waitcnt lgkmcnt(0)
	s_barrier
	buffer_gl0_inv
	v_readfirstlane_b32 s8, v4
	v_readfirstlane_b32 s9, v5
	s_and_saveexec_b32 s7, s6
	s_cbranch_execz .LBB135_420
; %bb.419:                              ;   in Loop: Header=BB135_12 Depth=1
	ds_store_b8 v0, v13 offset:3072
.LBB135_420:                            ;   in Loop: Header=BB135_12 Depth=1
	s_or_b32 exec_lo, exec_lo, s7
	v_and_b32_e32 v27, s21, v27
	v_or_b32_e32 v26, s20, v26
	s_cmp_eq_u64 s[8:9], 0
	s_waitcnt lgkmcnt(0)
	s_barrier
	buffer_gl0_inv
	s_cbranch_scc1 .LBB135_425
; %bb.421:                              ;   in Loop: Header=BB135_12 Depth=1
	s_add_u32 s26, s74, s8
	s_addc_u32 s13, s75, s9
	s_mov_b32 s12, s61
	s_delay_alu instid0(SALU_CYCLE_1)
	s_cmp_lg_u64 s[12:13], 0
	s_cbranch_scc0 .LBB135_426
; %bb.422:                              ;   in Loop: Header=BB135_12 Depth=1
	v_cvt_f32_u32_e32 v4, s33
	s_sub_u32 s72, 0, s33
	s_subb_u32 s73, 0, 0
	s_delay_alu instid0(VALU_DEP_1) | instskip(NEXT) | instid1(VALU_DEP_1)
	v_fmac_f32_e64 v4, 0, 0x4f800000
	v_rcp_f32_e32 v4, v4
	s_waitcnt_depctr 0xfff
	v_mul_f32_e32 v4, 0x5f7ffffc, v4
	s_delay_alu instid0(VALU_DEP_1) | instskip(NEXT) | instid1(VALU_DEP_1)
	v_mul_f32_e32 v5, 0x2f800000, v4
	v_trunc_f32_e32 v5, v5
	s_delay_alu instid0(VALU_DEP_1) | instskip(SKIP_1) | instid1(VALU_DEP_2)
	v_fmac_f32_e32 v4, 0xcf800000, v5
	v_cvt_u32_f32_e32 v5, v5
	v_cvt_u32_f32_e32 v4, v4
	s_delay_alu instid0(VALU_DEP_2) | instskip(NEXT) | instid1(VALU_DEP_2)
	v_readfirstlane_b32 s7, v5
	v_readfirstlane_b32 s12, v4
	s_delay_alu instid0(VALU_DEP_2) | instskip(NEXT) | instid1(VALU_DEP_1)
	s_mul_i32 s95, s72, s7
	s_mul_hi_u32 s97, s72, s12
	s_mul_i32 s96, s73, s12
	s_add_i32 s95, s97, s95
	s_mul_i32 s98, s72, s12
	s_add_i32 s95, s95, s96
	s_mul_hi_u32 s97, s12, s98
	s_mul_hi_u32 s99, s7, s98
	s_mul_i32 s96, s7, s98
	s_mul_hi_u32 s98, s12, s95
	s_mul_i32 s12, s12, s95
	s_mul_hi_u32 s100, s7, s95
	s_add_u32 s12, s97, s12
	s_addc_u32 s97, 0, s98
	s_add_u32 s12, s12, s96
	s_mul_i32 s95, s7, s95
	s_addc_u32 s12, s97, s99
	s_addc_u32 s96, s100, 0
	s_add_u32 s12, s12, s95
	s_addc_u32 s95, 0, s96
	v_add_co_u32 v4, s12, v4, s12
	s_delay_alu instid0(VALU_DEP_1) | instskip(SKIP_1) | instid1(VALU_DEP_1)
	s_cmp_lg_u32 s12, 0
	s_addc_u32 s7, s7, s95
	v_readfirstlane_b32 s12, v4
	s_mul_i32 s95, s72, s7
	s_delay_alu instid0(VALU_DEP_1)
	s_mul_hi_u32 s96, s72, s12
	s_mul_i32 s73, s73, s12
	s_add_i32 s95, s96, s95
	s_mul_i32 s72, s72, s12
	s_add_i32 s95, s95, s73
	s_mul_hi_u32 s96, s7, s72
	s_mul_i32 s97, s7, s72
	s_mul_hi_u32 s72, s12, s72
	s_mul_hi_u32 s98, s12, s95
	s_mul_i32 s12, s12, s95
	s_mul_hi_u32 s73, s7, s95
	s_add_u32 s12, s72, s12
	s_addc_u32 s72, 0, s98
	s_add_u32 s12, s12, s97
	s_mul_i32 s95, s7, s95
	s_addc_u32 s12, s72, s96
	s_addc_u32 s72, s73, 0
	s_add_u32 s12, s12, s95
	s_addc_u32 s72, 0, s72
	v_add_co_u32 v4, s12, v4, s12
	s_delay_alu instid0(VALU_DEP_1) | instskip(SKIP_1) | instid1(VALU_DEP_1)
	s_cmp_lg_u32 s12, 0
	s_addc_u32 s7, s7, s72
	v_readfirstlane_b32 s12, v4
	s_mul_i32 s73, s26, s7
	s_mul_hi_u32 s72, s26, s7
	s_mul_hi_u32 s95, s13, s7
	s_mul_i32 s7, s13, s7
	s_mul_hi_u32 s96, s26, s12
	s_mul_hi_u32 s97, s13, s12
	s_mul_i32 s12, s13, s12
	s_add_u32 s73, s96, s73
	s_addc_u32 s72, 0, s72
	s_add_u32 s12, s73, s12
	s_addc_u32 s12, s72, s97
	s_addc_u32 s72, s95, 0
	s_add_u32 s7, s12, s7
	s_addc_u32 s12, 0, s72
	s_mul_hi_u32 s72, s33, s7
	s_mul_i32 s7, s33, s7
	s_mul_i32 s12, s33, s12
	v_sub_co_u32 v4, s7, s26, s7
	s_add_i32 s72, s72, s12
	s_cmp_lg_u32 s7, 0
	s_delay_alu instid0(VALU_DEP_1) | instskip(SKIP_2) | instid1(VALU_DEP_1)
	v_sub_co_u32 v5, s7, v4, s33
	s_subb_u32 s12, s13, s72
	s_cmp_lg_u32 s7, 0
	v_cmp_le_u32_e32 vcc_lo, s33, v5
	v_sub_co_u32 v6, s7, v5, s33
	s_subb_u32 s72, s12, 0
	s_cmp_lg_u32 s7, 0
	v_cndmask_b32_e64 v7, 0, -1, vcc_lo
	s_subb_u32 s7, s72, 0
	s_cmp_eq_u32 s72, 0
	v_mov_b32_e32 v9, s7
	s_cselect_b32 vcc_lo, -1, 0
	s_cmp_eq_u32 s12, 0
	v_cndmask_b32_e32 v7, -1, v7, vcc_lo
	v_cmp_le_u32_e32 vcc_lo, s33, v4
	s_cselect_b32 s7, -1, 0
	v_cndmask_b32_e64 v8, 0, -1, vcc_lo
	s_delay_alu instid0(VALU_DEP_3) | instskip(NEXT) | instid1(VALU_DEP_2)
	v_cmp_ne_u32_e32 vcc_lo, 0, v7
	v_cndmask_b32_e64 v7, -1, v8, s7
	v_cndmask_b32_e32 v8, s72, v9, vcc_lo
	v_cndmask_b32_e32 v6, v5, v6, vcc_lo
	s_mov_b32 s7, 0
	s_delay_alu instid0(VALU_DEP_3) | instskip(NEXT) | instid1(VALU_DEP_3)
	v_cmp_ne_u32_e32 vcc_lo, 0, v7
	v_cndmask_b32_e32 v5, s12, v8, vcc_lo
	s_delay_alu instid0(VALU_DEP_3)
	v_cndmask_b32_e32 v4, v4, v6, vcc_lo
	s_branch .LBB135_427
.LBB135_423:                            ;   in Loop: Header=BB135_12 Depth=1
                                        ; implicit-def: $vgpr2_vgpr3
	s_branch .LBB135_377
.LBB135_424:                            ;   in Loop: Header=BB135_12 Depth=1
                                        ; implicit-def: $vgpr2_vgpr3
	s_branch .LBB135_393
.LBB135_425:                            ;   in Loop: Header=BB135_12 Depth=1
	s_mov_b32 s7, -1
	s_mov_b32 s13, 0
                                        ; implicit-def: $sgpr8
                                        ; implicit-def: $vgpr28
	s_branch .LBB135_439
.LBB135_426:                            ;   in Loop: Header=BB135_12 Depth=1
	s_mov_b32 s7, -1
                                        ; implicit-def: $vgpr4_vgpr5
.LBB135_427:                            ;   in Loop: Header=BB135_12 Depth=1
	s_delay_alu instid0(SALU_CYCLE_1)
	s_and_not1_b32 vcc_lo, exec_lo, s7
	s_cbranch_vccnz .LBB135_429
; %bb.428:                              ;   in Loop: Header=BB135_12 Depth=1
	v_cvt_f32_u32_e32 v4, s33
	s_sub_i32 s7, 0, s33
	s_delay_alu instid0(VALU_DEP_1) | instskip(SKIP_2) | instid1(VALU_DEP_1)
	v_rcp_iflag_f32_e32 v4, v4
	s_waitcnt_depctr 0xfff
	v_mul_f32_e32 v4, 0x4f7ffffe, v4
	v_cvt_u32_f32_e32 v4, v4
	s_delay_alu instid0(VALU_DEP_1) | instskip(NEXT) | instid1(VALU_DEP_1)
	v_mul_lo_u32 v5, s7, v4
	v_mul_hi_u32 v5, v4, v5
	s_delay_alu instid0(VALU_DEP_1) | instskip(NEXT) | instid1(VALU_DEP_1)
	v_add_nc_u32_e32 v4, v4, v5
	v_mul_hi_u32 v4, s26, v4
	s_delay_alu instid0(VALU_DEP_1) | instskip(NEXT) | instid1(VALU_DEP_1)
	v_mul_lo_u32 v4, v4, s33
	v_sub_nc_u32_e32 v4, s26, v4
	s_delay_alu instid0(VALU_DEP_1) | instskip(SKIP_1) | instid1(VALU_DEP_2)
	v_subrev_nc_u32_e32 v5, s33, v4
	v_cmp_le_u32_e32 vcc_lo, s33, v4
	v_cndmask_b32_e32 v4, v4, v5, vcc_lo
	s_delay_alu instid0(VALU_DEP_1) | instskip(SKIP_1) | instid1(VALU_DEP_2)
	v_subrev_nc_u32_e32 v5, s33, v4
	v_cmp_le_u32_e32 vcc_lo, s33, v4
	v_cndmask_b32_e32 v12, v4, v5, vcc_lo
	s_delay_alu instid0(VALU_DEP_1)
	v_dual_mov_b32 v4, v12 :: v_dual_mov_b32 v5, v13
.LBB135_429:                            ;   in Loop: Header=BB135_12 Depth=1
	s_delay_alu instid0(VALU_DEP_1) | instskip(NEXT) | instid1(VALU_DEP_2)
	v_sub_co_u32 v4, vcc_lo, s26, v4
	v_sub_co_ci_u32_e32 v5, vcc_lo, s13, v5, vcc_lo
	s_mov_b32 s13, 0
	s_mov_b32 s12, exec_lo
                                        ; implicit-def: $vgpr28
	s_delay_alu instid0(VALU_DEP_1)
	v_cmpx_gt_u64_e64 v[4:5], v[0:1]
	s_cbranch_execz .LBB135_438
; %bb.430:                              ;   in Loop: Header=BB135_12 Depth=1
	v_dual_mov_b32 v8, v0 :: v_dual_mov_b32 v7, v1
	v_mov_b32_e32 v6, v0
                                        ; implicit-def: $sgpr26
	s_set_inst_prefetch_distance 0x1
	s_branch .LBB135_432
	.p2align	6
.LBB135_431:                            ;   in Loop: Header=BB135_432 Depth=2
	s_or_b32 exec_lo, exec_lo, s7
	s_waitcnt lgkmcnt(0)
	s_barrier
	buffer_gl0_inv
	ds_load_u16 v9, v13 offset:3072
	v_add_co_u32 v6, vcc_lo, v6, s33
	v_add_co_ci_u32_e32 v7, vcc_lo, 0, v7, vcc_lo
	v_add_nc_u32_e32 v8, s33, v8
	s_waitcnt lgkmcnt(0)
	s_barrier
	s_delay_alu instid0(VALU_DEP_2) | instskip(SKIP_2) | instid1(VALU_DEP_1)
	v_cmp_ge_u64_e32 vcc_lo, v[6:7], v[4:5]
	buffer_gl0_inv
	v_and_b32_e32 v12, 0xff, v9
	v_cmp_ne_u16_e64 s7, 0, v12
	s_delay_alu instid0(VALU_DEP_1) | instskip(NEXT) | instid1(SALU_CYCLE_1)
	s_or_b32 s72, vcc_lo, s7
	s_and_b32 s72, exec_lo, s72
	s_delay_alu instid0(SALU_CYCLE_1) | instskip(SKIP_2) | instid1(SALU_CYCLE_1)
	s_or_b32 s13, s72, s13
	s_and_not1_b32 s26, s26, exec_lo
	s_and_b32 s7, s7, exec_lo
	s_or_b32 s26, s26, s7
	s_and_not1_b32 exec_lo, exec_lo, s13
	s_cbranch_execz .LBB135_437
.LBB135_432:                            ;   Parent Loop BB135_12 Depth=1
                                        ; =>  This Inner Loop Header: Depth=2
	s_delay_alu instid0(VALU_DEP_1)
	v_cmp_gt_u64_e32 vcc_lo, s[8:9], v[6:7]
	v_mov_b32_e32 v9, 0
	s_and_saveexec_b32 s7, vcc_lo
	s_cbranch_execz .LBB135_434
; %bb.433:                              ;   in Loop: Header=BB135_432 Depth=2
	ds_load_u8 v9, v8
.LBB135_434:                            ;   in Loop: Header=BB135_432 Depth=2
	s_or_b32 exec_lo, exec_lo, s7
	s_and_saveexec_b32 s7, vcc_lo
	s_cbranch_execz .LBB135_431
; %bb.435:                              ;   in Loop: Header=BB135_432 Depth=2
	s_waitcnt lgkmcnt(0)
	v_bfe_i32 v12, v9, 0, 8
	s_delay_alu instid0(VALU_DEP_1) | instskip(NEXT) | instid1(VALU_DEP_1)
	v_add_nc_u32_e32 v12, 0x80, v12
	v_and_b32_e32 v12, v12, v26
	s_delay_alu instid0(VALU_DEP_1)
	v_cmp_eq_u32_e32 vcc_lo, v12, v27
	s_and_b32 exec_lo, exec_lo, vcc_lo
	s_cbranch_execz .LBB135_431
; %bb.436:                              ;   in Loop: Header=BB135_432 Depth=2
	v_lshlrev_b16 v9, 8, v9
	s_delay_alu instid0(VALU_DEP_1)
	v_or_b32_e32 v9, 1, v9
	ds_store_b16 v13, v9 offset:3072
	s_branch .LBB135_431
.LBB135_437:                            ;   in Loop: Header=BB135_12 Depth=1
	s_set_inst_prefetch_distance 0x2
	s_or_b32 exec_lo, exec_lo, s13
	v_lshrrev_b16 v28, 8, v9
	s_and_b32 s13, s26, exec_lo
.LBB135_438:                            ;   in Loop: Header=BB135_12 Depth=1
	s_or_b32 exec_lo, exec_lo, s12
	s_mov_b32 s7, 0
	s_mov_b32 s8, -1
.LBB135_439:                            ;   in Loop: Header=BB135_12 Depth=1
	s_and_b32 vcc_lo, exec_lo, s7
	s_mov_b32 s9, s7
	s_cbranch_vccz .LBB135_455
; %bb.440:                              ;   in Loop: Header=BB135_12 Depth=1
	s_mov_b32 s26, s61
	s_delay_alu instid0(SALU_CYCLE_1)
	s_cmp_lg_u64 s[26:27], 0
	s_cbranch_scc0 .LBB135_442
; %bb.441:                              ;   in Loop: Header=BB135_12 Depth=1
	v_cvt_f32_u32_e32 v4, s33
	s_sub_u32 s9, 0, s33
	s_subb_u32 s12, 0, 0
	s_delay_alu instid0(VALU_DEP_1) | instskip(NEXT) | instid1(VALU_DEP_1)
	v_fmac_f32_e64 v4, 0, 0x4f800000
	v_rcp_f32_e32 v4, v4
	s_waitcnt_depctr 0xfff
	v_mul_f32_e32 v4, 0x5f7ffffc, v4
	s_delay_alu instid0(VALU_DEP_1) | instskip(NEXT) | instid1(VALU_DEP_1)
	v_mul_f32_e32 v5, 0x2f800000, v4
	v_trunc_f32_e32 v5, v5
	s_delay_alu instid0(VALU_DEP_1) | instskip(SKIP_1) | instid1(VALU_DEP_2)
	v_fmac_f32_e32 v4, 0xcf800000, v5
	v_cvt_u32_f32_e32 v5, v5
	v_cvt_u32_f32_e32 v4, v4
	s_delay_alu instid0(VALU_DEP_2) | instskip(NEXT) | instid1(VALU_DEP_2)
	v_readfirstlane_b32 s7, v5
	v_readfirstlane_b32 s8, v4
	s_delay_alu instid0(VALU_DEP_2) | instskip(NEXT) | instid1(VALU_DEP_1)
	s_mul_i32 s13, s9, s7
	s_mul_hi_u32 s72, s9, s8
	s_mul_i32 s26, s12, s8
	s_add_i32 s13, s72, s13
	s_mul_i32 s73, s9, s8
	s_add_i32 s13, s13, s26
	s_mul_hi_u32 s72, s8, s73
	s_mul_hi_u32 s95, s7, s73
	s_mul_i32 s26, s7, s73
	s_mul_hi_u32 s73, s8, s13
	s_mul_i32 s8, s8, s13
	s_mul_hi_u32 s96, s7, s13
	s_add_u32 s8, s72, s8
	s_addc_u32 s72, 0, s73
	s_add_u32 s8, s8, s26
	s_mul_i32 s13, s7, s13
	s_addc_u32 s8, s72, s95
	s_addc_u32 s26, s96, 0
	s_add_u32 s8, s8, s13
	s_addc_u32 s13, 0, s26
	v_add_co_u32 v4, s8, v4, s8
	s_delay_alu instid0(VALU_DEP_1) | instskip(SKIP_1) | instid1(VALU_DEP_1)
	s_cmp_lg_u32 s8, 0
	s_addc_u32 s7, s7, s13
	v_readfirstlane_b32 s8, v4
	s_mul_i32 s13, s9, s7
	s_delay_alu instid0(VALU_DEP_1)
	s_mul_hi_u32 s26, s9, s8
	s_mul_i32 s12, s12, s8
	s_add_i32 s13, s26, s13
	s_mul_i32 s9, s9, s8
	s_add_i32 s13, s13, s12
	s_mul_hi_u32 s26, s7, s9
	s_mul_i32 s72, s7, s9
	s_mul_hi_u32 s9, s8, s9
	s_mul_hi_u32 s73, s8, s13
	s_mul_i32 s8, s8, s13
	s_mul_hi_u32 s12, s7, s13
	s_add_u32 s8, s9, s8
	s_addc_u32 s9, 0, s73
	s_add_u32 s8, s8, s72
	s_mul_i32 s13, s7, s13
	s_addc_u32 s8, s9, s26
	s_addc_u32 s9, s12, 0
	s_add_u32 s8, s8, s13
	s_addc_u32 s9, 0, s9
	v_add_co_u32 v4, s8, v4, s8
	s_delay_alu instid0(VALU_DEP_1) | instskip(SKIP_1) | instid1(VALU_DEP_1)
	s_cmp_lg_u32 s8, 0
	s_addc_u32 s7, s7, s9
	v_readfirstlane_b32 s8, v4
	s_mul_i32 s12, s76, s7
	s_mul_hi_u32 s9, s76, s7
	s_mul_hi_u32 s13, s27, s7
	s_mul_i32 s7, s27, s7
	s_mul_hi_u32 s26, s76, s8
	s_mul_hi_u32 s72, s27, s8
	s_mul_i32 s8, s27, s8
	s_add_u32 s12, s26, s12
	s_addc_u32 s9, 0, s9
	s_add_u32 s8, s12, s8
	s_addc_u32 s8, s9, s72
	s_addc_u32 s9, s13, 0
	s_add_u32 s7, s8, s7
	s_addc_u32 s8, 0, s9
	s_mul_hi_u32 s9, s33, s7
	s_mul_i32 s7, s33, s7
	s_mul_i32 s8, s33, s8
	v_sub_co_u32 v4, s7, s76, s7
	s_add_i32 s9, s9, s8
	s_cmp_lg_u32 s7, 0
	s_delay_alu instid0(VALU_DEP_1) | instskip(SKIP_2) | instid1(VALU_DEP_1)
	v_sub_co_u32 v5, s7, v4, s33
	s_subb_u32 s8, s27, s9
	s_cmp_lg_u32 s7, 0
	v_cmp_le_u32_e32 vcc_lo, s33, v5
	v_sub_co_u32 v6, s7, v5, s33
	s_subb_u32 s9, s8, 0
	s_cmp_lg_u32 s7, 0
	v_cndmask_b32_e64 v7, 0, -1, vcc_lo
	s_subb_u32 s7, s9, 0
	s_cmp_eq_u32 s9, 0
	v_mov_b32_e32 v9, s7
	s_cselect_b32 vcc_lo, -1, 0
	s_cmp_eq_u32 s8, 0
	v_cndmask_b32_e32 v7, -1, v7, vcc_lo
	v_cmp_le_u32_e32 vcc_lo, s33, v4
	s_cselect_b32 s7, -1, 0
	v_cndmask_b32_e64 v8, 0, -1, vcc_lo
	s_delay_alu instid0(VALU_DEP_3) | instskip(NEXT) | instid1(VALU_DEP_2)
	v_cmp_ne_u32_e32 vcc_lo, 0, v7
	v_cndmask_b32_e64 v7, -1, v8, s7
	v_cndmask_b32_e32 v8, s9, v9, vcc_lo
	v_cndmask_b32_e32 v6, v5, v6, vcc_lo
	s_mov_b32 s7, 0
	s_delay_alu instid0(VALU_DEP_3) | instskip(NEXT) | instid1(VALU_DEP_3)
	v_cmp_ne_u32_e32 vcc_lo, 0, v7
	v_cndmask_b32_e32 v5, s8, v8, vcc_lo
	s_delay_alu instid0(VALU_DEP_3)
	v_cndmask_b32_e32 v4, v4, v6, vcc_lo
	s_branch .LBB135_443
.LBB135_442:                            ;   in Loop: Header=BB135_12 Depth=1
	s_mov_b32 s7, -1
                                        ; implicit-def: $vgpr4_vgpr5
.LBB135_443:                            ;   in Loop: Header=BB135_12 Depth=1
	s_delay_alu instid0(SALU_CYCLE_1)
	s_and_not1_b32 vcc_lo, exec_lo, s7
	s_cbranch_vccnz .LBB135_445
; %bb.444:                              ;   in Loop: Header=BB135_12 Depth=1
	v_cvt_f32_u32_e32 v4, s33
	s_sub_i32 s7, 0, s33
	s_delay_alu instid0(VALU_DEP_1) | instskip(SKIP_2) | instid1(VALU_DEP_1)
	v_rcp_iflag_f32_e32 v4, v4
	s_waitcnt_depctr 0xfff
	v_mul_f32_e32 v4, 0x4f7ffffe, v4
	v_cvt_u32_f32_e32 v4, v4
	s_delay_alu instid0(VALU_DEP_1) | instskip(NEXT) | instid1(VALU_DEP_1)
	v_mul_lo_u32 v5, s7, v4
	v_mul_hi_u32 v5, v4, v5
	s_delay_alu instid0(VALU_DEP_1) | instskip(NEXT) | instid1(VALU_DEP_1)
	v_add_nc_u32_e32 v4, v4, v5
	v_mul_hi_u32 v4, s76, v4
	s_delay_alu instid0(VALU_DEP_1) | instskip(NEXT) | instid1(VALU_DEP_1)
	v_mul_lo_u32 v4, v4, s33
	v_sub_nc_u32_e32 v4, s76, v4
	s_delay_alu instid0(VALU_DEP_1) | instskip(SKIP_1) | instid1(VALU_DEP_2)
	v_subrev_nc_u32_e32 v5, s33, v4
	v_cmp_le_u32_e32 vcc_lo, s33, v4
	v_cndmask_b32_e32 v4, v4, v5, vcc_lo
	s_delay_alu instid0(VALU_DEP_1) | instskip(SKIP_1) | instid1(VALU_DEP_2)
	v_subrev_nc_u32_e32 v5, s33, v4
	v_cmp_le_u32_e32 vcc_lo, s33, v4
	v_cndmask_b32_e32 v12, v4, v5, vcc_lo
	s_delay_alu instid0(VALU_DEP_1)
	v_dual_mov_b32 v4, v12 :: v_dual_mov_b32 v5, v13
.LBB135_445:                            ;   in Loop: Header=BB135_12 Depth=1
	s_delay_alu instid0(VALU_DEP_1) | instskip(NEXT) | instid1(VALU_DEP_2)
	v_sub_co_u32 v4, vcc_lo, s76, v4
	v_sub_co_ci_u32_e32 v5, vcc_lo, s27, v5, vcc_lo
	s_mov_b32 s13, 0
	s_mov_b32 s8, exec_lo
                                        ; implicit-def: $vgpr28
	s_delay_alu instid0(VALU_DEP_1)
	v_cmpx_gt_u64_e64 v[4:5], v[0:1]
	s_cbranch_execz .LBB135_454
; %bb.446:                              ;   in Loop: Header=BB135_12 Depth=1
	v_dual_mov_b32 v7, v1 :: v_dual_mov_b32 v6, v0
	s_mov_b32 s9, 0
                                        ; implicit-def: $sgpr12
	s_branch .LBB135_448
.LBB135_447:                            ;   in Loop: Header=BB135_448 Depth=2
	s_or_b32 exec_lo, exec_lo, s7
	s_waitcnt vmcnt(0) lgkmcnt(0)
	s_barrier
	buffer_gl0_inv
	ds_load_u16 v8, v13 offset:3072
	v_add_co_u32 v6, vcc_lo, v6, s33
	v_add_co_ci_u32_e32 v7, vcc_lo, 0, v7, vcc_lo
	s_waitcnt lgkmcnt(0)
	s_barrier
	buffer_gl0_inv
	v_cmp_ge_u64_e32 vcc_lo, v[6:7], v[4:5]
	v_and_b32_e32 v9, 0xff, v8
	s_delay_alu instid0(VALU_DEP_1) | instskip(NEXT) | instid1(VALU_DEP_1)
	v_cmp_ne_u16_e64 s7, 0, v9
	s_or_b32 s13, vcc_lo, s7
	s_delay_alu instid0(SALU_CYCLE_1) | instskip(NEXT) | instid1(SALU_CYCLE_1)
	s_and_b32 s13, exec_lo, s13
	s_or_b32 s9, s13, s9
	s_and_not1_b32 s12, s12, exec_lo
	s_and_b32 s7, s7, exec_lo
	s_delay_alu instid0(SALU_CYCLE_1)
	s_or_b32 s12, s12, s7
	s_and_not1_b32 exec_lo, exec_lo, s9
	s_cbranch_execz .LBB135_453
.LBB135_448:                            ;   Parent Loop BB135_12 Depth=1
                                        ; =>  This Inner Loop Header: Depth=2
	s_delay_alu instid0(VALU_DEP_1)
	v_cmp_gt_u64_e32 vcc_lo, s[36:37], v[6:7]
	v_mov_b32_e32 v8, 0
	s_and_saveexec_b32 s7, vcc_lo
	s_cbranch_execz .LBB135_450
; %bb.449:                              ;   in Loop: Header=BB135_448 Depth=2
	v_mad_u64_u32 v[8:9], null, v6, s30, s[28:29]
	v_mul_lo_u32 v12, v6, s31
	v_mul_lo_u32 v16, v7, s30
	s_delay_alu instid0(VALU_DEP_1)
	v_add3_u32 v9, v16, v9, v12
	global_load_u8 v8, v[8:9], off
.LBB135_450:                            ;   in Loop: Header=BB135_448 Depth=2
	s_or_b32 exec_lo, exec_lo, s7
	s_and_saveexec_b32 s7, vcc_lo
	s_cbranch_execz .LBB135_447
; %bb.451:                              ;   in Loop: Header=BB135_448 Depth=2
	s_waitcnt vmcnt(0)
	v_bfe_i32 v9, v8, 0, 8
	s_delay_alu instid0(VALU_DEP_1) | instskip(NEXT) | instid1(VALU_DEP_1)
	v_add_nc_u32_e32 v9, 0x80, v9
	v_and_b32_e32 v9, v9, v26
	s_delay_alu instid0(VALU_DEP_1)
	v_cmp_eq_u32_e32 vcc_lo, v9, v27
	s_and_b32 exec_lo, exec_lo, vcc_lo
	s_cbranch_execz .LBB135_447
; %bb.452:                              ;   in Loop: Header=BB135_448 Depth=2
	v_lshlrev_b16 v8, 8, v8
	s_delay_alu instid0(VALU_DEP_1)
	v_or_b32_e32 v8, 1, v8
	ds_store_b16 v13, v8 offset:3072
	s_branch .LBB135_447
.LBB135_453:                            ;   in Loop: Header=BB135_12 Depth=1
	s_or_b32 exec_lo, exec_lo, s9
	v_lshrrev_b16 v28, 8, v8
	s_and_b32 s13, s12, exec_lo
.LBB135_454:                            ;   in Loop: Header=BB135_12 Depth=1
	s_or_b32 exec_lo, exec_lo, s8
	s_mov_b32 s8, 0
	s_mov_b32 s7, -1
	s_mov_b32 s9, 0
.LBB135_455:                            ;   in Loop: Header=BB135_12 Depth=1
	s_or_not1_b32 s13, s13, exec_lo
.LBB135_456:                            ;   in Loop: Header=BB135_12 Depth=1
	s_or_b32 exec_lo, exec_lo, s71
	s_mov_b32 s26, 0
                                        ; implicit-def: $vgpr6
                                        ; implicit-def: $vgpr4_vgpr5
	s_and_saveexec_b32 s12, s13
	s_cbranch_execz .LBB135_468
; %bb.457:                              ;   in Loop: Header=BB135_12 Depth=1
	v_mov_b32_e32 v4, 1
	v_dual_mov_b32 v5, 0 :: v_dual_mov_b32 v6, 1
	s_xor_b32 s26, s70, -1
	s_delay_alu instid0(SALU_CYCLE_1)
	s_and_saveexec_b32 s13, s26
	s_cbranch_execz .LBB135_467
; %bb.458:                              ;   in Loop: Header=BB135_12 Depth=1
	s_mov_b32 s26, exec_lo
                                        ; implicit-def: $sgpr70
	v_cmpx_ge_u64_e64 s[10:11], v[2:3]
	s_xor_b32 s26, exec_lo, s26
	s_cbranch_execz .LBB135_464
; %bb.459:                              ;   in Loop: Header=BB135_12 Depth=1
	ds_load_b64 v[4:5], v13 offset:5120
	s_waitcnt lgkmcnt(0)
	v_cmp_ne_u64_e32 vcc_lo, 0, v[4:5]
	s_cbranch_vccnz .LBB135_463
; %bb.460:                              ;   in Loop: Header=BB135_12 Depth=1
	s_and_saveexec_b32 s70, s5
	s_cbranch_execz .LBB135_462
; %bb.461:                              ;   in Loop: Header=BB135_12 Depth=1
	v_dual_mov_b32 v4, s10 :: v_dual_mov_b32 v5, s11
	ds_store_b64 v13, v[4:5] offset:5128
.LBB135_462:                            ;   in Loop: Header=BB135_12 Depth=1
	s_or_b32 exec_lo, exec_lo, s70
	s_waitcnt lgkmcnt(0)
	s_barrier
	buffer_gl0_inv
.LBB135_463:                            ;   in Loop: Header=BB135_12 Depth=1
	v_and_b32_e32 v27, s21, v27
	v_or_b32_e32 v26, s20, v26
	s_mov_b32 s70, 5
.LBB135_464:                            ;   in Loop: Header=BB135_12 Depth=1
	s_or_saveexec_b32 s20, s26
	v_mov_b32_e32 v6, s70
	s_xor_b32 exec_lo, exec_lo, s20
; %bb.465:                              ;   in Loop: Header=BB135_12 Depth=1
	v_sub_co_u32 v2, vcc_lo, v2, s10
	v_subrev_co_ci_u32_e32 v3, vcc_lo, s11, v3, vcc_lo
	v_mov_b32_e32 v6, 5
; %bb.466:                              ;   in Loop: Header=BB135_12 Depth=1
	s_or_b32 exec_lo, exec_lo, s20
	s_delay_alu instid0(VALU_DEP_2)
	v_dual_mov_b32 v5, v3 :: v_dual_mov_b32 v4, v2
.LBB135_467:                            ;   in Loop: Header=BB135_12 Depth=1
	s_or_b32 exec_lo, exec_lo, s13
	s_delay_alu instid0(SALU_CYCLE_1)
	s_mov_b32 s26, exec_lo
.LBB135_468:                            ;   in Loop: Header=BB135_12 Depth=1
	s_or_b32 exec_lo, exec_lo, s12
	s_delay_alu instid0(VALU_DEP_1)
	v_dual_mov_b32 v2, v4 :: v_dual_mov_b32 v3, v5
	s_or_not1_b32 s12, s26, exec_lo
.LBB135_469:                            ;   in Loop: Header=BB135_12 Depth=1
	s_or_b32 exec_lo, exec_lo, s22
	s_delay_alu instid0(SALU_CYCLE_1)
	s_and_not1_b32 s10, s14, exec_lo
	s_and_b32 s7, s7, exec_lo
	s_and_b32 s8, s8, exec_lo
	s_or_b32 s14, s10, s7
	s_and_not1_b32 s7, s15, exec_lo
	s_and_not1_b32 s10, s68, exec_lo
	s_and_b32 s9, s9, exec_lo
	v_dual_mov_b32 v5, v3 :: v_dual_mov_b32 v4, v2
	s_or_b32 s15, s7, s8
	s_or_b32 s68, s10, s9
	s_and_b32 s26, s12, exec_lo
.LBB135_470:                            ;   in Loop: Header=BB135_12 Depth=1
	s_or_b32 exec_lo, exec_lo, s69
	s_delay_alu instid0(SALU_CYCLE_1)
	s_and_b32 s14, s14, exec_lo
	s_and_b32 s9, s15, exec_lo
	;; [unrolled: 1-line block ×3, first 2 shown]
	s_or_not1_b32 s7, s26, exec_lo
.LBB135_471:                            ;   in Loop: Header=BB135_12 Depth=1
	s_or_b32 exec_lo, exec_lo, s67
	s_delay_alu instid0(SALU_CYCLE_1)
	s_and_not1_b32 s10, s16, exec_lo
	s_and_b32 s11, s14, exec_lo
	s_and_b32 s9, s9, exec_lo
	s_or_b32 s16, s10, s11
	s_and_not1_b32 s10, s17, exec_lo
	s_and_not1_b32 s11, s65, exec_lo
	s_and_b32 s8, s8, exec_lo
	v_dual_mov_b32 v2, v4 :: v_dual_mov_b32 v3, v5
	s_or_b32 s17, s10, s9
	s_or_b32 s65, s11, s8
	s_and_b32 s26, s7, exec_lo
.LBB135_472:                            ;   in Loop: Header=BB135_12 Depth=1
	s_or_b32 exec_lo, exec_lo, s66
	s_delay_alu instid0(SALU_CYCLE_1)
	s_and_b32 s16, s16, exec_lo
	s_and_b32 s9, s17, exec_lo
	;; [unrolled: 1-line block ×3, first 2 shown]
	s_or_not1_b32 s17, s26, exec_lo
.LBB135_473:                            ;   in Loop: Header=BB135_12 Depth=1
	s_or_b32 exec_lo, exec_lo, s64
	s_mov_b32 s7, s25
	s_mov_b32 s10, s24
	s_and_saveexec_b32 s11, s17
; %bb.474:                              ;   in Loop: Header=BB135_12 Depth=1
	v_cmp_eq_u32_e32 vcc_lo, 5, v6
	v_cmp_ne_u32_e64 s7, 5, v6
	s_and_not1_b32 s10, s24, exec_lo
	s_and_not1_b32 s12, s25, exec_lo
	;; [unrolled: 1-line block ×3, first 2 shown]
	s_and_b32 s13, vcc_lo, exec_lo
	s_and_b32 s7, s7, exec_lo
	s_and_not1_b32 s9, s9, exec_lo
	s_and_not1_b32 s8, s8, exec_lo
	s_or_b32 s10, s10, s7
	s_or_b32 s7, s12, s13
; %bb.475:                              ;   in Loop: Header=BB135_12 Depth=1
	s_or_b32 exec_lo, exec_lo, s11
	s_delay_alu instid0(SALU_CYCLE_1)
	s_and_not1_b32 s11, s18, exec_lo
	s_and_b32 s12, s16, exec_lo
	s_and_b32 s9, s9, exec_lo
	s_or_b32 s18, s11, s12
	s_and_not1_b32 s11, s19, exec_lo
	s_and_not1_b32 s12, s23, exec_lo
	s_and_b32 s8, s8, exec_lo
	v_dual_mov_b32 v8, v27 :: v_dual_mov_b32 v9, v26
	v_mov_b32_e32 v18, v28
	s_or_b32 s19, s11, s9
	s_or_b32 s23, s12, s8
	s_and_not1_b32 s8, s24, exec_lo
	s_and_b32 s9, s10, exec_lo
	s_and_not1_b32 s10, s25, exec_lo
	s_and_b32 s7, s7, exec_lo
	s_or_b32 s24, s8, s9
	s_or_b32 s25, s10, s7
.LBB135_476:                            ;   in Loop: Header=BB135_12 Depth=1
	s_or_b32 exec_lo, exec_lo, s60
	s_mov_b32 s64, s23
	s_mov_b32 s60, s23
	s_and_saveexec_b32 s7, s25
.LBB135_477:                            ;   in Loop: Header=BB135_12 Depth=1
	v_mov_b32_e32 v6, 0
	s_and_not1_b32 s23, s23, exec_lo
	s_and_not1_b32 s18, s18, exec_lo
	s_and_not1_b32 s19, s19, exec_lo
	s_and_not1_b32 s64, s64, exec_lo
	s_and_not1_b32 s60, s60, exec_lo
	s_or_b32 s24, s24, exec_lo
.LBB135_478:                            ;   in Loop: Header=BB135_12 Depth=1
	s_or_b32 exec_lo, exec_lo, s7
	s_delay_alu instid0(SALU_CYCLE_1)
	s_and_not1_b32 s7, s94, exec_lo
	s_and_b32 s9, s23, exec_lo
	s_and_not1_b32 s10, s91, exec_lo
	s_or_b32 s94, s7, s9
	s_and_not1_b32 s7, s93, exec_lo
	s_and_b32 s9, s18, exec_lo
	s_and_b32 s11, s19, exec_lo
	s_or_b32 s93, s7, s9
	s_or_b32 s91, s10, s11
	s_and_not1_b32 s7, s92, exec_lo
	s_and_b32 s9, s64, exec_lo
	s_and_not1_b32 s10, s90, exec_lo
	s_and_b32 s11, s60, exec_lo
	s_mov_b32 s8, -1
	s_or_b32 s92, s7, s9
	s_or_b32 s90, s10, s11
                                        ; implicit-def: $vgpr26
                                        ; implicit-def: $vgpr27
                                        ; implicit-def: $vgpr16_vgpr17
                                        ; implicit-def: $vgpr28
	s_and_saveexec_b32 s7, s24
	s_delay_alu instid0(SALU_CYCLE_1)
	s_xor_b32 s7, exec_lo, s7
	s_cbranch_execz .LBB135_11
; %bb.479:                              ;   in Loop: Header=BB135_12 Depth=1
	s_mov_b32 s9, -1
	s_mov_b32 s10, exec_lo
	v_cmpx_eq_u32_e32 0, v6
	s_cbranch_execz .LBB135_10
; %bb.480:                              ;   in Loop: Header=BB135_12 Depth=1
	s_xor_b32 s85, s85, 1
	s_add_i32 s11, s81, -2
	s_cmp_eq_u32 s81, 0
	s_mov_b32 s81, s11
	s_cselect_b32 s8, -1, 0
	s_xor_b32 s9, exec_lo, -1
	s_or_not1_b32 s8, s8, exec_lo
	s_branch .LBB135_10
.LBB135_481:
	s_or_b32 exec_lo, exec_lo, s82
	s_xor_b32 s7, s89, -1
	s_xor_b32 s9, s87, -1
	;; [unrolled: 1-line block ×5, first 2 shown]
	s_mov_b32 s8, 0
	s_and_saveexec_b32 s12, s11
	s_delay_alu instid0(SALU_CYCLE_1)
	s_xor_b32 s14, exec_lo, s12
	s_cbranch_execz .LBB135_538
; %bb.482:
	s_and_saveexec_b32 s11, s10
	s_delay_alu instid0(SALU_CYCLE_1)
	s_xor_b32 s15, exec_lo, s11
	s_cbranch_execz .LBB135_536
; %bb.483:
	;; [unrolled: 5-line block ×4, first 2 shown]
	s_and_saveexec_b32 s7, s6
	s_delay_alu instid0(SALU_CYCLE_1)
	s_xor_b32 s6, exec_lo, s7
; %bb.486:
	v_xor_b32_e32 v18, 0xffffff80, v8
; %bb.487:
	s_or_b32 exec_lo, exec_lo, s6
	s_and_saveexec_b32 s6, s5
	s_cbranch_execz .LBB135_489
; %bb.488:
	v_mov_b32_e32 v2, 0
	s_delay_alu instid0(VALU_DEP_1)
	v_mov_b32_e32 v3, v2
	ds_store_b64 v2, v[2:3] offset:5136
.LBB135_489:
	s_or_b32 exec_lo, exec_lo, s6
	v_mov_b32_e32 v14, 0
	s_waitcnt lgkmcnt(0)
	s_barrier
	buffer_gl0_inv
	s_and_saveexec_b32 s5, s4
	s_cbranch_execz .LBB135_491
; %bb.490:
	global_load_u8 v14, v[10:11], off
.LBB135_491:
	s_or_b32 exec_lo, exec_lo, s5
	s_add_u32 s5, s36, 31
	s_addc_u32 s7, s37, 0
	s_and_b32 s6, s5, 0xffffffe0
	s_mul_i32 s5, s50, s53
	s_mul_hi_u32 s8, s50, s52
	s_mul_i32 s9, s50, s52
	s_add_i32 s8, s8, s5
	s_sub_u32 s5, s34, s9
	s_subb_u32 s8, 0, s8
	s_mul_i32 s9, s5, s47
	s_mul_hi_u32 s10, s5, s46
	s_mul_i32 s8, s8, s46
	s_add_i32 s9, s10, s9
	s_mul_i32 s10, s50, s45
	s_mul_hi_u32 s11, s50, s44
	s_add_i32 s13, s9, s8
	s_mul_i32 s8, s54, s49
	s_mul_hi_u32 s9, s54, s48
	s_add_i32 s12, s11, s10
	s_mul_i32 s10, s54, s48
	s_add_i32 s9, s9, s8
	s_sub_u32 s18, s34, s10
	s_subb_u32 s9, 0, s9
	s_mul_i32 s8, s18, s43
	s_mul_hi_u32 s10, s18, s42
	s_mul_i32 s9, s9, s42
	s_add_i32 s8, s10, s8
	s_mul_i32 s21, s54, s41
	s_add_i32 s19, s8, s9
	s_clause 0x1
	s_load_b64 s[8:9], s[0:1], 0x368
	s_load_b64 s[10:11], s[0:1], 0x510
	s_mul_hi_u32 s22, s54, s40
	s_mul_i32 s20, s50, s44
	s_add_i32 s1, s22, s21
	s_mul_i32 s5, s5, s46
	s_add_u32 s20, s58, s20
	s_mul_i32 s0, s54, s40
	s_addc_u32 s21, s59, s12
	s_add_u32 s12, s20, s5
	s_addc_u32 s13, s21, s13
	s_lshl_b64 s[0:1], s[0:1], 3
	s_mul_i32 s18, s18, s42
	s_add_u32 s0, s102, s0
	s_addc_u32 s5, s103, s1
	s_lshl_b64 s[18:19], s[18:19], 3
	s_mov_b32 s20, exec_lo
	s_add_u32 s1, s0, s18
	s_addc_u32 s5, s5, s19
	s_mov_b32 s0, -1
	s_mov_b32 s19, 0
	s_mov_b32 s18, 0
	v_cmpx_gt_u64_e64 s[6:7], v[0:1]
	s_cbranch_execz .LBB135_507
; %bb.492:
	v_bfe_i32 v2, v18, 0, 8
	v_mov_b32_e32 v9, v1
	v_dual_mov_b32 v3, 0 :: v_dual_mov_b32 v8, v0
                                        ; implicit-def: $sgpr21
                                        ; implicit-def: $vgpr6_vgpr7
	s_delay_alu instid0(VALU_DEP_3)
	v_add_nc_u32_e32 v15, 0x80, v2
	s_branch .LBB135_494
.LBB135_493:                            ;   in Loop: Header=BB135_494 Depth=1
	s_or_b32 exec_lo, exec_lo, s22
	s_xor_b32 s22, s24, -1
	s_and_b32 s0, exec_lo, s0
	v_dual_mov_b32 v14, v16 :: v_dual_mov_b32 v9, v5
	s_or_b32 s18, s0, s18
	v_mov_b32_e32 v8, v4
	s_and_not1_b32 s0, s21, exec_lo
	s_and_b32 s21, s22, exec_lo
	s_delay_alu instid0(SALU_CYCLE_1)
	s_or_b32 s21, s0, s21
	s_and_not1_b32 exec_lo, exec_lo, s18
	s_cbranch_execz .LBB135_506
.LBB135_494:                            ; =>This Inner Loop Header: Depth=1
	s_delay_alu instid0(VALU_DEP_2) | instskip(SKIP_3) | instid1(VALU_DEP_2)
	v_add_co_u32 v4, vcc_lo, v8, s33
	v_add_co_ci_u32_e32 v5, vcc_lo, 0, v9, vcc_lo
	v_mov_b32_e32 v16, 0
	s_mov_b32 s0, exec_lo
	v_cmpx_gt_u64_e64 s[36:37], v[4:5]
	s_cbranch_execz .LBB135_496
; %bb.495:                              ;   in Loop: Header=BB135_494 Depth=1
	v_mad_u64_u32 v[12:13], null, v4, s30, s[28:29]
	v_mul_lo_u32 v2, v4, s31
	v_mul_lo_u32 v16, v5, s30
	s_delay_alu instid0(VALU_DEP_1)
	v_add3_u32 v13, v16, v13, v2
	global_load_u8 v16, v[12:13], off
.LBB135_496:                            ;   in Loop: Header=BB135_494 Depth=1
	s_or_b32 exec_lo, exec_lo, s0
	s_waitcnt vmcnt(0)
	v_bfe_i32 v2, v14, 0, 8
	s_delay_alu instid0(VALU_DEP_1) | instskip(NEXT) | instid1(VALU_DEP_1)
	v_add_nc_u32_e32 v2, 0x80, v2
	v_cmp_gt_u32_e32 vcc_lo, v2, v15
	v_cndmask_b32_e64 v12, 0, 1, vcc_lo
	v_cmp_lt_u32_e32 vcc_lo, v2, v15
	v_cndmask_b32_e64 v2, 0, 1, vcc_lo
	v_cmp_gt_u64_e32 vcc_lo, s[36:37], v[8:9]
	s_delay_alu instid0(VALU_DEP_2) | instskip(NEXT) | instid1(VALU_DEP_1)
	v_cndmask_b32_e64 v2, v2, v12, s3
	v_and_b32_e32 v2, 1, v2
	s_delay_alu instid0(VALU_DEP_1) | instskip(NEXT) | instid1(VALU_DEP_1)
	v_cmp_eq_u32_e64 s0, 1, v2
	s_and_b32 s22, vcc_lo, s0
	s_delay_alu instid0(SALU_CYCLE_1) | instskip(NEXT) | instid1(VALU_DEP_1)
	v_cndmask_b32_e64 v2, 0, 1, s22
	v_cmp_ne_u32_e32 vcc_lo, 0, v2
	s_cmp_lg_u32 vcc_lo, 0
	s_cselect_b32 s0, -1, 0
	s_delay_alu instid0(SALU_CYCLE_1) | instskip(NEXT) | instid1(SALU_CYCLE_1)
	s_and_b32 s0, s2, s0
	s_and_saveexec_b32 s23, s0
	s_cbranch_execz .LBB135_500
; %bb.497:                              ;   in Loop: Header=BB135_494 Depth=1
	s_mov_b32 s26, exec_lo
	s_bcnt1_i32_b32 s24, vcc_lo
	v_mbcnt_lo_u32_b32 v12, s26, 0
	s_mov_b32 s25, exec_lo
                                        ; implicit-def: $vgpr6_vgpr7
	s_delay_alu instid0(VALU_DEP_1)
	v_cmpx_eq_u32_e32 0, v12
	s_cbranch_execz .LBB135_499
; %bb.498:                              ;   in Loop: Header=BB135_494 Depth=1
	s_bcnt1_i32_b32 s0, s26
	s_delay_alu instid0(SALU_CYCLE_1) | instskip(NEXT) | instid1(SALU_CYCLE_1)
	s_mul_i32 s0, s24, s0
	v_mov_b32_e32 v2, s0
	s_waitcnt lgkmcnt(0)
	ds_add_rtn_u64 v[6:7], v3, v[2:3] offset:5136
.LBB135_499:                            ;   in Loop: Header=BB135_494 Depth=1
	s_or_b32 exec_lo, exec_lo, s25
	s_waitcnt lgkmcnt(0)
	v_readfirstlane_b32 s27, v7
	v_readfirstlane_b32 s26, v6
	s_delay_alu instid0(VALU_DEP_1)
	v_mad_u64_u32 v[6:7], null, s24, v12, s[26:27]
.LBB135_500:                            ;   in Loop: Header=BB135_494 Depth=1
	s_or_b32 exec_lo, exec_lo, s23
	s_waitcnt lgkmcnt(0)
	ds_bpermute_b32 v6, v3, v6
	ds_bpermute_b32 v7, v3, v7
	s_mov_b32 s0, -1
	s_mov_b32 s25, -1
                                        ; implicit-def: $sgpr24
	s_and_saveexec_b32 s23, s22
	s_cbranch_execz .LBB135_504
; %bb.501:                              ;   in Loop: Header=BB135_494 Depth=1
	v_and_b32_e32 v2, vcc_lo, v22
	s_mov_b32 s22, 0
	s_mov_b32 s24, exec_lo
	s_delay_alu instid0(VALU_DEP_1) | instskip(SKIP_1) | instid1(VALU_DEP_1)
	v_bcnt_u32_b32 v2, v2, 0
	s_waitcnt lgkmcnt(0)
	v_add_co_u32 v12, vcc_lo, v6, v2
	v_add_co_ci_u32_e32 v13, vcc_lo, 0, v7, vcc_lo
	s_delay_alu instid0(VALU_DEP_1)
	v_cmpx_gt_u64_e64 s[38:39], v[12:13]
	s_cbranch_execz .LBB135_503
; %bb.502:                              ;   in Loop: Header=BB135_494 Depth=1
	v_mul_lo_u32 v2, v13, s10
	v_mul_lo_u32 v17, v12, s11
	v_mad_u64_u32 v[19:20], null, v12, s10, 0
	v_mad_u64_u32 v[23:24], null, v12, s8, s[12:13]
	v_mul_lo_u32 v21, v12, s9
	s_mov_b32 s22, exec_lo
	s_delay_alu instid0(VALU_DEP_3) | instskip(SKIP_1) | instid1(VALU_DEP_2)
	v_add3_u32 v20, v20, v17, v2
	v_mul_lo_u32 v2, v13, s8
	v_lshlrev_b64 v[12:13], 3, v[19:20]
	s_delay_alu instid0(VALU_DEP_2) | instskip(NEXT) | instid1(VALU_DEP_2)
	v_add3_u32 v24, v2, v24, v21
	v_add_co_u32 v12, vcc_lo, s1, v12
	s_delay_alu instid0(VALU_DEP_3)
	v_add_co_ci_u32_e32 v13, vcc_lo, s5, v13, vcc_lo
	global_store_b8 v[23:24], v14, off
	global_store_b64 v[12:13], v[8:9], off
.LBB135_503:                            ;   in Loop: Header=BB135_494 Depth=1
	s_or_b32 exec_lo, exec_lo, s24
	s_mov_b32 s24, -1
	s_or_not1_b32 s25, s22, exec_lo
.LBB135_504:                            ;   in Loop: Header=BB135_494 Depth=1
	s_or_b32 exec_lo, exec_lo, s23
	s_and_saveexec_b32 s22, s25
	s_cbranch_execz .LBB135_493
; %bb.505:                              ;   in Loop: Header=BB135_494 Depth=1
	v_cmp_le_u64_e32 vcc_lo, s[6:7], v[4:5]
	s_and_not1_b32 s24, s24, exec_lo
	s_or_not1_b32 s0, vcc_lo, exec_lo
	s_branch .LBB135_493
.LBB135_506:
	s_or_b32 exec_lo, exec_lo, s18
	s_delay_alu instid0(SALU_CYCLE_1)
	s_mov_b32 s18, exec_lo
	s_or_not1_b32 s0, s21, exec_lo
.LBB135_507:
	s_or_b32 exec_lo, exec_lo, s20
	s_and_saveexec_b32 s3, s0
	s_cbranch_execz .LBB135_530
; %bb.508:
	v_dual_mov_b32 v3, 0 :: v_dual_mov_b32 v8, 0
	s_waitcnt vmcnt(0) lgkmcnt(0)
	s_waitcnt_vscnt null, 0x0
	s_barrier
	buffer_gl0_inv
	s_and_saveexec_b32 s0, s4
	s_cbranch_execz .LBB135_510
; %bb.509:
	global_load_u8 v8, v[10:11], off
.LBB135_510:
	s_or_b32 exec_lo, exec_lo, s0
	v_and_b32_e32 v10, 0xff, v18
	s_mov_b32 s19, 0
                                        ; implicit-def: $sgpr4
                                        ; implicit-def: $sgpr20
                                        ; implicit-def: $sgpr21
                                        ; implicit-def: $vgpr4_vgpr5
	s_branch .LBB135_513
.LBB135_511:                            ;   in Loop: Header=BB135_513 Depth=1
	s_or_b32 exec_lo, exec_lo, s24
	v_dual_mov_b32 v0, v6 :: v_dual_mov_b32 v1, v7
	s_and_not1_b32 s0, s21, exec_lo
	s_and_b32 s21, s26, exec_lo
	s_and_not1_b32 s20, s20, exec_lo
	s_and_b32 s23, s23, exec_lo
	s_or_b32 s21, s0, s21
	s_or_b32 s20, s20, s23
.LBB135_512:                            ;   in Loop: Header=BB135_513 Depth=1
	s_or_b32 exec_lo, exec_lo, s22
	s_xor_b32 s0, s21, -1
	s_and_b32 s22, exec_lo, s20
	s_delay_alu instid0(SALU_CYCLE_1) | instskip(SKIP_2) | instid1(SALU_CYCLE_1)
	s_or_b32 s19, s22, s19
	s_and_not1_b32 s4, s4, exec_lo
	s_and_b32 s0, s0, exec_lo
	s_or_b32 s4, s4, s0
	s_and_not1_b32 exec_lo, exec_lo, s19
	s_cbranch_execz .LBB135_528
.LBB135_513:                            ; =>This Inner Loop Header: Depth=1
	s_or_b32 s21, s21, exec_lo
	s_or_b32 s20, s20, exec_lo
	s_mov_b32 s22, exec_lo
	v_cmpx_gt_u64_e64 s[6:7], v[0:1]
	s_cbranch_execz .LBB135_512
; %bb.514:                              ;   in Loop: Header=BB135_513 Depth=1
	v_add_co_u32 v6, vcc_lo, v0, s33
	v_add_co_ci_u32_e32 v7, vcc_lo, 0, v1, vcc_lo
	v_mov_b32_e32 v11, 0
	s_mov_b32 s0, exec_lo
	s_delay_alu instid0(VALU_DEP_2)
	v_cmpx_gt_u64_e64 s[36:37], v[6:7]
	s_cbranch_execz .LBB135_516
; %bb.515:                              ;   in Loop: Header=BB135_513 Depth=1
	v_mad_u64_u32 v[11:12], null, v6, s30, s[28:29]
	v_mul_lo_u32 v2, v6, s31
	v_mul_lo_u32 v9, v7, s30
	s_delay_alu instid0(VALU_DEP_1)
	v_add3_u32 v12, v9, v12, v2
	global_load_u8 v11, v[11:12], off
.LBB135_516:                            ;   in Loop: Header=BB135_513 Depth=1
	s_or_b32 exec_lo, exec_lo, s0
	s_waitcnt vmcnt(0)
	v_and_b32_e32 v2, 0xff, v8
	v_cmp_gt_u64_e32 vcc_lo, s[36:37], v[0:1]
	s_delay_alu instid0(VALU_DEP_2) | instskip(NEXT) | instid1(VALU_DEP_1)
	v_cmp_eq_u16_e64 s0, v2, v10
	s_and_b32 s24, vcc_lo, s0
	s_delay_alu instid0(SALU_CYCLE_1) | instskip(NEXT) | instid1(VALU_DEP_1)
	v_cndmask_b32_e64 v2, 0, 1, s24
	v_cmp_ne_u32_e32 vcc_lo, 0, v2
	s_cmp_lg_u32 vcc_lo, 0
	s_cselect_b32 s0, -1, 0
	s_delay_alu instid0(SALU_CYCLE_1) | instskip(NEXT) | instid1(SALU_CYCLE_1)
	s_and_b32 s0, s2, s0
	s_and_saveexec_b32 s23, s0
	s_cbranch_execz .LBB135_520
; %bb.517:                              ;   in Loop: Header=BB135_513 Depth=1
	s_mov_b32 s27, exec_lo
	s_bcnt1_i32_b32 s25, vcc_lo
	v_mbcnt_lo_u32_b32 v9, s27, 0
	s_mov_b32 s26, exec_lo
                                        ; implicit-def: $vgpr4_vgpr5
	s_delay_alu instid0(VALU_DEP_1)
	v_cmpx_eq_u32_e32 0, v9
	s_cbranch_execz .LBB135_519
; %bb.518:                              ;   in Loop: Header=BB135_513 Depth=1
	s_bcnt1_i32_b32 s0, s27
	s_delay_alu instid0(SALU_CYCLE_1) | instskip(NEXT) | instid1(SALU_CYCLE_1)
	s_mul_i32 s0, s25, s0
	v_mov_b32_e32 v2, s0
	ds_add_rtn_u64 v[4:5], v3, v[2:3] offset:5136
.LBB135_519:                            ;   in Loop: Header=BB135_513 Depth=1
	s_or_b32 exec_lo, exec_lo, s26
	s_waitcnt lgkmcnt(0)
	v_readfirstlane_b32 s27, v5
	v_readfirstlane_b32 s26, v4
	s_delay_alu instid0(VALU_DEP_1)
	v_mad_u64_u32 v[4:5], null, s25, v9, s[26:27]
.LBB135_520:                            ;   in Loop: Header=BB135_513 Depth=1
	s_or_b32 exec_lo, exec_lo, s23
	ds_bpermute_b32 v4, v3, v4
	ds_bpermute_b32 v5, v3, v5
	s_cmp_eq_u32 vcc_lo, 0
	s_mov_b32 s23, -1
	s_cselect_b32 s25, -1, 0
	s_mov_b32 s26, -1
	s_waitcnt lgkmcnt(0)
	v_cmp_gt_u64_e64 s0, s[38:39], v[4:5]
	s_delay_alu instid0(VALU_DEP_1) | instskip(SKIP_3) | instid1(SALU_CYCLE_1)
	s_or_b32 s0, s25, s0
	s_mov_b32 s25, -1
	v_cndmask_b32_e64 v8, v8, v11, s0
	s_and_b32 s27, s24, s0
	s_and_saveexec_b32 s24, s27
	s_cbranch_execz .LBB135_526
; %bb.521:                              ;   in Loop: Header=BB135_513 Depth=1
	v_and_b32_e32 v2, vcc_lo, v22
	v_sub_co_u32 v8, vcc_lo, s38, v4
	v_sub_co_ci_u32_e32 v9, vcc_lo, s39, v5, vcc_lo
	s_delay_alu instid0(VALU_DEP_3) | instskip(SKIP_2) | instid1(VALU_DEP_1)
	v_bcnt_u32_b32 v2, v2, 0
	s_mov_b32 s27, -1
	s_mov_b32 s26, exec_lo
	v_cmp_le_u64_e64 s25, v[8:9], v[2:3]
	v_cmpx_gt_u64_e64 v[8:9], v[2:3]
	s_cbranch_execz .LBB135_525
; %bb.522:                              ;   in Loop: Header=BB135_513 Depth=1
	v_add_co_u32 v8, vcc_lo, v4, v2
	v_add_co_ci_u32_e32 v9, vcc_lo, 0, v5, vcc_lo
	s_delay_alu instid0(VALU_DEP_4) | instskip(SKIP_1) | instid1(VALU_DEP_1)
	s_mov_b32 s34, s25
	s_mov_b32 s27, exec_lo
	v_cmpx_gt_u64_e64 s[38:39], v[8:9]
	s_cbranch_execz .LBB135_524
; %bb.523:                              ;   in Loop: Header=BB135_513 Depth=1
	v_mul_lo_u32 v2, v9, s10
	v_mul_lo_u32 v16, v8, s11
	v_mad_u64_u32 v[12:13], null, v8, s10, 0
	v_mad_u64_u32 v[14:15], null, v8, s8, s[12:13]
	v_mul_lo_u32 v17, v8, s9
	s_or_b32 s34, s25, exec_lo
	s_delay_alu instid0(VALU_DEP_3) | instskip(SKIP_1) | instid1(VALU_DEP_2)
	v_add3_u32 v13, v13, v16, v2
	v_mul_lo_u32 v2, v9, s8
	v_lshlrev_b64 v[8:9], 3, v[12:13]
	s_delay_alu instid0(VALU_DEP_2) | instskip(NEXT) | instid1(VALU_DEP_2)
	v_add3_u32 v15, v2, v15, v17
	v_add_co_u32 v8, vcc_lo, s1, v8
	s_delay_alu instid0(VALU_DEP_3)
	v_add_co_ci_u32_e32 v9, vcc_lo, s5, v9, vcc_lo
	global_store_b8 v[14:15], v18, off
	global_store_b64 v[8:9], v[0:1], off
.LBB135_524:                            ;   in Loop: Header=BB135_513 Depth=1
	s_or_b32 exec_lo, exec_lo, s27
	s_delay_alu instid0(SALU_CYCLE_1)
	s_and_not1_b32 s25, s25, exec_lo
	s_and_b32 s34, s34, exec_lo
	s_xor_b32 s27, exec_lo, -1
	s_or_b32 s25, s25, s34
.LBB135_525:                            ;   in Loop: Header=BB135_513 Depth=1
	s_or_b32 exec_lo, exec_lo, s26
	v_mov_b32_e32 v8, v11
	s_or_not1_b32 s26, s27, exec_lo
	s_or_b32 s0, s0, exec_lo
	s_or_not1_b32 s25, s25, exec_lo
.LBB135_526:                            ;   in Loop: Header=BB135_513 Depth=1
	s_or_b32 exec_lo, exec_lo, s24
	s_and_saveexec_b32 s24, s25
	s_cbranch_execz .LBB135_511
; %bb.527:                              ;   in Loop: Header=BB135_513 Depth=1
	s_xor_b32 s0, s0, -1
	s_or_b32 s26, s26, exec_lo
	s_or_not1_b32 s23, s0, exec_lo
	s_branch .LBB135_511
.LBB135_528:
	s_or_b32 exec_lo, exec_lo, s19
	s_mov_b32 s0, 0
	s_and_saveexec_b32 s1, s4
	s_delay_alu instid0(SALU_CYCLE_1)
	s_xor_b32 s1, exec_lo, s1
	s_cbranch_execnz .LBB135_560
.LBB135_529:
	s_or_b32 exec_lo, exec_lo, s1
	s_delay_alu instid0(SALU_CYCLE_1)
	s_and_b32 s19, s0, exec_lo
	s_and_not1_b32 s18, s18, exec_lo
.LBB135_530:
	s_or_b32 exec_lo, exec_lo, s3
	s_and_saveexec_b32 s0, s18
	s_delay_alu instid0(SALU_CYCLE_1)
	s_xor_b32 s0, exec_lo, s0
	s_cbranch_execnz .LBB135_556
.LBB135_531:
	s_or_b32 exec_lo, exec_lo, s0
	s_waitcnt lgkmcnt(0)
	s_and_b32 s8, s19, exec_lo
.LBB135_532:
	s_and_not1_saveexec_b32 s0, s17
	s_cbranch_execnz .LBB135_552
.LBB135_533:
	s_or_b32 exec_lo, exec_lo, s0
	s_delay_alu instid0(SALU_CYCLE_1)
	s_and_b32 s8, s8, exec_lo
.LBB135_534:
	s_and_not1_saveexec_b32 s0, s16
	s_cbranch_execnz .LBB135_548
.LBB135_535:
	s_or_b32 exec_lo, exec_lo, s0
	s_delay_alu instid0(SALU_CYCLE_1)
	s_and_b32 s8, s8, exec_lo
.LBB135_536:
	s_and_not1_saveexec_b32 s0, s15
	s_cbranch_execnz .LBB135_544
.LBB135_537:
	s_or_b32 exec_lo, exec_lo, s0
	s_delay_alu instid0(SALU_CYCLE_1)
	s_and_b32 s8, s8, exec_lo
.LBB135_538:
	s_and_not1_saveexec_b32 s0, s14
	s_cbranch_execnz .LBB135_542
; %bb.539:
	s_or_b32 exec_lo, exec_lo, s0
	s_and_saveexec_b32 s0, s8
.LBB135_540:
	; divergent unreachable
.LBB135_541:
	s_nop 0
	s_sendmsg sendmsg(MSG_DEALLOC_VGPRS)
	s_endpgm
.LBB135_542:
	s_cbranch_execnz .LBB135_546
; %bb.543:
	s_or_b32 s8, s8, exec_lo
	s_or_b32 exec_lo, exec_lo, s0
	s_and_saveexec_b32 s0, s8
	s_cbranch_execnz .LBB135_540
	s_branch .LBB135_541
.LBB135_544:
	s_cbranch_execnz .LBB135_550
; %bb.545:
	s_or_b32 s8, s8, exec_lo
	s_branch .LBB135_537
.LBB135_546:
	s_trap 2
	s_sendmsg_rtn_b32 s0, sendmsg(MSG_RTN_GET_DOORBELL)
	s_mov_b32 ttmp2, m0
	s_waitcnt lgkmcnt(0)
	s_and_b32 s0, s0, 0x3ff
	s_delay_alu instid0(SALU_CYCLE_1) | instskip(NEXT) | instid1(SALU_CYCLE_1)
	s_bitset1_b32 s0, 10
	s_mov_b32 m0, s0
	s_sendmsg sendmsg(MSG_INTERRUPT)
	s_mov_b32 m0, ttmp2
.LBB135_547:                            ; =>This Inner Loop Header: Depth=1
	s_sethalt 5
	s_branch .LBB135_547
.LBB135_548:
	s_cbranch_execnz .LBB135_554
; %bb.549:
	s_or_b32 s8, s8, exec_lo
	s_branch .LBB135_535
.LBB135_550:
	s_trap 2
	s_sendmsg_rtn_b32 s0, sendmsg(MSG_RTN_GET_DOORBELL)
	s_mov_b32 ttmp2, m0
	s_waitcnt lgkmcnt(0)
	s_and_b32 s0, s0, 0x3ff
	s_delay_alu instid0(SALU_CYCLE_1) | instskip(NEXT) | instid1(SALU_CYCLE_1)
	s_bitset1_b32 s0, 10
	s_mov_b32 m0, s0
	s_sendmsg sendmsg(MSG_INTERRUPT)
	s_mov_b32 m0, ttmp2
.LBB135_551:                            ; =>This Inner Loop Header: Depth=1
	s_sethalt 5
	s_branch .LBB135_551
.LBB135_552:
	s_cbranch_execnz .LBB135_558
; %bb.553:
	s_or_b32 s8, s8, exec_lo
	s_branch .LBB135_533
.LBB135_554:
	s_trap 2
	s_sendmsg_rtn_b32 s0, sendmsg(MSG_RTN_GET_DOORBELL)
	s_mov_b32 ttmp2, m0
	s_waitcnt lgkmcnt(0)
	s_and_b32 s0, s0, 0x3ff
	s_delay_alu instid0(SALU_CYCLE_1) | instskip(NEXT) | instid1(SALU_CYCLE_1)
	s_bitset1_b32 s0, 10
	s_mov_b32 m0, s0
	s_sendmsg sendmsg(MSG_INTERRUPT)
	s_mov_b32 m0, ttmp2
.LBB135_555:                            ; =>This Inner Loop Header: Depth=1
	s_sethalt 5
	s_branch .LBB135_555
.LBB135_556:
	s_cbranch_execnz .LBB135_562
; %bb.557:
	s_or_b32 s19, s19, exec_lo
	s_branch .LBB135_531
.LBB135_558:
	s_trap 2
	s_sendmsg_rtn_b32 s0, sendmsg(MSG_RTN_GET_DOORBELL)
	s_mov_b32 ttmp2, m0
	s_waitcnt lgkmcnt(0)
	s_and_b32 s0, s0, 0x3ff
	s_delay_alu instid0(SALU_CYCLE_1) | instskip(NEXT) | instid1(SALU_CYCLE_1)
	s_bitset1_b32 s0, 10
	s_mov_b32 m0, s0
	s_sendmsg sendmsg(MSG_INTERRUPT)
	s_mov_b32 m0, ttmp2
.LBB135_559:                            ; =>This Inner Loop Header: Depth=1
	s_sethalt 5
	s_branch .LBB135_559
.LBB135_560:
	s_cbranch_execnz .LBB135_564
; %bb.561:
	s_mov_b32 s0, exec_lo
	s_branch .LBB135_529
.LBB135_562:
	s_trap 2
	s_sendmsg_rtn_b32 s0, sendmsg(MSG_RTN_GET_DOORBELL)
	s_mov_b32 ttmp2, m0
	s_waitcnt lgkmcnt(0)
	s_and_b32 s0, s0, 0x3ff
	s_delay_alu instid0(SALU_CYCLE_1) | instskip(NEXT) | instid1(SALU_CYCLE_1)
	s_bitset1_b32 s0, 10
	s_mov_b32 m0, s0
	s_sendmsg sendmsg(MSG_INTERRUPT)
	s_mov_b32 m0, ttmp2
.LBB135_563:                            ; =>This Inner Loop Header: Depth=1
	s_sethalt 5
	s_branch .LBB135_563
.LBB135_564:
	s_trap 2
	s_sendmsg_rtn_b32 s0, sendmsg(MSG_RTN_GET_DOORBELL)
	s_mov_b32 ttmp2, m0
	s_waitcnt lgkmcnt(0)
	s_and_b32 s0, s0, 0x3ff
	s_delay_alu instid0(SALU_CYCLE_1) | instskip(NEXT) | instid1(SALU_CYCLE_1)
	s_bitset1_b32 s0, 10
	s_mov_b32 m0, s0
	s_sendmsg sendmsg(MSG_INTERRUPT)
	s_mov_b32 m0, ttmp2
.LBB135_565:                            ; =>This Inner Loop Header: Depth=1
	s_sethalt 5
	s_branch .LBB135_565
	.section	.rodata,"a",@progbits
	.p2align	6, 0x0
	.amdhsa_kernel _ZN2at6native6sbtopk10gatherTopKIamLi2ELb0EEEvNS_4cuda6detail10TensorInfoIKT_T0_EES8_S8_bS8_S8_NS5_IS6_S8_EES8_NS5_IlS8_EES8_PS6_
		.amdhsa_group_segment_fixed_size 5152
		.amdhsa_private_segment_fixed_size 0
		.amdhsa_kernarg_size 1568
		.amdhsa_user_sgpr_count 13
		.amdhsa_user_sgpr_dispatch_ptr 0
		.amdhsa_user_sgpr_queue_ptr 0
		.amdhsa_user_sgpr_kernarg_segment_ptr 1
		.amdhsa_user_sgpr_dispatch_id 0
		.amdhsa_user_sgpr_private_segment_size 0
		.amdhsa_wavefront_size32 1
		.amdhsa_uses_dynamic_stack 0
		.amdhsa_enable_private_segment 0
		.amdhsa_system_sgpr_workgroup_id_x 1
		.amdhsa_system_sgpr_workgroup_id_y 1
		.amdhsa_system_sgpr_workgroup_id_z 1
		.amdhsa_system_sgpr_workgroup_info 0
		.amdhsa_system_vgpr_workitem_id 0
		.amdhsa_next_free_vgpr 33
		.amdhsa_next_free_sgpr 105
		.amdhsa_reserve_vcc 1
		.amdhsa_float_round_mode_32 0
		.amdhsa_float_round_mode_16_64 0
		.amdhsa_float_denorm_mode_32 3
		.amdhsa_float_denorm_mode_16_64 3
		.amdhsa_dx10_clamp 1
		.amdhsa_ieee_mode 1
		.amdhsa_fp16_overflow 0
		.amdhsa_workgroup_processor_mode 1
		.amdhsa_memory_ordered 1
		.amdhsa_forward_progress 0
		.amdhsa_shared_vgpr_count 0
		.amdhsa_exception_fp_ieee_invalid_op 0
		.amdhsa_exception_fp_denorm_src 0
		.amdhsa_exception_fp_ieee_div_zero 0
		.amdhsa_exception_fp_ieee_overflow 0
		.amdhsa_exception_fp_ieee_underflow 0
		.amdhsa_exception_fp_ieee_inexact 0
		.amdhsa_exception_int_div_zero 0
	.end_amdhsa_kernel
	.section	.text._ZN2at6native6sbtopk10gatherTopKIamLi2ELb0EEEvNS_4cuda6detail10TensorInfoIKT_T0_EES8_S8_bS8_S8_NS5_IS6_S8_EES8_NS5_IlS8_EES8_PS6_,"axG",@progbits,_ZN2at6native6sbtopk10gatherTopKIamLi2ELb0EEEvNS_4cuda6detail10TensorInfoIKT_T0_EES8_S8_bS8_S8_NS5_IS6_S8_EES8_NS5_IlS8_EES8_PS6_,comdat
.Lfunc_end135:
	.size	_ZN2at6native6sbtopk10gatherTopKIamLi2ELb0EEEvNS_4cuda6detail10TensorInfoIKT_T0_EES8_S8_bS8_S8_NS5_IS6_S8_EES8_NS5_IlS8_EES8_PS6_, .Lfunc_end135-_ZN2at6native6sbtopk10gatherTopKIamLi2ELb0EEEvNS_4cuda6detail10TensorInfoIKT_T0_EES8_S8_bS8_S8_NS5_IS6_S8_EES8_NS5_IlS8_EES8_PS6_
                                        ; -- End function
	.section	.AMDGPU.csdata,"",@progbits
; Kernel info:
; codeLenInByte = 29016
; NumSgprs: 107
; NumVgprs: 33
; ScratchSize: 0
; MemoryBound: 0
; FloatMode: 240
; IeeeMode: 1
; LDSByteSize: 5152 bytes/workgroup (compile time only)
; SGPRBlocks: 13
; VGPRBlocks: 4
; NumSGPRsForWavesPerEU: 107
; NumVGPRsForWavesPerEU: 33
; Occupancy: 16
; WaveLimiterHint : 1
; COMPUTE_PGM_RSRC2:SCRATCH_EN: 0
; COMPUTE_PGM_RSRC2:USER_SGPR: 13
; COMPUTE_PGM_RSRC2:TRAP_HANDLER: 0
; COMPUTE_PGM_RSRC2:TGID_X_EN: 1
; COMPUTE_PGM_RSRC2:TGID_Y_EN: 1
; COMPUTE_PGM_RSRC2:TGID_Z_EN: 1
; COMPUTE_PGM_RSRC2:TIDIG_COMP_CNT: 0
	.section	.text._ZN2at6native6mbtopk23computeBlockDigitCountsIamjLi3EEEvNS_4cuda6detail10TensorInfoIKT_T0_EEjPjjS8_iijT1_PSB_Ps,"axG",@progbits,_ZN2at6native6mbtopk23computeBlockDigitCountsIamjLi3EEEvNS_4cuda6detail10TensorInfoIKT_T0_EEjPjjS8_iijT1_PSB_Ps,comdat
	.protected	_ZN2at6native6mbtopk23computeBlockDigitCountsIamjLi3EEEvNS_4cuda6detail10TensorInfoIKT_T0_EEjPjjS8_iijT1_PSB_Ps ; -- Begin function _ZN2at6native6mbtopk23computeBlockDigitCountsIamjLi3EEEvNS_4cuda6detail10TensorInfoIKT_T0_EEjPjjS8_iijT1_PSB_Ps
	.globl	_ZN2at6native6mbtopk23computeBlockDigitCountsIamjLi3EEEvNS_4cuda6detail10TensorInfoIKT_T0_EEjPjjS8_iijT1_PSB_Ps
	.p2align	8
	.type	_ZN2at6native6mbtopk23computeBlockDigitCountsIamjLi3EEEvNS_4cuda6detail10TensorInfoIKT_T0_EEjPjjS8_iijT1_PSB_Ps,@function
_ZN2at6native6mbtopk23computeBlockDigitCountsIamjLi3EEEvNS_4cuda6detail10TensorInfoIKT_T0_EEjPjjS8_iijT1_PSB_Ps: ; @_ZN2at6native6mbtopk23computeBlockDigitCountsIamjLi3EEEvNS_4cuda6detail10TensorInfoIKT_T0_EEjPjjS8_iijT1_PSB_Ps
; %bb.0:
	s_clause 0x2
	s_load_b128 s[8:11], s[0:1], 0x1c0
	s_load_b32 s5, s[0:1], 0x1b0
	s_load_b64 s[2:3], s[0:1], 0x1e0
	s_waitcnt lgkmcnt(0)
	v_cvt_f32_u32_e32 v1, s10
	s_sub_i32 s6, 0, s10
	s_mul_i32 s3, s3, s15
	s_delay_alu instid0(SALU_CYCLE_1) | instskip(NEXT) | instid1(VALU_DEP_1)
	s_add_i32 s3, s3, s14
	v_rcp_iflag_f32_e32 v1, v1
	s_mul_i32 s24, s3, s2
	s_delay_alu instid0(SALU_CYCLE_1) | instskip(SKIP_2) | instid1(VALU_DEP_1)
	s_add_i32 s24, s24, s13
	s_waitcnt_depctr 0xfff
	v_mul_f32_e32 v1, 0x4f7ffffe, v1
	v_cvt_u32_f32_e32 v1, v1
	s_delay_alu instid0(VALU_DEP_1) | instskip(NEXT) | instid1(VALU_DEP_1)
	v_readfirstlane_b32 s4, v1
	s_mul_i32 s6, s6, s4
	s_delay_alu instid0(SALU_CYCLE_1) | instskip(NEXT) | instid1(SALU_CYCLE_1)
	s_mul_hi_u32 s2, s4, s6
	s_add_i32 s4, s4, s2
	s_delay_alu instid0(SALU_CYCLE_1) | instskip(NEXT) | instid1(SALU_CYCLE_1)
	s_mul_hi_u32 s2, s24, s4
	s_mul_i32 s3, s2, s10
	s_add_i32 s4, s2, 1
	s_sub_i32 s3, s24, s3
	s_delay_alu instid0(SALU_CYCLE_1)
	s_sub_i32 s6, s3, s10
	s_cmp_ge_u32 s3, s10
	s_cselect_b32 s2, s4, s2
	s_cselect_b32 s3, s6, s3
	s_add_i32 s4, s2, 1
	s_cmp_ge_u32 s3, s10
	s_mov_b32 s3, 0
	s_cselect_b32 s2, s4, s2
	s_delay_alu instid0(SALU_CYCLE_1)
	s_cmp_ge_u32 s2, s5
	s_cbranch_scc1 .LBB136_27
; %bb.1:
	s_clause 0x1
	s_load_b128 s[12:15], s[0:1], 0x10
	s_load_b128 s[4:7], s[0:1], 0x1d0
	s_lshl_b64 s[16:17], s[2:3], 2
	s_mov_b64 s[20:21], 0
	s_waitcnt lgkmcnt(0)
	v_cmp_lt_u64_e64 s18, s[2:3], s[14:15]
	s_add_u32 s22, s4, s16
	s_addc_u32 s23, s5, s17
	s_mov_b64 s[4:5], 0
	s_delay_alu instid0(VALU_DEP_1)
	s_and_b32 vcc_lo, exec_lo, s18
	s_cbranch_vccz .LBB136_15
; %bb.2:
	v_cmp_lt_u64_e64 s3, s[20:21], s[12:13]
	s_delay_alu instid0(VALU_DEP_1)
	s_and_b32 vcc_lo, exec_lo, s3
	s_cbranch_vccz .LBB136_16
.LBB136_3:
	v_cmp_gt_u32_e32 vcc_lo, 0x100, v0
	v_lshlrev_b32_e32 v1, 2, v0
	s_and_saveexec_b32 s3, vcc_lo
	s_cbranch_execz .LBB136_5
.LBB136_4:
	v_mov_b32_e32 v2, 0
	ds_store_b32 v1, v2
.LBB136_5:
	s_or_b32 exec_lo, exec_lo, s3
	s_load_b32 s5, s[0:1], 0x1a0
	s_mul_i32 s3, s2, s10
	s_mov_b32 s25, 0
	s_sub_i32 s3, s24, s3
	s_waitcnt lgkmcnt(0)
	s_mul_i32 s16, s9, s3
	s_add_i32 s3, s3, 1
	s_lshl_b32 s26, s16, 8
	s_barrier
	buffer_gl0_inv
	s_sub_i32 s16, s5, s26
	s_delay_alu instid0(SALU_CYCLE_1) | instskip(SKIP_3) | instid1(VALU_DEP_1)
	s_add_u32 s16, s16, 0xff
	s_addc_u32 s17, 0, 0
	s_cmp_lt_u32 s3, s10
	v_alignbit_b32 v2, s17, s16, 8
	v_readfirstlane_b32 s16, v2
	s_delay_alu instid0(VALU_DEP_1) | instskip(NEXT) | instid1(SALU_CYCLE_1)
	s_cselect_b32 s10, s9, s16
	s_cmp_lt_i32 s10, 1
	s_cbranch_scc1 .LBB136_23
; %bb.6:
	s_clause 0x2
	s_load_b64 s[28:29], s[0:1], 0xe0
	s_load_b128 s[16:19], s[0:1], 0xd0
	s_load_b64 s[30:31], s[0:1], 0x0
	s_load_b32 s9, s[22:23], 0x0
	s_mul_i32 s3, s20, s15
	s_mul_hi_u32 s15, s20, s14
	s_mul_i32 s14, s20, s14
	s_add_i32 s15, s15, s3
	s_mul_i32 s22, s4, s13
	s_mul_hi_u32 s23, s4, s12
	s_mul_i32 s27, s4, s12
	s_load_b64 s[12:13], s[0:1], 0x1b8
	s_sub_u32 s0, s2, s14
	s_subb_u32 s1, 0, s15
	s_add_i32 s23, s23, s22
	v_add_nc_u32_e32 v2, s26, v0
	s_waitcnt lgkmcnt(0)
	s_mul_i32 s2, s0, s29
	s_mul_hi_u32 s3, s0, s28
	s_mul_i32 s1, s1, s28
	s_add_i32 s2, s3, s2
	s_mul_i32 s14, s4, s17
	s_add_i32 s1, s2, s1
	s_sub_u32 s2, s20, s27
	s_mul_hi_u32 s15, s4, s16
	s_mul_i32 s3, s4, s16
	s_subb_u32 s4, s21, s23
	s_mul_i32 s16, s2, s19
	s_mul_hi_u32 s17, s2, s18
	s_mul_i32 s4, s4, s18
	s_add_i32 s16, s17, s16
	s_add_i32 s15, s15, s14
	;; [unrolled: 1-line block ×3, first 2 shown]
	s_mul_i32 s2, s2, s18
	s_add_u32 s3, s30, s3
	s_addc_u32 s4, s31, s15
	s_mul_i32 s0, s0, s28
	s_add_u32 s2, s3, s2
	s_addc_u32 s3, s4, s16
	s_add_u32 s2, s2, s0
	s_addc_u32 s3, s3, s1
	s_and_b32 s1, s8, 0xff
	s_cmp_eq_u32 s10, 1
	s_cbranch_scc1 .LBB136_18
; %bb.7:
	v_dual_mov_b32 v3, 1 :: v_dual_mov_b32 v4, v2
	s_and_b32 s4, s10, 0x7ffffffe
	s_mov_b32 s8, 0
	s_branch .LBB136_9
.LBB136_8:                              ;   in Loop: Header=BB136_9 Depth=1
	s_or_b32 exec_lo, exec_lo, s14
	v_add_nc_u32_e32 v4, 0x200, v4
	s_add_i32 s8, s8, 2
	s_delay_alu instid0(SALU_CYCLE_1)
	s_cmp_eq_u32 s4, s8
	s_cbranch_scc1 .LBB136_17
.LBB136_9:                              ; =>This Inner Loop Header: Depth=1
	s_mov_b32 s14, exec_lo
	v_cmpx_gt_u32_e64 s5, v4
	s_cbranch_execz .LBB136_12
; %bb.10:                               ;   in Loop: Header=BB136_9 Depth=1
	v_mad_u64_u32 v[5:6], null, v4, s12, s[2:3]
	s_delay_alu instid0(VALU_DEP_1) | instskip(NEXT) | instid1(VALU_DEP_1)
	v_mad_u64_u32 v[7:8], null, v4, s13, v[6:7]
	v_mov_b32_e32 v6, v7
	global_load_i8 v5, v[5:6], off
	s_waitcnt vmcnt(0)
	v_add_nc_u32_e32 v5, 0x80, v5
	s_delay_alu instid0(VALU_DEP_1) | instskip(NEXT) | instid1(VALU_DEP_1)
	v_xor_b32_e32 v6, s9, v5
	v_and_b32_e32 v6, s11, v6
	s_delay_alu instid0(VALU_DEP_1) | instskip(NEXT) | instid1(VALU_DEP_1)
	v_cmp_eq_u32_e64 s0, 0, v6
	s_and_b32 exec_lo, exec_lo, s0
	s_cbranch_execz .LBB136_12
; %bb.11:                               ;   in Loop: Header=BB136_9 Depth=1
	v_lshrrev_b32_e32 v5, s1, v5
	s_delay_alu instid0(VALU_DEP_1)
	v_lshlrev_b32_e32 v5, 2, v5
	ds_add_u32 v5, v3
.LBB136_12:                             ;   in Loop: Header=BB136_9 Depth=1
	s_or_b32 exec_lo, exec_lo, s14
	v_add_nc_u32_e32 v5, 0x100, v4
	s_mov_b32 s14, exec_lo
	s_delay_alu instid0(VALU_DEP_1)
	v_cmpx_gt_u32_e64 s5, v5
	s_cbranch_execz .LBB136_8
; %bb.13:                               ;   in Loop: Header=BB136_9 Depth=1
	v_mad_u64_u32 v[6:7], null, v5, s12, s[2:3]
	s_delay_alu instid0(VALU_DEP_1) | instskip(NEXT) | instid1(VALU_DEP_1)
	v_mad_u64_u32 v[8:9], null, v5, s13, v[7:8]
	v_mov_b32_e32 v7, v8
	global_load_i8 v5, v[6:7], off
	s_waitcnt vmcnt(0)
	v_add_nc_u32_e32 v5, 0x80, v5
	s_delay_alu instid0(VALU_DEP_1) | instskip(NEXT) | instid1(VALU_DEP_1)
	v_xor_b32_e32 v6, s9, v5
	v_and_b32_e32 v6, s11, v6
	s_delay_alu instid0(VALU_DEP_1) | instskip(NEXT) | instid1(VALU_DEP_1)
	v_cmp_eq_u32_e64 s0, 0, v6
	s_and_b32 exec_lo, exec_lo, s0
	s_cbranch_execz .LBB136_8
; %bb.14:                               ;   in Loop: Header=BB136_9 Depth=1
	v_lshrrev_b32_e32 v5, s1, v5
	s_delay_alu instid0(VALU_DEP_1)
	v_lshlrev_b32_e32 v5, 2, v5
	ds_add_u32 v5, v3
	s_branch .LBB136_8
.LBB136_15:
	v_cvt_f32_u32_e32 v1, s14
	s_sub_i32 s5, 0, s14
	s_mov_b32 s21, 0
	s_delay_alu instid0(VALU_DEP_1) | instskip(SKIP_2) | instid1(VALU_DEP_1)
	v_rcp_iflag_f32_e32 v1, v1
	s_waitcnt_depctr 0xfff
	v_mul_f32_e32 v1, 0x4f7ffffe, v1
	v_cvt_u32_f32_e32 v1, v1
	s_delay_alu instid0(VALU_DEP_1) | instskip(NEXT) | instid1(VALU_DEP_1)
	v_readfirstlane_b32 s3, v1
	s_mul_i32 s5, s5, s3
	s_delay_alu instid0(SALU_CYCLE_1) | instskip(NEXT) | instid1(SALU_CYCLE_1)
	s_mul_hi_u32 s5, s3, s5
	s_add_i32 s3, s3, s5
	s_delay_alu instid0(SALU_CYCLE_1) | instskip(NEXT) | instid1(SALU_CYCLE_1)
	s_mul_hi_u32 s3, s2, s3
	s_mul_i32 s5, s3, s14
	s_add_i32 s16, s3, 1
	s_sub_i32 s5, s2, s5
	s_delay_alu instid0(SALU_CYCLE_1)
	s_sub_i32 s17, s5, s14
	s_cmp_ge_u32 s5, s14
	s_cselect_b32 s3, s16, s3
	s_cselect_b32 s5, s17, s5
	s_add_i32 s16, s3, 1
	s_cmp_ge_u32 s5, s14
	s_cselect_b32 s20, s16, s3
	s_delay_alu instid0(SALU_CYCLE_1) | instskip(NEXT) | instid1(VALU_DEP_1)
	v_cmp_lt_u64_e64 s3, s[20:21], s[12:13]
	s_and_b32 vcc_lo, exec_lo, s3
	s_cbranch_vccnz .LBB136_3
.LBB136_16:
	v_cvt_f32_u32_e32 v1, s12
	s_sub_i32 s4, 0, s12
	s_delay_alu instid0(VALU_DEP_1) | instskip(SKIP_2) | instid1(VALU_DEP_1)
	v_rcp_iflag_f32_e32 v1, v1
	s_waitcnt_depctr 0xfff
	v_mul_f32_e32 v1, 0x4f7ffffe, v1
	v_cvt_u32_f32_e32 v1, v1
	s_delay_alu instid0(VALU_DEP_1) | instskip(NEXT) | instid1(VALU_DEP_1)
	v_readfirstlane_b32 s3, v1
	s_mul_i32 s4, s4, s3
	s_delay_alu instid0(SALU_CYCLE_1) | instskip(NEXT) | instid1(SALU_CYCLE_1)
	s_mul_hi_u32 s4, s3, s4
	s_add_i32 s3, s3, s4
	s_delay_alu instid0(SALU_CYCLE_1) | instskip(NEXT) | instid1(SALU_CYCLE_1)
	s_mul_hi_u32 s3, s20, s3
	s_mul_i32 s4, s3, s12
	s_add_i32 s5, s3, 1
	s_sub_i32 s4, s20, s4
	s_delay_alu instid0(SALU_CYCLE_1)
	s_sub_i32 s16, s4, s12
	s_cmp_ge_u32 s4, s12
	s_cselect_b32 s3, s5, s3
	s_cselect_b32 s4, s16, s4
	s_add_i32 s5, s3, 1
	s_cmp_ge_u32 s4, s12
	s_cselect_b32 s4, s5, s3
	v_cmp_gt_u32_e32 vcc_lo, 0x100, v0
	v_lshlrev_b32_e32 v1, 2, v0
	s_and_saveexec_b32 s3, vcc_lo
	s_cbranch_execnz .LBB136_4
	s_branch .LBB136_5
.LBB136_17:
	s_lshl_b32 s25, s4, 8
.LBB136_18:
	s_bitcmp0_b32 s10, 0
	s_cbranch_scc1 .LBB136_23
; %bb.19:
	v_add_nc_u32_e32 v2, s25, v2
	s_mov_b32 s4, exec_lo
	s_delay_alu instid0(VALU_DEP_1)
	v_cmpx_gt_u32_e64 s5, v2
	s_cbranch_execz .LBB136_22
; %bb.20:
	v_mad_u64_u32 v[3:4], null, v2, s12, s[2:3]
	s_delay_alu instid0(VALU_DEP_1) | instskip(NEXT) | instid1(VALU_DEP_1)
	v_mad_u64_u32 v[5:6], null, v2, s13, v[4:5]
	v_mov_b32_e32 v4, v5
	global_load_i8 v2, v[3:4], off
	s_waitcnt vmcnt(0)
	v_add_nc_u32_e32 v2, 0x80, v2
	s_delay_alu instid0(VALU_DEP_1) | instskip(NEXT) | instid1(VALU_DEP_1)
	v_xor_b32_e32 v3, s9, v2
	v_and_b32_e32 v3, s11, v3
	s_delay_alu instid0(VALU_DEP_1) | instskip(NEXT) | instid1(VALU_DEP_1)
	v_cmp_eq_u32_e64 s0, 0, v3
	s_and_b32 exec_lo, exec_lo, s0
	s_cbranch_execz .LBB136_22
; %bb.21:
	v_lshrrev_b32_e32 v2, s1, v2
	s_delay_alu instid0(VALU_DEP_1)
	v_dual_mov_b32 v3, 1 :: v_dual_lshlrev_b32 v2, 2, v2
	ds_add_u32 v2, v3
.LBB136_22:
	s_or_b32 exec_lo, exec_lo, s4
.LBB136_23:
	v_mov_b32_e32 v2, 0
	s_waitcnt lgkmcnt(0)
	s_barrier
	buffer_gl0_inv
	s_and_saveexec_b32 s0, vcc_lo
	s_cbranch_execz .LBB136_25
; %bb.24:
	ds_load_b32 v2, v1
.LBB136_25:
	s_or_b32 exec_lo, exec_lo, s0
	s_and_saveexec_b32 s0, vcc_lo
	s_cbranch_execz .LBB136_27
; %bb.26:
	v_lshl_or_b32 v0, s24, 8, v0
	v_mov_b32_e32 v1, 0
	s_delay_alu instid0(VALU_DEP_1) | instskip(NEXT) | instid1(VALU_DEP_1)
	v_lshlrev_b64 v[0:1], 1, v[0:1]
	v_add_co_u32 v0, vcc_lo, s6, v0
	s_delay_alu instid0(VALU_DEP_2)
	v_add_co_ci_u32_e32 v1, vcc_lo, s7, v1, vcc_lo
	s_waitcnt lgkmcnt(0)
	global_store_b16 v[0:1], v2, off
.LBB136_27:
	s_nop 0
	s_sendmsg sendmsg(MSG_DEALLOC_VGPRS)
	s_endpgm
	.section	.rodata,"a",@progbits
	.p2align	6, 0x0
	.amdhsa_kernel _ZN2at6native6mbtopk23computeBlockDigitCountsIamjLi3EEEvNS_4cuda6detail10TensorInfoIKT_T0_EEjPjjS8_iijT1_PSB_Ps
		.amdhsa_group_segment_fixed_size 1024
		.amdhsa_private_segment_fixed_size 0
		.amdhsa_kernarg_size 736
		.amdhsa_user_sgpr_count 13
		.amdhsa_user_sgpr_dispatch_ptr 0
		.amdhsa_user_sgpr_queue_ptr 0
		.amdhsa_user_sgpr_kernarg_segment_ptr 1
		.amdhsa_user_sgpr_dispatch_id 0
		.amdhsa_user_sgpr_private_segment_size 0
		.amdhsa_wavefront_size32 1
		.amdhsa_uses_dynamic_stack 0
		.amdhsa_enable_private_segment 0
		.amdhsa_system_sgpr_workgroup_id_x 1
		.amdhsa_system_sgpr_workgroup_id_y 1
		.amdhsa_system_sgpr_workgroup_id_z 1
		.amdhsa_system_sgpr_workgroup_info 0
		.amdhsa_system_vgpr_workitem_id 0
		.amdhsa_next_free_vgpr 10
		.amdhsa_next_free_sgpr 32
		.amdhsa_reserve_vcc 1
		.amdhsa_float_round_mode_32 0
		.amdhsa_float_round_mode_16_64 0
		.amdhsa_float_denorm_mode_32 3
		.amdhsa_float_denorm_mode_16_64 3
		.amdhsa_dx10_clamp 1
		.amdhsa_ieee_mode 1
		.amdhsa_fp16_overflow 0
		.amdhsa_workgroup_processor_mode 1
		.amdhsa_memory_ordered 1
		.amdhsa_forward_progress 0
		.amdhsa_shared_vgpr_count 0
		.amdhsa_exception_fp_ieee_invalid_op 0
		.amdhsa_exception_fp_denorm_src 0
		.amdhsa_exception_fp_ieee_div_zero 0
		.amdhsa_exception_fp_ieee_overflow 0
		.amdhsa_exception_fp_ieee_underflow 0
		.amdhsa_exception_fp_ieee_inexact 0
		.amdhsa_exception_int_div_zero 0
	.end_amdhsa_kernel
	.section	.text._ZN2at6native6mbtopk23computeBlockDigitCountsIamjLi3EEEvNS_4cuda6detail10TensorInfoIKT_T0_EEjPjjS8_iijT1_PSB_Ps,"axG",@progbits,_ZN2at6native6mbtopk23computeBlockDigitCountsIamjLi3EEEvNS_4cuda6detail10TensorInfoIKT_T0_EEjPjjS8_iijT1_PSB_Ps,comdat
.Lfunc_end136:
	.size	_ZN2at6native6mbtopk23computeBlockDigitCountsIamjLi3EEEvNS_4cuda6detail10TensorInfoIKT_T0_EEjPjjS8_iijT1_PSB_Ps, .Lfunc_end136-_ZN2at6native6mbtopk23computeBlockDigitCountsIamjLi3EEEvNS_4cuda6detail10TensorInfoIKT_T0_EEjPjjS8_iijT1_PSB_Ps
                                        ; -- End function
	.section	.AMDGPU.csdata,"",@progbits
; Kernel info:
; codeLenInByte = 1412
; NumSgprs: 34
; NumVgprs: 10
; ScratchSize: 0
; MemoryBound: 0
; FloatMode: 240
; IeeeMode: 1
; LDSByteSize: 1024 bytes/workgroup (compile time only)
; SGPRBlocks: 4
; VGPRBlocks: 1
; NumSGPRsForWavesPerEU: 34
; NumVGPRsForWavesPerEU: 10
; Occupancy: 16
; WaveLimiterHint : 1
; COMPUTE_PGM_RSRC2:SCRATCH_EN: 0
; COMPUTE_PGM_RSRC2:USER_SGPR: 13
; COMPUTE_PGM_RSRC2:TRAP_HANDLER: 0
; COMPUTE_PGM_RSRC2:TGID_X_EN: 1
; COMPUTE_PGM_RSRC2:TGID_Y_EN: 1
; COMPUTE_PGM_RSRC2:TGID_Z_EN: 1
; COMPUTE_PGM_RSRC2:TIDIG_COMP_CNT: 0
	.section	.text._ZN2at6native6mbtopk10gatherTopKIamLi3EEEvNS_4cuda6detail10TensorInfoIKT_T0_EES8_S8_bjS8_NS5_IS6_S8_EES8_NS5_IlS8_EES8_jjPS6_PjSD_j,"axG",@progbits,_ZN2at6native6mbtopk10gatherTopKIamLi3EEEvNS_4cuda6detail10TensorInfoIKT_T0_EES8_S8_bjS8_NS5_IS6_S8_EES8_NS5_IlS8_EES8_jjPS6_PjSD_j,comdat
	.protected	_ZN2at6native6mbtopk10gatherTopKIamLi3EEEvNS_4cuda6detail10TensorInfoIKT_T0_EES8_S8_bjS8_NS5_IS6_S8_EES8_NS5_IlS8_EES8_jjPS6_PjSD_j ; -- Begin function _ZN2at6native6mbtopk10gatherTopKIamLi3EEEvNS_4cuda6detail10TensorInfoIKT_T0_EES8_S8_bjS8_NS5_IS6_S8_EES8_NS5_IlS8_EES8_jjPS6_PjSD_j
	.globl	_ZN2at6native6mbtopk10gatherTopKIamLi3EEEvNS_4cuda6detail10TensorInfoIKT_T0_EES8_S8_bjS8_NS5_IS6_S8_EES8_NS5_IlS8_EES8_jjPS6_PjSD_j
	.p2align	8
	.type	_ZN2at6native6mbtopk10gatherTopKIamLi3EEEvNS_4cuda6detail10TensorInfoIKT_T0_EES8_S8_bjS8_NS5_IS6_S8_EES8_NS5_IlS8_EES8_jjPS6_PjSD_j,@function
_ZN2at6native6mbtopk10gatherTopKIamLi3EEEvNS_4cuda6detail10TensorInfoIKT_T0_EES8_S8_bjS8_NS5_IS6_S8_EES8_NS5_IlS8_EES8_jjPS6_PjSD_j: ; @_ZN2at6native6mbtopk10gatherTopKIamLi3EEEvNS_4cuda6detail10TensorInfoIKT_T0_EES8_S8_bjS8_NS5_IS6_S8_EES8_NS5_IlS8_EES8_jjPS6_PjSD_j
; %bb.0:
	s_clause 0x1
	s_load_b64 s[2:3], s[0:1], 0x538
	s_load_b32 s4, s[0:1], 0x530
	s_waitcnt lgkmcnt(0)
	s_mul_i32 s3, s3, s15
	s_delay_alu instid0(SALU_CYCLE_1) | instskip(NEXT) | instid1(SALU_CYCLE_1)
	s_add_i32 s3, s3, s14
	s_mul_i32 s2, s3, s2
	s_delay_alu instid0(SALU_CYCLE_1) | instskip(NEXT) | instid1(SALU_CYCLE_1)
	s_add_i32 s2, s2, s13
	s_cmp_ge_u32 s2, s4
	s_cbranch_scc1 .LBB137_54
; %bb.1:
	s_load_b64 s[34:35], s[0:1], 0x510
	s_mov_b32 s45, 0
	s_waitcnt lgkmcnt(0)
	v_cvt_f32_u32_e32 v1, s35
	s_sub_i32 s4, 0, s35
	s_lshl_b32 s33, s34, 8
	s_delay_alu instid0(VALU_DEP_1) | instskip(SKIP_2) | instid1(VALU_DEP_1)
	v_rcp_iflag_f32_e32 v1, v1
	s_waitcnt_depctr 0xfff
	v_mul_f32_e32 v1, 0x4f7ffffe, v1
	v_cvt_u32_f32_e32 v1, v1
	s_delay_alu instid0(VALU_DEP_1) | instskip(NEXT) | instid1(VALU_DEP_1)
	v_readfirstlane_b32 s3, v1
	s_mul_i32 s4, s4, s3
	s_delay_alu instid0(SALU_CYCLE_1) | instskip(NEXT) | instid1(SALU_CYCLE_1)
	s_mul_hi_u32 s4, s3, s4
	s_add_i32 s3, s3, s4
	s_clause 0x1
	s_load_b128 s[4:7], s[0:1], 0x1a0
	s_load_b128 s[8:11], s[0:1], 0x10
	s_mul_hi_u32 s3, s2, s3
	s_delay_alu instid0(SALU_CYCLE_1) | instskip(SKIP_2) | instid1(SALU_CYCLE_1)
	s_mul_i32 s12, s3, s35
	s_add_i32 s13, s3, 1
	s_sub_i32 s12, s2, s12
	s_sub_i32 s14, s12, s35
	s_cmp_ge_u32 s12, s35
	s_cselect_b32 s3, s13, s3
	s_cselect_b32 s12, s14, s12
	s_add_i32 s13, s3, 1
	s_cmp_ge_u32 s12, s35
	s_cselect_b32 s44, s13, s3
	s_delay_alu instid0(SALU_CYCLE_1) | instskip(NEXT) | instid1(SALU_CYCLE_1)
	s_mul_i32 s50, s44, s35
	s_sub_i32 s72, s2, s50
	s_delay_alu instid0(SALU_CYCLE_1) | instskip(NEXT) | instid1(SALU_CYCLE_1)
	s_add_i32 s2, s72, 1
	s_cmp_lt_u32 s2, s35
	s_cbranch_scc1 .LBB137_3
; %bb.2:
	s_mul_i32 s2, s72, s33
	s_waitcnt lgkmcnt(0)
	s_sub_u32 s2, s4, s2
	s_subb_u32 s3, s5, 0
	s_add_u32 s2, s2, 0xff
	s_addc_u32 s3, s3, 0
	s_delay_alu instid0(SALU_CYCLE_1) | instskip(NEXT) | instid1(SALU_CYCLE_1)
	s_ashr_i32 s12, s3, 31
	s_lshr_b32 s12, s12, 24
	s_delay_alu instid0(SALU_CYCLE_1) | instskip(SKIP_1) | instid1(SALU_CYCLE_1)
	s_add_u32 s2, s2, s12
	s_addc_u32 s3, s3, 0
	v_alignbit_b32 v1, s3, s2, 8
	s_delay_alu instid0(VALU_DEP_1)
	v_readfirstlane_b32 s34, v1
.LBB137_3:
	s_waitcnt lgkmcnt(0)
	v_cmp_lt_u64_e64 s2, s[44:45], s[10:11]
	s_mov_b64 s[46:47], 0
	s_mov_b64 s[48:49], 0
	s_delay_alu instid0(VALU_DEP_1)
	s_and_b32 vcc_lo, exec_lo, s2
	s_cbranch_vccnz .LBB137_5
; %bb.4:
	v_cvt_f32_u32_e32 v1, s10
	s_sub_i32 s3, 0, s10
	s_mov_b32 s49, 0
	s_delay_alu instid0(VALU_DEP_1) | instskip(SKIP_2) | instid1(VALU_DEP_1)
	v_rcp_iflag_f32_e32 v1, v1
	s_waitcnt_depctr 0xfff
	v_mul_f32_e32 v1, 0x4f7ffffe, v1
	v_cvt_u32_f32_e32 v1, v1
	s_delay_alu instid0(VALU_DEP_1) | instskip(NEXT) | instid1(VALU_DEP_1)
	v_readfirstlane_b32 s2, v1
	s_mul_i32 s3, s3, s2
	s_delay_alu instid0(SALU_CYCLE_1) | instskip(NEXT) | instid1(SALU_CYCLE_1)
	s_mul_hi_u32 s3, s2, s3
	s_add_i32 s2, s2, s3
	s_delay_alu instid0(SALU_CYCLE_1) | instskip(NEXT) | instid1(SALU_CYCLE_1)
	s_mul_hi_u32 s2, s44, s2
	s_mul_i32 s3, s2, s10
	s_add_i32 s12, s2, 1
	s_sub_i32 s3, s44, s3
	s_delay_alu instid0(SALU_CYCLE_1)
	s_sub_i32 s13, s3, s10
	s_cmp_ge_u32 s3, s10
	s_cselect_b32 s2, s12, s2
	s_cselect_b32 s3, s13, s3
	s_add_i32 s12, s2, 1
	s_cmp_ge_u32 s3, s10
	s_cselect_b32 s48, s12, s2
.LBB137_5:
	s_load_b128 s[20:23], s[0:1], 0x1d0
	v_cmp_lt_u64_e64 s2, s[48:49], s[8:9]
	s_delay_alu instid0(VALU_DEP_1)
	s_and_b32 vcc_lo, exec_lo, s2
	s_cbranch_vccnz .LBB137_7
; %bb.6:
	v_cvt_f32_u32_e32 v1, s8
	s_sub_i32 s3, 0, s8
	s_delay_alu instid0(VALU_DEP_1) | instskip(SKIP_2) | instid1(VALU_DEP_1)
	v_rcp_iflag_f32_e32 v1, v1
	s_waitcnt_depctr 0xfff
	v_mul_f32_e32 v1, 0x4f7ffffe, v1
	v_cvt_u32_f32_e32 v1, v1
	s_delay_alu instid0(VALU_DEP_1) | instskip(NEXT) | instid1(VALU_DEP_1)
	v_readfirstlane_b32 s2, v1
	s_mul_i32 s3, s3, s2
	s_delay_alu instid0(SALU_CYCLE_1) | instskip(NEXT) | instid1(SALU_CYCLE_1)
	s_mul_hi_u32 s3, s2, s3
	s_add_i32 s2, s2, s3
	s_delay_alu instid0(SALU_CYCLE_1) | instskip(NEXT) | instid1(SALU_CYCLE_1)
	s_mul_hi_u32 s2, s48, s2
	s_mul_i32 s3, s2, s8
	s_add_i32 s12, s2, 1
	s_sub_i32 s3, s48, s3
	s_delay_alu instid0(SALU_CYCLE_1)
	s_sub_i32 s13, s3, s8
	s_cmp_ge_u32 s3, s8
	s_cselect_b32 s2, s12, s2
	s_cselect_b32 s3, s13, s3
	s_add_i32 s12, s2, 1
	s_cmp_ge_u32 s3, s8
	s_cselect_b32 s46, s12, s2
.LBB137_7:
	s_waitcnt lgkmcnt(0)
	v_cmp_lt_u64_e64 s2, s[44:45], s[22:23]
	s_mov_b64 s[54:55], 0
	s_mov_b64 s[56:57], 0
	s_delay_alu instid0(VALU_DEP_1)
	s_and_b32 vcc_lo, exec_lo, s2
	s_cbranch_vccnz .LBB137_9
; %bb.8:
	v_cvt_f32_u32_e32 v1, s22
	s_sub_i32 s3, 0, s22
	s_mov_b32 s57, 0
	s_delay_alu instid0(VALU_DEP_1) | instskip(SKIP_2) | instid1(VALU_DEP_1)
	v_rcp_iflag_f32_e32 v1, v1
	s_waitcnt_depctr 0xfff
	v_mul_f32_e32 v1, 0x4f7ffffe, v1
	v_cvt_u32_f32_e32 v1, v1
	s_delay_alu instid0(VALU_DEP_1) | instskip(NEXT) | instid1(VALU_DEP_1)
	v_readfirstlane_b32 s2, v1
	s_mul_i32 s3, s3, s2
	s_delay_alu instid0(SALU_CYCLE_1) | instskip(NEXT) | instid1(SALU_CYCLE_1)
	s_mul_hi_u32 s3, s2, s3
	s_add_i32 s2, s2, s3
	s_delay_alu instid0(SALU_CYCLE_1) | instskip(NEXT) | instid1(SALU_CYCLE_1)
	s_mul_hi_u32 s2, s44, s2
	s_mul_i32 s3, s2, s22
	s_add_i32 s12, s2, 1
	s_sub_i32 s3, s44, s3
	s_delay_alu instid0(SALU_CYCLE_1)
	s_sub_i32 s13, s3, s22
	s_cmp_ge_u32 s3, s22
	s_cselect_b32 s2, s12, s2
	s_cselect_b32 s3, s13, s3
	s_add_i32 s12, s2, 1
	s_cmp_ge_u32 s3, s22
	s_cselect_b32 s56, s12, s2
.LBB137_9:
	s_load_b128 s[24:27], s[0:1], 0x378
	v_cmp_lt_u64_e64 s2, s[56:57], s[20:21]
	s_delay_alu instid0(VALU_DEP_1)
	s_and_b32 vcc_lo, exec_lo, s2
	s_cbranch_vccnz .LBB137_11
; %bb.10:
	v_cvt_f32_u32_e32 v1, s20
	s_sub_i32 s3, 0, s20
	s_delay_alu instid0(VALU_DEP_1) | instskip(SKIP_2) | instid1(VALU_DEP_1)
	v_rcp_iflag_f32_e32 v1, v1
	s_waitcnt_depctr 0xfff
	v_mul_f32_e32 v1, 0x4f7ffffe, v1
	v_cvt_u32_f32_e32 v1, v1
	s_delay_alu instid0(VALU_DEP_1) | instskip(NEXT) | instid1(VALU_DEP_1)
	v_readfirstlane_b32 s2, v1
	s_mul_i32 s3, s3, s2
	s_delay_alu instid0(SALU_CYCLE_1) | instskip(NEXT) | instid1(SALU_CYCLE_1)
	s_mul_hi_u32 s3, s2, s3
	s_add_i32 s2, s2, s3
	s_delay_alu instid0(SALU_CYCLE_1) | instskip(NEXT) | instid1(SALU_CYCLE_1)
	s_mul_hi_u32 s2, s56, s2
	s_mul_i32 s3, s2, s20
	s_add_i32 s12, s2, 1
	s_sub_i32 s3, s56, s3
	s_delay_alu instid0(SALU_CYCLE_1)
	s_sub_i32 s13, s3, s20
	s_cmp_ge_u32 s3, s20
	s_cselect_b32 s2, s12, s2
	s_cselect_b32 s3, s13, s3
	s_add_i32 s12, s2, 1
	s_cmp_ge_u32 s3, s20
	s_cselect_b32 s54, s12, s2
.LBB137_11:
	s_waitcnt lgkmcnt(0)
	v_cmp_lt_u64_e64 s2, s[44:45], s[26:27]
	s_mov_b64 s[58:59], 0
	s_mov_b64 s[60:61], 0
	s_delay_alu instid0(VALU_DEP_1)
	s_and_b32 vcc_lo, exec_lo, s2
	s_cbranch_vccnz .LBB137_13
; %bb.12:
	v_cvt_f32_u32_e32 v1, s26
	s_sub_i32 s3, 0, s26
	s_mov_b32 s61, 0
	s_delay_alu instid0(VALU_DEP_1) | instskip(SKIP_2) | instid1(VALU_DEP_1)
	v_rcp_iflag_f32_e32 v1, v1
	s_waitcnt_depctr 0xfff
	v_mul_f32_e32 v1, 0x4f7ffffe, v1
	v_cvt_u32_f32_e32 v1, v1
	s_delay_alu instid0(VALU_DEP_1) | instskip(NEXT) | instid1(VALU_DEP_1)
	v_readfirstlane_b32 s2, v1
	s_mul_i32 s3, s3, s2
	s_delay_alu instid0(SALU_CYCLE_1) | instskip(NEXT) | instid1(SALU_CYCLE_1)
	s_mul_hi_u32 s3, s2, s3
	s_add_i32 s2, s2, s3
	s_delay_alu instid0(SALU_CYCLE_1) | instskip(NEXT) | instid1(SALU_CYCLE_1)
	s_mul_hi_u32 s2, s44, s2
	s_mul_i32 s3, s2, s26
	s_add_i32 s12, s2, 1
	s_sub_i32 s3, s44, s3
	s_delay_alu instid0(SALU_CYCLE_1)
	s_sub_i32 s13, s3, s26
	s_cmp_ge_u32 s3, s26
	s_cselect_b32 s2, s12, s2
	s_cselect_b32 s3, s13, s3
	s_add_i32 s12, s2, 1
	s_cmp_ge_u32 s3, s26
	s_cselect_b32 s60, s12, s2
.LBB137_13:
	s_clause 0x5
	s_load_b64 s[62:63], s[0:1], 0xe0
	s_load_b128 s[36:39], s[0:1], 0xd0
	s_load_b64 s[66:67], s[0:1], 0x2a0
	s_load_b128 s[40:43], s[0:1], 0x290
	;; [unrolled: 2-line block ×3, first 2 shown]
	v_cmp_lt_u64_e64 s2, s[60:61], s[24:25]
	s_delay_alu instid0(VALU_DEP_1)
	s_and_b32 vcc_lo, exec_lo, s2
	s_cbranch_vccnz .LBB137_15
; %bb.14:
	v_cvt_f32_u32_e32 v1, s24
	s_sub_i32 s3, 0, s24
	s_delay_alu instid0(VALU_DEP_1) | instskip(SKIP_2) | instid1(VALU_DEP_1)
	v_rcp_iflag_f32_e32 v1, v1
	s_waitcnt_depctr 0xfff
	v_mul_f32_e32 v1, 0x4f7ffffe, v1
	v_cvt_u32_f32_e32 v1, v1
	s_delay_alu instid0(VALU_DEP_1) | instskip(NEXT) | instid1(VALU_DEP_1)
	v_readfirstlane_b32 s2, v1
	s_mul_i32 s3, s3, s2
	s_delay_alu instid0(SALU_CYCLE_1) | instskip(NEXT) | instid1(SALU_CYCLE_1)
	s_mul_hi_u32 s3, s2, s3
	s_add_i32 s2, s2, s3
	s_delay_alu instid0(SALU_CYCLE_1) | instskip(NEXT) | instid1(SALU_CYCLE_1)
	s_mul_hi_u32 s2, s60, s2
	s_mul_i32 s3, s2, s24
	s_add_i32 s12, s2, 1
	s_sub_i32 s3, s60, s3
	s_delay_alu instid0(SALU_CYCLE_1)
	s_sub_i32 s13, s3, s24
	s_cmp_ge_u32 s3, s24
	s_cselect_b32 s2, s12, s2
	s_cselect_b32 s3, s13, s3
	s_add_i32 s12, s2, 1
	s_cmp_ge_u32 s3, s24
	s_cselect_b32 s58, s12, s2
.LBB137_15:
	s_clause 0x1
	s_load_b128 s[12:15], s[0:1], 0x518
	s_load_b64 s[64:65], s[0:1], 0x0
	v_mov_b32_e32 v1, 0
	s_mov_b32 s51, 0
	s_waitcnt lgkmcnt(0)
	s_add_u32 s2, s12, s44
	s_addc_u32 s3, s13, 0
	global_load_u8 v4, v1, s[2:3]
	v_cmp_ne_u32_e64 s2, 0, v0
	v_cmp_eq_u32_e64 s3, 0, v0
	s_delay_alu instid0(VALU_DEP_1)
	s_and_saveexec_b32 s45, s3
	s_cbranch_execz .LBB137_31
; %bb.16:
	s_load_b64 s[12:13], s[0:1], 0x528
	s_lshl_b64 s[68:69], s[50:51], 2
	s_mov_b32 s47, 0
	s_add_u32 s16, s14, s68
	s_addc_u32 s17, s15, s69
	s_mov_b32 s50, 0
	s_waitcnt lgkmcnt(0)
	s_add_u32 s18, s12, s68
	s_addc_u32 s19, s13, s69
	s_cmp_lt_u32 s35, 4
	s_cbranch_scc1 .LBB137_28
; %bb.17:
	s_mov_b32 s55, 0
.LBB137_18:                             ; =>This Inner Loop Header: Depth=1
	s_add_u32 s16, s14, s68
	s_addc_u32 s17, s15, s69
	s_add_u32 s70, s12, s68
	s_load_b128 s[16:19], s[16:17], 0x0
	s_addc_u32 s71, s13, s69
	s_cmp_ge_u32 s55, s72
	s_cbranch_scc0 .LBB137_25
; %bb.19:                               ;   in Loop: Header=BB137_18 Depth=1
	s_add_i32 s59, s55, 1
	s_delay_alu instid0(SALU_CYCLE_1)
	s_cmp_ge_u32 s59, s72
	s_cbranch_scc0 .LBB137_26
.LBB137_20:                             ;   in Loop: Header=BB137_18 Depth=1
	s_add_i32 s59, s59, 1
	s_delay_alu instid0(SALU_CYCLE_1)
	s_cmp_ge_u32 s59, s72
	s_cbranch_scc0 .LBB137_27
.LBB137_21:                             ;   in Loop: Header=BB137_18 Depth=1
	s_add_i32 s59, s59, 1
	s_delay_alu instid0(SALU_CYCLE_1)
	s_cmp_ge_u32 s59, s72
	s_cbranch_scc1 .LBB137_23
.LBB137_22:                             ;   in Loop: Header=BB137_18 Depth=1
	s_load_b32 s70, s[70:71], 0xc
	s_waitcnt lgkmcnt(0)
	s_add_i32 s51, s51, s19
	s_add_i32 s47, s70, s47
.LBB137_23:                             ;   in Loop: Header=BB137_18 Depth=1
	s_waitcnt lgkmcnt(0)
	s_add_i32 s16, s16, s50
	s_delay_alu instid0(SALU_CYCLE_1) | instskip(NEXT) | instid1(SALU_CYCLE_1)
	s_add_i32 s16, s16, s17
	s_add_i32 s16, s16, s18
	s_delay_alu instid0(SALU_CYCLE_1)
	s_add_i32 s50, s16, s19
	s_add_u32 s14, s14, 16
	s_addc_u32 s15, s15, 0
	s_add_u32 s12, s12, 16
	s_addc_u32 s13, s13, 0
	s_add_i32 s70, s59, 4
	s_add_u32 s18, s12, s68
	s_addc_u32 s19, s13, s69
	s_add_u32 s16, s14, s68
	s_addc_u32 s17, s15, s69
	s_add_i32 s59, s59, 1
	s_cmp_ge_u32 s70, s35
	s_cbranch_scc1 .LBB137_29
; %bb.24:                               ;   in Loop: Header=BB137_18 Depth=1
	s_mov_b32 s55, s59
	s_branch .LBB137_18
.LBB137_25:                             ;   in Loop: Header=BB137_18 Depth=1
	s_load_b32 s59, s[70:71], 0x0
	s_waitcnt lgkmcnt(0)
	s_add_i32 s51, s16, s51
	s_add_i32 s47, s59, s47
	;; [unrolled: 1-line block ×3, first 2 shown]
	s_delay_alu instid0(SALU_CYCLE_1)
	s_cmp_ge_u32 s59, s72
	s_cbranch_scc1 .LBB137_20
.LBB137_26:                             ;   in Loop: Header=BB137_18 Depth=1
	s_load_b32 s73, s[70:71], 0x4
	s_waitcnt lgkmcnt(0)
	s_add_i32 s51, s51, s17
	s_add_i32 s47, s73, s47
	;; [unrolled: 1-line block ×3, first 2 shown]
	s_delay_alu instid0(SALU_CYCLE_1)
	s_cmp_ge_u32 s59, s72
	s_cbranch_scc1 .LBB137_21
.LBB137_27:                             ;   in Loop: Header=BB137_18 Depth=1
	s_load_b32 s73, s[70:71], 0x8
	s_waitcnt lgkmcnt(0)
	s_add_i32 s51, s51, s18
	s_add_i32 s47, s73, s47
	;; [unrolled: 1-line block ×3, first 2 shown]
	s_delay_alu instid0(SALU_CYCLE_1)
	s_cmp_ge_u32 s59, s72
	s_cbranch_scc0 .LBB137_22
	s_branch .LBB137_23
.LBB137_28:
	s_mov_b32 s12, 0
	s_delay_alu instid0(SALU_CYCLE_1)
	s_cmp_ge_u32 s12, s35
	s_cbranch_scc0 .LBB137_52
	s_branch .LBB137_30
.LBB137_29:
	s_add_i32 s12, s55, 4
	s_delay_alu instid0(SALU_CYCLE_1)
	s_cmp_ge_u32 s12, s35
	s_cbranch_scc0 .LBB137_52
.LBB137_30:
	v_dual_mov_b32 v1, s47 :: v_dual_mov_b32 v2, s50
	v_mov_b32_e32 v3, s51
	v_mov_b32_e32 v5, 0
	ds_store_b96 v5, v[1:3] offset:1056
.LBB137_31:
	s_or_b32 exec_lo, exec_lo, s45
	s_clause 0x1
	s_load_b128 s[12:15], s[0:1], 0x1b8
	s_load_b128 s[16:19], s[0:1], 0x360
	s_cmp_eq_u32 s34, 0
	s_waitcnt vmcnt(0) lgkmcnt(0)
	s_barrier
	buffer_gl0_inv
	s_cbranch_scc1 .LBB137_54
; %bb.32:
	s_mul_i32 s27, s60, s27
	s_mul_hi_u32 s35, s60, s26
	s_mul_i32 s26, s60, s26
	s_add_i32 s35, s35, s27
	s_sub_u32 s26, s44, s26
	s_subb_u32 s35, 0, s35
	s_mul_i32 s27, s26, s53
	s_mul_hi_u32 s45, s26, s52
	s_mul_i32 s35, s35, s52
	s_add_i32 s27, s45, s27
	s_mul_i32 s21, s54, s21
	s_add_i32 s27, s27, s35
	s_mul_hi_u32 s35, s54, s20
	s_mul_i32 s20, s54, s20
	s_add_i32 s35, s35, s21
	s_sub_u32 s20, s56, s20
	s_subb_u32 s35, s57, s35
	s_mul_i32 s21, s20, s43
	s_mul_hi_u32 s43, s20, s42
	s_mul_i32 s35, s35, s42
	s_add_i32 s21, s43, s21
	s_mul_i32 s41, s54, s41
	s_mul_hi_u32 s43, s54, s40
	s_add_i32 s35, s21, s35
	s_mul_i32 s21, s56, s23
	s_mul_hi_u32 s23, s56, s22
	s_mul_i32 s22, s56, s22
	s_add_i32 s43, s43, s41
	s_add_i32 s23, s23, s21
	s_sub_u32 s21, s44, s22
	s_subb_u32 s23, 0, s23
	s_mul_i32 s22, s21, s67
	s_mul_hi_u32 s41, s21, s66
	s_mul_i32 s23, s23, s66
	s_add_i32 s22, s41, s22
	s_mul_i32 s9, s46, s9
	s_add_i32 s41, s22, s23
	s_mul_hi_u32 s22, s46, s8
	s_mul_i32 s8, s46, s8
	s_add_i32 s22, s22, s9
	s_sub_u32 s8, s48, s8
	s_mul_i32 s20, s20, s42
	s_mul_i32 s42, s21, s66
	;; [unrolled: 1-line block ×3, first 2 shown]
	s_mul_hi_u32 s21, s8, s38
	s_subb_u32 s22, s49, s22
	s_add_i32 s9, s21, s9
	s_mul_i32 s21, s46, s37
	s_mul_hi_u32 s23, s46, s36
	s_mul_i32 s22, s22, s38
	s_add_i32 s37, s23, s21
	s_mul_i32 s11, s48, s11
	s_mul_hi_u32 s21, s48, s10
	s_mul_i32 s10, s48, s10
	s_add_i32 s9, s9, s22
	s_add_i32 s21, s21, s11
	s_sub_u32 s10, s44, s10
	s_subb_u32 s21, 0, s21
	s_mul_i32 s11, s10, s63
	s_mul_hi_u32 s22, s10, s62
	s_mul_i32 s21, s21, s62
	s_add_i32 s11, s22, s11
	s_mul_hi_u32 s22, s58, s24
	s_add_i32 s11, s11, s21
	s_mul_i32 s21, s58, s25
	s_mul_i32 s23, s58, s24
	s_add_i32 s22, s22, s21
	v_bfe_i32 v6, v4, 0, 8
	v_mov_b32_e32 v5, 0
	s_sub_u32 s24, s60, s23
	s_subb_u32 s22, s61, s22
	s_mul_i32 s21, s24, s31
	v_add_nc_u32_e32 v8, 0x80, v6
	s_mul_hi_u32 s23, s24, s30
	s_mul_i32 s22, s22, s30
	s_add_i32 s21, s23, s21
	s_mul_i32 s23, s58, s29
	s_mul_hi_u32 s25, s58, s28
	ds_load_b96 v[1:3], v5 offset:1056
	s_mul_i32 s36, s46, s36
	s_add_i32 s21, s21, s22
	s_add_i32 s23, s25, s23
	s_mul_i32 s8, s8, s38
	s_add_u32 s25, s64, s36
	s_mul_i32 s22, s58, s28
	s_addc_u32 s28, s65, s37
	s_mul_i32 s10, s10, s62
	s_add_u32 s8, s25, s8
	s_addc_u32 s9, s28, s9
	s_mul_i32 s40, s54, s40
	s_add_u32 s8, s8, s10
	s_addc_u32 s9, s9, s11
	s_add_u32 s10, s14, s40
	s_addc_u32 s11, s15, s43
	;; [unrolled: 2-line block ×4, first 2 shown]
	s_lshl_b64 s[14:15], s[22:23], 3
	s_mul_i32 s20, s24, s30
	s_add_u32 s18, s18, s14
	s_addc_u32 s19, s19, s15
	s_lshl_b64 s[14:15], s[20:21], 3
	s_mul_i32 s26, s26, s52
	s_add_u32 s18, s18, s14
	s_load_b32 s20, s[0:1], 0x1b0
	s_addc_u32 s19, s19, s15
	s_lshl_b64 s[14:15], s[26:27], 3
	v_lshrrev_b32_e32 v7, 5, v0
	s_waitcnt lgkmcnt(0)
	v_add_nc_u32_e32 v1, v1, v2
	s_add_u32 s18, s18, s14
	s_addc_u32 s19, s19, s15
	s_load_b64 s[14:15], s[0:1], 0x508
	v_add_lshl_u32 v9, v7, v0, 2
	v_mad_u64_u32 v[6:7], null, s72, s33, v[0:1]
	v_add_nc_u32_e32 v11, -1, v0
	v_lshlrev_b32_e32 v2, 3, v0
	v_lshrrev_b32_e32 v12, 2, v0
	v_mbcnt_lo_u32_b32 v10, -1, 0
	v_cmp_gt_u32_e64 s0, 32, v0
                                        ; implicit-def: $vgpr16
	s_delay_alu instid0(VALU_DEP_3)
	v_add_lshl_u32 v0, v12, v2, 2
	v_and_b32_e32 v12, 0xff, v4
	v_mov_b32_e32 v4, v6
	v_lshrrev_b32_e32 v13, 5, v11
	v_bfe_i32 v14, v10, 4, 1
	v_add_nc_u32_e32 v15, -1, v10
	s_bitcmp1_b32 s20, 0
	s_delay_alu instid0(VALU_DEP_3)
	v_add_lshl_u32 v11, v13, v11, 2
	v_and_b32_e32 v13, 15, v10
	s_cselect_b32 s1, -1, 0
	s_branch .LBB137_35
.LBB137_33:                             ;   in Loop: Header=BB137_35 Depth=1
	s_or_b32 exec_lo, exec_lo, s20
	v_add_nc_u32_e32 v1, v2, v1
.LBB137_34:                             ;   in Loop: Header=BB137_35 Depth=1
	v_add_nc_u32_e32 v3, v17, v3
	v_add_nc_u32_e32 v4, 0x100, v4
	s_add_i32 s34, s34, -1
	s_delay_alu instid0(SALU_CYCLE_1)
	s_cmp_lg_u32 s34, 0
	s_cbranch_scc0 .LBB137_54
.LBB137_35:                             ; =>This Inner Loop Header: Depth=1
	v_mov_b32_e32 v2, v5
	v_mov_b32_e32 v6, v5
	s_mov_b32 s20, exec_lo
	v_cmpx_gt_u64_e64 s[4:5], v[4:5]
	s_cbranch_execz .LBB137_37
; %bb.36:                               ;   in Loop: Header=BB137_35 Depth=1
	v_mad_u64_u32 v[6:7], null, v4, s12, s[8:9]
	s_delay_alu instid0(VALU_DEP_1) | instskip(NEXT) | instid1(VALU_DEP_1)
	v_mov_b32_e32 v2, v7
	v_mad_u64_u32 v[16:17], null, v4, s13, v[2:3]
	s_delay_alu instid0(VALU_DEP_1) | instskip(SKIP_3) | instid1(VALU_DEP_1)
	v_mov_b32_e32 v7, v16
	global_load_u8 v16, v[6:7], off
	s_waitcnt vmcnt(0)
	v_bfe_i32 v2, v16, 0, 8
	v_add_nc_u32_e32 v2, 0x80, v2
	s_delay_alu instid0(VALU_DEP_1) | instskip(SKIP_4) | instid1(VALU_DEP_2)
	v_cmp_gt_u32_e32 vcc_lo, v2, v8
	v_cndmask_b32_e64 v6, 0, 1, vcc_lo
	v_cmp_lt_u32_e32 vcc_lo, v2, v8
	v_cndmask_b32_e64 v2, 0, 1, vcc_lo
	v_cmp_eq_u16_e32 vcc_lo, v16, v12
	v_cndmask_b32_e64 v2, v2, v6, s1
	v_cndmask_b32_e64 v6, 0, 1, vcc_lo
	s_delay_alu instid0(VALU_DEP_2)
	v_and_b32_e32 v2, 1, v2
.LBB137_37:                             ;   in Loop: Header=BB137_35 Depth=1
	s_or_b32 exec_lo, exec_lo, s20
	ds_store_b32 v9, v2
	s_waitcnt lgkmcnt(0)
	s_waitcnt_vscnt null, 0x0
	s_barrier
	buffer_gl0_inv
	s_and_saveexec_b32 s20, s0
	s_cbranch_execz .LBB137_39
; %bb.38:                               ;   in Loop: Header=BB137_35 Depth=1
	ds_load_2addr_b32 v[17:18], v0 offset1:1
	ds_load_2addr_b32 v[19:20], v0 offset0:2 offset1:3
	ds_load_2addr_b32 v[21:22], v0 offset0:4 offset1:5
	;; [unrolled: 1-line block ×3, first 2 shown]
	v_cmp_ne_u32_e32 vcc_lo, 0, v13
	; wave barrier
	s_waitcnt lgkmcnt(3)
	v_add_nc_u32_e32 v7, v18, v17
	s_waitcnt lgkmcnt(2)
	s_delay_alu instid0(VALU_DEP_1) | instskip(SKIP_1) | instid1(VALU_DEP_1)
	v_add3_u32 v7, v7, v19, v20
	s_waitcnt lgkmcnt(1)
	v_add3_u32 v7, v7, v21, v22
	s_waitcnt lgkmcnt(0)
	s_delay_alu instid0(VALU_DEP_1) | instskip(NEXT) | instid1(VALU_DEP_1)
	v_add3_u32 v7, v7, v23, v24
	v_mov_b32_dpp v18, v7 row_shr:1 row_mask:0xf bank_mask:0xf
	s_delay_alu instid0(VALU_DEP_1) | instskip(SKIP_1) | instid1(VALU_DEP_2)
	v_cndmask_b32_e32 v18, 0, v18, vcc_lo
	v_cmp_lt_u32_e32 vcc_lo, 1, v13
	v_add_nc_u32_e32 v7, v18, v7
	s_delay_alu instid0(VALU_DEP_1) | instskip(NEXT) | instid1(VALU_DEP_1)
	v_mov_b32_dpp v18, v7 row_shr:2 row_mask:0xf bank_mask:0xf
	v_cndmask_b32_e32 v18, 0, v18, vcc_lo
	v_cmp_lt_u32_e32 vcc_lo, 3, v13
	s_delay_alu instid0(VALU_DEP_2) | instskip(NEXT) | instid1(VALU_DEP_1)
	v_add_nc_u32_e32 v7, v7, v18
	v_mov_b32_dpp v18, v7 row_shr:4 row_mask:0xf bank_mask:0xf
	s_delay_alu instid0(VALU_DEP_1) | instskip(SKIP_1) | instid1(VALU_DEP_2)
	v_cndmask_b32_e32 v18, 0, v18, vcc_lo
	v_cmp_lt_u32_e32 vcc_lo, 7, v13
	v_add_nc_u32_e32 v7, v7, v18
	s_delay_alu instid0(VALU_DEP_1) | instskip(NEXT) | instid1(VALU_DEP_1)
	v_mov_b32_dpp v18, v7 row_shr:8 row_mask:0xf bank_mask:0xf
	v_cndmask_b32_e32 v18, 0, v18, vcc_lo
	v_cmp_gt_i32_e32 vcc_lo, 0, v15
	s_delay_alu instid0(VALU_DEP_2)
	v_add_nc_u32_e32 v7, v7, v18
	v_cndmask_b32_e32 v19, v15, v10, vcc_lo
	ds_swizzle_b32 v18, v7 offset:swizzle(BROADCAST,32,15)
	v_lshlrev_b32_e32 v19, 2, v19
	s_waitcnt lgkmcnt(0)
	v_and_b32_e32 v18, v14, v18
	s_delay_alu instid0(VALU_DEP_1) | instskip(SKIP_3) | instid1(VALU_DEP_1)
	v_add_nc_u32_e32 v7, v7, v18
	ds_bpermute_b32 v7, v19, v7
	s_waitcnt lgkmcnt(0)
	v_add_nc_u32_e32 v7, v7, v17
	v_cndmask_b32_e64 v7, v7, v2, s3
	ds_store_b32 v0, v7
	; wave barrier
	ds_load_2addr_b32 v[17:18], v0 offset0:1 offset1:2
	ds_load_2addr_b32 v[19:20], v0 offset0:3 offset1:4
	;; [unrolled: 1-line block ×3, first 2 shown]
	ds_load_b32 v23, v0 offset:28
	s_waitcnt lgkmcnt(3)
	v_add_nc_u32_e32 v7, v17, v7
	s_delay_alu instid0(VALU_DEP_1) | instskip(SKIP_1) | instid1(VALU_DEP_1)
	v_add_nc_u32_e32 v17, v18, v7
	s_waitcnt lgkmcnt(2)
	v_add_nc_u32_e32 v18, v19, v17
	s_delay_alu instid0(VALU_DEP_1) | instskip(SKIP_1) | instid1(VALU_DEP_1)
	v_add_nc_u32_e32 v19, v20, v18
	;; [unrolled: 4-line block ×3, first 2 shown]
	s_waitcnt lgkmcnt(0)
	v_add_nc_u32_e32 v22, v23, v21
	ds_store_2addr_b32 v0, v7, v17 offset0:1 offset1:2
	ds_store_2addr_b32 v0, v18, v19 offset0:3 offset1:4
	;; [unrolled: 1-line block ×3, first 2 shown]
	ds_store_b32 v0, v22 offset:28
.LBB137_39:                             ;   in Loop: Header=BB137_35 Depth=1
	s_or_b32 exec_lo, exec_lo, s20
	v_mov_b32_e32 v7, 0
	s_waitcnt lgkmcnt(0)
	s_barrier
	buffer_gl0_inv
	s_and_saveexec_b32 s20, s2
	s_cbranch_execz .LBB137_41
; %bb.40:                               ;   in Loop: Header=BB137_35 Depth=1
	ds_load_b32 v7, v11
.LBB137_41:                             ;   in Loop: Header=BB137_35 Depth=1
	s_or_b32 exec_lo, exec_lo, s20
	ds_load_b32 v17, v5 offset:1048
	s_mov_b32 s20, exec_lo
	s_waitcnt lgkmcnt(0)
	s_barrier
	buffer_gl0_inv
	v_cmpx_ne_u32_e32 0, v2
	s_cbranch_execz .LBB137_43
; %bb.42:                               ;   in Loop: Header=BB137_35 Depth=1
	v_add_nc_u32_e32 v7, v7, v3
	s_delay_alu instid0(VALU_DEP_1) | instskip(SKIP_1) | instid1(VALU_DEP_2)
	v_mad_u64_u32 v[18:19], null, v7, s14, 0
	v_mad_u64_u32 v[20:21], null, v7, s16, s[10:11]
	v_mov_b32_e32 v2, v19
	s_delay_alu instid0(VALU_DEP_1) | instskip(NEXT) | instid1(VALU_DEP_1)
	v_mad_u64_u32 v[22:23], null, v7, s15, v[2:3]
	v_dual_mov_b32 v2, v21 :: v_dual_mov_b32 v19, v22
	s_delay_alu instid0(VALU_DEP_1) | instskip(NEXT) | instid1(VALU_DEP_2)
	v_mad_u64_u32 v[21:22], null, v7, s17, v[2:3]
	v_lshlrev_b64 v[18:19], 3, v[18:19]
	s_delay_alu instid0(VALU_DEP_1) | instskip(NEXT) | instid1(VALU_DEP_2)
	v_add_co_u32 v18, vcc_lo, s18, v18
	v_add_co_ci_u32_e32 v19, vcc_lo, s19, v19, vcc_lo
	global_store_b8 v[20:21], v16, off
	global_store_b64 v[18:19], v[4:5], off
.LBB137_43:                             ;   in Loop: Header=BB137_35 Depth=1
	s_or_b32 exec_lo, exec_lo, s20
	v_mov_b32_e32 v2, v5
	s_delay_alu instid0(VALU_DEP_1)
	v_cmp_le_u64_e32 vcc_lo, s[6:7], v[1:2]
	s_cbranch_vccnz .LBB137_34
; %bb.44:                               ;   in Loop: Header=BB137_35 Depth=1
	ds_store_b32 v9, v6
	s_waitcnt lgkmcnt(0)
	s_waitcnt_vscnt null, 0x0
	s_barrier
	buffer_gl0_inv
	s_and_saveexec_b32 s20, s0
	s_cbranch_execz .LBB137_46
; %bb.45:                               ;   in Loop: Header=BB137_35 Depth=1
	ds_load_2addr_b32 v[18:19], v0 offset1:1
	ds_load_2addr_b32 v[20:21], v0 offset0:2 offset1:3
	ds_load_2addr_b32 v[22:23], v0 offset0:4 offset1:5
	;; [unrolled: 1-line block ×3, first 2 shown]
	v_cmp_ne_u32_e32 vcc_lo, 0, v13
	; wave barrier
	s_waitcnt lgkmcnt(3)
	v_add_nc_u32_e32 v2, v19, v18
	s_waitcnt lgkmcnt(2)
	s_delay_alu instid0(VALU_DEP_1) | instskip(SKIP_1) | instid1(VALU_DEP_1)
	v_add3_u32 v2, v2, v20, v21
	s_waitcnt lgkmcnt(1)
	v_add3_u32 v2, v2, v22, v23
	s_waitcnt lgkmcnt(0)
	s_delay_alu instid0(VALU_DEP_1) | instskip(NEXT) | instid1(VALU_DEP_1)
	v_add3_u32 v2, v2, v24, v25
	v_mov_b32_dpp v7, v2 row_shr:1 row_mask:0xf bank_mask:0xf
	s_delay_alu instid0(VALU_DEP_1) | instskip(SKIP_1) | instid1(VALU_DEP_2)
	v_cndmask_b32_e32 v7, 0, v7, vcc_lo
	v_cmp_lt_u32_e32 vcc_lo, 1, v13
	v_add_nc_u32_e32 v2, v7, v2
	s_delay_alu instid0(VALU_DEP_1) | instskip(NEXT) | instid1(VALU_DEP_1)
	v_mov_b32_dpp v7, v2 row_shr:2 row_mask:0xf bank_mask:0xf
	v_cndmask_b32_e32 v7, 0, v7, vcc_lo
	v_cmp_lt_u32_e32 vcc_lo, 3, v13
	s_delay_alu instid0(VALU_DEP_2) | instskip(NEXT) | instid1(VALU_DEP_1)
	v_add_nc_u32_e32 v2, v2, v7
	v_mov_b32_dpp v7, v2 row_shr:4 row_mask:0xf bank_mask:0xf
	s_delay_alu instid0(VALU_DEP_1) | instskip(SKIP_1) | instid1(VALU_DEP_2)
	v_cndmask_b32_e32 v7, 0, v7, vcc_lo
	v_cmp_lt_u32_e32 vcc_lo, 7, v13
	v_add_nc_u32_e32 v2, v2, v7
	s_delay_alu instid0(VALU_DEP_1) | instskip(NEXT) | instid1(VALU_DEP_1)
	v_mov_b32_dpp v7, v2 row_shr:8 row_mask:0xf bank_mask:0xf
	v_cndmask_b32_e32 v7, 0, v7, vcc_lo
	v_cmp_gt_i32_e32 vcc_lo, 0, v15
	s_delay_alu instid0(VALU_DEP_2) | instskip(SKIP_4) | instid1(VALU_DEP_1)
	v_dual_cndmask_b32 v19, v15, v10 :: v_dual_add_nc_u32 v2, v2, v7
	ds_swizzle_b32 v7, v2 offset:swizzle(BROADCAST,32,15)
	v_lshlrev_b32_e32 v19, 2, v19
	s_waitcnt lgkmcnt(0)
	v_and_b32_e32 v7, v14, v7
	v_add_nc_u32_e32 v2, v2, v7
	ds_bpermute_b32 v2, v19, v2
	s_waitcnt lgkmcnt(0)
	v_add_nc_u32_e32 v2, v2, v18
	s_delay_alu instid0(VALU_DEP_1)
	v_cndmask_b32_e64 v2, v2, v6, s3
	ds_store_b32 v0, v2
	; wave barrier
	ds_load_2addr_b32 v[18:19], v0 offset0:1 offset1:2
	ds_load_2addr_b32 v[20:21], v0 offset0:3 offset1:4
	;; [unrolled: 1-line block ×3, first 2 shown]
	ds_load_b32 v7, v0 offset:28
	s_waitcnt lgkmcnt(3)
	v_add_nc_u32_e32 v2, v18, v2
	s_delay_alu instid0(VALU_DEP_1) | instskip(SKIP_1) | instid1(VALU_DEP_1)
	v_add_nc_u32_e32 v18, v19, v2
	s_waitcnt lgkmcnt(2)
	v_add_nc_u32_e32 v19, v20, v18
	s_delay_alu instid0(VALU_DEP_1) | instskip(SKIP_1) | instid1(VALU_DEP_1)
	v_add_nc_u32_e32 v20, v21, v19
	;; [unrolled: 4-line block ×3, first 2 shown]
	s_waitcnt lgkmcnt(0)
	v_add_nc_u32_e32 v7, v7, v22
	ds_store_2addr_b32 v0, v2, v18 offset0:1 offset1:2
	ds_store_2addr_b32 v0, v19, v20 offset0:3 offset1:4
	;; [unrolled: 1-line block ×3, first 2 shown]
	ds_store_b32 v0, v7 offset:28
.LBB137_46:                             ;   in Loop: Header=BB137_35 Depth=1
	s_or_b32 exec_lo, exec_lo, s20
	v_mov_b32_e32 v7, 0
	s_waitcnt lgkmcnt(0)
	s_barrier
	buffer_gl0_inv
	s_and_saveexec_b32 s20, s2
	s_cbranch_execz .LBB137_48
; %bb.47:                               ;   in Loop: Header=BB137_35 Depth=1
	ds_load_b32 v7, v11
.LBB137_48:                             ;   in Loop: Header=BB137_35 Depth=1
	s_or_b32 exec_lo, exec_lo, s20
	ds_load_b32 v2, v5 offset:1048
	s_mov_b32 s20, exec_lo
	s_waitcnt lgkmcnt(0)
	s_barrier
	buffer_gl0_inv
	v_cmpx_ne_u32_e32 0, v6
	s_cbranch_execz .LBB137_33
; %bb.49:                               ;   in Loop: Header=BB137_35 Depth=1
	v_dual_mov_b32 v7, v5 :: v_dual_add_nc_u32 v6, v7, v1
	s_delay_alu instid0(VALU_DEP_1)
	v_cmp_gt_u64_e32 vcc_lo, s[6:7], v[6:7]
	s_and_b32 exec_lo, exec_lo, vcc_lo
	s_cbranch_execz .LBB137_33
; %bb.50:                               ;   in Loop: Header=BB137_35 Depth=1
	v_mad_u64_u32 v[18:19], null, v6, s14, 0
	v_mad_u64_u32 v[20:21], null, v6, s16, s[10:11]
	s_delay_alu instid0(VALU_DEP_2) | instskip(NEXT) | instid1(VALU_DEP_1)
	v_mov_b32_e32 v7, v19
	v_mad_u64_u32 v[22:23], null, v6, s15, v[7:8]
	s_delay_alu instid0(VALU_DEP_3) | instskip(NEXT) | instid1(VALU_DEP_2)
	v_mov_b32_e32 v7, v21
	v_mov_b32_e32 v19, v22
	s_delay_alu instid0(VALU_DEP_2) | instskip(NEXT) | instid1(VALU_DEP_2)
	v_mad_u64_u32 v[21:22], null, v6, s17, v[7:8]
	v_lshlrev_b64 v[6:7], 3, v[18:19]
	s_delay_alu instid0(VALU_DEP_1) | instskip(NEXT) | instid1(VALU_DEP_2)
	v_add_co_u32 v6, vcc_lo, s18, v6
	v_add_co_ci_u32_e32 v7, vcc_lo, s19, v7, vcc_lo
	global_store_b8 v[20:21], v16, off
	global_store_b64 v[6:7], v[4:5], off
	s_branch .LBB137_33
	.p2align	6
.LBB137_51:                             ;   in Loop: Header=BB137_52 Depth=1
	s_add_u32 s16, s16, 4
	s_addc_u32 s17, s17, 0
	s_waitcnt lgkmcnt(0)
	s_add_i32 s50, s13, s50
	s_add_u32 s18, s18, 4
	s_addc_u32 s19, s19, 0
	s_add_i32 s12, s12, 1
	s_delay_alu instid0(SALU_CYCLE_1)
	s_cmp_lt_u32 s12, s35
	s_cbranch_scc0 .LBB137_30
.LBB137_52:                             ; =>This Inner Loop Header: Depth=1
	s_load_b32 s13, s[16:17], 0x0
	s_cmp_ge_u32 s12, s72
	s_cbranch_scc1 .LBB137_51
; %bb.53:                               ;   in Loop: Header=BB137_52 Depth=1
	s_load_b32 s14, s[18:19], 0x0
	s_waitcnt lgkmcnt(0)
	s_add_i32 s51, s13, s51
	s_add_i32 s47, s14, s47
	s_branch .LBB137_51
.LBB137_54:
	s_nop 0
	s_sendmsg sendmsg(MSG_DEALLOC_VGPRS)
	s_endpgm
	.section	.rodata,"a",@progbits
	.p2align	6, 0x0
	.amdhsa_kernel _ZN2at6native6mbtopk10gatherTopKIamLi3EEEvNS_4cuda6detail10TensorInfoIKT_T0_EES8_S8_bjS8_NS5_IS6_S8_EES8_NS5_IlS8_EES8_jjPS6_PjSD_j
		.amdhsa_group_segment_fixed_size 1068
		.amdhsa_private_segment_fixed_size 0
		.amdhsa_kernarg_size 1592
		.amdhsa_user_sgpr_count 13
		.amdhsa_user_sgpr_dispatch_ptr 0
		.amdhsa_user_sgpr_queue_ptr 0
		.amdhsa_user_sgpr_kernarg_segment_ptr 1
		.amdhsa_user_sgpr_dispatch_id 0
		.amdhsa_user_sgpr_private_segment_size 0
		.amdhsa_wavefront_size32 1
		.amdhsa_uses_dynamic_stack 0
		.amdhsa_enable_private_segment 0
		.amdhsa_system_sgpr_workgroup_id_x 1
		.amdhsa_system_sgpr_workgroup_id_y 1
		.amdhsa_system_sgpr_workgroup_id_z 1
		.amdhsa_system_sgpr_workgroup_info 0
		.amdhsa_system_vgpr_workitem_id 0
		.amdhsa_next_free_vgpr 26
		.amdhsa_next_free_sgpr 74
		.amdhsa_reserve_vcc 1
		.amdhsa_float_round_mode_32 0
		.amdhsa_float_round_mode_16_64 0
		.amdhsa_float_denorm_mode_32 3
		.amdhsa_float_denorm_mode_16_64 3
		.amdhsa_dx10_clamp 1
		.amdhsa_ieee_mode 1
		.amdhsa_fp16_overflow 0
		.amdhsa_workgroup_processor_mode 1
		.amdhsa_memory_ordered 1
		.amdhsa_forward_progress 0
		.amdhsa_shared_vgpr_count 0
		.amdhsa_exception_fp_ieee_invalid_op 0
		.amdhsa_exception_fp_denorm_src 0
		.amdhsa_exception_fp_ieee_div_zero 0
		.amdhsa_exception_fp_ieee_overflow 0
		.amdhsa_exception_fp_ieee_underflow 0
		.amdhsa_exception_fp_ieee_inexact 0
		.amdhsa_exception_int_div_zero 0
	.end_amdhsa_kernel
	.section	.text._ZN2at6native6mbtopk10gatherTopKIamLi3EEEvNS_4cuda6detail10TensorInfoIKT_T0_EES8_S8_bjS8_NS5_IS6_S8_EES8_NS5_IlS8_EES8_jjPS6_PjSD_j,"axG",@progbits,_ZN2at6native6mbtopk10gatherTopKIamLi3EEEvNS_4cuda6detail10TensorInfoIKT_T0_EES8_S8_bjS8_NS5_IS6_S8_EES8_NS5_IlS8_EES8_jjPS6_PjSD_j,comdat
.Lfunc_end137:
	.size	_ZN2at6native6mbtopk10gatherTopKIamLi3EEEvNS_4cuda6detail10TensorInfoIKT_T0_EES8_S8_bjS8_NS5_IS6_S8_EES8_NS5_IlS8_EES8_jjPS6_PjSD_j, .Lfunc_end137-_ZN2at6native6mbtopk10gatherTopKIamLi3EEEvNS_4cuda6detail10TensorInfoIKT_T0_EES8_S8_bjS8_NS5_IS6_S8_EES8_NS5_IlS8_EES8_jjPS6_PjSD_j
                                        ; -- End function
	.section	.AMDGPU.csdata,"",@progbits
; Kernel info:
; codeLenInByte = 3800
; NumSgprs: 76
; NumVgprs: 26
; ScratchSize: 0
; MemoryBound: 0
; FloatMode: 240
; IeeeMode: 1
; LDSByteSize: 1068 bytes/workgroup (compile time only)
; SGPRBlocks: 9
; VGPRBlocks: 3
; NumSGPRsForWavesPerEU: 76
; NumVGPRsForWavesPerEU: 26
; Occupancy: 16
; WaveLimiterHint : 1
; COMPUTE_PGM_RSRC2:SCRATCH_EN: 0
; COMPUTE_PGM_RSRC2:USER_SGPR: 13
; COMPUTE_PGM_RSRC2:TRAP_HANDLER: 0
; COMPUTE_PGM_RSRC2:TGID_X_EN: 1
; COMPUTE_PGM_RSRC2:TGID_Y_EN: 1
; COMPUTE_PGM_RSRC2:TGID_Z_EN: 1
; COMPUTE_PGM_RSRC2:TIDIG_COMP_CNT: 0
	.section	.text._ZN2at6native6sbtopk10gatherTopKIamLi3ELb0EEEvNS_4cuda6detail10TensorInfoIKT_T0_EES8_S8_bS8_S8_NS5_IS6_S8_EES8_NS5_IlS8_EES8_PS6_,"axG",@progbits,_ZN2at6native6sbtopk10gatherTopKIamLi3ELb0EEEvNS_4cuda6detail10TensorInfoIKT_T0_EES8_S8_bS8_S8_NS5_IS6_S8_EES8_NS5_IlS8_EES8_PS6_,comdat
	.protected	_ZN2at6native6sbtopk10gatherTopKIamLi3ELb0EEEvNS_4cuda6detail10TensorInfoIKT_T0_EES8_S8_bS8_S8_NS5_IS6_S8_EES8_NS5_IlS8_EES8_PS6_ ; -- Begin function _ZN2at6native6sbtopk10gatherTopKIamLi3ELb0EEEvNS_4cuda6detail10TensorInfoIKT_T0_EES8_S8_bS8_S8_NS5_IS6_S8_EES8_NS5_IlS8_EES8_PS6_
	.globl	_ZN2at6native6sbtopk10gatherTopKIamLi3ELb0EEEvNS_4cuda6detail10TensorInfoIKT_T0_EES8_S8_bS8_S8_NS5_IS6_S8_EES8_NS5_IlS8_EES8_PS6_
	.p2align	8
	.type	_ZN2at6native6sbtopk10gatherTopKIamLi3ELb0EEEvNS_4cuda6detail10TensorInfoIKT_T0_EES8_S8_bS8_S8_NS5_IS6_S8_EES8_NS5_IlS8_EES8_PS6_,@function
_ZN2at6native6sbtopk10gatherTopKIamLi3ELb0EEEvNS_4cuda6detail10TensorInfoIKT_T0_EES8_S8_bS8_S8_NS5_IS6_S8_EES8_NS5_IlS8_EES8_PS6_: ; @_ZN2at6native6sbtopk10gatherTopKIamLi3ELb0EEEvNS_4cuda6detail10TensorInfoIKT_T0_EES8_S8_bS8_S8_NS5_IS6_S8_EES8_NS5_IlS8_EES8_PS6_
; %bb.0:
	s_clause 0x1
	s_load_b64 s[22:23], s[0:1], 0x520
	s_load_b128 s[28:31], s[0:1], 0x1b8
	s_add_u32 s20, s0, 0x520
	s_addc_u32 s21, s1, 0
	s_mov_b32 s35, 0
	s_waitcnt lgkmcnt(0)
	s_mul_i32 s2, s23, s15
	s_delay_alu instid0(SALU_CYCLE_1) | instskip(NEXT) | instid1(SALU_CYCLE_1)
	s_add_i32 s2, s2, s14
	s_mul_i32 s2, s2, s22
	s_delay_alu instid0(SALU_CYCLE_1) | instskip(NEXT) | instid1(SALU_CYCLE_1)
	s_add_i32 s34, s2, s13
	v_cmp_ge_u64_e64 s2, s[34:35], s[28:29]
	s_delay_alu instid0(VALU_DEP_1)
	s_and_b32 vcc_lo, exec_lo, s2
	s_cbranch_vccnz .LBB138_547
; %bb.1:
	s_load_b128 s[8:11], s[0:1], 0x10
	s_mov_b64 s[2:3], 0
	s_mov_b64 s[6:7], 0
	s_waitcnt lgkmcnt(0)
	v_cmp_lt_u64_e64 s4, s[34:35], s[10:11]
	s_delay_alu instid0(VALU_DEP_1)
	s_and_b32 vcc_lo, exec_lo, s4
	s_cbranch_vccnz .LBB138_3
; %bb.2:
	v_cvt_f32_u32_e32 v1, s10
	s_sub_i32 s4, 0, s10
	s_mov_b32 s7, 0
	s_delay_alu instid0(VALU_DEP_1) | instskip(SKIP_2) | instid1(VALU_DEP_1)
	v_rcp_iflag_f32_e32 v1, v1
	s_waitcnt_depctr 0xfff
	v_mul_f32_e32 v1, 0x4f7ffffe, v1
	v_cvt_u32_f32_e32 v1, v1
	s_delay_alu instid0(VALU_DEP_1) | instskip(NEXT) | instid1(VALU_DEP_1)
	v_readfirstlane_b32 s3, v1
	s_mul_i32 s4, s4, s3
	s_delay_alu instid0(SALU_CYCLE_1) | instskip(NEXT) | instid1(SALU_CYCLE_1)
	s_mul_hi_u32 s4, s3, s4
	s_add_i32 s3, s3, s4
	s_delay_alu instid0(SALU_CYCLE_1) | instskip(NEXT) | instid1(SALU_CYCLE_1)
	s_mul_hi_u32 s3, s34, s3
	s_mul_i32 s4, s3, s10
	s_add_i32 s5, s3, 1
	s_sub_i32 s4, s34, s4
	s_delay_alu instid0(SALU_CYCLE_1)
	s_sub_i32 s6, s4, s10
	s_cmp_ge_u32 s4, s10
	s_cselect_b32 s3, s5, s3
	s_cselect_b32 s4, s6, s4
	s_add_i32 s5, s3, 1
	s_cmp_ge_u32 s4, s10
	s_cselect_b32 s6, s5, s3
.LBB138_3:
	s_load_b128 s[40:43], s[0:1], 0x1d8
	v_cmp_lt_u64_e64 s3, s[6:7], s[8:9]
	s_delay_alu instid0(VALU_DEP_1)
	s_and_b32 vcc_lo, exec_lo, s3
	s_cbranch_vccnz .LBB138_5
; %bb.4:
	v_cvt_f32_u32_e32 v1, s8
	s_sub_i32 s3, 0, s8
	s_delay_alu instid0(VALU_DEP_1) | instskip(SKIP_2) | instid1(VALU_DEP_1)
	v_rcp_iflag_f32_e32 v1, v1
	s_waitcnt_depctr 0xfff
	v_mul_f32_e32 v1, 0x4f7ffffe, v1
	v_cvt_u32_f32_e32 v1, v1
	s_delay_alu instid0(VALU_DEP_1) | instskip(NEXT) | instid1(VALU_DEP_1)
	v_readfirstlane_b32 s2, v1
	s_mul_i32 s3, s3, s2
	s_delay_alu instid0(SALU_CYCLE_1) | instskip(NEXT) | instid1(SALU_CYCLE_1)
	s_mul_hi_u32 s3, s2, s3
	s_add_i32 s2, s2, s3
	s_delay_alu instid0(SALU_CYCLE_1) | instskip(NEXT) | instid1(SALU_CYCLE_1)
	s_mul_hi_u32 s2, s6, s2
	s_mul_i32 s3, s2, s8
	s_add_i32 s4, s2, 1
	s_sub_i32 s3, s6, s3
	s_delay_alu instid0(SALU_CYCLE_1)
	s_sub_i32 s5, s3, s8
	s_cmp_ge_u32 s3, s8
	s_cselect_b32 s2, s4, s2
	s_cselect_b32 s3, s5, s3
	s_add_i32 s4, s2, 1
	s_cmp_ge_u32 s3, s8
	s_cselect_b32 s2, s4, s2
.LBB138_5:
	s_waitcnt lgkmcnt(0)
	v_cmp_lt_u64_e64 s3, s[34:35], s[42:43]
	s_mov_b64 s[56:57], 0
	s_mov_b64 s[58:59], 0
	s_delay_alu instid0(VALU_DEP_1)
	s_and_b32 vcc_lo, exec_lo, s3
	s_cbranch_vccnz .LBB138_7
; %bb.6:
	v_cvt_f32_u32_e32 v1, s42
	s_sub_i32 s4, 0, s42
	s_mov_b32 s59, 0
	s_delay_alu instid0(VALU_DEP_1) | instskip(SKIP_2) | instid1(VALU_DEP_1)
	v_rcp_iflag_f32_e32 v1, v1
	s_waitcnt_depctr 0xfff
	v_mul_f32_e32 v1, 0x4f7ffffe, v1
	v_cvt_u32_f32_e32 v1, v1
	s_delay_alu instid0(VALU_DEP_1) | instskip(NEXT) | instid1(VALU_DEP_1)
	v_readfirstlane_b32 s3, v1
	s_mul_i32 s4, s4, s3
	s_delay_alu instid0(SALU_CYCLE_1) | instskip(NEXT) | instid1(SALU_CYCLE_1)
	s_mul_hi_u32 s4, s3, s4
	s_add_i32 s3, s3, s4
	s_delay_alu instid0(SALU_CYCLE_1) | instskip(NEXT) | instid1(SALU_CYCLE_1)
	s_mul_hi_u32 s3, s34, s3
	s_mul_i32 s4, s3, s42
	s_add_i32 s5, s3, 1
	s_sub_i32 s4, s34, s4
	s_delay_alu instid0(SALU_CYCLE_1)
	s_sub_i32 s12, s4, s42
	s_cmp_ge_u32 s4, s42
	s_cselect_b32 s3, s5, s3
	s_cselect_b32 s4, s12, s4
	s_add_i32 s5, s3, 1
	s_cmp_ge_u32 s4, s42
	s_cselect_b32 s58, s5, s3
.LBB138_7:
	s_load_b128 s[44:47], s[0:1], 0x380
	v_cmp_lt_u64_e64 s3, s[58:59], s[40:41]
	s_delay_alu instid0(VALU_DEP_1)
	s_and_b32 vcc_lo, exec_lo, s3
	s_cbranch_vccnz .LBB138_9
; %bb.8:
	v_cvt_f32_u32_e32 v1, s40
	s_sub_i32 s4, 0, s40
	s_delay_alu instid0(VALU_DEP_1) | instskip(SKIP_2) | instid1(VALU_DEP_1)
	v_rcp_iflag_f32_e32 v1, v1
	s_waitcnt_depctr 0xfff
	v_mul_f32_e32 v1, 0x4f7ffffe, v1
	v_cvt_u32_f32_e32 v1, v1
	s_delay_alu instid0(VALU_DEP_1) | instskip(NEXT) | instid1(VALU_DEP_1)
	v_readfirstlane_b32 s3, v1
	s_mul_i32 s4, s4, s3
	s_delay_alu instid0(SALU_CYCLE_1) | instskip(NEXT) | instid1(SALU_CYCLE_1)
	s_mul_hi_u32 s4, s3, s4
	s_add_i32 s3, s3, s4
	s_delay_alu instid0(SALU_CYCLE_1) | instskip(NEXT) | instid1(SALU_CYCLE_1)
	s_mul_hi_u32 s3, s58, s3
	s_mul_i32 s4, s3, s40
	s_add_i32 s5, s3, 1
	s_sub_i32 s4, s58, s4
	s_delay_alu instid0(SALU_CYCLE_1)
	s_sub_i32 s12, s4, s40
	s_cmp_ge_u32 s4, s40
	s_cselect_b32 s3, s5, s3
	s_cselect_b32 s4, s12, s4
	s_add_i32 s5, s3, 1
	s_cmp_ge_u32 s4, s40
	s_cselect_b32 s56, s5, s3
.LBB138_9:
	s_clause 0x1
	s_load_b64 s[14:15], s[0:1], 0xe0
	s_load_b128 s[16:19], s[0:1], 0xd0
	s_waitcnt lgkmcnt(0)
	v_cmp_lt_u64_e64 s3, s[34:35], s[46:47]
	s_mov_b64 s[62:63], 0
	s_mov_b64 s[64:65], 0
	s_delay_alu instid0(VALU_DEP_1)
	s_and_b32 vcc_lo, exec_lo, s3
	s_cbranch_vccnz .LBB138_11
; %bb.10:
	v_cvt_f32_u32_e32 v1, s46
	s_sub_i32 s4, 0, s46
	s_mov_b32 s65, 0
	s_delay_alu instid0(VALU_DEP_1) | instskip(SKIP_2) | instid1(VALU_DEP_1)
	v_rcp_iflag_f32_e32 v1, v1
	s_waitcnt_depctr 0xfff
	v_mul_f32_e32 v1, 0x4f7ffffe, v1
	v_cvt_u32_f32_e32 v1, v1
	s_delay_alu instid0(VALU_DEP_1) | instskip(NEXT) | instid1(VALU_DEP_1)
	v_readfirstlane_b32 s3, v1
	s_mul_i32 s4, s4, s3
	s_delay_alu instid0(SALU_CYCLE_1) | instskip(NEXT) | instid1(SALU_CYCLE_1)
	s_mul_hi_u32 s4, s3, s4
	s_add_i32 s3, s3, s4
	s_delay_alu instid0(SALU_CYCLE_1) | instskip(NEXT) | instid1(SALU_CYCLE_1)
	s_mul_hi_u32 s3, s34, s3
	s_mul_i32 s4, s3, s46
	s_add_i32 s5, s3, 1
	s_sub_i32 s4, s34, s4
	s_delay_alu instid0(SALU_CYCLE_1)
	s_sub_i32 s12, s4, s46
	s_cmp_ge_u32 s4, s46
	s_cselect_b32 s3, s5, s3
	s_cselect_b32 s4, s12, s4
	s_add_i32 s5, s3, 1
	s_cmp_ge_u32 s4, s46
	s_cselect_b32 s64, s5, s3
.LBB138_11:
	s_load_b64 s[24:25], s[0:1], 0x0
	v_cmp_lt_u64_e64 s3, s[64:65], s[44:45]
	s_delay_alu instid0(VALU_DEP_1)
	s_and_b32 vcc_lo, exec_lo, s3
	s_cbranch_vccnz .LBB138_13
; %bb.12:
	v_cvt_f32_u32_e32 v1, s44
	s_sub_i32 s4, 0, s44
	s_delay_alu instid0(VALU_DEP_1) | instskip(SKIP_2) | instid1(VALU_DEP_1)
	v_rcp_iflag_f32_e32 v1, v1
	s_waitcnt_depctr 0xfff
	v_mul_f32_e32 v1, 0x4f7ffffe, v1
	v_cvt_u32_f32_e32 v1, v1
	s_delay_alu instid0(VALU_DEP_1) | instskip(NEXT) | instid1(VALU_DEP_1)
	v_readfirstlane_b32 s3, v1
	s_mul_i32 s4, s4, s3
	s_delay_alu instid0(SALU_CYCLE_1) | instskip(NEXT) | instid1(SALU_CYCLE_1)
	s_mul_hi_u32 s4, s3, s4
	s_add_i32 s3, s3, s4
	s_delay_alu instid0(SALU_CYCLE_1) | instskip(NEXT) | instid1(SALU_CYCLE_1)
	s_mul_hi_u32 s3, s64, s3
	s_mul_i32 s4, s3, s44
	s_add_i32 s5, s3, 1
	s_sub_i32 s4, s64, s4
	s_delay_alu instid0(SALU_CYCLE_1)
	s_sub_i32 s12, s4, s44
	s_cmp_ge_u32 s4, s44
	s_cselect_b32 s3, s5, s3
	s_cselect_b32 s4, s12, s4
	s_add_i32 s5, s3, 1
	s_cmp_ge_u32 s4, s44
	s_cselect_b32 s62, s5, s3
.LBB138_13:
	s_clause 0x1
	s_load_b64 s[4:5], s[0:1], 0x370
	s_load_b128 s[36:39], s[0:1], 0x1a0
                                        ; implicit-def: $vgpr33 : SGPR spill to VGPR lane
	s_mov_b32 s73, 0
	s_waitcnt lgkmcnt(0)
	v_writelane_b32 v33, s4, 0
	v_writelane_b32 v33, s5, 1
	v_cmp_eq_u32_e64 s5, 0, v0
	s_delay_alu instid0(VALU_DEP_1)
	s_and_saveexec_b32 s3, s5
	s_cbranch_execz .LBB138_15
; %bb.14:
	v_dual_mov_b32 v1, 0 :: v_dual_mov_b32 v4, s37
	s_delay_alu instid0(VALU_DEP_1)
	v_dual_mov_b32 v3, s36 :: v_dual_mov_b32 v2, v1
	ds_store_b32 v1, v1 offset:5144
	ds_store_b128 v1, v[1:4] offset:5120
.LBB138_15:
	s_or_b32 exec_lo, exec_lo, s3
	s_mul_i32 s3, s2, s9
	s_mul_hi_u32 s4, s2, s8
	s_mul_i32 s8, s2, s8
	s_add_i32 s4, s4, s3
	s_sub_u32 s3, s6, s8
	s_subb_u32 s4, s7, s4
	s_mul_i32 s8, s3, s19
	s_mul_hi_u32 s9, s3, s18
	s_mul_i32 s4, s4, s18
	s_add_i32 s7, s9, s8
	s_mul_i32 s8, s2, s17
	s_mul_hi_u32 s9, s2, s16
	s_add_i32 s7, s7, s4
	s_add_i32 s9, s9, s8
	s_mul_i32 s4, s6, s11
	s_mul_hi_u32 s8, s6, s10
	s_mul_i32 s6, s6, s10
	s_add_i32 s8, s8, s4
	s_sub_u32 s4, s34, s6
	s_subb_u32 s8, 0, s8
	s_mul_i32 s6, s4, s15
	s_mul_hi_u32 s11, s4, s14
	s_mul_i32 s8, s8, s14
	s_add_i32 s6, s11, s6
	s_mul_i32 s2, s2, s16
	s_add_i32 s6, s6, s8
	s_load_b32 s10, s[0:1], 0x1b0
	s_mul_i32 s3, s3, s18
	s_add_u32 s2, s24, s2
	s_addc_u32 s8, s25, s9
	s_add_u32 s2, s2, s3
	s_addc_u32 s3, s8, s7
	s_waitcnt lgkmcnt(0)
	s_barrier
	buffer_gl0_inv
	s_load_b32 s7, s[20:21], 0xc
	s_mul_i32 s4, s4, s14
	v_mbcnt_lo_u32_b32 v23, -1, 0
	s_add_u32 s28, s2, s4
	s_addc_u32 s29, s3, s6
	v_cmp_gt_u32_e32 vcc_lo, 32, v0
	v_mad_u64_u32 v[10:11], null, v0, s30, s[28:29]
	v_cmp_gt_i32_e64 s4, 4, v23
	v_lshlrev_b32_e32 v14, 2, v0
	v_cmp_lt_u64_e64 s63, 0xc00, s[36:37]
	s_bitcmp1_b32 s10, 0
	v_mov_b32_e32 v16, s38
	s_cselect_b32 s3, -1, 0
	v_mov_b32_e32 v1, v11
	s_xor_b32 s35, s3, -1
	s_and_b32 s57, vcc_lo, s4
	v_cmp_eq_u32_e64 s2, 0, v23
	v_cmp_gt_u32_e64 s6, 2, v0
	v_mad_u64_u32 v[2:3], null, v0, s31, v[1:2]
	s_waitcnt lgkmcnt(0)
	s_and_b32 s33, s7, 0xffff
	s_bfe_u32 s8, s7, 0xb0005
	s_add_u32 s86, s33, -1
	s_addc_u32 s87, 0, -1
	v_lshrrev_b32_e32 v3, 3, v0
	v_mov_b32_e32 v13, 0
	s_add_u32 s88, s86, s36
	s_addc_u32 s27, s87, s37
	s_cmp_lt_u32 s13, s22
	v_and_b32_e32 v24, 0x7c, v3
	s_cselect_b32 s9, 12, 18
	v_mov_b32_e32 v1, v13
	v_dual_mov_b32 v11, v2 :: v_dual_mov_b32 v28, 0
	v_lshlrev_b64 v[2:3], v23, -1
	s_add_u32 s74, s20, s9
	v_cmp_gt_u16_e64 s89, s7, 31
	s_addc_u32 s75, s21, 0
	s_add_i32 s7, s8, -1
	s_bfe_u32 s90, s33, 0x30005
	s_cmp_gt_u32 s7, 6
	v_cmp_gt_u64_e64 s4, s[36:37], v[0:1]
	v_dual_mov_b32 v15, v13 :: v_dual_mov_b32 v26, 0
	v_not_b32_e32 v22, v2
	s_cselect_b32 s91, -1, 0
	s_and_b32 s92, s8, 0x7f8
	v_lshl_or_b32 v25, v23, 3, 0xc00
	v_mov_b32_e32 v17, s39
	v_mov_b32_e32 v27, 0
	s_cmp_lg_u32 s90, 0
	s_mov_b32 s93, 6
	s_cselect_b32 s95, -1, 0
	s_mov_b32 s94, 0
	s_mov_b32 s97, 0
                                        ; implicit-def: $sgpr96
                                        ; implicit-def: $sgpr100
                                        ; implicit-def: $sgpr99
                                        ; implicit-def: $sgpr101
                                        ; implicit-def: $sgpr98
                                        ; implicit-def: $sgpr102
                                        ; implicit-def: $sgpr104
                                        ; implicit-def: $sgpr103
                                        ; implicit-def: $vcc_hi
                                        ; implicit-def: $sgpr68
	s_branch .LBB138_18
.LBB138_16:                             ;   in Loop: Header=BB138_18 Depth=1
	s_or_b32 exec_lo, exec_lo, s10
	v_dual_mov_b32 v26, v9 :: v_dual_mov_b32 v27, v8
	v_dual_mov_b32 v17, v3 :: v_dual_mov_b32 v16, v2
	v_mov_b32_e32 v28, v18
	s_and_not1_b32 s10, s68, exec_lo
	s_and_b32 s9, s9, exec_lo
	s_and_not1_b32 vcc_hi, vcc_hi, exec_lo
	s_or_b32 s68, s10, s9
	s_and_not1_b32 s103, s103, exec_lo
	s_and_not1_b32 s104, s104, exec_lo
	s_and_not1_b32 s102, s102, exec_lo
	s_or_not1_b32 s8, s8, exec_lo
.LBB138_17:                             ;   in Loop: Header=BB138_18 Depth=1
	s_or_b32 exec_lo, exec_lo, s7
	s_delay_alu instid0(SALU_CYCLE_1) | instskip(NEXT) | instid1(SALU_CYCLE_1)
	s_and_b32 s7, exec_lo, s8
	s_or_b32 s94, s7, s94
	s_and_not1_b32 s7, s98, exec_lo
	s_and_b32 s8, s68, exec_lo
	s_and_not1_b32 s9, s101, exec_lo
	s_or_b32 s98, s7, s8
	s_and_b32 s7, vcc_hi, exec_lo
	s_and_not1_b32 s8, s99, exec_lo
	s_and_b32 s10, s103, exec_lo
	s_or_b32 s101, s9, s7
	s_or_b32 s99, s8, s10
	s_and_not1_b32 s7, s100, exec_lo
	s_and_b32 s8, s104, exec_lo
	s_and_not1_b32 s9, s96, exec_lo
	s_and_b32 s10, s102, exec_lo
	s_or_b32 s100, s7, s8
	s_or_b32 s96, s9, s10
	s_and_not1_b32 exec_lo, exec_lo, s94
	s_cbranch_execz .LBB138_487
.LBB138_18:                             ; =>This Loop Header: Depth=1
                                        ;     Child Loop BB138_23 Depth 2
                                        ;     Child Loop BB138_41 Depth 2
	;; [unrolled: 1-line block ×24, first 2 shown]
	ds_load_b128 v[2:5], v13 offset:5120
	s_waitcnt lgkmcnt(0)
	v_readfirstlane_b32 s77, v3
	v_readfirstlane_b32 s76, v2
	s_delay_alu instid0(VALU_DEP_1)
	s_cmp_lg_u64 s[76:77], 0
	s_cbranch_scc1 .LBB138_48
; %bb.19:                               ;   in Loop: Header=BB138_18 Depth=1
	s_and_b32 vcc_lo, exec_lo, s63
	s_cbranch_vccz .LBB138_31
; %bb.20:                               ;   in Loop: Header=BB138_18 Depth=1
	v_cmp_gt_u64_e32 vcc_lo, 0xc01, v[4:5]
	s_mov_b32 s9, 0
	s_mov_b32 s7, 0
	s_cbranch_vccz .LBB138_32
; %bb.21:                               ;   in Loop: Header=BB138_18 Depth=1
	global_load_u16 v2, v13, s[74:75]
	global_load_u8 v5, v[10:11], off
	s_mov_b32 s10, 0
	s_waitcnt vmcnt(1)
	v_dual_mov_b32 v3, v1 :: v_dual_and_b32 v4, 0xffff, v2
	v_mov_b32_e32 v2, v0
	s_branch .LBB138_23
.LBB138_22:                             ;   in Loop: Header=BB138_23 Depth=2
	s_or_b32 exec_lo, exec_lo, s8
	v_mov_b32_e32 v5, v6
	s_and_not1_b32 exec_lo, exec_lo, s10
	s_cbranch_execz .LBB138_33
.LBB138_23:                             ;   Parent Loop BB138_18 Depth=1
                                        ; =>  This Inner Loop Header: Depth=2
	s_delay_alu instid0(VALU_DEP_1) | instskip(NEXT) | instid1(VALU_DEP_3)
	v_add_co_u32 v2, vcc_lo, v2, v4
	v_add_co_ci_u32_e32 v3, vcc_lo, 0, v3, vcc_lo
	s_waitcnt lgkmcnt(0)
	v_dual_mov_b32 v7, 0 :: v_dual_mov_b32 v6, 0
	s_mov_b32 s8, exec_lo
	s_delay_alu instid0(VALU_DEP_2)
	v_cmp_le_u64_e32 vcc_lo, s[36:37], v[2:3]
	v_cmpx_gt_u64_e64 s[36:37], v[2:3]
	s_cbranch_execz .LBB138_25
; %bb.24:                               ;   in Loop: Header=BB138_23 Depth=2
	v_mad_u64_u32 v[8:9], null, v2, s30, s[28:29]
	v_mul_lo_u32 v6, v2, s31
	v_mul_lo_u32 v12, v3, s30
	s_delay_alu instid0(VALU_DEP_1)
	v_add3_u32 v9, v12, v9, v6
	global_load_u8 v6, v[8:9], off
.LBB138_25:                             ;   in Loop: Header=BB138_23 Depth=2
	s_or_b32 exec_lo, exec_lo, s8
	s_waitcnt vmcnt(0)
	v_bfe_i32 v8, v5, 0, 8
	s_delay_alu instid0(VALU_DEP_1) | instskip(NEXT) | instid1(VALU_DEP_1)
	v_add_nc_u32_e32 v8, 0x80, v8
	v_and_b32_e32 v8, v8, v26
	s_delay_alu instid0(VALU_DEP_1) | instskip(NEXT) | instid1(VALU_DEP_1)
	v_cmp_eq_u32_e64 s7, v8, v27
	s_cmp_lg_u32 s7, 0
	s_cselect_b32 s8, -1, 0
	s_delay_alu instid0(SALU_CYCLE_1) | instskip(NEXT) | instid1(SALU_CYCLE_1)
	s_and_b32 s8, s2, s8
	s_and_saveexec_b32 s11, s8
	s_cbranch_execz .LBB138_29
; %bb.26:                               ;   in Loop: Header=BB138_23 Depth=2
	s_mov_b32 s14, exec_lo
	s_bcnt1_i32_b32 s12, s7
	v_mbcnt_lo_u32_b32 v7, s14, 0
	s_mov_b32 s13, exec_lo
                                        ; implicit-def: $vgpr8
	s_delay_alu instid0(VALU_DEP_1)
	v_cmpx_eq_u32_e32 0, v7
	s_cbranch_execz .LBB138_28
; %bb.27:                               ;   in Loop: Header=BB138_23 Depth=2
	s_bcnt1_i32_b32 s8, s14
	s_delay_alu instid0(SALU_CYCLE_1) | instskip(NEXT) | instid1(SALU_CYCLE_1)
	s_mul_i32 s8, s12, s8
	v_mov_b32_e32 v8, s8
	ds_add_rtn_u32 v8, v13, v8 offset:5144
.LBB138_28:                             ;   in Loop: Header=BB138_23 Depth=2
	s_or_b32 exec_lo, exec_lo, s13
	s_waitcnt lgkmcnt(0)
	v_readfirstlane_b32 s8, v8
	s_delay_alu instid0(VALU_DEP_1)
	v_mad_u32_u24 v7, s12, v7, s8
.LBB138_29:                             ;   in Loop: Header=BB138_23 Depth=2
	s_or_b32 exec_lo, exec_lo, s11
	ds_bpermute_b32 v7, v13, v7
	s_and_b32 s8, exec_lo, vcc_lo
	s_delay_alu instid0(SALU_CYCLE_1)
	s_or_b32 s10, s8, s10
	s_and_saveexec_b32 s8, s7
	s_cbranch_execz .LBB138_22
; %bb.30:                               ;   in Loop: Header=BB138_23 Depth=2
	v_and_b32_e32 v8, s7, v22
	s_waitcnt lgkmcnt(0)
	s_delay_alu instid0(VALU_DEP_1)
	v_bcnt_u32_b32 v7, v8, v7
	ds_store_b8 v7, v5
	s_branch .LBB138_22
.LBB138_31:                             ;   in Loop: Header=BB138_18 Depth=1
	s_mov_b32 s7, 0
                                        ; implicit-def: $sgpr76_sgpr77
	s_cbranch_execnz .LBB138_36
	s_branch .LBB138_46
.LBB138_32:                             ;   in Loop: Header=BB138_18 Depth=1
	s_mov_b64 s[76:77], 0
	s_and_b32 vcc_lo, exec_lo, s9
	s_cbranch_vccnz .LBB138_36
	s_branch .LBB138_46
.LBB138_33:                             ;   in Loop: Header=BB138_18 Depth=1
	s_or_b32 exec_lo, exec_lo, s10
	s_waitcnt lgkmcnt(0)
	s_barrier
	buffer_gl0_inv
	s_and_saveexec_b32 s7, s5
	s_cbranch_execz .LBB138_35
; %bb.34:                               ;   in Loop: Header=BB138_18 Depth=1
	ds_load_b32 v2, v13 offset:5144
	s_waitcnt lgkmcnt(0)
	v_ashrrev_i32_e32 v3, 31, v2
	ds_store_b64 v13, v[2:3] offset:5120
.LBB138_35:                             ;   in Loop: Header=BB138_18 Depth=1
	s_or_b32 exec_lo, exec_lo, s7
	s_waitcnt lgkmcnt(0)
	s_mov_b32 s7, -1
	s_barrier
	s_mov_b64 s[76:77], 0
	s_and_b32 vcc_lo, exec_lo, s9
	s_cbranch_vccz .LBB138_46
.LBB138_36:                             ;   in Loop: Header=BB138_18 Depth=1
	v_mov_b32_e32 v4, 0
	s_and_saveexec_b32 s7, s4
	s_cbranch_execz .LBB138_38
; %bb.37:                               ;   in Loop: Header=BB138_18 Depth=1
	global_load_u8 v4, v[10:11], off
.LBB138_38:                             ;   in Loop: Header=BB138_18 Depth=1
	s_or_b32 exec_lo, exec_lo, s7
	s_and_saveexec_b32 s8, s4
	s_cbranch_execz .LBB138_43
; %bb.39:                               ;   in Loop: Header=BB138_18 Depth=1
	global_load_u16 v2, v13, s[74:75]
	v_mov_b32_e32 v5, v0
	s_mov_b32 s9, 0
	s_waitcnt vmcnt(0)
	v_dual_mov_b32 v3, v1 :: v_dual_and_b32 v6, 0xffff, v2
	v_mov_b32_e32 v2, v0
	s_set_inst_prefetch_distance 0x1
	s_branch .LBB138_41
	.p2align	6
.LBB138_40:                             ;   in Loop: Header=BB138_41 Depth=2
	s_or_b32 exec_lo, exec_lo, s10
	ds_store_b8 v5, v4
	s_waitcnt vmcnt(0)
	v_dual_mov_b32 v4, v7 :: v_dual_add_nc_u32 v5, v5, v6
	s_and_b32 s7, exec_lo, vcc_lo
	s_delay_alu instid0(SALU_CYCLE_1) | instskip(NEXT) | instid1(SALU_CYCLE_1)
	s_or_b32 s9, s7, s9
	s_and_not1_b32 exec_lo, exec_lo, s9
	s_cbranch_execz .LBB138_43
.LBB138_41:                             ;   Parent Loop BB138_18 Depth=1
                                        ; =>  This Inner Loop Header: Depth=2
	s_delay_alu instid0(VALU_DEP_1) | instskip(SKIP_3) | instid1(VALU_DEP_2)
	v_add_co_u32 v2, vcc_lo, v2, v6
	v_add_co_ci_u32_e32 v3, vcc_lo, 0, v3, vcc_lo
	v_mov_b32_e32 v7, 0
	s_mov_b32 s10, exec_lo
	v_cmp_le_u64_e32 vcc_lo, s[36:37], v[2:3]
	v_cmpx_gt_u64_e64 s[36:37], v[2:3]
	s_cbranch_execz .LBB138_40
; %bb.42:                               ;   in Loop: Header=BB138_41 Depth=2
	v_mad_u64_u32 v[7:8], null, v2, s30, s[28:29]
	v_mul_lo_u32 v9, v2, s31
	v_mul_lo_u32 v12, v3, s30
	s_delay_alu instid0(VALU_DEP_1)
	v_add3_u32 v8, v12, v8, v9
	global_load_u8 v7, v[7:8], off
	s_branch .LBB138_40
.LBB138_43:                             ;   in Loop: Header=BB138_18 Depth=1
	s_set_inst_prefetch_distance 0x2
	s_or_b32 exec_lo, exec_lo, s8
	s_waitcnt vmcnt(0) lgkmcnt(0)
	s_barrier
	buffer_gl0_inv
	s_and_saveexec_b32 s7, s5
	s_cbranch_execz .LBB138_45
; %bb.44:                               ;   in Loop: Header=BB138_18 Depth=1
	v_dual_mov_b32 v2, s36 :: v_dual_mov_b32 v3, s37
	ds_store_b64 v13, v[2:3] offset:5120
.LBB138_45:                             ;   in Loop: Header=BB138_18 Depth=1
	s_or_b32 exec_lo, exec_lo, s7
	s_mov_b32 s7, -1
	s_waitcnt lgkmcnt(0)
	s_barrier
                                        ; implicit-def: $sgpr76_sgpr77
.LBB138_46:                             ;   in Loop: Header=BB138_18 Depth=1
	s_and_b32 vcc_lo, exec_lo, s7
	s_cbranch_vccz .LBB138_48
; %bb.47:                               ;   in Loop: Header=BB138_18 Depth=1
	buffer_gl0_inv
	ds_load_b64 v[2:3], v13 offset:5120
	s_waitcnt lgkmcnt(0)
	v_readfirstlane_b32 s76, v2
.LBB138_48:                             ;   in Loop: Header=BB138_18 Depth=1
	s_delay_alu instid0(VALU_DEP_1)
	s_cmp_lt_i32 s76, 1
	s_cbranch_scc0 .LBB138_63
; %bb.49:                               ;   in Loop: Header=BB138_18 Depth=1
	global_load_u16 v29, v13, s[74:75]
	s_mov_b32 s8, s73
	s_mov_b32 s9, s37
	s_waitcnt vmcnt(0)
	v_readfirstlane_b32 s7, v29
	s_delay_alu instid0(VALU_DEP_1) | instskip(NEXT) | instid1(SALU_CYCLE_1)
	s_and_b32 s7, 0xffff, s7
	s_lshl_b32 s25, s7, 2
	s_cmp_lg_u64 s[8:9], 0
	s_cbranch_scc0 .LBB138_83
; %bb.50:                               ;   in Loop: Header=BB138_18 Depth=1
	v_cvt_f32_u32_e32 v2, s25
	s_sub_u32 s9, 0, s25
	s_subb_u32 s10, 0, 0
	s_delay_alu instid0(VALU_DEP_1) | instskip(NEXT) | instid1(VALU_DEP_1)
	v_fmac_f32_e64 v2, 0, 0x4f800000
	v_rcp_f32_e32 v2, v2
	s_waitcnt_depctr 0xfff
	v_mul_f32_e32 v2, 0x5f7ffffc, v2
	s_delay_alu instid0(VALU_DEP_1) | instskip(NEXT) | instid1(VALU_DEP_1)
	v_mul_f32_e32 v3, 0x2f800000, v2
	v_trunc_f32_e32 v3, v3
	s_delay_alu instid0(VALU_DEP_1) | instskip(SKIP_1) | instid1(VALU_DEP_2)
	v_fmac_f32_e32 v2, 0xcf800000, v3
	v_cvt_u32_f32_e32 v3, v3
	v_cvt_u32_f32_e32 v2, v2
	s_delay_alu instid0(VALU_DEP_2) | instskip(NEXT) | instid1(VALU_DEP_2)
	v_readfirstlane_b32 s7, v3
	v_readfirstlane_b32 s8, v2
	s_delay_alu instid0(VALU_DEP_2) | instskip(NEXT) | instid1(VALU_DEP_1)
	s_mul_i32 s11, s9, s7
	s_mul_hi_u32 s13, s9, s8
	s_mul_i32 s12, s10, s8
	s_add_i32 s11, s13, s11
	s_mul_i32 s14, s9, s8
	s_add_i32 s11, s11, s12
	s_mul_hi_u32 s13, s8, s14
	s_mul_hi_u32 s15, s7, s14
	s_mul_i32 s12, s7, s14
	s_mul_hi_u32 s14, s8, s11
	s_mul_i32 s8, s8, s11
	s_mul_hi_u32 s16, s7, s11
	s_add_u32 s8, s13, s8
	s_addc_u32 s13, 0, s14
	s_add_u32 s8, s8, s12
	s_mul_i32 s11, s7, s11
	s_addc_u32 s8, s13, s15
	s_addc_u32 s12, s16, 0
	s_add_u32 s8, s8, s11
	s_addc_u32 s11, 0, s12
	v_add_co_u32 v2, s8, v2, s8
	s_delay_alu instid0(VALU_DEP_1) | instskip(SKIP_1) | instid1(VALU_DEP_1)
	s_cmp_lg_u32 s8, 0
	s_addc_u32 s7, s7, s11
	v_readfirstlane_b32 s8, v2
	s_mul_i32 s11, s9, s7
	s_delay_alu instid0(VALU_DEP_1)
	s_mul_hi_u32 s12, s9, s8
	s_mul_i32 s10, s10, s8
	s_add_i32 s11, s12, s11
	s_mul_i32 s9, s9, s8
	s_add_i32 s11, s11, s10
	s_mul_hi_u32 s12, s7, s9
	s_mul_i32 s13, s7, s9
	s_mul_hi_u32 s9, s8, s9
	s_mul_hi_u32 s14, s8, s11
	s_mul_i32 s8, s8, s11
	s_mul_hi_u32 s10, s7, s11
	s_add_u32 s8, s9, s8
	s_addc_u32 s9, 0, s14
	s_add_u32 s8, s8, s13
	s_mul_i32 s11, s7, s11
	s_addc_u32 s8, s9, s12
	s_addc_u32 s9, s10, 0
	s_add_u32 s8, s8, s11
	s_addc_u32 s9, 0, s9
	v_add_co_u32 v2, s8, v2, s8
	s_delay_alu instid0(VALU_DEP_1) | instskip(SKIP_1) | instid1(VALU_DEP_1)
	s_cmp_lg_u32 s8, 0
	s_addc_u32 s7, s7, s9
	v_readfirstlane_b32 s8, v2
	s_mul_i32 s10, s36, s7
	s_mul_hi_u32 s9, s36, s7
	s_mul_hi_u32 s11, s37, s7
	s_mul_i32 s7, s37, s7
	s_mul_hi_u32 s12, s36, s8
	s_mul_hi_u32 s13, s37, s8
	s_mul_i32 s8, s37, s8
	s_add_u32 s10, s12, s10
	s_addc_u32 s9, 0, s9
	s_add_u32 s8, s10, s8
	s_addc_u32 s8, s9, s13
	s_addc_u32 s9, s11, 0
	s_add_u32 s7, s8, s7
	s_addc_u32 s8, 0, s9
	s_mul_hi_u32 s9, s25, s7
	s_mul_i32 s7, s25, s7
	s_mul_i32 s8, s25, s8
	v_sub_co_u32 v2, s7, s36, s7
	s_add_i32 s9, s9, s8
	s_cmp_lg_u32 s7, 0
	s_delay_alu instid0(VALU_DEP_1) | instskip(SKIP_2) | instid1(VALU_DEP_1)
	v_sub_co_u32 v3, s7, v2, s25
	s_subb_u32 s8, s37, s9
	s_cmp_lg_u32 s7, 0
	v_cmp_le_u32_e32 vcc_lo, s25, v3
	v_sub_co_u32 v4, s7, v3, s25
	s_subb_u32 s9, s8, 0
	s_cmp_lg_u32 s7, 0
	v_cndmask_b32_e64 v5, 0, -1, vcc_lo
	s_subb_u32 s7, s9, 0
	s_cmp_eq_u32 s9, 0
	v_mov_b32_e32 v7, s7
	s_cselect_b32 vcc_lo, -1, 0
	s_cmp_eq_u32 s8, 0
	v_cndmask_b32_e32 v5, -1, v5, vcc_lo
	v_cmp_le_u32_e32 vcc_lo, s25, v2
	s_cselect_b32 s7, -1, 0
	v_cndmask_b32_e64 v6, 0, -1, vcc_lo
	s_delay_alu instid0(VALU_DEP_3) | instskip(NEXT) | instid1(VALU_DEP_2)
	v_cmp_ne_u32_e32 vcc_lo, 0, v5
	v_cndmask_b32_e64 v5, -1, v6, s7
	v_cndmask_b32_e32 v6, s9, v7, vcc_lo
	v_cndmask_b32_e32 v4, v3, v4, vcc_lo
	s_delay_alu instid0(VALU_DEP_3) | instskip(NEXT) | instid1(VALU_DEP_3)
	v_cmp_ne_u32_e32 vcc_lo, 0, v5
	v_cndmask_b32_e32 v3, s8, v6, vcc_lo
	s_delay_alu instid0(VALU_DEP_3)
	v_cndmask_b32_e32 v2, v2, v4, vcc_lo
	s_cbranch_execnz .LBB138_52
.LBB138_51:                             ;   in Loop: Header=BB138_18 Depth=1
	v_cvt_f32_u32_e32 v2, s25
	s_sub_i32 s7, 0, s25
	s_delay_alu instid0(VALU_DEP_1) | instskip(SKIP_2) | instid1(VALU_DEP_1)
	v_rcp_iflag_f32_e32 v2, v2
	s_waitcnt_depctr 0xfff
	v_mul_f32_e32 v2, 0x4f7ffffe, v2
	v_cvt_u32_f32_e32 v2, v2
	s_delay_alu instid0(VALU_DEP_1) | instskip(NEXT) | instid1(VALU_DEP_1)
	v_mul_lo_u32 v3, s7, v2
	v_mul_hi_u32 v3, v2, v3
	s_delay_alu instid0(VALU_DEP_1) | instskip(NEXT) | instid1(VALU_DEP_1)
	v_add_nc_u32_e32 v2, v2, v3
	v_mul_hi_u32 v2, s36, v2
	s_delay_alu instid0(VALU_DEP_1) | instskip(NEXT) | instid1(VALU_DEP_1)
	v_mul_lo_u32 v2, v2, s25
	v_sub_nc_u32_e32 v2, s36, v2
	s_delay_alu instid0(VALU_DEP_1) | instskip(SKIP_1) | instid1(VALU_DEP_2)
	v_subrev_nc_u32_e32 v3, s25, v2
	v_cmp_le_u32_e32 vcc_lo, s25, v2
	v_cndmask_b32_e32 v2, v2, v3, vcc_lo
	s_delay_alu instid0(VALU_DEP_1) | instskip(SKIP_1) | instid1(VALU_DEP_2)
	v_subrev_nc_u32_e32 v3, s25, v2
	v_cmp_le_u32_e32 vcc_lo, s25, v2
	v_cndmask_b32_e32 v12, v2, v3, vcc_lo
	s_delay_alu instid0(VALU_DEP_1)
	v_dual_mov_b32 v2, v12 :: v_dual_mov_b32 v3, v13
.LBB138_52:                             ;   in Loop: Header=BB138_18 Depth=1
	s_delay_alu instid0(VALU_DEP_1) | instskip(NEXT) | instid1(VALU_DEP_2)
	v_sub_co_u32 v18, vcc_lo, s36, v2
	v_sub_co_ci_u32_e32 v19, vcc_lo, s37, v3, vcc_lo
	v_mov_b32_e32 v2, 0
	v_mov_b32_e32 v3, 0
	s_mov_b64 s[78:79], 0
	s_mov_b32 s26, exec_lo
	s_delay_alu instid0(VALU_DEP_1)
	v_dual_mov_b32 v5, v3 :: v_dual_mov_b32 v4, v2
	v_dual_mov_b32 v7, v3 :: v_dual_mov_b32 v6, v2
	;; [unrolled: 1-line block ×3, first 2 shown]
	v_cmpx_gt_u64_e64 v[18:19], v[14:15]
	s_cbranch_execz .LBB138_56
; %bb.53:                               ;   in Loop: Header=BB138_18 Depth=1
	v_dual_mov_b32 v21, v15 :: v_dual_mov_b32 v20, v14
	s_and_b32 s61, s93, 0xfe
	s_mov_b32 s60, 0
	s_mov_b64 s[80:81], 0
	s_mov_b64 s[82:83], 0
	;; [unrolled: 1-line block ×3, first 2 shown]
.LBB138_54:                             ;   Parent Loop BB138_18 Depth=1
                                        ; =>  This Inner Loop Header: Depth=2
	v_mad_u64_u32 v[2:3], null, v20, s30, s[28:29]
	v_mul_lo_u32 v4, v20, s31
	v_mul_lo_u32 v5, v21, s30
	s_delay_alu instid0(VALU_DEP_1) | instskip(NEXT) | instid1(VALU_DEP_4)
	v_add3_u32 v3, v5, v3, v4
	v_add_co_u32 v4, vcc_lo, v2, s30
	s_delay_alu instid0(VALU_DEP_2)
	v_add_co_ci_u32_e32 v5, vcc_lo, s31, v3, vcc_lo
	s_clause 0x1
	global_load_i8 v6, v[2:3], off
	global_load_i8 v7, v[4:5], off
	v_add_co_u32 v2, vcc_lo, v4, s30
	v_add_co_ci_u32_e32 v3, vcc_lo, s31, v5, vcc_lo
	s_delay_alu instid0(VALU_DEP_2)
	v_add_co_u32 v4, vcc_lo, v2, s30
	global_load_i8 v2, v[2:3], off
	v_add_co_ci_u32_e32 v5, vcc_lo, s31, v3, vcc_lo
	v_add_co_u32 v20, vcc_lo, v20, s25
	v_add_co_ci_u32_e32 v21, vcc_lo, 0, v21, vcc_lo
	global_load_i8 v3, v[4:5], off
	v_cmp_ge_u64_e32 vcc_lo, v[20:21], v[18:19]
	s_waitcnt vmcnt(3)
	v_add_nc_u32_e32 v4, 0x80, v6
	s_waitcnt vmcnt(2)
	v_add_nc_u32_e32 v6, 0x80, v7
	s_delay_alu instid0(VALU_DEP_2) | instskip(SKIP_1) | instid1(VALU_DEP_2)
	v_and_b32_e32 v5, v4, v26
	v_bfe_u32 v4, v4, s61, 2
	v_cmp_eq_u32_e64 s7, v5, v27
	s_waitcnt vmcnt(1)
	v_add_nc_u32_e32 v2, 0x80, v2
	v_and_b32_e32 v5, v6, v26
	v_bfe_u32 v6, v6, s61, 2
	v_cmp_eq_u32_e64 s8, 0, v4
	v_cmp_eq_u32_e64 s9, 1, v4
	;; [unrolled: 1-line block ×4, first 2 shown]
	s_waitcnt vmcnt(0)
	v_add_nc_u32_e32 v3, 0x80, v3
	v_and_b32_e32 v4, v2, v26
	v_cmp_eq_u32_e64 s12, v5, v27
	v_bfe_u32 v2, v2, s61, 2
	v_cmp_eq_u32_e64 s13, 0, v6
	s_and_b32 s16, s7, s8
	v_cmp_eq_u32_e64 s8, 1, v6
	v_cndmask_b32_e64 v5, 0, 1, s16
	v_cmp_eq_u32_e64 s16, v4, v27
	v_and_b32_e32 v4, v3, v26
	v_bfe_u32 v3, v3, s61, 2
	v_cmp_eq_u32_e64 s17, 0, v2
	s_and_b32 s21, s12, s13
	v_cmp_eq_u32_e64 s13, 1, v2
	v_cmp_eq_u32_e64 s18, 2, v2
	;; [unrolled: 1-line block ×3, first 2 shown]
	v_cmp_ne_u32_e64 s20, 0, v5
	v_cndmask_b32_e64 v2, 0, 1, s21
	v_cmp_eq_u32_e64 s21, v4, v27
	v_cmp_eq_u32_e64 s22, 0, v3
	s_and_b32 s69, s16, s17
	s_bcnt1_i32_b32 s70, s20
	v_cmp_ne_u32_e64 s20, 0, v2
	v_cndmask_b32_e64 v2, 0, 1, s69
	s_and_b32 s22, s21, s22
	v_cmp_eq_u32_e64 s17, 1, v3
	v_cmp_eq_u32_e64 s23, 2, v3
	;; [unrolled: 1-line block ×3, first 2 shown]
	v_cndmask_b32_e64 v3, 0, 1, s22
	s_bcnt1_i32_b32 s22, s20
	v_cmp_ne_u32_e64 s20, 0, v2
	s_add_i32 s69, s22, s70
	v_cmp_eq_u32_e64 s14, 2, v6
	v_cmp_ne_u32_e64 s22, 0, v3
	v_cmp_eq_u32_e64 s15, 3, v6
	s_bcnt1_i32_b32 s20, s20
	s_delay_alu instid0(SALU_CYCLE_1) | instskip(NEXT) | instid1(VALU_DEP_2)
	s_add_i32 s20, s69, s20
	s_bcnt1_i32_b32 s22, s22
	s_delay_alu instid0(SALU_CYCLE_1) | instskip(NEXT) | instid1(SALU_CYCLE_1)
	s_add_i32 s20, s20, s22
	s_add_u32 s84, s84, s20
	s_addc_u32 s85, s85, 0
	s_and_b32 s9, s7, s9
	s_and_b32 s8, s12, s8
	;; [unrolled: 1-line block ×3, first 2 shown]
	v_cndmask_b32_e64 v2, 0, 1, s9
	v_cndmask_b32_e64 v3, 0, 1, s8
	s_and_b32 s17, s21, s17
	v_cndmask_b32_e64 v4, 0, 1, s13
	v_cndmask_b32_e64 v5, 0, 1, s17
	v_cmp_ne_u32_e64 s8, 0, v2
	v_cmp_ne_u32_e64 s9, 0, v3
	s_delay_alu instid0(VALU_DEP_4) | instskip(NEXT) | instid1(VALU_DEP_4)
	v_cmp_ne_u32_e64 s13, 0, v4
	v_cmp_ne_u32_e64 s17, 0, v5
	s_delay_alu instid0(VALU_DEP_4) | instskip(NEXT) | instid1(VALU_DEP_3)
	s_bcnt1_i32_b32 s8, s8
	s_bcnt1_i32_b32 s9, s9
	s_delay_alu instid0(VALU_DEP_2) | instskip(SKIP_3) | instid1(SALU_CYCLE_1)
	s_bcnt1_i32_b32 s13, s13
	s_add_i32 s8, s9, s8
	s_bcnt1_i32_b32 s17, s17
	s_add_i32 s8, s8, s13
	s_add_i32 s8, s8, s17
	s_delay_alu instid0(SALU_CYCLE_1)
	s_add_u32 s82, s82, s8
	s_addc_u32 s83, s83, 0
	s_and_b32 s8, s7, s10
	s_and_b32 s9, s12, s14
	;; [unrolled: 1-line block ×3, first 2 shown]
	v_cndmask_b32_e64 v2, 0, 1, s8
	v_cndmask_b32_e64 v3, 0, 1, s9
	s_and_b32 s13, s21, s23
	v_cndmask_b32_e64 v4, 0, 1, s10
	v_cndmask_b32_e64 v5, 0, 1, s13
	v_cmp_ne_u32_e64 s8, 0, v2
	v_cmp_ne_u32_e64 s9, 0, v3
	s_delay_alu instid0(VALU_DEP_4) | instskip(NEXT) | instid1(VALU_DEP_4)
	v_cmp_ne_u32_e64 s10, 0, v4
	v_cmp_ne_u32_e64 s13, 0, v5
	s_delay_alu instid0(VALU_DEP_4) | instskip(NEXT) | instid1(VALU_DEP_3)
	s_bcnt1_i32_b32 s8, s8
	s_bcnt1_i32_b32 s9, s9
	s_delay_alu instid0(VALU_DEP_2) | instskip(SKIP_3) | instid1(SALU_CYCLE_1)
	s_bcnt1_i32_b32 s10, s10
	s_add_i32 s8, s9, s8
	s_bcnt1_i32_b32 s13, s13
	s_add_i32 s8, s8, s10
	s_add_i32 s8, s8, s13
	s_delay_alu instid0(SALU_CYCLE_1)
	s_add_u32 s80, s80, s8
	s_addc_u32 s81, s81, 0
	s_and_b32 s7, s7, s11
	s_and_b32 s8, s12, s15
	;; [unrolled: 1-line block ×3, first 2 shown]
	v_cndmask_b32_e64 v2, 0, 1, s7
	v_cndmask_b32_e64 v3, 0, 1, s8
	s_and_b32 s10, s21, s24
	v_cndmask_b32_e64 v4, 0, 1, s9
	v_cndmask_b32_e64 v5, 0, 1, s10
	v_cmp_ne_u32_e64 s7, 0, v2
	v_cmp_ne_u32_e64 s8, 0, v3
	v_mov_b32_e32 v2, s84
	v_cmp_ne_u32_e64 s9, 0, v4
	v_cmp_ne_u32_e64 s10, 0, v5
	s_bcnt1_i32_b32 s7, s7
	s_bcnt1_i32_b32 s8, s8
	v_mov_b32_e32 v4, s82
	s_bcnt1_i32_b32 s9, s9
	s_add_i32 s7, s8, s7
	s_bcnt1_i32_b32 s8, s10
	s_add_i32 s7, s7, s9
	v_mov_b32_e32 v6, s80
	s_add_i32 s7, s7, s8
	v_mov_b32_e32 v3, s85
	s_add_u32 s78, s78, s7
	s_addc_u32 s79, s79, 0
	s_delay_alu instid0(SALU_CYCLE_1) | instskip(SKIP_3) | instid1(SALU_CYCLE_1)
	v_dual_mov_b32 v8, s78 :: v_dual_mov_b32 v9, s79
	v_mov_b32_e32 v5, s83
	v_mov_b32_e32 v7, s81
	s_or_b32 s60, vcc_lo, s60
	s_and_not1_b32 exec_lo, exec_lo, s60
	s_cbranch_execnz .LBB138_54
; %bb.55:                               ;   in Loop: Header=BB138_18 Depth=1
	s_or_b32 exec_lo, exec_lo, s60
.LBB138_56:                             ;   in Loop: Header=BB138_18 Depth=1
	s_delay_alu instid0(SALU_CYCLE_1) | instskip(SKIP_3) | instid1(VALU_DEP_2)
	s_or_b32 exec_lo, exec_lo, s26
	v_add_co_u32 v18, vcc_lo, v18, v0
	v_add_co_ci_u32_e32 v19, vcc_lo, 0, v19, vcc_lo
	v_dual_mov_b32 v21, 0 :: v_dual_and_b32 v12, 0xffff, v29
	v_cmp_gt_u64_e32 vcc_lo, s[36:37], v[18:19]
	s_and_saveexec_b32 s7, vcc_lo
	s_cbranch_execz .LBB138_58
; %bb.57:                               ;   in Loop: Header=BB138_18 Depth=1
	v_mad_u64_u32 v[20:21], null, v18, s30, s[28:29]
	v_mul_lo_u32 v29, v18, s31
	v_mul_lo_u32 v30, v19, s30
	s_delay_alu instid0(VALU_DEP_1)
	v_add3_u32 v21, v30, v21, v29
	global_load_u8 v21, v[20:21], off
.LBB138_58:                             ;   in Loop: Header=BB138_18 Depth=1
	s_or_b32 exec_lo, exec_lo, s7
	s_and_saveexec_b32 s11, vcc_lo
	s_cbranch_execz .LBB138_65
; %bb.59:                               ;   in Loop: Header=BB138_18 Depth=1
	s_and_b32 s13, s93, 0xfe
	s_mov_b32 s12, 0
	s_branch .LBB138_61
.LBB138_60:                             ;   in Loop: Header=BB138_61 Depth=2
	s_or_b32 exec_lo, exec_lo, s8
	s_waitcnt vmcnt(0)
	v_bfe_i32 v21, v21, 0, 8
	s_and_b32 s9, exec_lo, vcc_lo
	s_delay_alu instid0(SALU_CYCLE_1) | instskip(NEXT) | instid1(VALU_DEP_1)
	s_or_b32 s12, s9, s12
	v_add_nc_u32_e32 v21, 0x80, v21
	s_delay_alu instid0(VALU_DEP_1) | instskip(SKIP_1) | instid1(VALU_DEP_2)
	v_and_b32_e32 v29, v21, v26
	v_bfe_u32 v21, v21, s13, 2
	v_cmp_eq_u32_e64 s7, v29, v27
	s_delay_alu instid0(VALU_DEP_2) | instskip(SKIP_2) | instid1(VALU_DEP_3)
	v_cmp_eq_u32_e64 s8, 0, v21
	v_cmp_eq_u32_e32 vcc_lo, 1, v21
	v_cmp_eq_u32_e64 s9, 2, v21
	s_and_b32 s8, s7, s8
	s_delay_alu instid0(SALU_CYCLE_1) | instskip(SKIP_4) | instid1(SALU_CYCLE_1)
	v_cndmask_b32_e64 v29, 0, 1, s8
	s_and_b32 s8, s7, vcc_lo
	v_cmp_eq_u32_e32 vcc_lo, 3, v21
	v_cndmask_b32_e64 v30, 0, 1, s8
	s_and_b32 s8, s7, s9
	v_cndmask_b32_e64 v31, 0, 1, s8
	v_cmp_ne_u32_e64 s8, 0, v29
	s_delay_alu instid0(VALU_DEP_3) | instskip(SKIP_1) | instid1(SALU_CYCLE_1)
	v_cmp_ne_u32_e64 s9, 0, v30
	s_and_b32 s7, s7, vcc_lo
	v_cndmask_b32_e64 v21, 0, 1, s7
	s_delay_alu instid0(VALU_DEP_3)
	s_bcnt1_i32_b32 s7, s8
	v_cmp_ne_u32_e64 s10, 0, v31
	v_add_co_u32 v2, vcc_lo, v2, s7
	s_bcnt1_i32_b32 s8, s9
	v_add_co_ci_u32_e32 v3, vcc_lo, 0, v3, vcc_lo
	v_add_co_u32 v4, vcc_lo, v4, s8
	v_add_co_ci_u32_e32 v5, vcc_lo, 0, v5, vcc_lo
	s_bcnt1_i32_b32 s9, s10
	v_cmp_ne_u32_e32 vcc_lo, 0, v21
	v_add_co_u32 v6, s7, v6, s9
	s_delay_alu instid0(VALU_DEP_1)
	v_add_co_ci_u32_e64 v7, s7, 0, v7, s7
	s_bcnt1_i32_b32 s7, vcc_lo
	v_mov_b32_e32 v21, v20
	v_add_co_u32 v8, vcc_lo, v8, s7
	v_add_co_ci_u32_e32 v9, vcc_lo, 0, v9, vcc_lo
	s_and_not1_b32 exec_lo, exec_lo, s12
	s_cbranch_execz .LBB138_64
.LBB138_61:                             ;   Parent Loop BB138_18 Depth=1
                                        ; =>  This Inner Loop Header: Depth=2
	v_add_co_u32 v18, vcc_lo, v18, v12
	v_add_co_ci_u32_e32 v19, vcc_lo, 0, v19, vcc_lo
	v_mov_b32_e32 v20, 0
	s_mov_b32 s8, exec_lo
	s_delay_alu instid0(VALU_DEP_2)
	v_cmp_le_u64_e32 vcc_lo, s[36:37], v[18:19]
	v_cmpx_gt_u64_e64 s[36:37], v[18:19]
	s_cbranch_execz .LBB138_60
; %bb.62:                               ;   in Loop: Header=BB138_61 Depth=2
	v_mad_u64_u32 v[29:30], null, v18, s30, s[28:29]
	v_mul_lo_u32 v20, v18, s31
	v_mul_lo_u32 v31, v19, s30
	s_delay_alu instid0(VALU_DEP_1)
	v_add3_u32 v30, v31, v30, v20
	global_load_u8 v20, v[29:30], off
	s_branch .LBB138_60
.LBB138_63:                             ;   in Loop: Header=BB138_18 Depth=1
                                        ; implicit-def: $vgpr8_vgpr9
                                        ; implicit-def: $vgpr4_vgpr5
	s_cbranch_execnz .LBB138_66
	s_branch .LBB138_75
.LBB138_64:                             ;   in Loop: Header=BB138_18 Depth=1
	s_or_b32 exec_lo, exec_lo, s12
.LBB138_65:                             ;   in Loop: Header=BB138_18 Depth=1
	s_delay_alu instid0(SALU_CYCLE_1)
	s_or_b32 exec_lo, exec_lo, s11
	s_branch .LBB138_75
.LBB138_66:                             ;   in Loop: Header=BB138_18 Depth=1
	global_load_u16 v12, v13, s[74:75]
	s_mov_b64 s[78:79], 0
	s_mov_b32 s61, exec_lo
	s_waitcnt vmcnt(0)
	v_readfirstlane_b32 s7, v12
	s_delay_alu instid0(VALU_DEP_1) | instskip(NEXT) | instid1(SALU_CYCLE_1)
	s_and_b32 s7, 0xffff, s7
	s_lshl_b32 s60, s7, 2
	s_delay_alu instid0(SALU_CYCLE_1) | instskip(SKIP_1) | instid1(VALU_DEP_1)
	v_cvt_f32_u32_e32 v2, s60
	s_sub_i32 s8, 0, s60
	v_rcp_iflag_f32_e32 v2, v2
	s_waitcnt_depctr 0xfff
	v_mul_f32_e32 v2, 0x4f7ffffe, v2
	s_delay_alu instid0(VALU_DEP_1) | instskip(NEXT) | instid1(VALU_DEP_1)
	v_cvt_u32_f32_e32 v2, v2
	v_readfirstlane_b32 s7, v2
	v_mov_b32_e32 v2, 0
	v_mov_b32_e32 v3, 0
	s_delay_alu instid0(VALU_DEP_3) | instskip(NEXT) | instid1(VALU_DEP_1)
	s_mul_i32 s8, s8, s7
	v_dual_mov_b32 v5, v3 :: v_dual_mov_b32 v4, v2
	s_mul_hi_u32 s8, s7, s8
	v_dual_mov_b32 v7, v3 :: v_dual_mov_b32 v6, v2
	s_add_i32 s7, s7, s8
	v_dual_mov_b32 v9, v3 :: v_dual_mov_b32 v8, v2
	s_mul_hi_u32 s7, s76, s7
	s_delay_alu instid0(SALU_CYCLE_1) | instskip(NEXT) | instid1(SALU_CYCLE_1)
	s_mul_i32 s7, s7, s60
	s_sub_i32 s7, s76, s7
	s_delay_alu instid0(SALU_CYCLE_1) | instskip(SKIP_2) | instid1(SALU_CYCLE_1)
	s_sub_i32 s8, s7, s60
	s_cmp_ge_u32 s7, s60
	s_cselect_b32 s7, s8, s7
	s_sub_i32 s8, s7, s60
	s_cmp_ge_u32 s7, s60
	s_cselect_b32 s7, s8, s7
	s_delay_alu instid0(SALU_CYCLE_1) | instskip(NEXT) | instid1(SALU_CYCLE_1)
	s_sub_i32 s72, s76, s7
	v_cmpx_gt_u32_e64 s72, v14
	s_cbranch_execz .LBB138_70
; %bb.67:                               ;   in Loop: Header=BB138_18 Depth=1
	v_dual_mov_b32 v20, v14 :: v_dual_mov_b32 v19, v15
	v_mov_b32_e32 v18, v14
	s_and_b32 s70, s93, 0xfe
	s_mov_b32 s69, 0
	s_mov_b64 s[80:81], 0
	s_mov_b64 s[82:83], 0
	;; [unrolled: 1-line block ×3, first 2 shown]
.LBB138_68:                             ;   Parent Loop BB138_18 Depth=1
                                        ; =>  This Inner Loop Header: Depth=2
	ds_load_b32 v2, v20
	v_add_co_u32 v18, vcc_lo, v18, s60
	v_add_co_ci_u32_e32 v19, vcc_lo, 0, v19, vcc_lo
	s_delay_alu instid0(VALU_DEP_1)
	v_cmp_le_u64_e32 vcc_lo, s[72:73], v[18:19]
	s_waitcnt lgkmcnt(0)
	v_bfe_i32 v3, v2, 0, 8
	v_bfe_i32 v4, v2, 8, 8
	v_bfe_i32 v5, v2, 16, 8
	v_ashrrev_i32_e32 v2, 24, v2
	s_delay_alu instid0(VALU_DEP_4) | instskip(NEXT) | instid1(VALU_DEP_4)
	v_add_nc_u32_e32 v3, 0x80, v3
	v_add_nc_u32_e32 v4, 0x80, v4
	s_delay_alu instid0(VALU_DEP_4) | instskip(NEXT) | instid1(VALU_DEP_4)
	v_add_nc_u32_e32 v5, 0x80, v5
	v_add_nc_u32_e32 v2, 0x80, v2
	s_delay_alu instid0(VALU_DEP_4) | instskip(NEXT) | instid1(VALU_DEP_4)
	v_and_b32_e32 v6, v3, v26
	v_and_b32_e32 v7, v4, v26
	v_bfe_u32 v3, v3, s70, 2
	v_bfe_u32 v4, v4, s70, 2
	v_and_b32_e32 v8, v5, v26
	v_bfe_u32 v5, v5, s70, 2
	v_and_b32_e32 v9, v2, v26
	v_bfe_u32 v2, v2, s70, 2
	v_cmp_eq_u32_e64 s7, v6, v27
	v_cmp_eq_u32_e64 s8, v7, v27
	;; [unrolled: 1-line block ×8, first 2 shown]
	s_and_b32 s11, s7, s11
	s_and_b32 s12, s8, s12
	v_cmp_eq_u32_e64 s15, 1, v3
	v_cmp_eq_u32_e64 s18, 1, v2
	;; [unrolled: 1-line block ×6, first 2 shown]
	s_and_b32 s13, s9, s13
	v_cndmask_b32_e64 v2, 0, 1, s11
	v_cndmask_b32_e64 v3, 0, 1, s12
	v_cmp_eq_u32_e64 s16, 1, v4
	v_cmp_eq_u32_e64 s20, 2, v4
	;; [unrolled: 1-line block ×3, first 2 shown]
	s_and_b32 s14, s10, s14
	v_cndmask_b32_e64 v4, 0, 1, s13
	v_cmp_eq_u32_e64 s17, 1, v5
	v_cmp_eq_u32_e64 s21, 2, v5
	;; [unrolled: 1-line block ×3, first 2 shown]
	v_cndmask_b32_e64 v5, 0, 1, s14
	v_cmp_ne_u32_e64 s11, 0, v2
	v_cmp_ne_u32_e64 s12, 0, v3
	;; [unrolled: 1-line block ×3, first 2 shown]
	s_delay_alu instid0(VALU_DEP_4) | instskip(NEXT) | instid1(VALU_DEP_4)
	v_cmp_ne_u32_e64 s14, 0, v5
	s_bcnt1_i32_b32 s11, s11
	s_delay_alu instid0(VALU_DEP_3) | instskip(NEXT) | instid1(VALU_DEP_2)
	s_bcnt1_i32_b32 s12, s12
	s_bcnt1_i32_b32 s13, s13
	s_add_i32 s11, s12, s11
	s_bcnt1_i32_b32 s14, s14
	s_add_i32 s11, s11, s13
	s_delay_alu instid0(SALU_CYCLE_1) | instskip(NEXT) | instid1(SALU_CYCLE_1)
	s_add_i32 s11, s11, s14
	s_add_u32 s84, s84, s11
	s_addc_u32 s85, s85, 0
	s_and_b32 s11, s7, s15
	s_and_b32 s12, s8, s16
	;; [unrolled: 1-line block ×3, first 2 shown]
	v_cndmask_b32_e64 v2, 0, 1, s11
	v_cndmask_b32_e64 v3, 0, 1, s12
	s_and_b32 s14, s10, s18
	v_cndmask_b32_e64 v4, 0, 1, s13
	v_cndmask_b32_e64 v5, 0, 1, s14
	v_cmp_ne_u32_e64 s11, 0, v2
	v_cmp_ne_u32_e64 s12, 0, v3
	v_add_nc_u32_e32 v20, s60, v20
	v_cmp_ne_u32_e64 s13, 0, v4
	v_cmp_ne_u32_e64 s14, 0, v5
	s_bcnt1_i32_b32 s11, s11
	s_bcnt1_i32_b32 s12, s12
	s_delay_alu instid0(VALU_DEP_2) | instskip(SKIP_3) | instid1(SALU_CYCLE_1)
	s_bcnt1_i32_b32 s13, s13
	s_add_i32 s11, s12, s11
	s_bcnt1_i32_b32 s14, s14
	s_add_i32 s11, s11, s13
	s_add_i32 s11, s11, s14
	s_delay_alu instid0(SALU_CYCLE_1)
	s_add_u32 s82, s82, s11
	s_addc_u32 s83, s83, 0
	s_and_b32 s11, s7, s19
	s_and_b32 s12, s8, s20
	;; [unrolled: 1-line block ×3, first 2 shown]
	v_cndmask_b32_e64 v2, 0, 1, s11
	v_cndmask_b32_e64 v3, 0, 1, s12
	s_and_b32 s14, s10, s22
	v_cndmask_b32_e64 v4, 0, 1, s13
	v_cndmask_b32_e64 v5, 0, 1, s14
	v_cmp_ne_u32_e64 s11, 0, v2
	v_cmp_ne_u32_e64 s12, 0, v3
	s_delay_alu instid0(VALU_DEP_4) | instskip(NEXT) | instid1(VALU_DEP_4)
	v_cmp_ne_u32_e64 s13, 0, v4
	v_cmp_ne_u32_e64 s14, 0, v5
	s_delay_alu instid0(VALU_DEP_4) | instskip(NEXT) | instid1(VALU_DEP_3)
	s_bcnt1_i32_b32 s11, s11
	s_bcnt1_i32_b32 s12, s12
	s_delay_alu instid0(VALU_DEP_2) | instskip(SKIP_3) | instid1(SALU_CYCLE_1)
	s_bcnt1_i32_b32 s13, s13
	s_add_i32 s11, s12, s11
	s_bcnt1_i32_b32 s14, s14
	s_add_i32 s11, s11, s13
	s_add_i32 s11, s11, s14
	s_delay_alu instid0(SALU_CYCLE_1)
	s_add_u32 s80, s80, s11
	s_addc_u32 s81, s81, 0
	s_and_b32 s7, s7, s23
	s_and_b32 s8, s8, s24
	;; [unrolled: 1-line block ×3, first 2 shown]
	v_cndmask_b32_e64 v2, 0, 1, s7
	v_cndmask_b32_e64 v3, 0, 1, s8
	s_and_b32 s10, s10, s26
	v_cndmask_b32_e64 v4, 0, 1, s9
	v_cndmask_b32_e64 v5, 0, 1, s10
	v_cmp_ne_u32_e64 s7, 0, v2
	v_cmp_ne_u32_e64 s8, 0, v3
	v_dual_mov_b32 v2, s84 :: v_dual_mov_b32 v3, s85
	v_cmp_ne_u32_e64 s9, 0, v4
	v_cmp_ne_u32_e64 s10, 0, v5
	s_bcnt1_i32_b32 s7, s7
	s_bcnt1_i32_b32 s8, s8
	v_mov_b32_e32 v4, s82
	s_bcnt1_i32_b32 s9, s9
	s_add_i32 s7, s8, s7
	s_bcnt1_i32_b32 s8, s10
	s_add_i32 s7, s7, s9
	v_mov_b32_e32 v6, s80
	s_add_i32 s7, s7, s8
	v_mov_b32_e32 v5, s83
	s_add_u32 s78, s78, s7
	s_addc_u32 s79, s79, 0
	v_dual_mov_b32 v8, s78 :: v_dual_mov_b32 v7, s81
	v_mov_b32_e32 v9, s79
	s_or_b32 s69, vcc_lo, s69
	s_delay_alu instid0(SALU_CYCLE_1)
	s_and_not1_b32 exec_lo, exec_lo, s69
	s_cbranch_execnz .LBB138_68
; %bb.69:                               ;   in Loop: Header=BB138_18 Depth=1
	s_or_b32 exec_lo, exec_lo, s69
.LBB138_70:                             ;   in Loop: Header=BB138_18 Depth=1
	s_delay_alu instid0(SALU_CYCLE_1) | instskip(SKIP_3) | instid1(VALU_DEP_1)
	s_or_b32 exec_lo, exec_lo, s61
	v_and_b32_e32 v20, 0xffff, v12
	v_add_nc_u32_e32 v12, s72, v0
	s_mov_b32 s14, exec_lo
	v_cmpx_gt_u32_e64 s76, v12
	s_cbranch_execz .LBB138_74
; %bb.71:                               ;   in Loop: Header=BB138_18 Depth=1
	v_dual_mov_b32 v19, v13 :: v_dual_mov_b32 v18, v12
	s_mov_b32 s13, 0
	s_and_b32 s12, s76, 0x7fffffff
	s_and_b32 s16, s93, 0xfe
	s_mov_b32 s15, s13
.LBB138_72:                             ;   Parent Loop BB138_18 Depth=1
                                        ; =>  This Inner Loop Header: Depth=2
	ds_load_i8 v21, v12
	v_add_co_u32 v18, vcc_lo, v18, v20
	v_add_co_ci_u32_e32 v19, vcc_lo, 0, v19, vcc_lo
	v_add_nc_u32_e32 v12, v12, v20
	s_delay_alu instid0(VALU_DEP_2) | instskip(SKIP_2) | instid1(VALU_DEP_1)
	v_cmp_le_u64_e32 vcc_lo, s[12:13], v[18:19]
	s_waitcnt lgkmcnt(0)
	v_add_nc_u32_e32 v21, 0x80, v21
	v_and_b32_e32 v29, v21, v26
	v_bfe_u32 v21, v21, s16, 2
	s_delay_alu instid0(VALU_DEP_2) | instskip(NEXT) | instid1(VALU_DEP_2)
	v_cmp_eq_u32_e64 s7, v29, v27
	v_cmp_eq_u32_e64 s8, 0, v21
	;; [unrolled: 1-line block ×5, first 2 shown]
	s_delay_alu instid0(VALU_DEP_4) | instskip(NEXT) | instid1(SALU_CYCLE_1)
	s_and_b32 s8, s7, s8
	v_cndmask_b32_e64 v21, 0, 1, s8
	s_and_b32 s8, s7, s9
	s_delay_alu instid0(SALU_CYCLE_1)
	v_cndmask_b32_e64 v29, 0, 1, s8
	s_and_b32 s8, s7, s10
	s_and_b32 s7, s7, s11
	v_cndmask_b32_e64 v30, 0, 1, s8
	v_cndmask_b32_e64 v31, 0, 1, s7
	v_cmp_ne_u32_e64 s7, 0, v21
	v_cmp_ne_u32_e64 s8, 0, v29
	s_delay_alu instid0(VALU_DEP_4) | instskip(NEXT) | instid1(VALU_DEP_4)
	v_cmp_ne_u32_e64 s9, 0, v30
	v_cmp_ne_u32_e64 s10, 0, v31
	s_delay_alu instid0(VALU_DEP_4) | instskip(NEXT) | instid1(VALU_DEP_3)
	s_bcnt1_i32_b32 s7, s7
	s_bcnt1_i32_b32 s8, s8
	v_add_co_u32 v2, s7, v2, s7
	s_delay_alu instid0(VALU_DEP_1)
	v_add_co_ci_u32_e64 v3, s7, 0, v3, s7
	v_add_co_u32 v4, s7, v4, s8
	s_bcnt1_i32_b32 s9, s9
	v_add_co_ci_u32_e64 v5, s7, 0, v5, s7
	v_add_co_u32 v6, s7, v6, s9
	s_bcnt1_i32_b32 s10, s10
	v_add_co_ci_u32_e64 v7, s7, 0, v7, s7
	v_add_co_u32 v8, s7, v8, s10
	s_delay_alu instid0(VALU_DEP_1) | instskip(SKIP_1) | instid1(SALU_CYCLE_1)
	v_add_co_ci_u32_e64 v9, s7, 0, v9, s7
	s_or_b32 s15, vcc_lo, s15
	s_and_not1_b32 exec_lo, exec_lo, s15
	s_cbranch_execnz .LBB138_72
; %bb.73:                               ;   in Loop: Header=BB138_18 Depth=1
	s_or_b32 exec_lo, exec_lo, s15
.LBB138_74:                             ;   in Loop: Header=BB138_18 Depth=1
	s_delay_alu instid0(SALU_CYCLE_1)
	s_or_b32 exec_lo, exec_lo, s14
.LBB138_75:                             ;   in Loop: Header=BB138_18 Depth=1
	s_lshl_b32 s7, s97, 7
	s_and_saveexec_b32 s8, s2
	s_cbranch_execz .LBB138_77
; %bb.76:                               ;   in Loop: Header=BB138_18 Depth=1
	v_or_b32_e32 v12, s7, v24
	s_delay_alu instid0(VALU_DEP_1)
	v_lshlrev_b32_e32 v12, 3, v12
	ds_store_b128 v12, v[2:5] offset:3072
	ds_store_b128 v12, v[6:9] offset:3088
.LBB138_77:                             ;   in Loop: Header=BB138_18 Depth=1
	s_or_b32 exec_lo, exec_lo, s8
	s_waitcnt vmcnt(0) lgkmcnt(0)
	s_barrier
	buffer_gl0_inv
	s_and_saveexec_b32 s8, s57
	s_cbranch_execz .LBB138_88
; %bb.78:                               ;   in Loop: Header=BB138_18 Depth=1
	v_mov_b32_e32 v2, 0
	v_mov_b32_e32 v3, 0
	s_and_not1_b32 vcc_lo, exec_lo, s89
	s_cbranch_vccnz .LBB138_87
; %bb.79:                               ;   in Loop: Header=BB138_18 Depth=1
	v_mov_b32_e32 v2, 0
	v_mov_b32_e32 v3, 0
	s_and_not1_b32 vcc_lo, exec_lo, s91
	s_cbranch_vccnz .LBB138_84
; %bb.80:                               ;   in Loop: Header=BB138_18 Depth=1
	v_lshl_add_u32 v4, s97, 10, v25
	s_mov_b32 s9, 0
	s_set_inst_prefetch_distance 0x1
	.p2align	6
.LBB138_81:                             ;   Parent Loop BB138_18 Depth=1
                                        ; =>  This Inner Loop Header: Depth=2
	ds_load_2addr_b64 v[5:8], v4 offset1:4
	ds_load_2addr_b64 v[18:21], v4 offset0:8 offset1:12
	ds_load_2addr_b64 v[29:32], v4 offset0:16 offset1:20
	s_add_i32 s9, s9, 8
	s_delay_alu instid0(SALU_CYCLE_1) | instskip(SKIP_3) | instid1(VALU_DEP_2)
	s_cmp_eq_u32 s92, s9
	s_waitcnt lgkmcnt(2)
	v_add_co_u32 v2, vcc_lo, v5, v2
	v_add_co_ci_u32_e32 v3, vcc_lo, v6, v3, vcc_lo
	v_add_co_u32 v2, vcc_lo, v7, v2
	s_delay_alu instid0(VALU_DEP_2)
	v_add_co_ci_u32_e32 v3, vcc_lo, v8, v3, vcc_lo
	ds_load_2addr_b64 v[5:8], v4 offset0:24 offset1:28
	s_waitcnt lgkmcnt(2)
	v_add_co_u32 v2, vcc_lo, v18, v2
	v_add_co_ci_u32_e32 v3, vcc_lo, v19, v3, vcc_lo
	v_add_nc_u32_e32 v4, 0x100, v4
	s_delay_alu instid0(VALU_DEP_3) | instskip(NEXT) | instid1(VALU_DEP_3)
	v_add_co_u32 v2, vcc_lo, v20, v2
	v_add_co_ci_u32_e32 v3, vcc_lo, v21, v3, vcc_lo
	s_waitcnt lgkmcnt(1)
	s_delay_alu instid0(VALU_DEP_2) | instskip(NEXT) | instid1(VALU_DEP_2)
	v_add_co_u32 v2, vcc_lo, v29, v2
	v_add_co_ci_u32_e32 v3, vcc_lo, v30, v3, vcc_lo
	s_delay_alu instid0(VALU_DEP_2) | instskip(NEXT) | instid1(VALU_DEP_2)
	v_add_co_u32 v2, vcc_lo, v31, v2
	v_add_co_ci_u32_e32 v3, vcc_lo, v32, v3, vcc_lo
	s_waitcnt lgkmcnt(0)
	s_delay_alu instid0(VALU_DEP_2) | instskip(NEXT) | instid1(VALU_DEP_2)
	v_add_co_u32 v2, vcc_lo, v5, v2
	v_add_co_ci_u32_e32 v3, vcc_lo, v6, v3, vcc_lo
	s_delay_alu instid0(VALU_DEP_2) | instskip(NEXT) | instid1(VALU_DEP_2)
	v_add_co_u32 v2, vcc_lo, v7, v2
	v_add_co_ci_u32_e32 v3, vcc_lo, v8, v3, vcc_lo
	s_cbranch_scc0 .LBB138_81
; %bb.82:                               ;   in Loop: Header=BB138_18 Depth=1
	s_set_inst_prefetch_distance 0x2
	s_mov_b32 s9, s92
	s_and_not1_b32 vcc_lo, exec_lo, s95
	s_cbranch_vccz .LBB138_85
	s_branch .LBB138_87
.LBB138_83:                             ;   in Loop: Header=BB138_18 Depth=1
                                        ; implicit-def: $vgpr2_vgpr3
	s_branch .LBB138_51
.LBB138_84:                             ;   in Loop: Header=BB138_18 Depth=1
	s_mov_b32 s9, 0
	s_and_not1_b32 vcc_lo, exec_lo, s95
	s_cbranch_vccnz .LBB138_87
.LBB138_85:                             ;   in Loop: Header=BB138_18 Depth=1
	s_lshl_b32 s10, s97, 10
	s_lshl_b32 s9, s9, 5
	s_delay_alu instid0(SALU_CYCLE_1)
	v_add3_u32 v4, s10, s9, v25
	s_mov_b32 s9, s90
.LBB138_86:                             ;   Parent Loop BB138_18 Depth=1
                                        ; =>  This Inner Loop Header: Depth=2
	ds_load_b64 v[5:6], v4
	v_add_nc_u32_e32 v4, 32, v4
	s_add_i32 s9, s9, -1
	s_delay_alu instid0(SALU_CYCLE_1)
	s_cmp_lg_u32 s9, 0
	s_waitcnt lgkmcnt(0)
	v_add_co_u32 v2, vcc_lo, v5, v2
	v_add_co_ci_u32_e32 v3, vcc_lo, v6, v3, vcc_lo
	s_cbranch_scc1 .LBB138_86
.LBB138_87:                             ;   in Loop: Header=BB138_18 Depth=1
	v_add_lshl_u32 v4, s7, v23, 3
	ds_store_b64 v4, v[2:3] offset:3072
.LBB138_88:                             ;   in Loop: Header=BB138_18 Depth=1
	s_or_b32 exec_lo, exec_lo, s8
	s_lshl_b32 s7, s7, 3
	s_waitcnt lgkmcnt(0)
	v_mov_b32_e32 v6, s7
	s_barrier
	buffer_gl0_inv
	s_and_b32 s22, s93, 0xfe
	v_cmp_eq_u64_e64 s7, 1, v[16:17]
	ds_load_b128 v[2:5], v6 offset:3072
	ds_load_b128 v[6:9], v6 offset:3088
	s_lshl_b32 s20, 3, s22
	s_and_not1_b32 vcc_lo, exec_lo, s35
	s_not_b32 s21, s20
	s_waitcnt lgkmcnt(1)
	v_readfirstlane_b32 s11, v3
	v_readfirstlane_b32 s10, v2
	;; [unrolled: 1-line block ×4, first 2 shown]
	s_waitcnt lgkmcnt(0)
	v_readfirstlane_b32 s15, v7
	v_readfirstlane_b32 s14, v6
	;; [unrolled: 1-line block ×4, first 2 shown]
	s_cbranch_vccnz .LBB138_104
; %bb.89:                               ;   in Loop: Header=BB138_18 Depth=1
	s_cmp_eq_u64 s[10:11], 1
	v_dual_mov_b32 v8, v27 :: v_dual_mov_b32 v9, v26
	v_mov_b32_e32 v18, v28
	s_cselect_b32 s8, -1, 0
                                        ; implicit-def: $sgpr23
                                        ; implicit-def: $sgpr72
                                        ; implicit-def: $sgpr69
	s_delay_alu instid0(SALU_CYCLE_1)
	s_and_b32 s70, s8, s7
	s_mov_b32 s8, -1
	s_and_saveexec_b32 s24, s70
	s_cbranch_execz .LBB138_123
; %bb.90:                               ;   in Loop: Header=BB138_18 Depth=1
	ds_load_b64 v[2:3], v13 offset:5120
	s_waitcnt lgkmcnt(0)
	s_barrier
	buffer_gl0_inv
	v_readfirstlane_b32 s18, v2
	v_readfirstlane_b32 s19, v3
	s_and_saveexec_b32 s8, s6
	s_cbranch_execz .LBB138_92
; %bb.91:                               ;   in Loop: Header=BB138_18 Depth=1
	ds_store_b8 v0, v13 offset:3072
.LBB138_92:                             ;   in Loop: Header=BB138_18 Depth=1
	s_or_b32 exec_lo, exec_lo, s8
	v_and_b32_e32 v8, s21, v27
	v_or_b32_e32 v9, s20, v26
	s_cmp_eq_u64 s[18:19], 0
	s_waitcnt lgkmcnt(0)
	s_barrier
	buffer_gl0_inv
	s_cbranch_scc1 .LBB138_106
; %bb.93:                               ;   in Loop: Header=BB138_18 Depth=1
	s_add_u32 s23, s86, s18
	s_addc_u32 s9, s87, s19
	s_mov_b32 s8, s73
	s_delay_alu instid0(SALU_CYCLE_1)
	s_cmp_lg_u64 s[8:9], 0
	s_cbranch_scc0 .LBB138_150
; %bb.94:                               ;   in Loop: Header=BB138_18 Depth=1
	v_cvt_f32_u32_e32 v2, s33
	s_sub_u32 s26, 0, s33
	s_subb_u32 s48, 0, 0
	s_delay_alu instid0(VALU_DEP_1) | instskip(NEXT) | instid1(VALU_DEP_1)
	v_fmac_f32_e64 v2, 0, 0x4f800000
	v_rcp_f32_e32 v2, v2
	s_waitcnt_depctr 0xfff
	v_mul_f32_e32 v2, 0x5f7ffffc, v2
	s_delay_alu instid0(VALU_DEP_1) | instskip(NEXT) | instid1(VALU_DEP_1)
	v_mul_f32_e32 v3, 0x2f800000, v2
	v_trunc_f32_e32 v3, v3
	s_delay_alu instid0(VALU_DEP_1) | instskip(SKIP_1) | instid1(VALU_DEP_2)
	v_fmac_f32_e32 v2, 0xcf800000, v3
	v_cvt_u32_f32_e32 v3, v3
	v_cvt_u32_f32_e32 v2, v2
	s_delay_alu instid0(VALU_DEP_2) | instskip(NEXT) | instid1(VALU_DEP_2)
	v_readfirstlane_b32 s8, v3
	v_readfirstlane_b32 s25, v2
	s_delay_alu instid0(VALU_DEP_2) | instskip(NEXT) | instid1(VALU_DEP_1)
	s_mul_i32 s49, s26, s8
	s_mul_hi_u32 s51, s26, s25
	s_mul_i32 s50, s48, s25
	s_add_i32 s49, s51, s49
	s_mul_i32 s52, s26, s25
	s_add_i32 s49, s49, s50
	s_mul_hi_u32 s51, s25, s52
	s_mul_hi_u32 s53, s8, s52
	s_mul_i32 s50, s8, s52
	s_mul_hi_u32 s52, s25, s49
	s_mul_i32 s25, s25, s49
	s_mul_hi_u32 s54, s8, s49
	s_add_u32 s25, s51, s25
	s_addc_u32 s51, 0, s52
	s_add_u32 s25, s25, s50
	s_mul_i32 s49, s8, s49
	s_addc_u32 s25, s51, s53
	s_addc_u32 s50, s54, 0
	s_add_u32 s25, s25, s49
	s_addc_u32 s49, 0, s50
	v_add_co_u32 v2, s25, v2, s25
	s_delay_alu instid0(VALU_DEP_1) | instskip(SKIP_1) | instid1(VALU_DEP_1)
	s_cmp_lg_u32 s25, 0
	s_addc_u32 s8, s8, s49
	v_readfirstlane_b32 s25, v2
	s_mul_i32 s49, s26, s8
	s_delay_alu instid0(VALU_DEP_1)
	s_mul_hi_u32 s50, s26, s25
	s_mul_i32 s48, s48, s25
	s_add_i32 s49, s50, s49
	s_mul_i32 s26, s26, s25
	s_add_i32 s49, s49, s48
	s_mul_hi_u32 s50, s8, s26
	s_mul_i32 s51, s8, s26
	s_mul_hi_u32 s26, s25, s26
	s_mul_hi_u32 s52, s25, s49
	s_mul_i32 s25, s25, s49
	s_mul_hi_u32 s48, s8, s49
	s_add_u32 s25, s26, s25
	s_addc_u32 s26, 0, s52
	s_add_u32 s25, s25, s51
	s_mul_i32 s49, s8, s49
	s_addc_u32 s25, s26, s50
	s_addc_u32 s26, s48, 0
	s_add_u32 s25, s25, s49
	s_addc_u32 s26, 0, s26
	v_add_co_u32 v2, s25, v2, s25
	s_delay_alu instid0(VALU_DEP_1) | instskip(SKIP_1) | instid1(VALU_DEP_1)
	s_cmp_lg_u32 s25, 0
	s_addc_u32 s8, s8, s26
	v_readfirstlane_b32 s25, v2
	s_mul_i32 s48, s23, s8
	s_mul_hi_u32 s26, s23, s8
	s_mul_hi_u32 s49, s9, s8
	s_mul_i32 s8, s9, s8
	s_mul_hi_u32 s50, s23, s25
	s_mul_hi_u32 s51, s9, s25
	s_mul_i32 s25, s9, s25
	s_add_u32 s48, s50, s48
	s_addc_u32 s26, 0, s26
	s_add_u32 s25, s48, s25
	s_addc_u32 s25, s26, s51
	s_addc_u32 s26, s49, 0
	s_add_u32 s8, s25, s8
	s_addc_u32 s25, 0, s26
	s_mul_hi_u32 s26, s33, s8
	s_mul_i32 s8, s33, s8
	s_mul_i32 s25, s33, s25
	v_sub_co_u32 v2, s8, s23, s8
	s_add_i32 s26, s26, s25
	s_cmp_lg_u32 s8, 0
	s_delay_alu instid0(VALU_DEP_1) | instskip(SKIP_2) | instid1(VALU_DEP_1)
	v_sub_co_u32 v3, s8, v2, s33
	s_subb_u32 s25, s9, s26
	s_cmp_lg_u32 s8, 0
	v_cmp_le_u32_e32 vcc_lo, s33, v3
	v_sub_co_u32 v4, s8, v3, s33
	s_subb_u32 s26, s25, 0
	s_cmp_lg_u32 s8, 0
	v_cndmask_b32_e64 v5, 0, -1, vcc_lo
	s_subb_u32 s8, s26, 0
	s_cmp_eq_u32 s26, 0
	v_mov_b32_e32 v7, s8
	s_cselect_b32 vcc_lo, -1, 0
	s_cmp_eq_u32 s25, 0
	v_cndmask_b32_e32 v5, -1, v5, vcc_lo
	v_cmp_le_u32_e32 vcc_lo, s33, v2
	s_cselect_b32 s8, -1, 0
	v_cndmask_b32_e64 v6, 0, -1, vcc_lo
	s_delay_alu instid0(VALU_DEP_3) | instskip(NEXT) | instid1(VALU_DEP_2)
	v_cmp_ne_u32_e32 vcc_lo, 0, v5
	v_cndmask_b32_e64 v5, -1, v6, s8
	v_cndmask_b32_e32 v6, s26, v7, vcc_lo
	v_cndmask_b32_e32 v4, v3, v4, vcc_lo
	s_delay_alu instid0(VALU_DEP_3) | instskip(NEXT) | instid1(VALU_DEP_3)
	v_cmp_ne_u32_e32 vcc_lo, 0, v5
	v_cndmask_b32_e32 v3, s25, v6, vcc_lo
	s_delay_alu instid0(VALU_DEP_3)
	v_cndmask_b32_e32 v2, v2, v4, vcc_lo
	s_cbranch_execnz .LBB138_96
.LBB138_95:                             ;   in Loop: Header=BB138_18 Depth=1
	v_cvt_f32_u32_e32 v2, s33
	s_sub_i32 s8, 0, s33
	s_delay_alu instid0(VALU_DEP_1) | instskip(SKIP_2) | instid1(VALU_DEP_1)
	v_rcp_iflag_f32_e32 v2, v2
	s_waitcnt_depctr 0xfff
	v_mul_f32_e32 v2, 0x4f7ffffe, v2
	v_cvt_u32_f32_e32 v2, v2
	s_delay_alu instid0(VALU_DEP_1) | instskip(NEXT) | instid1(VALU_DEP_1)
	v_mul_lo_u32 v3, s8, v2
	v_mul_hi_u32 v3, v2, v3
	s_delay_alu instid0(VALU_DEP_1) | instskip(NEXT) | instid1(VALU_DEP_1)
	v_add_nc_u32_e32 v2, v2, v3
	v_mul_hi_u32 v2, s23, v2
	s_delay_alu instid0(VALU_DEP_1) | instskip(NEXT) | instid1(VALU_DEP_1)
	v_mul_lo_u32 v2, v2, s33
	v_sub_nc_u32_e32 v2, s23, v2
	s_delay_alu instid0(VALU_DEP_1) | instskip(SKIP_1) | instid1(VALU_DEP_2)
	v_subrev_nc_u32_e32 v3, s33, v2
	v_cmp_le_u32_e32 vcc_lo, s33, v2
	v_cndmask_b32_e32 v2, v2, v3, vcc_lo
	s_delay_alu instid0(VALU_DEP_1) | instskip(SKIP_1) | instid1(VALU_DEP_2)
	v_subrev_nc_u32_e32 v3, s33, v2
	v_cmp_le_u32_e32 vcc_lo, s33, v2
	v_cndmask_b32_e32 v12, v2, v3, vcc_lo
	s_delay_alu instid0(VALU_DEP_1)
	v_dual_mov_b32 v2, v12 :: v_dual_mov_b32 v3, v13
.LBB138_96:                             ;   in Loop: Header=BB138_18 Depth=1
	s_delay_alu instid0(VALU_DEP_1) | instskip(NEXT) | instid1(VALU_DEP_2)
	v_sub_co_u32 v2, vcc_lo, s23, v2
	v_sub_co_ci_u32_e32 v3, vcc_lo, s9, v3, vcc_lo
	s_mov_b32 s8, 0
	s_mov_b32 s9, exec_lo
                                        ; implicit-def: $vgpr18
	s_delay_alu instid0(VALU_DEP_1)
	v_cmpx_gt_u64_e64 v[2:3], v[0:1]
	s_cbranch_execz .LBB138_108
; %bb.97:                               ;   in Loop: Header=BB138_18 Depth=1
	v_dual_mov_b32 v6, v0 :: v_dual_mov_b32 v5, v1
	v_mov_b32_e32 v4, v0
	s_mov_b32 s23, 0
                                        ; implicit-def: $sgpr25
	s_set_inst_prefetch_distance 0x1
	s_branch .LBB138_99
	.p2align	6
.LBB138_98:                             ;   in Loop: Header=BB138_99 Depth=2
	s_or_b32 exec_lo, exec_lo, s8
	s_waitcnt lgkmcnt(0)
	s_barrier
	buffer_gl0_inv
	ds_load_u16 v7, v13 offset:3072
	v_add_co_u32 v4, vcc_lo, v4, s33
	v_add_co_ci_u32_e32 v5, vcc_lo, 0, v5, vcc_lo
	v_add_nc_u32_e32 v6, s33, v6
	s_waitcnt lgkmcnt(0)
	s_barrier
	s_delay_alu instid0(VALU_DEP_2) | instskip(SKIP_2) | instid1(VALU_DEP_1)
	v_cmp_ge_u64_e32 vcc_lo, v[4:5], v[2:3]
	buffer_gl0_inv
	v_and_b32_e32 v12, 0xff, v7
	v_cmp_ne_u16_e64 s8, 0, v12
	s_delay_alu instid0(VALU_DEP_1) | instskip(NEXT) | instid1(SALU_CYCLE_1)
	s_or_b32 s26, vcc_lo, s8
	s_and_b32 s26, exec_lo, s26
	s_delay_alu instid0(SALU_CYCLE_1) | instskip(SKIP_2) | instid1(SALU_CYCLE_1)
	s_or_b32 s23, s26, s23
	s_and_not1_b32 s25, s25, exec_lo
	s_and_b32 s8, s8, exec_lo
	s_or_b32 s25, s25, s8
	s_and_not1_b32 exec_lo, exec_lo, s23
	s_cbranch_execz .LBB138_107
.LBB138_99:                             ;   Parent Loop BB138_18 Depth=1
                                        ; =>  This Inner Loop Header: Depth=2
	s_delay_alu instid0(VALU_DEP_1)
	v_cmp_gt_u64_e32 vcc_lo, s[18:19], v[4:5]
	v_mov_b32_e32 v7, 0
	s_and_saveexec_b32 s8, vcc_lo
	s_cbranch_execz .LBB138_101
; %bb.100:                              ;   in Loop: Header=BB138_99 Depth=2
	ds_load_u8 v7, v6
.LBB138_101:                            ;   in Loop: Header=BB138_99 Depth=2
	s_or_b32 exec_lo, exec_lo, s8
	s_and_saveexec_b32 s8, vcc_lo
	s_cbranch_execz .LBB138_98
; %bb.102:                              ;   in Loop: Header=BB138_99 Depth=2
	s_waitcnt lgkmcnt(0)
	v_bfe_i32 v12, v7, 0, 8
	s_delay_alu instid0(VALU_DEP_1) | instskip(NEXT) | instid1(VALU_DEP_1)
	v_add_nc_u32_e32 v12, 0x80, v12
	v_and_b32_e32 v12, v12, v9
	s_delay_alu instid0(VALU_DEP_1)
	v_cmp_eq_u32_e32 vcc_lo, v12, v8
	s_and_b32 exec_lo, exec_lo, vcc_lo
	s_cbranch_execz .LBB138_98
; %bb.103:                              ;   in Loop: Header=BB138_99 Depth=2
	v_lshlrev_b16 v7, 8, v7
	s_delay_alu instid0(VALU_DEP_1)
	v_or_b32_e32 v7, 1, v7
	ds_store_b16 v13, v7 offset:3072
	s_branch .LBB138_98
.LBB138_104:                            ;   in Loop: Header=BB138_18 Depth=1
	s_mov_b32 s25, 0
	s_mov_b32 s24, 0
                                        ; implicit-def: $sgpr69
                                        ; implicit-def: $sgpr72
                                        ; implicit-def: $sgpr23
                                        ; implicit-def: $vgpr6
                                        ; implicit-def: $vgpr2_vgpr3
                                        ; implicit-def: $vgpr8
                                        ; implicit-def: $vgpr9
                                        ; implicit-def: $vgpr18
	s_cbranch_execnz .LBB138_287
.LBB138_105:                            ;   in Loop: Header=BB138_18 Depth=1
	s_mov_b32 s18, s23
	s_mov_b32 s19, s23
	s_and_saveexec_b32 s7, s25
	s_cbranch_execnz .LBB138_483
	s_branch .LBB138_484
.LBB138_106:                            ;   in Loop: Header=BB138_18 Depth=1
	s_mov_b32 s23, -1
	s_mov_b32 s8, 0
                                        ; implicit-def: $sgpr69
                                        ; implicit-def: $vgpr18
	s_mov_b32 s72, s23
	s_cbranch_execnz .LBB138_109
	s_branch .LBB138_122
.LBB138_107:                            ;   in Loop: Header=BB138_18 Depth=1
	s_set_inst_prefetch_distance 0x2
	s_or_b32 exec_lo, exec_lo, s23
	v_lshrrev_b16 v18, 8, v7
	s_and_b32 s8, s25, exec_lo
.LBB138_108:                            ;   in Loop: Header=BB138_18 Depth=1
	s_or_b32 exec_lo, exec_lo, s9
	s_mov_b32 s69, -1
	s_mov_b32 s23, 0
	s_delay_alu instid0(SALU_CYCLE_1)
	s_mov_b32 s72, s23
	s_branch .LBB138_122
.LBB138_109:                            ;   in Loop: Header=BB138_18 Depth=1
	s_mov_b32 s26, s73
	s_delay_alu instid0(SALU_CYCLE_1)
	s_cmp_lg_u64 s[26:27], 0
	s_cbranch_scc0 .LBB138_151
; %bb.110:                              ;   in Loop: Header=BB138_18 Depth=1
	v_cvt_f32_u32_e32 v2, s33
	s_sub_u32 s18, 0, s33
	s_subb_u32 s19, 0, 0
	s_delay_alu instid0(VALU_DEP_1) | instskip(NEXT) | instid1(VALU_DEP_1)
	v_fmac_f32_e64 v2, 0, 0x4f800000
	v_rcp_f32_e32 v2, v2
	s_waitcnt_depctr 0xfff
	v_mul_f32_e32 v2, 0x5f7ffffc, v2
	s_delay_alu instid0(VALU_DEP_1) | instskip(NEXT) | instid1(VALU_DEP_1)
	v_mul_f32_e32 v3, 0x2f800000, v2
	v_trunc_f32_e32 v3, v3
	s_delay_alu instid0(VALU_DEP_1) | instskip(SKIP_1) | instid1(VALU_DEP_2)
	v_fmac_f32_e32 v2, 0xcf800000, v3
	v_cvt_u32_f32_e32 v3, v3
	v_cvt_u32_f32_e32 v2, v2
	s_delay_alu instid0(VALU_DEP_2) | instskip(NEXT) | instid1(VALU_DEP_2)
	v_readfirstlane_b32 s8, v3
	v_readfirstlane_b32 s9, v2
	s_delay_alu instid0(VALU_DEP_2) | instskip(NEXT) | instid1(VALU_DEP_1)
	s_mul_i32 s23, s18, s8
	s_mul_hi_u32 s26, s18, s9
	s_mul_i32 s25, s19, s9
	s_add_i32 s23, s26, s23
	s_mul_i32 s48, s18, s9
	s_add_i32 s23, s23, s25
	s_mul_hi_u32 s26, s9, s48
	s_mul_hi_u32 s49, s8, s48
	s_mul_i32 s25, s8, s48
	s_mul_hi_u32 s48, s9, s23
	s_mul_i32 s9, s9, s23
	s_mul_hi_u32 s50, s8, s23
	s_add_u32 s9, s26, s9
	s_addc_u32 s26, 0, s48
	s_add_u32 s9, s9, s25
	s_mul_i32 s23, s8, s23
	s_addc_u32 s9, s26, s49
	s_addc_u32 s25, s50, 0
	s_add_u32 s9, s9, s23
	s_addc_u32 s23, 0, s25
	v_add_co_u32 v2, s9, v2, s9
	s_delay_alu instid0(VALU_DEP_1) | instskip(SKIP_1) | instid1(VALU_DEP_1)
	s_cmp_lg_u32 s9, 0
	s_addc_u32 s8, s8, s23
	v_readfirstlane_b32 s9, v2
	s_mul_i32 s23, s18, s8
	s_delay_alu instid0(VALU_DEP_1)
	s_mul_hi_u32 s25, s18, s9
	s_mul_i32 s19, s19, s9
	s_add_i32 s23, s25, s23
	s_mul_i32 s18, s18, s9
	s_add_i32 s23, s23, s19
	s_mul_hi_u32 s25, s8, s18
	s_mul_i32 s26, s8, s18
	s_mul_hi_u32 s18, s9, s18
	s_mul_hi_u32 s48, s9, s23
	s_mul_i32 s9, s9, s23
	s_mul_hi_u32 s19, s8, s23
	s_add_u32 s9, s18, s9
	s_addc_u32 s18, 0, s48
	s_add_u32 s9, s9, s26
	s_mul_i32 s23, s8, s23
	s_addc_u32 s9, s18, s25
	s_addc_u32 s18, s19, 0
	s_add_u32 s9, s9, s23
	s_addc_u32 s18, 0, s18
	v_add_co_u32 v2, s9, v2, s9
	s_delay_alu instid0(VALU_DEP_1) | instskip(SKIP_1) | instid1(VALU_DEP_1)
	s_cmp_lg_u32 s9, 0
	s_addc_u32 s8, s8, s18
	v_readfirstlane_b32 s9, v2
	s_mul_i32 s19, s88, s8
	s_mul_hi_u32 s18, s88, s8
	s_mul_hi_u32 s23, s27, s8
	s_mul_i32 s8, s27, s8
	s_mul_hi_u32 s25, s88, s9
	s_mul_hi_u32 s26, s27, s9
	s_mul_i32 s9, s27, s9
	s_add_u32 s19, s25, s19
	s_addc_u32 s18, 0, s18
	s_add_u32 s9, s19, s9
	s_addc_u32 s9, s18, s26
	s_addc_u32 s18, s23, 0
	s_add_u32 s8, s9, s8
	s_addc_u32 s9, 0, s18
	s_mul_hi_u32 s18, s33, s8
	s_mul_i32 s8, s33, s8
	s_mul_i32 s9, s33, s9
	v_sub_co_u32 v2, s8, s88, s8
	s_add_i32 s18, s18, s9
	s_cmp_lg_u32 s8, 0
	s_delay_alu instid0(VALU_DEP_1) | instskip(SKIP_2) | instid1(VALU_DEP_1)
	v_sub_co_u32 v3, s8, v2, s33
	s_subb_u32 s9, s27, s18
	s_cmp_lg_u32 s8, 0
	v_cmp_le_u32_e32 vcc_lo, s33, v3
	v_sub_co_u32 v4, s8, v3, s33
	s_subb_u32 s18, s9, 0
	s_cmp_lg_u32 s8, 0
	v_cndmask_b32_e64 v5, 0, -1, vcc_lo
	s_subb_u32 s8, s18, 0
	s_cmp_eq_u32 s18, 0
	v_mov_b32_e32 v7, s8
	s_cselect_b32 vcc_lo, -1, 0
	s_cmp_eq_u32 s9, 0
	v_cndmask_b32_e32 v5, -1, v5, vcc_lo
	v_cmp_le_u32_e32 vcc_lo, s33, v2
	s_cselect_b32 s8, -1, 0
	v_cndmask_b32_e64 v6, 0, -1, vcc_lo
	s_delay_alu instid0(VALU_DEP_3) | instskip(NEXT) | instid1(VALU_DEP_2)
	v_cmp_ne_u32_e32 vcc_lo, 0, v5
	v_cndmask_b32_e64 v5, -1, v6, s8
	v_cndmask_b32_e32 v6, s18, v7, vcc_lo
	v_cndmask_b32_e32 v4, v3, v4, vcc_lo
	s_delay_alu instid0(VALU_DEP_3) | instskip(NEXT) | instid1(VALU_DEP_3)
	v_cmp_ne_u32_e32 vcc_lo, 0, v5
	v_cndmask_b32_e32 v3, s9, v6, vcc_lo
	s_delay_alu instid0(VALU_DEP_3)
	v_cndmask_b32_e32 v2, v2, v4, vcc_lo
	s_cbranch_execnz .LBB138_112
.LBB138_111:                            ;   in Loop: Header=BB138_18 Depth=1
	v_cvt_f32_u32_e32 v2, s33
	s_sub_i32 s8, 0, s33
	s_delay_alu instid0(VALU_DEP_1) | instskip(SKIP_2) | instid1(VALU_DEP_1)
	v_rcp_iflag_f32_e32 v2, v2
	s_waitcnt_depctr 0xfff
	v_mul_f32_e32 v2, 0x4f7ffffe, v2
	v_cvt_u32_f32_e32 v2, v2
	s_delay_alu instid0(VALU_DEP_1) | instskip(NEXT) | instid1(VALU_DEP_1)
	v_mul_lo_u32 v3, s8, v2
	v_mul_hi_u32 v3, v2, v3
	s_delay_alu instid0(VALU_DEP_1) | instskip(NEXT) | instid1(VALU_DEP_1)
	v_add_nc_u32_e32 v2, v2, v3
	v_mul_hi_u32 v2, s88, v2
	s_delay_alu instid0(VALU_DEP_1) | instskip(NEXT) | instid1(VALU_DEP_1)
	v_mul_lo_u32 v2, v2, s33
	v_sub_nc_u32_e32 v2, s88, v2
	s_delay_alu instid0(VALU_DEP_1) | instskip(SKIP_1) | instid1(VALU_DEP_2)
	v_subrev_nc_u32_e32 v3, s33, v2
	v_cmp_le_u32_e32 vcc_lo, s33, v2
	v_cndmask_b32_e32 v2, v2, v3, vcc_lo
	s_delay_alu instid0(VALU_DEP_1) | instskip(SKIP_1) | instid1(VALU_DEP_2)
	v_subrev_nc_u32_e32 v3, s33, v2
	v_cmp_le_u32_e32 vcc_lo, s33, v2
	v_cndmask_b32_e32 v12, v2, v3, vcc_lo
	s_delay_alu instid0(VALU_DEP_1)
	v_dual_mov_b32 v2, v12 :: v_dual_mov_b32 v3, v13
.LBB138_112:                            ;   in Loop: Header=BB138_18 Depth=1
	s_delay_alu instid0(VALU_DEP_1) | instskip(NEXT) | instid1(VALU_DEP_2)
	v_sub_co_u32 v2, vcc_lo, s88, v2
	v_sub_co_ci_u32_e32 v3, vcc_lo, s27, v3, vcc_lo
	s_mov_b32 s8, 0
	s_mov_b32 s9, exec_lo
                                        ; implicit-def: $vgpr18
	s_delay_alu instid0(VALU_DEP_1)
	v_cmpx_gt_u64_e64 v[2:3], v[0:1]
	s_cbranch_execz .LBB138_121
; %bb.113:                              ;   in Loop: Header=BB138_18 Depth=1
	v_dual_mov_b32 v5, v1 :: v_dual_mov_b32 v4, v0
	s_mov_b32 s18, 0
                                        ; implicit-def: $sgpr19
	s_branch .LBB138_115
.LBB138_114:                            ;   in Loop: Header=BB138_115 Depth=2
	s_or_b32 exec_lo, exec_lo, s8
	s_waitcnt vmcnt(0) lgkmcnt(0)
	s_barrier
	buffer_gl0_inv
	ds_load_u16 v6, v13 offset:3072
	v_add_co_u32 v4, vcc_lo, v4, s33
	v_add_co_ci_u32_e32 v5, vcc_lo, 0, v5, vcc_lo
	s_waitcnt lgkmcnt(0)
	s_barrier
	buffer_gl0_inv
	v_cmp_ge_u64_e32 vcc_lo, v[4:5], v[2:3]
	v_and_b32_e32 v7, 0xff, v6
	s_delay_alu instid0(VALU_DEP_1) | instskip(NEXT) | instid1(VALU_DEP_1)
	v_cmp_ne_u16_e64 s8, 0, v7
	s_or_b32 s23, vcc_lo, s8
	s_delay_alu instid0(SALU_CYCLE_1) | instskip(NEXT) | instid1(SALU_CYCLE_1)
	s_and_b32 s23, exec_lo, s23
	s_or_b32 s18, s23, s18
	s_and_not1_b32 s19, s19, exec_lo
	s_and_b32 s8, s8, exec_lo
	s_delay_alu instid0(SALU_CYCLE_1)
	s_or_b32 s19, s19, s8
	s_and_not1_b32 exec_lo, exec_lo, s18
	s_cbranch_execz .LBB138_120
.LBB138_115:                            ;   Parent Loop BB138_18 Depth=1
                                        ; =>  This Inner Loop Header: Depth=2
	s_delay_alu instid0(VALU_DEP_1)
	v_cmp_gt_u64_e32 vcc_lo, s[36:37], v[4:5]
	v_mov_b32_e32 v6, 0
	s_and_saveexec_b32 s8, vcc_lo
	s_cbranch_execz .LBB138_117
; %bb.116:                              ;   in Loop: Header=BB138_115 Depth=2
	v_mad_u64_u32 v[6:7], null, v4, s30, s[28:29]
	v_mul_lo_u32 v12, v4, s31
	v_mul_lo_u32 v18, v5, s30
	s_delay_alu instid0(VALU_DEP_1)
	v_add3_u32 v7, v18, v7, v12
	global_load_u8 v6, v[6:7], off
.LBB138_117:                            ;   in Loop: Header=BB138_115 Depth=2
	s_or_b32 exec_lo, exec_lo, s8
	s_and_saveexec_b32 s8, vcc_lo
	s_cbranch_execz .LBB138_114
; %bb.118:                              ;   in Loop: Header=BB138_115 Depth=2
	s_waitcnt vmcnt(0)
	v_bfe_i32 v7, v6, 0, 8
	s_delay_alu instid0(VALU_DEP_1) | instskip(NEXT) | instid1(VALU_DEP_1)
	v_add_nc_u32_e32 v7, 0x80, v7
	v_and_b32_e32 v7, v7, v9
	s_delay_alu instid0(VALU_DEP_1)
	v_cmp_eq_u32_e32 vcc_lo, v7, v8
	s_and_b32 exec_lo, exec_lo, vcc_lo
	s_cbranch_execz .LBB138_114
; %bb.119:                              ;   in Loop: Header=BB138_115 Depth=2
	v_lshlrev_b16 v6, 8, v6
	s_delay_alu instid0(VALU_DEP_1)
	v_or_b32_e32 v6, 1, v6
	ds_store_b16 v13, v6 offset:3072
	s_branch .LBB138_114
.LBB138_120:                            ;   in Loop: Header=BB138_18 Depth=1
	s_or_b32 exec_lo, exec_lo, s18
	v_lshrrev_b16 v18, 8, v6
	s_and_b32 s8, s19, exec_lo
.LBB138_121:                            ;   in Loop: Header=BB138_18 Depth=1
	s_or_b32 exec_lo, exec_lo, s9
	s_mov_b32 s72, -1
	s_mov_b32 s23, 0
	s_mov_b32 s69, 0
.LBB138_122:                            ;   in Loop: Header=BB138_18 Depth=1
	s_or_not1_b32 s8, s8, exec_lo
.LBB138_123:                            ;   in Loop: Header=BB138_18 Depth=1
	s_or_b32 exec_lo, exec_lo, s24
	s_mov_b32 s76, 0
	s_mov_b32 s25, 0
	;; [unrolled: 1-line block ×3, first 2 shown]
                                        ; implicit-def: $vgpr6
                                        ; implicit-def: $vgpr2_vgpr3
	s_and_saveexec_b32 s77, s8
	s_cbranch_execz .LBB138_286
; %bb.124:                              ;   in Loop: Header=BB138_18 Depth=1
	v_mov_b32_e32 v2, 1
	v_dual_mov_b32 v3, 0 :: v_dual_mov_b32 v6, 1
	s_xor_b32 s9, s70, -1
	s_delay_alu instid0(SALU_CYCLE_1)
	s_and_saveexec_b32 s8, s9
	s_cbranch_execz .LBB138_134
; %bb.125:                              ;   in Loop: Header=BB138_18 Depth=1
	s_mov_b32 s18, exec_lo
                                        ; implicit-def: $sgpr19
                                        ; implicit-def: $sgpr9
	v_cmpx_ge_u64_e64 s[10:11], v[16:17]
	s_xor_b32 s18, exec_lo, s18
	s_cbranch_execz .LBB138_131
; %bb.126:                              ;   in Loop: Header=BB138_18 Depth=1
	ds_load_b64 v[2:3], v13 offset:5120
	s_waitcnt lgkmcnt(0)
	v_cmp_ne_u64_e32 vcc_lo, 0, v[2:3]
	s_cbranch_vccnz .LBB138_130
; %bb.127:                              ;   in Loop: Header=BB138_18 Depth=1
	s_and_saveexec_b32 s9, s5
	s_cbranch_execz .LBB138_129
; %bb.128:                              ;   in Loop: Header=BB138_18 Depth=1
	v_dual_mov_b32 v2, s10 :: v_dual_mov_b32 v3, s11
	ds_store_b64 v13, v[2:3] offset:5128
.LBB138_129:                            ;   in Loop: Header=BB138_18 Depth=1
	s_or_b32 exec_lo, exec_lo, s9
	s_waitcnt lgkmcnt(0)
	s_barrier
	buffer_gl0_inv
.LBB138_130:                            ;   in Loop: Header=BB138_18 Depth=1
	v_and_b32_e32 v8, s21, v8
	v_or_b32_e32 v9, s20, v9
	s_mov_b32 s9, 0
	s_mov_b32 s19, 8
.LBB138_131:                            ;   in Loop: Header=BB138_18 Depth=1
	s_or_saveexec_b32 s18, s18
	v_mov_b32_e32 v2, v16
	v_dual_mov_b32 v6, s19 :: v_dual_mov_b32 v3, v17
	s_xor_b32 exec_lo, exec_lo, s18
; %bb.132:                              ;   in Loop: Header=BB138_18 Depth=1
	v_sub_co_u32 v2, vcc_lo, v16, s10
	v_subrev_co_ci_u32_e32 v3, vcc_lo, s11, v17, vcc_lo
	v_mov_b32_e32 v6, 0
	s_or_b32 s9, s9, exec_lo
; %bb.133:                              ;   in Loop: Header=BB138_18 Depth=1
	s_or_b32 exec_lo, exec_lo, s18
	s_delay_alu instid0(SALU_CYCLE_1)
	s_and_b32 s24, s9, exec_lo
.LBB138_134:                            ;   in Loop: Header=BB138_18 Depth=1
	s_or_b32 exec_lo, exec_lo, s8
	s_mov_b32 s25, -1
                                        ; implicit-def: $sgpr9
                                        ; implicit-def: $sgpr18
                                        ; implicit-def: $sgpr19
	s_and_saveexec_b32 s8, s24
	s_delay_alu instid0(SALU_CYCLE_1)
	s_xor_b32 s24, exec_lo, s8
	s_cbranch_execz .LBB138_283
; %bb.135:                              ;   in Loop: Header=BB138_18 Depth=1
	v_cmp_eq_u64_e32 vcc_lo, 1, v[2:3]
	s_cmp_eq_u64 s[12:13], 1
                                        ; implicit-def: $sgpr25
                                        ; implicit-def: $sgpr79
                                        ; implicit-def: $sgpr78
	s_cselect_b32 s8, -1, 0
	s_delay_alu instid0(SALU_CYCLE_1)
	s_and_b32 s70, s8, vcc_lo
	s_mov_b32 s8, -1
	s_and_saveexec_b32 s60, s70
	s_cbranch_execz .LBB138_169
; %bb.136:                              ;   in Loop: Header=BB138_18 Depth=1
	ds_load_b64 v[4:5], v13 offset:5120
	s_waitcnt lgkmcnt(0)
	s_barrier
	buffer_gl0_inv
	v_readfirstlane_b32 s18, v4
	v_readfirstlane_b32 s19, v5
	s_and_saveexec_b32 s8, s6
	s_cbranch_execz .LBB138_138
; %bb.137:                              ;   in Loop: Header=BB138_18 Depth=1
	ds_store_b8 v0, v13 offset:3072
.LBB138_138:                            ;   in Loop: Header=BB138_18 Depth=1
	s_or_b32 exec_lo, exec_lo, s8
	s_lshl_b32 s8, 1, s22
	v_or_b32_e32 v9, s20, v9
	v_and_or_b32 v8, v8, s21, s8
	s_cmp_eq_u64 s[18:19], 0
	s_waitcnt lgkmcnt(0)
	s_barrier
	buffer_gl0_inv
	s_cbranch_scc1 .LBB138_152
; %bb.139:                              ;   in Loop: Header=BB138_18 Depth=1
	s_add_u32 s25, s86, s18
	s_addc_u32 s9, s87, s19
	s_mov_b32 s8, s73
	s_delay_alu instid0(SALU_CYCLE_1)
	s_cmp_lg_u64 s[8:9], 0
	s_cbranch_scc0 .LBB138_196
; %bb.140:                              ;   in Loop: Header=BB138_18 Depth=1
	v_cvt_f32_u32_e32 v4, s33
	s_sub_u32 s61, 0, s33
	s_subb_u32 s71, 0, 0
	s_delay_alu instid0(VALU_DEP_1) | instskip(NEXT) | instid1(VALU_DEP_1)
	v_fmac_f32_e64 v4, 0, 0x4f800000
	v_rcp_f32_e32 v4, v4
	s_waitcnt_depctr 0xfff
	v_mul_f32_e32 v4, 0x5f7ffffc, v4
	s_delay_alu instid0(VALU_DEP_1) | instskip(NEXT) | instid1(VALU_DEP_1)
	v_mul_f32_e32 v5, 0x2f800000, v4
	v_trunc_f32_e32 v5, v5
	s_delay_alu instid0(VALU_DEP_1) | instskip(SKIP_1) | instid1(VALU_DEP_2)
	v_fmac_f32_e32 v4, 0xcf800000, v5
	v_cvt_u32_f32_e32 v5, v5
	v_cvt_u32_f32_e32 v4, v4
	s_delay_alu instid0(VALU_DEP_2) | instskip(NEXT) | instid1(VALU_DEP_2)
	v_readfirstlane_b32 s8, v5
	v_readfirstlane_b32 s26, v4
	s_delay_alu instid0(VALU_DEP_2) | instskip(NEXT) | instid1(VALU_DEP_1)
	s_mul_i32 s78, s61, s8
	s_mul_hi_u32 s80, s61, s26
	s_mul_i32 s79, s71, s26
	s_add_i32 s78, s80, s78
	s_mul_i32 s81, s61, s26
	s_add_i32 s78, s78, s79
	s_mul_hi_u32 s80, s26, s81
	s_mul_hi_u32 s82, s8, s81
	s_mul_i32 s79, s8, s81
	s_mul_hi_u32 s81, s26, s78
	s_mul_i32 s26, s26, s78
	s_mul_hi_u32 s83, s8, s78
	s_add_u32 s26, s80, s26
	s_addc_u32 s80, 0, s81
	s_add_u32 s26, s26, s79
	s_mul_i32 s78, s8, s78
	s_addc_u32 s26, s80, s82
	s_addc_u32 s79, s83, 0
	s_add_u32 s26, s26, s78
	s_addc_u32 s78, 0, s79
	v_add_co_u32 v4, s26, v4, s26
	s_delay_alu instid0(VALU_DEP_1) | instskip(SKIP_1) | instid1(VALU_DEP_1)
	s_cmp_lg_u32 s26, 0
	s_addc_u32 s8, s8, s78
	v_readfirstlane_b32 s26, v4
	s_mul_i32 s78, s61, s8
	s_delay_alu instid0(VALU_DEP_1)
	s_mul_hi_u32 s79, s61, s26
	s_mul_i32 s71, s71, s26
	s_add_i32 s78, s79, s78
	s_mul_i32 s61, s61, s26
	s_add_i32 s78, s78, s71
	s_mul_hi_u32 s79, s8, s61
	s_mul_i32 s80, s8, s61
	s_mul_hi_u32 s61, s26, s61
	s_mul_hi_u32 s81, s26, s78
	s_mul_i32 s26, s26, s78
	s_mul_hi_u32 s71, s8, s78
	s_add_u32 s26, s61, s26
	s_addc_u32 s61, 0, s81
	s_add_u32 s26, s26, s80
	s_mul_i32 s78, s8, s78
	s_addc_u32 s26, s61, s79
	s_addc_u32 s61, s71, 0
	s_add_u32 s26, s26, s78
	s_addc_u32 s61, 0, s61
	v_add_co_u32 v4, s26, v4, s26
	s_delay_alu instid0(VALU_DEP_1) | instskip(SKIP_1) | instid1(VALU_DEP_1)
	s_cmp_lg_u32 s26, 0
	s_addc_u32 s8, s8, s61
	v_readfirstlane_b32 s26, v4
	s_mul_i32 s71, s25, s8
	s_mul_hi_u32 s61, s25, s8
	s_mul_hi_u32 s78, s9, s8
	s_mul_i32 s8, s9, s8
	s_mul_hi_u32 s79, s25, s26
	s_mul_hi_u32 s80, s9, s26
	s_mul_i32 s26, s9, s26
	s_add_u32 s71, s79, s71
	s_addc_u32 s61, 0, s61
	s_add_u32 s26, s71, s26
	s_addc_u32 s26, s61, s80
	s_addc_u32 s61, s78, 0
	s_add_u32 s8, s26, s8
	s_addc_u32 s26, 0, s61
	s_mul_hi_u32 s61, s33, s8
	s_mul_i32 s8, s33, s8
	s_mul_i32 s26, s33, s26
	v_sub_co_u32 v4, s8, s25, s8
	s_add_i32 s61, s61, s26
	s_cmp_lg_u32 s8, 0
	s_delay_alu instid0(VALU_DEP_1) | instskip(SKIP_3) | instid1(VALU_DEP_2)
	v_sub_co_u32 v5, s8, v4, s33
	s_subb_u32 s26, s9, s61
	s_cmp_lg_u32 s8, 0
	v_cmp_le_u32_e32 vcc_lo, s33, v4
	v_cmp_le_u32_e64 s8, s33, v5
	v_sub_co_u32 v6, s61, v5, s33
	s_subb_u32 s71, s26, 0
	s_cmp_lg_u32 s61, 0
	s_delay_alu instid0(VALU_DEP_2)
	v_cndmask_b32_e64 v7, 0, -1, s8
	s_subb_u32 s61, s71, 0
	s_cmp_eq_u32 s71, 0
	v_mov_b32_e32 v18, s61
	v_cndmask_b32_e64 v12, 0, -1, vcc_lo
	s_cselect_b32 vcc_lo, -1, 0
	s_cmp_eq_u32 s26, 0
	v_cndmask_b32_e32 v7, -1, v7, vcc_lo
	s_cselect_b32 vcc_lo, -1, 0
	v_cndmask_b32_e32 v12, -1, v12, vcc_lo
	s_delay_alu instid0(VALU_DEP_2) | instskip(NEXT) | instid1(VALU_DEP_2)
	v_cmp_ne_u32_e32 vcc_lo, 0, v7
	v_cmp_ne_u32_e64 s8, 0, v12
	v_cndmask_b32_e32 v7, s71, v18, vcc_lo
	v_cndmask_b32_e32 v6, v5, v6, vcc_lo
	s_delay_alu instid0(VALU_DEP_2) | instskip(NEXT) | instid1(VALU_DEP_2)
	v_cndmask_b32_e64 v5, s26, v7, s8
	v_cndmask_b32_e64 v4, v4, v6, s8
	s_cbranch_execnz .LBB138_142
.LBB138_141:                            ;   in Loop: Header=BB138_18 Depth=1
	v_cvt_f32_u32_e32 v4, s33
	s_sub_i32 s8, 0, s33
	s_delay_alu instid0(VALU_DEP_1) | instskip(SKIP_2) | instid1(VALU_DEP_1)
	v_rcp_iflag_f32_e32 v4, v4
	s_waitcnt_depctr 0xfff
	v_mul_f32_e32 v4, 0x4f7ffffe, v4
	v_cvt_u32_f32_e32 v4, v4
	s_delay_alu instid0(VALU_DEP_1) | instskip(NEXT) | instid1(VALU_DEP_1)
	v_mul_lo_u32 v5, s8, v4
	v_mul_hi_u32 v5, v4, v5
	s_delay_alu instid0(VALU_DEP_1) | instskip(NEXT) | instid1(VALU_DEP_1)
	v_add_nc_u32_e32 v4, v4, v5
	v_mul_hi_u32 v4, s25, v4
	s_delay_alu instid0(VALU_DEP_1) | instskip(NEXT) | instid1(VALU_DEP_1)
	v_mul_lo_u32 v4, v4, s33
	v_sub_nc_u32_e32 v4, s25, v4
	s_delay_alu instid0(VALU_DEP_1) | instskip(SKIP_1) | instid1(VALU_DEP_2)
	v_subrev_nc_u32_e32 v5, s33, v4
	v_cmp_le_u32_e32 vcc_lo, s33, v4
	v_cndmask_b32_e32 v4, v4, v5, vcc_lo
	s_delay_alu instid0(VALU_DEP_1) | instskip(SKIP_1) | instid1(VALU_DEP_2)
	v_subrev_nc_u32_e32 v5, s33, v4
	v_cmp_le_u32_e32 vcc_lo, s33, v4
	v_cndmask_b32_e32 v12, v4, v5, vcc_lo
	s_delay_alu instid0(VALU_DEP_1)
	v_dual_mov_b32 v4, v12 :: v_dual_mov_b32 v5, v13
.LBB138_142:                            ;   in Loop: Header=BB138_18 Depth=1
	s_delay_alu instid0(VALU_DEP_1) | instskip(NEXT) | instid1(VALU_DEP_2)
	v_sub_co_u32 v4, vcc_lo, s25, v4
	v_sub_co_ci_u32_e32 v5, vcc_lo, s9, v5, vcc_lo
	s_mov_b32 s8, 0
	s_mov_b32 s9, exec_lo
                                        ; implicit-def: $vgpr18
	s_delay_alu instid0(VALU_DEP_1)
	v_cmpx_gt_u64_e64 v[4:5], v[0:1]
	s_cbranch_execz .LBB138_154
; %bb.143:                              ;   in Loop: Header=BB138_18 Depth=1
	v_dual_mov_b32 v12, v0 :: v_dual_mov_b32 v7, v1
	v_mov_b32_e32 v6, v0
	s_mov_b32 s25, 0
                                        ; implicit-def: $sgpr26
	s_set_inst_prefetch_distance 0x1
	s_branch .LBB138_145
	.p2align	6
.LBB138_144:                            ;   in Loop: Header=BB138_145 Depth=2
	s_or_b32 exec_lo, exec_lo, s8
	s_waitcnt lgkmcnt(0)
	s_barrier
	buffer_gl0_inv
	ds_load_u16 v18, v13 offset:3072
	v_add_co_u32 v6, vcc_lo, v6, s33
	v_add_co_ci_u32_e32 v7, vcc_lo, 0, v7, vcc_lo
	v_add_nc_u32_e32 v12, s33, v12
	s_waitcnt lgkmcnt(0)
	s_barrier
	s_delay_alu instid0(VALU_DEP_2) | instskip(SKIP_2) | instid1(VALU_DEP_1)
	v_cmp_ge_u64_e32 vcc_lo, v[6:7], v[4:5]
	buffer_gl0_inv
	v_and_b32_e32 v19, 0xff, v18
	v_cmp_ne_u16_e64 s8, 0, v19
	s_delay_alu instid0(VALU_DEP_1) | instskip(NEXT) | instid1(SALU_CYCLE_1)
	s_or_b32 s61, vcc_lo, s8
	s_and_b32 s61, exec_lo, s61
	s_delay_alu instid0(SALU_CYCLE_1) | instskip(SKIP_2) | instid1(SALU_CYCLE_1)
	s_or_b32 s25, s61, s25
	s_and_not1_b32 s26, s26, exec_lo
	s_and_b32 s8, s8, exec_lo
	s_or_b32 s26, s26, s8
	s_and_not1_b32 exec_lo, exec_lo, s25
	s_cbranch_execz .LBB138_153
.LBB138_145:                            ;   Parent Loop BB138_18 Depth=1
                                        ; =>  This Inner Loop Header: Depth=2
	s_delay_alu instid0(VALU_DEP_1)
	v_cmp_gt_u64_e32 vcc_lo, s[18:19], v[6:7]
	v_mov_b32_e32 v18, 0
	s_and_saveexec_b32 s8, vcc_lo
	s_cbranch_execz .LBB138_147
; %bb.146:                              ;   in Loop: Header=BB138_145 Depth=2
	ds_load_u8 v18, v12
.LBB138_147:                            ;   in Loop: Header=BB138_145 Depth=2
	s_or_b32 exec_lo, exec_lo, s8
	s_and_saveexec_b32 s8, vcc_lo
	s_cbranch_execz .LBB138_144
; %bb.148:                              ;   in Loop: Header=BB138_145 Depth=2
	s_waitcnt lgkmcnt(0)
	v_bfe_i32 v19, v18, 0, 8
	s_delay_alu instid0(VALU_DEP_1) | instskip(NEXT) | instid1(VALU_DEP_1)
	v_add_nc_u32_e32 v19, 0x80, v19
	v_and_b32_e32 v19, v19, v9
	s_delay_alu instid0(VALU_DEP_1)
	v_cmp_eq_u32_e32 vcc_lo, v19, v8
	s_and_b32 exec_lo, exec_lo, vcc_lo
	s_cbranch_execz .LBB138_144
; %bb.149:                              ;   in Loop: Header=BB138_145 Depth=2
	v_lshlrev_b16 v18, 8, v18
	s_delay_alu instid0(VALU_DEP_1)
	v_or_b32_e32 v18, 1, v18
	ds_store_b16 v13, v18 offset:3072
	s_branch .LBB138_144
.LBB138_150:                            ;   in Loop: Header=BB138_18 Depth=1
                                        ; implicit-def: $vgpr2_vgpr3
	s_branch .LBB138_95
.LBB138_151:                            ;   in Loop: Header=BB138_18 Depth=1
                                        ; implicit-def: $vgpr2_vgpr3
	s_branch .LBB138_111
.LBB138_152:                            ;   in Loop: Header=BB138_18 Depth=1
	s_mov_b32 s25, -1
	s_mov_b32 s8, 0
                                        ; implicit-def: $sgpr78
                                        ; implicit-def: $vgpr18
	s_mov_b32 s79, s25
	s_cbranch_execnz .LBB138_155
	s_branch .LBB138_168
.LBB138_153:                            ;   in Loop: Header=BB138_18 Depth=1
	s_set_inst_prefetch_distance 0x2
	s_or_b32 exec_lo, exec_lo, s25
	v_lshrrev_b16 v18, 8, v18
	s_and_b32 s8, s26, exec_lo
.LBB138_154:                            ;   in Loop: Header=BB138_18 Depth=1
	s_or_b32 exec_lo, exec_lo, s9
	s_mov_b32 s78, -1
	s_mov_b32 s25, 0
	s_delay_alu instid0(SALU_CYCLE_1)
	s_mov_b32 s79, s25
	s_branch .LBB138_168
.LBB138_155:                            ;   in Loop: Header=BB138_18 Depth=1
	s_mov_b32 s26, s73
	s_delay_alu instid0(SALU_CYCLE_1)
	s_cmp_lg_u64 s[26:27], 0
	s_cbranch_scc0 .LBB138_197
; %bb.156:                              ;   in Loop: Header=BB138_18 Depth=1
	v_cvt_f32_u32_e32 v4, s33
	s_sub_u32 s18, 0, s33
	s_subb_u32 s19, 0, 0
	s_delay_alu instid0(VALU_DEP_1) | instskip(NEXT) | instid1(VALU_DEP_1)
	v_fmac_f32_e64 v4, 0, 0x4f800000
	v_rcp_f32_e32 v4, v4
	s_waitcnt_depctr 0xfff
	v_mul_f32_e32 v4, 0x5f7ffffc, v4
	s_delay_alu instid0(VALU_DEP_1) | instskip(NEXT) | instid1(VALU_DEP_1)
	v_mul_f32_e32 v5, 0x2f800000, v4
	v_trunc_f32_e32 v5, v5
	s_delay_alu instid0(VALU_DEP_1) | instskip(SKIP_1) | instid1(VALU_DEP_2)
	v_fmac_f32_e32 v4, 0xcf800000, v5
	v_cvt_u32_f32_e32 v5, v5
	v_cvt_u32_f32_e32 v4, v4
	s_delay_alu instid0(VALU_DEP_2) | instskip(NEXT) | instid1(VALU_DEP_2)
	v_readfirstlane_b32 s8, v5
	v_readfirstlane_b32 s9, v4
	s_delay_alu instid0(VALU_DEP_2) | instskip(NEXT) | instid1(VALU_DEP_1)
	s_mul_i32 s25, s18, s8
	s_mul_hi_u32 s61, s18, s9
	s_mul_i32 s26, s19, s9
	s_add_i32 s25, s61, s25
	s_mul_i32 s71, s18, s9
	s_add_i32 s25, s25, s26
	s_mul_hi_u32 s61, s9, s71
	s_mul_hi_u32 s78, s8, s71
	s_mul_i32 s26, s8, s71
	s_mul_hi_u32 s71, s9, s25
	s_mul_i32 s9, s9, s25
	s_mul_hi_u32 s79, s8, s25
	s_add_u32 s9, s61, s9
	s_addc_u32 s61, 0, s71
	s_add_u32 s9, s9, s26
	s_mul_i32 s25, s8, s25
	s_addc_u32 s9, s61, s78
	s_addc_u32 s26, s79, 0
	s_add_u32 s9, s9, s25
	s_addc_u32 s25, 0, s26
	v_add_co_u32 v4, s9, v4, s9
	s_delay_alu instid0(VALU_DEP_1) | instskip(SKIP_1) | instid1(VALU_DEP_1)
	s_cmp_lg_u32 s9, 0
	s_addc_u32 s8, s8, s25
	v_readfirstlane_b32 s9, v4
	s_mul_i32 s25, s18, s8
	s_delay_alu instid0(VALU_DEP_1)
	s_mul_hi_u32 s26, s18, s9
	s_mul_i32 s19, s19, s9
	s_add_i32 s25, s26, s25
	s_mul_i32 s18, s18, s9
	s_add_i32 s25, s25, s19
	s_mul_hi_u32 s26, s8, s18
	s_mul_i32 s61, s8, s18
	s_mul_hi_u32 s18, s9, s18
	s_mul_hi_u32 s71, s9, s25
	s_mul_i32 s9, s9, s25
	s_mul_hi_u32 s19, s8, s25
	s_add_u32 s9, s18, s9
	s_addc_u32 s18, 0, s71
	s_add_u32 s9, s9, s61
	s_mul_i32 s25, s8, s25
	s_addc_u32 s9, s18, s26
	s_addc_u32 s18, s19, 0
	s_add_u32 s9, s9, s25
	s_addc_u32 s18, 0, s18
	v_add_co_u32 v4, s9, v4, s9
	s_delay_alu instid0(VALU_DEP_1) | instskip(SKIP_1) | instid1(VALU_DEP_1)
	s_cmp_lg_u32 s9, 0
	s_addc_u32 s8, s8, s18
	v_readfirstlane_b32 s9, v4
	s_mul_i32 s19, s88, s8
	s_mul_hi_u32 s18, s88, s8
	s_mul_hi_u32 s25, s27, s8
	s_mul_i32 s8, s27, s8
	s_mul_hi_u32 s26, s88, s9
	s_mul_hi_u32 s61, s27, s9
	s_mul_i32 s9, s27, s9
	s_add_u32 s19, s26, s19
	s_addc_u32 s18, 0, s18
	s_add_u32 s9, s19, s9
	s_addc_u32 s9, s18, s61
	s_addc_u32 s18, s25, 0
	s_add_u32 s8, s9, s8
	s_addc_u32 s9, 0, s18
	s_mul_hi_u32 s18, s33, s8
	s_mul_i32 s8, s33, s8
	s_mul_i32 s9, s33, s9
	v_sub_co_u32 v4, s8, s88, s8
	s_add_i32 s18, s18, s9
	s_cmp_lg_u32 s8, 0
	s_delay_alu instid0(VALU_DEP_1) | instskip(SKIP_2) | instid1(VALU_DEP_1)
	v_sub_co_u32 v5, s8, v4, s33
	s_subb_u32 s9, s27, s18
	s_cmp_lg_u32 s8, 0
	v_cmp_le_u32_e32 vcc_lo, s33, v5
	v_sub_co_u32 v6, s8, v5, s33
	s_subb_u32 s18, s9, 0
	s_cmp_lg_u32 s8, 0
	v_cndmask_b32_e64 v7, 0, -1, vcc_lo
	s_subb_u32 s8, s18, 0
	s_cmp_eq_u32 s18, 0
	v_mov_b32_e32 v18, s8
	s_cselect_b32 vcc_lo, -1, 0
	s_cmp_eq_u32 s9, 0
	v_cndmask_b32_e32 v7, -1, v7, vcc_lo
	v_cmp_le_u32_e32 vcc_lo, s33, v4
	s_cselect_b32 s8, -1, 0
	v_cndmask_b32_e64 v12, 0, -1, vcc_lo
	s_delay_alu instid0(VALU_DEP_3) | instskip(NEXT) | instid1(VALU_DEP_2)
	v_cmp_ne_u32_e32 vcc_lo, 0, v7
	v_cndmask_b32_e64 v7, -1, v12, s8
	v_cndmask_b32_e32 v12, s18, v18, vcc_lo
	v_cndmask_b32_e32 v6, v5, v6, vcc_lo
	s_delay_alu instid0(VALU_DEP_3) | instskip(NEXT) | instid1(VALU_DEP_3)
	v_cmp_ne_u32_e32 vcc_lo, 0, v7
	v_cndmask_b32_e32 v5, s9, v12, vcc_lo
	s_delay_alu instid0(VALU_DEP_3)
	v_cndmask_b32_e32 v4, v4, v6, vcc_lo
	s_cbranch_execnz .LBB138_158
.LBB138_157:                            ;   in Loop: Header=BB138_18 Depth=1
	v_cvt_f32_u32_e32 v4, s33
	s_sub_i32 s8, 0, s33
	s_delay_alu instid0(VALU_DEP_1) | instskip(SKIP_2) | instid1(VALU_DEP_1)
	v_rcp_iflag_f32_e32 v4, v4
	s_waitcnt_depctr 0xfff
	v_mul_f32_e32 v4, 0x4f7ffffe, v4
	v_cvt_u32_f32_e32 v4, v4
	s_delay_alu instid0(VALU_DEP_1) | instskip(NEXT) | instid1(VALU_DEP_1)
	v_mul_lo_u32 v5, s8, v4
	v_mul_hi_u32 v5, v4, v5
	s_delay_alu instid0(VALU_DEP_1) | instskip(NEXT) | instid1(VALU_DEP_1)
	v_add_nc_u32_e32 v4, v4, v5
	v_mul_hi_u32 v4, s88, v4
	s_delay_alu instid0(VALU_DEP_1) | instskip(NEXT) | instid1(VALU_DEP_1)
	v_mul_lo_u32 v4, v4, s33
	v_sub_nc_u32_e32 v4, s88, v4
	s_delay_alu instid0(VALU_DEP_1) | instskip(SKIP_1) | instid1(VALU_DEP_2)
	v_subrev_nc_u32_e32 v5, s33, v4
	v_cmp_le_u32_e32 vcc_lo, s33, v4
	v_cndmask_b32_e32 v4, v4, v5, vcc_lo
	s_delay_alu instid0(VALU_DEP_1) | instskip(SKIP_1) | instid1(VALU_DEP_2)
	v_subrev_nc_u32_e32 v5, s33, v4
	v_cmp_le_u32_e32 vcc_lo, s33, v4
	v_cndmask_b32_e32 v12, v4, v5, vcc_lo
	s_delay_alu instid0(VALU_DEP_1)
	v_dual_mov_b32 v4, v12 :: v_dual_mov_b32 v5, v13
.LBB138_158:                            ;   in Loop: Header=BB138_18 Depth=1
	s_delay_alu instid0(VALU_DEP_1) | instskip(NEXT) | instid1(VALU_DEP_2)
	v_sub_co_u32 v4, vcc_lo, s88, v4
	v_sub_co_ci_u32_e32 v5, vcc_lo, s27, v5, vcc_lo
	s_mov_b32 s8, 0
	s_mov_b32 s9, exec_lo
                                        ; implicit-def: $vgpr18
	s_delay_alu instid0(VALU_DEP_1)
	v_cmpx_gt_u64_e64 v[4:5], v[0:1]
	s_cbranch_execz .LBB138_167
; %bb.159:                              ;   in Loop: Header=BB138_18 Depth=1
	v_dual_mov_b32 v7, v1 :: v_dual_mov_b32 v6, v0
	s_mov_b32 s18, 0
                                        ; implicit-def: $sgpr19
	s_branch .LBB138_161
.LBB138_160:                            ;   in Loop: Header=BB138_161 Depth=2
	s_or_b32 exec_lo, exec_lo, s8
	s_waitcnt vmcnt(0) lgkmcnt(0)
	s_barrier
	buffer_gl0_inv
	ds_load_u16 v12, v13 offset:3072
	v_add_co_u32 v6, vcc_lo, v6, s33
	v_add_co_ci_u32_e32 v7, vcc_lo, 0, v7, vcc_lo
	s_waitcnt lgkmcnt(0)
	s_barrier
	buffer_gl0_inv
	v_cmp_ge_u64_e32 vcc_lo, v[6:7], v[4:5]
	v_and_b32_e32 v18, 0xff, v12
	s_delay_alu instid0(VALU_DEP_1) | instskip(NEXT) | instid1(VALU_DEP_1)
	v_cmp_ne_u16_e64 s8, 0, v18
	s_or_b32 s25, vcc_lo, s8
	s_delay_alu instid0(SALU_CYCLE_1) | instskip(NEXT) | instid1(SALU_CYCLE_1)
	s_and_b32 s25, exec_lo, s25
	s_or_b32 s18, s25, s18
	s_and_not1_b32 s19, s19, exec_lo
	s_and_b32 s8, s8, exec_lo
	s_delay_alu instid0(SALU_CYCLE_1)
	s_or_b32 s19, s19, s8
	s_and_not1_b32 exec_lo, exec_lo, s18
	s_cbranch_execz .LBB138_166
.LBB138_161:                            ;   Parent Loop BB138_18 Depth=1
                                        ; =>  This Inner Loop Header: Depth=2
	s_delay_alu instid0(VALU_DEP_1)
	v_cmp_gt_u64_e32 vcc_lo, s[36:37], v[6:7]
	v_mov_b32_e32 v12, 0
	s_and_saveexec_b32 s8, vcc_lo
	s_cbranch_execz .LBB138_163
; %bb.162:                              ;   in Loop: Header=BB138_161 Depth=2
	v_mad_u64_u32 v[18:19], null, v6, s30, s[28:29]
	v_mul_lo_u32 v12, v6, s31
	v_mul_lo_u32 v20, v7, s30
	s_delay_alu instid0(VALU_DEP_1)
	v_add3_u32 v19, v20, v19, v12
	global_load_u8 v12, v[18:19], off
.LBB138_163:                            ;   in Loop: Header=BB138_161 Depth=2
	s_or_b32 exec_lo, exec_lo, s8
	s_and_saveexec_b32 s8, vcc_lo
	s_cbranch_execz .LBB138_160
; %bb.164:                              ;   in Loop: Header=BB138_161 Depth=2
	s_waitcnt vmcnt(0)
	v_bfe_i32 v18, v12, 0, 8
	s_delay_alu instid0(VALU_DEP_1) | instskip(NEXT) | instid1(VALU_DEP_1)
	v_add_nc_u32_e32 v18, 0x80, v18
	v_and_b32_e32 v18, v18, v9
	s_delay_alu instid0(VALU_DEP_1)
	v_cmp_eq_u32_e32 vcc_lo, v18, v8
	s_and_b32 exec_lo, exec_lo, vcc_lo
	s_cbranch_execz .LBB138_160
; %bb.165:                              ;   in Loop: Header=BB138_161 Depth=2
	v_lshlrev_b16 v12, 8, v12
	s_delay_alu instid0(VALU_DEP_1)
	v_or_b32_e32 v12, 1, v12
	ds_store_b16 v13, v12 offset:3072
	s_branch .LBB138_160
.LBB138_166:                            ;   in Loop: Header=BB138_18 Depth=1
	s_or_b32 exec_lo, exec_lo, s18
	v_lshrrev_b16 v18, 8, v12
	s_and_b32 s8, s19, exec_lo
.LBB138_167:                            ;   in Loop: Header=BB138_18 Depth=1
	s_or_b32 exec_lo, exec_lo, s9
	s_mov_b32 s79, -1
	s_mov_b32 s25, 0
	s_mov_b32 s78, 0
.LBB138_168:                            ;   in Loop: Header=BB138_18 Depth=1
	s_or_not1_b32 s8, s8, exec_lo
.LBB138_169:                            ;   in Loop: Header=BB138_18 Depth=1
	s_or_b32 exec_lo, exec_lo, s60
	s_mov_b32 s26, 0
                                        ; implicit-def: $vgpr6
	s_and_saveexec_b32 s80, s8
	s_cbranch_execz .LBB138_282
; %bb.170:                              ;   in Loop: Header=BB138_18 Depth=1
	v_mov_b32_e32 v4, 1
	v_dual_mov_b32 v5, 0 :: v_dual_mov_b32 v6, 1
	s_xor_b32 s9, s70, -1
	s_delay_alu instid0(SALU_CYCLE_1)
	s_and_saveexec_b32 s8, s9
	s_cbranch_execz .LBB138_180
; %bb.171:                              ;   in Loop: Header=BB138_18 Depth=1
	s_mov_b32 s18, exec_lo
                                        ; implicit-def: $sgpr19
                                        ; implicit-def: $sgpr9
	v_cmpx_ge_u64_e64 s[12:13], v[2:3]
	s_xor_b32 s18, exec_lo, s18
	s_cbranch_execz .LBB138_177
; %bb.172:                              ;   in Loop: Header=BB138_18 Depth=1
	ds_load_b64 v[4:5], v13 offset:5120
	s_waitcnt lgkmcnt(0)
	v_cmp_ne_u64_e32 vcc_lo, 0, v[4:5]
	s_cbranch_vccnz .LBB138_176
; %bb.173:                              ;   in Loop: Header=BB138_18 Depth=1
	s_and_saveexec_b32 s9, s5
	s_cbranch_execz .LBB138_175
; %bb.174:                              ;   in Loop: Header=BB138_18 Depth=1
	v_dual_mov_b32 v4, s12 :: v_dual_mov_b32 v5, s13
	ds_store_b64 v13, v[4:5] offset:5128
.LBB138_175:                            ;   in Loop: Header=BB138_18 Depth=1
	s_or_b32 exec_lo, exec_lo, s9
	s_waitcnt lgkmcnt(0)
	s_barrier
	buffer_gl0_inv
.LBB138_176:                            ;   in Loop: Header=BB138_18 Depth=1
	s_lshl_b32 s9, 1, s22
	v_or_b32_e32 v9, s20, v9
	v_and_or_b32 v8, v8, s21, s9
	s_mov_b32 s9, 0
	s_mov_b32 s19, 8
.LBB138_177:                            ;   in Loop: Header=BB138_18 Depth=1
	s_or_saveexec_b32 s18, s18
	v_mov_b32_e32 v6, s19
	s_xor_b32 exec_lo, exec_lo, s18
; %bb.178:                              ;   in Loop: Header=BB138_18 Depth=1
	v_sub_co_u32 v2, vcc_lo, v2, s12
	v_subrev_co_ci_u32_e32 v3, vcc_lo, s13, v3, vcc_lo
	v_mov_b32_e32 v6, 0
	s_or_b32 s9, s9, exec_lo
; %bb.179:                              ;   in Loop: Header=BB138_18 Depth=1
	s_or_b32 exec_lo, exec_lo, s18
	s_delay_alu instid0(VALU_DEP_2)
	v_dual_mov_b32 v5, v3 :: v_dual_mov_b32 v4, v2
	s_and_b32 s26, s9, exec_lo
.LBB138_180:                            ;   in Loop: Header=BB138_18 Depth=1
	s_or_b32 exec_lo, exec_lo, s8
	s_mov_b32 s8, -1
                                        ; implicit-def: $sgpr9
                                        ; implicit-def: $sgpr18
                                        ; implicit-def: $sgpr19
	s_and_saveexec_b32 s81, s26
	s_cbranch_execz .LBB138_281
; %bb.181:                              ;   in Loop: Header=BB138_18 Depth=1
	v_cmp_eq_u64_e32 vcc_lo, 1, v[4:5]
	s_cmp_eq_u64 s[14:15], 1
                                        ; implicit-def: $sgpr82
                                        ; implicit-def: $sgpr84
                                        ; implicit-def: $sgpr83
	s_cselect_b32 s8, -1, 0
	s_delay_alu instid0(SALU_CYCLE_1)
	s_and_b32 s70, s8, vcc_lo
	s_mov_b32 s8, -1
	s_and_saveexec_b32 s71, s70
	s_cbranch_execz .LBB138_215
; %bb.182:                              ;   in Loop: Header=BB138_18 Depth=1
	ds_load_b64 v[2:3], v13 offset:5120
	s_waitcnt lgkmcnt(0)
	s_barrier
	buffer_gl0_inv
	v_readfirstlane_b32 s18, v2
	v_readfirstlane_b32 s19, v3
	s_and_saveexec_b32 s8, s6
	s_cbranch_execz .LBB138_184
; %bb.183:                              ;   in Loop: Header=BB138_18 Depth=1
	ds_store_b8 v0, v13 offset:3072
.LBB138_184:                            ;   in Loop: Header=BB138_18 Depth=1
	s_or_b32 exec_lo, exec_lo, s8
	s_lshl_b32 s8, 2, s22
	v_or_b32_e32 v9, s20, v9
	v_and_or_b32 v8, v8, s21, s8
	s_cmp_eq_u64 s[18:19], 0
	s_waitcnt lgkmcnt(0)
	s_barrier
	buffer_gl0_inv
	s_cbranch_scc1 .LBB138_198
; %bb.185:                              ;   in Loop: Header=BB138_18 Depth=1
	s_add_u32 s26, s86, s18
	s_addc_u32 s9, s87, s19
	s_mov_b32 s8, s73
	s_delay_alu instid0(SALU_CYCLE_1)
	s_cmp_lg_u64 s[8:9], 0
	s_cbranch_scc0 .LBB138_233
; %bb.186:                              ;   in Loop: Header=BB138_18 Depth=1
	v_cvt_f32_u32_e32 v2, s33
	s_sub_u32 s61, 0, s33
	s_subb_u32 s82, 0, 0
	s_delay_alu instid0(VALU_DEP_1) | instskip(NEXT) | instid1(VALU_DEP_1)
	v_fmac_f32_e64 v2, 0, 0x4f800000
	v_rcp_f32_e32 v2, v2
	s_waitcnt_depctr 0xfff
	v_mul_f32_e32 v2, 0x5f7ffffc, v2
	s_delay_alu instid0(VALU_DEP_1) | instskip(NEXT) | instid1(VALU_DEP_1)
	v_mul_f32_e32 v3, 0x2f800000, v2
	v_trunc_f32_e32 v3, v3
	s_delay_alu instid0(VALU_DEP_1) | instskip(SKIP_1) | instid1(VALU_DEP_2)
	v_fmac_f32_e32 v2, 0xcf800000, v3
	v_cvt_u32_f32_e32 v3, v3
	v_cvt_u32_f32_e32 v2, v2
	s_delay_alu instid0(VALU_DEP_2) | instskip(NEXT) | instid1(VALU_DEP_2)
	v_readfirstlane_b32 s8, v3
	v_readfirstlane_b32 s60, v2
	s_delay_alu instid0(VALU_DEP_2) | instskip(NEXT) | instid1(VALU_DEP_1)
	s_mul_i32 s83, s61, s8
	s_mul_hi_u32 s85, s61, s60
	s_mul_i32 s84, s82, s60
	s_add_i32 s83, s85, s83
	s_mul_i32 vcc_lo, s61, s60
	s_add_i32 s83, s83, s84
	s_mul_hi_u32 s85, s60, vcc_lo
	s_mul_hi_u32 s84, s60, s83
	s_mul_i32 s60, s60, s83
	s_mul_i32 s67, s8, vcc_lo
	s_add_u32 s60, s85, s60
	s_mul_hi_u32 s66, s8, vcc_lo
	s_addc_u32 s84, 0, s84
	s_mul_hi_u32 vcc_lo, s8, s83
	s_add_u32 s60, s60, s67
	s_mul_i32 s83, s8, s83
	s_addc_u32 s60, s84, s66
	s_addc_u32 s66, vcc_lo, 0
	s_add_u32 s60, s60, s83
	s_addc_u32 s66, 0, s66
	v_add_co_u32 v2, s60, v2, s60
	s_delay_alu instid0(VALU_DEP_1) | instskip(SKIP_1) | instid1(VALU_DEP_1)
	s_cmp_lg_u32 s60, 0
	s_addc_u32 s8, s8, s66
	v_readfirstlane_b32 s60, v2
	s_mul_i32 s66, s61, s8
	s_delay_alu instid0(VALU_DEP_1)
	s_mul_hi_u32 s67, s61, s60
	s_mul_i32 s82, s82, s60
	s_add_i32 s66, s67, s66
	s_mul_i32 s61, s61, s60
	s_add_i32 s66, s66, s82
	s_mul_hi_u32 s67, s8, s61
	s_mul_i32 s83, s8, s61
	s_mul_hi_u32 s61, s60, s61
	s_mul_hi_u32 s84, s60, s66
	s_mul_i32 s60, s60, s66
	s_mul_hi_u32 s82, s8, s66
	s_add_u32 s60, s61, s60
	s_addc_u32 s61, 0, s84
	s_add_u32 s60, s60, s83
	s_mul_i32 s66, s8, s66
	s_addc_u32 s60, s61, s67
	s_addc_u32 s61, s82, 0
	s_add_u32 s60, s60, s66
	s_addc_u32 s61, 0, s61
	v_add_co_u32 v2, s60, v2, s60
	s_delay_alu instid0(VALU_DEP_1) | instskip(SKIP_1) | instid1(VALU_DEP_1)
	s_cmp_lg_u32 s60, 0
	s_addc_u32 s8, s8, s61
	v_readfirstlane_b32 s60, v2
	s_mul_i32 s66, s26, s8
	s_mul_hi_u32 s61, s26, s8
	s_mul_hi_u32 s67, s9, s8
	s_mul_i32 s8, s9, s8
	s_mul_hi_u32 s82, s26, s60
	s_mul_hi_u32 s83, s9, s60
	s_mul_i32 s60, s9, s60
	s_add_u32 s66, s82, s66
	s_addc_u32 s61, 0, s61
	s_add_u32 s60, s66, s60
	s_addc_u32 s60, s61, s83
	s_addc_u32 s61, s67, 0
	s_add_u32 s8, s60, s8
	s_addc_u32 s60, 0, s61
	s_mul_hi_u32 s61, s33, s8
	s_mul_i32 s8, s33, s8
	s_mul_i32 s60, s33, s60
	v_sub_co_u32 v2, s8, s26, s8
	s_add_i32 s61, s61, s60
	s_cmp_lg_u32 s8, 0
	s_delay_alu instid0(VALU_DEP_1) | instskip(SKIP_3) | instid1(VALU_DEP_2)
	v_sub_co_u32 v3, s8, v2, s33
	s_subb_u32 s60, s9, s61
	s_cmp_lg_u32 s8, 0
	v_cmp_le_u32_e32 vcc_lo, s33, v2
	v_cmp_le_u32_e64 s8, s33, v3
	v_sub_co_u32 v6, s61, v3, s33
	s_subb_u32 s66, s60, 0
	s_cmp_lg_u32 s61, 0
	s_delay_alu instid0(VALU_DEP_2)
	v_cndmask_b32_e64 v7, 0, -1, s8
	s_subb_u32 s61, s66, 0
	s_cmp_eq_u32 s66, 0
	v_mov_b32_e32 v18, s61
	v_cndmask_b32_e64 v12, 0, -1, vcc_lo
	s_cselect_b32 vcc_lo, -1, 0
	s_cmp_eq_u32 s60, 0
	v_cndmask_b32_e32 v7, -1, v7, vcc_lo
	s_cselect_b32 vcc_lo, -1, 0
	v_cndmask_b32_e32 v12, -1, v12, vcc_lo
	s_delay_alu instid0(VALU_DEP_2) | instskip(NEXT) | instid1(VALU_DEP_2)
	v_cmp_ne_u32_e32 vcc_lo, 0, v7
	v_cmp_ne_u32_e64 s8, 0, v12
	v_cndmask_b32_e32 v7, s66, v18, vcc_lo
	v_cndmask_b32_e32 v6, v3, v6, vcc_lo
	s_delay_alu instid0(VALU_DEP_2) | instskip(NEXT) | instid1(VALU_DEP_2)
	v_cndmask_b32_e64 v3, s60, v7, s8
	v_cndmask_b32_e64 v2, v2, v6, s8
	s_cbranch_execnz .LBB138_188
.LBB138_187:                            ;   in Loop: Header=BB138_18 Depth=1
	v_cvt_f32_u32_e32 v2, s33
	s_sub_i32 s8, 0, s33
	s_delay_alu instid0(VALU_DEP_1) | instskip(SKIP_2) | instid1(VALU_DEP_1)
	v_rcp_iflag_f32_e32 v2, v2
	s_waitcnt_depctr 0xfff
	v_mul_f32_e32 v2, 0x4f7ffffe, v2
	v_cvt_u32_f32_e32 v2, v2
	s_delay_alu instid0(VALU_DEP_1) | instskip(NEXT) | instid1(VALU_DEP_1)
	v_mul_lo_u32 v3, s8, v2
	v_mul_hi_u32 v3, v2, v3
	s_delay_alu instid0(VALU_DEP_1) | instskip(NEXT) | instid1(VALU_DEP_1)
	v_add_nc_u32_e32 v2, v2, v3
	v_mul_hi_u32 v2, s26, v2
	s_delay_alu instid0(VALU_DEP_1) | instskip(NEXT) | instid1(VALU_DEP_1)
	v_mul_lo_u32 v2, v2, s33
	v_sub_nc_u32_e32 v2, s26, v2
	s_delay_alu instid0(VALU_DEP_1) | instskip(SKIP_1) | instid1(VALU_DEP_2)
	v_subrev_nc_u32_e32 v3, s33, v2
	v_cmp_le_u32_e32 vcc_lo, s33, v2
	v_cndmask_b32_e32 v2, v2, v3, vcc_lo
	s_delay_alu instid0(VALU_DEP_1) | instskip(SKIP_1) | instid1(VALU_DEP_2)
	v_subrev_nc_u32_e32 v3, s33, v2
	v_cmp_le_u32_e32 vcc_lo, s33, v2
	v_cndmask_b32_e32 v12, v2, v3, vcc_lo
	s_delay_alu instid0(VALU_DEP_1)
	v_dual_mov_b32 v2, v12 :: v_dual_mov_b32 v3, v13
.LBB138_188:                            ;   in Loop: Header=BB138_18 Depth=1
	s_delay_alu instid0(VALU_DEP_1) | instskip(NEXT) | instid1(VALU_DEP_2)
	v_sub_co_u32 v2, vcc_lo, s26, v2
	v_sub_co_ci_u32_e32 v3, vcc_lo, s9, v3, vcc_lo
	s_mov_b32 s8, 0
	s_mov_b32 s9, exec_lo
                                        ; implicit-def: $vgpr18
	s_delay_alu instid0(VALU_DEP_1)
	v_cmpx_gt_u64_e64 v[2:3], v[0:1]
	s_cbranch_execz .LBB138_200
; %bb.189:                              ;   in Loop: Header=BB138_18 Depth=1
	v_dual_mov_b32 v12, v0 :: v_dual_mov_b32 v7, v1
	v_mov_b32_e32 v6, v0
	s_mov_b32 s26, 0
                                        ; implicit-def: $sgpr60
	s_set_inst_prefetch_distance 0x1
	s_branch .LBB138_191
	.p2align	6
.LBB138_190:                            ;   in Loop: Header=BB138_191 Depth=2
	s_or_b32 exec_lo, exec_lo, s8
	s_waitcnt lgkmcnt(0)
	s_barrier
	buffer_gl0_inv
	ds_load_u16 v18, v13 offset:3072
	v_add_co_u32 v6, vcc_lo, v6, s33
	v_add_co_ci_u32_e32 v7, vcc_lo, 0, v7, vcc_lo
	v_add_nc_u32_e32 v12, s33, v12
	s_waitcnt lgkmcnt(0)
	s_barrier
	s_delay_alu instid0(VALU_DEP_2) | instskip(SKIP_2) | instid1(VALU_DEP_1)
	v_cmp_ge_u64_e32 vcc_lo, v[6:7], v[2:3]
	buffer_gl0_inv
	v_and_b32_e32 v19, 0xff, v18
	v_cmp_ne_u16_e64 s8, 0, v19
	s_delay_alu instid0(VALU_DEP_1) | instskip(NEXT) | instid1(SALU_CYCLE_1)
	s_or_b32 s61, vcc_lo, s8
	s_and_b32 s61, exec_lo, s61
	s_delay_alu instid0(SALU_CYCLE_1) | instskip(SKIP_2) | instid1(SALU_CYCLE_1)
	s_or_b32 s26, s61, s26
	s_and_not1_b32 s60, s60, exec_lo
	s_and_b32 s8, s8, exec_lo
	s_or_b32 s60, s60, s8
	s_and_not1_b32 exec_lo, exec_lo, s26
	s_cbranch_execz .LBB138_199
.LBB138_191:                            ;   Parent Loop BB138_18 Depth=1
                                        ; =>  This Inner Loop Header: Depth=2
	s_delay_alu instid0(VALU_DEP_1)
	v_cmp_gt_u64_e32 vcc_lo, s[18:19], v[6:7]
	v_mov_b32_e32 v18, 0
	s_and_saveexec_b32 s8, vcc_lo
	s_cbranch_execz .LBB138_193
; %bb.192:                              ;   in Loop: Header=BB138_191 Depth=2
	ds_load_u8 v18, v12
.LBB138_193:                            ;   in Loop: Header=BB138_191 Depth=2
	s_or_b32 exec_lo, exec_lo, s8
	s_and_saveexec_b32 s8, vcc_lo
	s_cbranch_execz .LBB138_190
; %bb.194:                              ;   in Loop: Header=BB138_191 Depth=2
	s_waitcnt lgkmcnt(0)
	v_bfe_i32 v19, v18, 0, 8
	s_delay_alu instid0(VALU_DEP_1) | instskip(NEXT) | instid1(VALU_DEP_1)
	v_add_nc_u32_e32 v19, 0x80, v19
	v_and_b32_e32 v19, v19, v9
	s_delay_alu instid0(VALU_DEP_1)
	v_cmp_eq_u32_e32 vcc_lo, v19, v8
	s_and_b32 exec_lo, exec_lo, vcc_lo
	s_cbranch_execz .LBB138_190
; %bb.195:                              ;   in Loop: Header=BB138_191 Depth=2
	v_lshlrev_b16 v18, 8, v18
	s_delay_alu instid0(VALU_DEP_1)
	v_or_b32_e32 v18, 1, v18
	ds_store_b16 v13, v18 offset:3072
	s_branch .LBB138_190
.LBB138_196:                            ;   in Loop: Header=BB138_18 Depth=1
                                        ; implicit-def: $vgpr4_vgpr5
	s_branch .LBB138_141
.LBB138_197:                            ;   in Loop: Header=BB138_18 Depth=1
                                        ; implicit-def: $vgpr4_vgpr5
	s_branch .LBB138_157
.LBB138_198:                            ;   in Loop: Header=BB138_18 Depth=1
	s_mov_b32 s82, -1
	s_mov_b32 s8, 0
                                        ; implicit-def: $sgpr83
                                        ; implicit-def: $vgpr18
	s_mov_b32 s84, s82
	s_cbranch_execnz .LBB138_201
	s_branch .LBB138_214
.LBB138_199:                            ;   in Loop: Header=BB138_18 Depth=1
	s_set_inst_prefetch_distance 0x2
	s_or_b32 exec_lo, exec_lo, s26
	v_lshrrev_b16 v18, 8, v18
	s_and_b32 s8, s60, exec_lo
.LBB138_200:                            ;   in Loop: Header=BB138_18 Depth=1
	s_or_b32 exec_lo, exec_lo, s9
	s_mov_b32 s83, -1
	s_mov_b32 s82, 0
	s_delay_alu instid0(SALU_CYCLE_1)
	s_mov_b32 s84, s82
	s_branch .LBB138_214
.LBB138_201:                            ;   in Loop: Header=BB138_18 Depth=1
	s_mov_b32 s26, s73
	s_delay_alu instid0(SALU_CYCLE_1)
	s_cmp_lg_u64 s[26:27], 0
	s_cbranch_scc0 .LBB138_234
; %bb.202:                              ;   in Loop: Header=BB138_18 Depth=1
	v_cvt_f32_u32_e32 v2, s33
	s_sub_u32 s18, 0, s33
	s_subb_u32 s19, 0, 0
	s_delay_alu instid0(VALU_DEP_1) | instskip(NEXT) | instid1(VALU_DEP_1)
	v_fmac_f32_e64 v2, 0, 0x4f800000
	v_rcp_f32_e32 v2, v2
	s_waitcnt_depctr 0xfff
	v_mul_f32_e32 v2, 0x5f7ffffc, v2
	s_delay_alu instid0(VALU_DEP_1) | instskip(NEXT) | instid1(VALU_DEP_1)
	v_mul_f32_e32 v3, 0x2f800000, v2
	v_trunc_f32_e32 v3, v3
	s_delay_alu instid0(VALU_DEP_1) | instskip(SKIP_1) | instid1(VALU_DEP_2)
	v_fmac_f32_e32 v2, 0xcf800000, v3
	v_cvt_u32_f32_e32 v3, v3
	v_cvt_u32_f32_e32 v2, v2
	s_delay_alu instid0(VALU_DEP_2) | instskip(NEXT) | instid1(VALU_DEP_2)
	v_readfirstlane_b32 s8, v3
	v_readfirstlane_b32 s9, v2
	s_delay_alu instid0(VALU_DEP_2) | instskip(NEXT) | instid1(VALU_DEP_1)
	s_mul_i32 s26, s18, s8
	s_mul_hi_u32 s61, s18, s9
	s_mul_i32 s60, s19, s9
	s_add_i32 s26, s61, s26
	s_mul_i32 s66, s18, s9
	s_add_i32 s26, s26, s60
	s_mul_hi_u32 s61, s9, s66
	s_mul_hi_u32 s67, s8, s66
	s_mul_i32 s60, s8, s66
	s_mul_hi_u32 s66, s9, s26
	s_mul_i32 s9, s9, s26
	s_mul_hi_u32 s82, s8, s26
	s_add_u32 s9, s61, s9
	s_addc_u32 s61, 0, s66
	s_add_u32 s9, s9, s60
	s_mul_i32 s26, s8, s26
	s_addc_u32 s9, s61, s67
	s_addc_u32 s60, s82, 0
	s_add_u32 s9, s9, s26
	s_addc_u32 s26, 0, s60
	v_add_co_u32 v2, s9, v2, s9
	s_delay_alu instid0(VALU_DEP_1) | instskip(SKIP_1) | instid1(VALU_DEP_1)
	s_cmp_lg_u32 s9, 0
	s_addc_u32 s8, s8, s26
	v_readfirstlane_b32 s9, v2
	s_mul_i32 s26, s18, s8
	s_delay_alu instid0(VALU_DEP_1)
	s_mul_hi_u32 s60, s18, s9
	s_mul_i32 s19, s19, s9
	s_add_i32 s26, s60, s26
	s_mul_i32 s18, s18, s9
	s_add_i32 s26, s26, s19
	s_mul_hi_u32 s60, s8, s18
	s_mul_i32 s61, s8, s18
	s_mul_hi_u32 s18, s9, s18
	s_mul_hi_u32 s66, s9, s26
	s_mul_i32 s9, s9, s26
	s_mul_hi_u32 s19, s8, s26
	s_add_u32 s9, s18, s9
	s_addc_u32 s18, 0, s66
	s_add_u32 s9, s9, s61
	s_mul_i32 s26, s8, s26
	s_addc_u32 s9, s18, s60
	s_addc_u32 s18, s19, 0
	s_add_u32 s9, s9, s26
	s_addc_u32 s18, 0, s18
	v_add_co_u32 v2, s9, v2, s9
	s_delay_alu instid0(VALU_DEP_1) | instskip(SKIP_1) | instid1(VALU_DEP_1)
	s_cmp_lg_u32 s9, 0
	s_addc_u32 s8, s8, s18
	v_readfirstlane_b32 s9, v2
	s_mul_i32 s19, s88, s8
	s_mul_hi_u32 s18, s88, s8
	s_mul_hi_u32 s26, s27, s8
	s_mul_i32 s8, s27, s8
	s_mul_hi_u32 s60, s88, s9
	s_mul_hi_u32 s61, s27, s9
	s_mul_i32 s9, s27, s9
	s_add_u32 s19, s60, s19
	s_addc_u32 s18, 0, s18
	s_add_u32 s9, s19, s9
	s_addc_u32 s9, s18, s61
	s_addc_u32 s18, s26, 0
	s_add_u32 s8, s9, s8
	s_addc_u32 s9, 0, s18
	s_mul_hi_u32 s18, s33, s8
	s_mul_i32 s8, s33, s8
	s_mul_i32 s9, s33, s9
	v_sub_co_u32 v2, s8, s88, s8
	s_add_i32 s18, s18, s9
	s_cmp_lg_u32 s8, 0
	s_delay_alu instid0(VALU_DEP_1) | instskip(SKIP_3) | instid1(VALU_DEP_2)
	v_sub_co_u32 v3, s8, v2, s33
	s_subb_u32 s9, s27, s18
	s_cmp_lg_u32 s8, 0
	v_cmp_le_u32_e32 vcc_lo, s33, v2
	v_cmp_le_u32_e64 s8, s33, v3
	v_sub_co_u32 v6, s18, v3, s33
	s_subb_u32 s19, s9, 0
	s_cmp_lg_u32 s18, 0
	s_delay_alu instid0(VALU_DEP_2)
	v_cndmask_b32_e64 v7, 0, -1, s8
	s_subb_u32 s18, s19, 0
	s_cmp_eq_u32 s19, 0
	v_mov_b32_e32 v18, s18
	v_cndmask_b32_e64 v12, 0, -1, vcc_lo
	s_cselect_b32 vcc_lo, -1, 0
	s_cmp_eq_u32 s9, 0
	v_cndmask_b32_e32 v7, -1, v7, vcc_lo
	s_cselect_b32 vcc_lo, -1, 0
	v_cndmask_b32_e32 v12, -1, v12, vcc_lo
	s_delay_alu instid0(VALU_DEP_2) | instskip(NEXT) | instid1(VALU_DEP_2)
	v_cmp_ne_u32_e32 vcc_lo, 0, v7
	v_cmp_ne_u32_e64 s8, 0, v12
	v_cndmask_b32_e32 v7, s19, v18, vcc_lo
	v_cndmask_b32_e32 v6, v3, v6, vcc_lo
	s_delay_alu instid0(VALU_DEP_2) | instskip(NEXT) | instid1(VALU_DEP_2)
	v_cndmask_b32_e64 v3, s9, v7, s8
	v_cndmask_b32_e64 v2, v2, v6, s8
	s_cbranch_execnz .LBB138_204
.LBB138_203:                            ;   in Loop: Header=BB138_18 Depth=1
	v_cvt_f32_u32_e32 v2, s33
	s_sub_i32 s8, 0, s33
	s_delay_alu instid0(VALU_DEP_1) | instskip(SKIP_2) | instid1(VALU_DEP_1)
	v_rcp_iflag_f32_e32 v2, v2
	s_waitcnt_depctr 0xfff
	v_mul_f32_e32 v2, 0x4f7ffffe, v2
	v_cvt_u32_f32_e32 v2, v2
	s_delay_alu instid0(VALU_DEP_1) | instskip(NEXT) | instid1(VALU_DEP_1)
	v_mul_lo_u32 v3, s8, v2
	v_mul_hi_u32 v3, v2, v3
	s_delay_alu instid0(VALU_DEP_1) | instskip(NEXT) | instid1(VALU_DEP_1)
	v_add_nc_u32_e32 v2, v2, v3
	v_mul_hi_u32 v2, s88, v2
	s_delay_alu instid0(VALU_DEP_1) | instskip(NEXT) | instid1(VALU_DEP_1)
	v_mul_lo_u32 v2, v2, s33
	v_sub_nc_u32_e32 v2, s88, v2
	s_delay_alu instid0(VALU_DEP_1) | instskip(SKIP_1) | instid1(VALU_DEP_2)
	v_subrev_nc_u32_e32 v3, s33, v2
	v_cmp_le_u32_e32 vcc_lo, s33, v2
	v_cndmask_b32_e32 v2, v2, v3, vcc_lo
	s_delay_alu instid0(VALU_DEP_1) | instskip(SKIP_1) | instid1(VALU_DEP_2)
	v_subrev_nc_u32_e32 v3, s33, v2
	v_cmp_le_u32_e32 vcc_lo, s33, v2
	v_cndmask_b32_e32 v12, v2, v3, vcc_lo
	s_delay_alu instid0(VALU_DEP_1)
	v_dual_mov_b32 v2, v12 :: v_dual_mov_b32 v3, v13
.LBB138_204:                            ;   in Loop: Header=BB138_18 Depth=1
	s_delay_alu instid0(VALU_DEP_1) | instskip(NEXT) | instid1(VALU_DEP_2)
	v_sub_co_u32 v2, vcc_lo, s88, v2
	v_sub_co_ci_u32_e32 v3, vcc_lo, s27, v3, vcc_lo
	s_mov_b32 s8, 0
	s_mov_b32 s9, exec_lo
                                        ; implicit-def: $vgpr18
	s_delay_alu instid0(VALU_DEP_1)
	v_cmpx_gt_u64_e64 v[2:3], v[0:1]
	s_cbranch_execz .LBB138_213
; %bb.205:                              ;   in Loop: Header=BB138_18 Depth=1
	v_dual_mov_b32 v7, v1 :: v_dual_mov_b32 v6, v0
	s_mov_b32 s18, 0
                                        ; implicit-def: $sgpr19
	s_branch .LBB138_207
.LBB138_206:                            ;   in Loop: Header=BB138_207 Depth=2
	s_or_b32 exec_lo, exec_lo, s8
	s_waitcnt vmcnt(0) lgkmcnt(0)
	s_barrier
	buffer_gl0_inv
	ds_load_u16 v12, v13 offset:3072
	v_add_co_u32 v6, vcc_lo, v6, s33
	v_add_co_ci_u32_e32 v7, vcc_lo, 0, v7, vcc_lo
	s_waitcnt lgkmcnt(0)
	s_barrier
	buffer_gl0_inv
	v_cmp_ge_u64_e32 vcc_lo, v[6:7], v[2:3]
	v_and_b32_e32 v18, 0xff, v12
	s_delay_alu instid0(VALU_DEP_1) | instskip(NEXT) | instid1(VALU_DEP_1)
	v_cmp_ne_u16_e64 s8, 0, v18
	s_or_b32 s26, vcc_lo, s8
	s_delay_alu instid0(SALU_CYCLE_1) | instskip(NEXT) | instid1(SALU_CYCLE_1)
	s_and_b32 s26, exec_lo, s26
	s_or_b32 s18, s26, s18
	s_and_not1_b32 s19, s19, exec_lo
	s_and_b32 s8, s8, exec_lo
	s_delay_alu instid0(SALU_CYCLE_1)
	s_or_b32 s19, s19, s8
	s_and_not1_b32 exec_lo, exec_lo, s18
	s_cbranch_execz .LBB138_212
.LBB138_207:                            ;   Parent Loop BB138_18 Depth=1
                                        ; =>  This Inner Loop Header: Depth=2
	s_delay_alu instid0(VALU_DEP_1)
	v_cmp_gt_u64_e32 vcc_lo, s[36:37], v[6:7]
	v_mov_b32_e32 v12, 0
	s_and_saveexec_b32 s8, vcc_lo
	s_cbranch_execz .LBB138_209
; %bb.208:                              ;   in Loop: Header=BB138_207 Depth=2
	v_mad_u64_u32 v[18:19], null, v6, s30, s[28:29]
	v_mul_lo_u32 v12, v6, s31
	v_mul_lo_u32 v20, v7, s30
	s_delay_alu instid0(VALU_DEP_1)
	v_add3_u32 v19, v20, v19, v12
	global_load_u8 v12, v[18:19], off
.LBB138_209:                            ;   in Loop: Header=BB138_207 Depth=2
	s_or_b32 exec_lo, exec_lo, s8
	s_and_saveexec_b32 s8, vcc_lo
	s_cbranch_execz .LBB138_206
; %bb.210:                              ;   in Loop: Header=BB138_207 Depth=2
	s_waitcnt vmcnt(0)
	v_bfe_i32 v18, v12, 0, 8
	s_delay_alu instid0(VALU_DEP_1) | instskip(NEXT) | instid1(VALU_DEP_1)
	v_add_nc_u32_e32 v18, 0x80, v18
	v_and_b32_e32 v18, v18, v9
	s_delay_alu instid0(VALU_DEP_1)
	v_cmp_eq_u32_e32 vcc_lo, v18, v8
	s_and_b32 exec_lo, exec_lo, vcc_lo
	s_cbranch_execz .LBB138_206
; %bb.211:                              ;   in Loop: Header=BB138_207 Depth=2
	v_lshlrev_b16 v12, 8, v12
	s_delay_alu instid0(VALU_DEP_1)
	v_or_b32_e32 v12, 1, v12
	ds_store_b16 v13, v12 offset:3072
	s_branch .LBB138_206
.LBB138_212:                            ;   in Loop: Header=BB138_18 Depth=1
	s_or_b32 exec_lo, exec_lo, s18
	v_lshrrev_b16 v18, 8, v12
	s_and_b32 s8, s19, exec_lo
.LBB138_213:                            ;   in Loop: Header=BB138_18 Depth=1
	s_or_b32 exec_lo, exec_lo, s9
	s_mov_b32 s84, -1
	s_mov_b32 s82, 0
	s_mov_b32 s83, 0
.LBB138_214:                            ;   in Loop: Header=BB138_18 Depth=1
	s_or_not1_b32 s8, s8, exec_lo
.LBB138_215:                            ;   in Loop: Header=BB138_18 Depth=1
	s_or_b32 exec_lo, exec_lo, s71
	s_mov_b32 s26, 0
                                        ; implicit-def: $vgpr6
	s_and_saveexec_b32 s85, s8
	s_cbranch_execz .LBB138_280
; %bb.216:                              ;   in Loop: Header=BB138_18 Depth=1
	v_mov_b32_e32 v2, 1
	v_dual_mov_b32 v3, 0 :: v_dual_mov_b32 v6, 1
	s_xor_b32 s9, s70, -1
	s_delay_alu instid0(SALU_CYCLE_1)
	s_and_saveexec_b32 s8, s9
	s_cbranch_execz .LBB138_226
; %bb.217:                              ;   in Loop: Header=BB138_18 Depth=1
	s_mov_b32 s18, exec_lo
                                        ; implicit-def: $sgpr19
                                        ; implicit-def: $sgpr9
	v_cmpx_ge_u64_e64 s[14:15], v[4:5]
	s_xor_b32 s18, exec_lo, s18
	s_cbranch_execz .LBB138_223
; %bb.218:                              ;   in Loop: Header=BB138_18 Depth=1
	ds_load_b64 v[2:3], v13 offset:5120
	s_waitcnt lgkmcnt(0)
	v_cmp_ne_u64_e32 vcc_lo, 0, v[2:3]
	s_cbranch_vccnz .LBB138_222
; %bb.219:                              ;   in Loop: Header=BB138_18 Depth=1
	s_and_saveexec_b32 s9, s5
	s_cbranch_execz .LBB138_221
; %bb.220:                              ;   in Loop: Header=BB138_18 Depth=1
	v_dual_mov_b32 v2, s14 :: v_dual_mov_b32 v3, s15
	ds_store_b64 v13, v[2:3] offset:5128
.LBB138_221:                            ;   in Loop: Header=BB138_18 Depth=1
	s_or_b32 exec_lo, exec_lo, s9
	s_waitcnt lgkmcnt(0)
	s_barrier
	buffer_gl0_inv
.LBB138_222:                            ;   in Loop: Header=BB138_18 Depth=1
	s_lshl_b32 s9, 2, s22
	v_or_b32_e32 v9, s20, v9
	v_and_or_b32 v8, v8, s21, s9
	s_mov_b32 s9, 0
	s_mov_b32 s19, 8
.LBB138_223:                            ;   in Loop: Header=BB138_18 Depth=1
	s_or_saveexec_b32 s18, s18
	v_mov_b32_e32 v6, s19
	s_xor_b32 exec_lo, exec_lo, s18
; %bb.224:                              ;   in Loop: Header=BB138_18 Depth=1
	v_sub_co_u32 v4, vcc_lo, v4, s14
	v_subrev_co_ci_u32_e32 v5, vcc_lo, s15, v5, vcc_lo
	v_mov_b32_e32 v6, 0
	s_or_b32 s9, s9, exec_lo
; %bb.225:                              ;   in Loop: Header=BB138_18 Depth=1
	s_or_b32 exec_lo, exec_lo, s18
	s_delay_alu instid0(VALU_DEP_2)
	v_dual_mov_b32 v2, v4 :: v_dual_mov_b32 v3, v5
	s_and_b32 s26, s9, exec_lo
.LBB138_226:                            ;   in Loop: Header=BB138_18 Depth=1
	s_or_b32 exec_lo, exec_lo, s8
	s_mov_b32 s19, -1
                                        ; implicit-def: $sgpr8
                                        ; implicit-def: $sgpr18
                                        ; implicit-def: $sgpr9
	s_and_saveexec_b32 s70, s26
	s_cbranch_execz .LBB138_279
; %bb.227:                              ;   in Loop: Header=BB138_18 Depth=1
	v_cmp_eq_u64_e32 vcc_lo, 1, v[2:3]
	s_cmp_eq_u64 s[16:17], 1
	s_mov_b32 s26, -1
	s_cselect_b32 s8, -1, 0
                                        ; implicit-def: $sgpr18
                                        ; implicit-def: $sgpr9
	s_delay_alu instid0(SALU_CYCLE_1) | instskip(NEXT) | instid1(SALU_CYCLE_1)
	s_and_b32 s71, s8, vcc_lo
                                        ; implicit-def: $sgpr8
	s_and_saveexec_b32 s60, s71
	s_cbranch_execz .LBB138_266
; %bb.228:                              ;   in Loop: Header=BB138_18 Depth=1
	ds_load_b64 v[4:5], v13 offset:5120
	s_waitcnt lgkmcnt(0)
	s_barrier
	buffer_gl0_inv
	v_readfirstlane_b32 s18, v4
	v_readfirstlane_b32 s19, v5
	s_and_saveexec_b32 s8, s6
	s_cbranch_execz .LBB138_230
; %bb.229:                              ;   in Loop: Header=BB138_18 Depth=1
	ds_store_b8 v0, v13 offset:3072
.LBB138_230:                            ;   in Loop: Header=BB138_18 Depth=1
	s_or_b32 exec_lo, exec_lo, s8
	v_or_b32_e32 v8, s20, v8
	v_or_b32_e32 v9, s20, v9
	s_cmp_eq_u64 s[18:19], 0
	s_waitcnt lgkmcnt(0)
	s_barrier
	buffer_gl0_inv
	s_cbranch_scc1 .LBB138_235
; %bb.231:                              ;   in Loop: Header=BB138_18 Depth=1
	s_add_u32 s26, s86, s18
	s_addc_u32 s9, s87, s19
	s_mov_b32 s8, s73
	s_delay_alu instid0(SALU_CYCLE_1)
	s_cmp_lg_u64 s[8:9], 0
	s_cbranch_scc0 .LBB138_236
; %bb.232:                              ;   in Loop: Header=BB138_18 Depth=1
	v_cvt_f32_u32_e32 v4, s33
	s_sub_u32 s66, 0, s33
	s_subb_u32 s67, 0, 0
	s_delay_alu instid0(VALU_DEP_1) | instskip(NEXT) | instid1(VALU_DEP_1)
	v_fmac_f32_e64 v4, 0, 0x4f800000
	v_rcp_f32_e32 v4, v4
	s_waitcnt_depctr 0xfff
	v_mul_f32_e32 v4, 0x5f7ffffc, v4
	s_delay_alu instid0(VALU_DEP_1) | instskip(NEXT) | instid1(VALU_DEP_1)
	v_mul_f32_e32 v5, 0x2f800000, v4
	v_trunc_f32_e32 v5, v5
	s_delay_alu instid0(VALU_DEP_1) | instskip(SKIP_1) | instid1(VALU_DEP_2)
	v_fmac_f32_e32 v4, 0xcf800000, v5
	v_cvt_u32_f32_e32 v5, v5
	v_cvt_u32_f32_e32 v4, v4
	s_delay_alu instid0(VALU_DEP_2) | instskip(NEXT) | instid1(VALU_DEP_2)
	v_readfirstlane_b32 s8, v5
	v_readfirstlane_b32 s61, v4
	s_delay_alu instid0(VALU_DEP_2) | instskip(NEXT) | instid1(VALU_DEP_1)
	s_mul_i32 vcc_lo, s66, s8
	s_mul_hi_u32 s49, s66, s61
	s_mul_i32 s48, s67, s61
	s_add_i32 s49, s49, vcc_lo
	s_mul_i32 s50, s66, s61
	s_add_i32 s49, s49, s48
	s_mul_hi_u32 s51, s61, s50
	s_mul_hi_u32 vcc_lo, s8, s50
	s_mul_i32 s48, s8, s50
	s_mul_hi_u32 s50, s61, s49
	s_mul_i32 s61, s61, s49
	s_mul_hi_u32 s52, s8, s49
	s_add_u32 s51, s51, s61
	s_addc_u32 s50, 0, s50
	s_add_u32 s48, s51, s48
	s_mul_i32 s49, s8, s49
	s_addc_u32 s48, s50, vcc_lo
	s_addc_u32 s50, s52, 0
	s_add_u32 s48, s48, s49
	s_addc_u32 s49, 0, s50
	v_add_co_u32 v4, s48, v4, s48
	s_delay_alu instid0(VALU_DEP_1) | instskip(SKIP_1) | instid1(VALU_DEP_1)
	s_cmp_lg_u32 s48, 0
	s_addc_u32 s8, s8, s49
	v_readfirstlane_b32 s48, v4
	s_mul_i32 s49, s66, s8
	s_delay_alu instid0(VALU_DEP_1)
	s_mul_hi_u32 s50, s66, s48
	s_mul_i32 s67, s67, s48
	s_add_i32 s49, s50, s49
	s_mul_i32 s66, s66, s48
	s_add_i32 s49, s49, s67
	s_mul_hi_u32 s52, s48, s66
	s_mul_hi_u32 s54, s48, s49
	s_mul_i32 s48, s48, s49
	s_mul_i32 s51, s8, s66
	s_add_u32 s48, s52, s48
	s_mul_hi_u32 s50, s8, s66
	s_addc_u32 s52, 0, s54
	s_mul_hi_u32 s53, s8, s49
	s_add_u32 s48, s48, s51
	s_mul_i32 s49, s8, s49
	s_addc_u32 s48, s52, s50
	s_addc_u32 s50, s53, 0
	s_add_u32 s48, s48, s49
	s_addc_u32 s49, 0, s50
	v_add_co_u32 v4, s48, v4, s48
	s_delay_alu instid0(VALU_DEP_1) | instskip(SKIP_1) | instid1(VALU_DEP_1)
	s_cmp_lg_u32 s48, 0
	s_addc_u32 s8, s8, s49
	v_readfirstlane_b32 s48, v4
	s_mul_i32 s50, s26, s8
	s_mul_hi_u32 s49, s26, s8
	s_mul_hi_u32 s51, s9, s8
	s_mul_i32 s8, s9, s8
	s_mul_hi_u32 s52, s26, s48
	s_mul_hi_u32 s53, s9, s48
	s_mul_i32 s48, s9, s48
	s_add_u32 s50, s52, s50
	s_addc_u32 s49, 0, s49
	s_add_u32 s48, s50, s48
	s_addc_u32 s48, s49, s53
	s_addc_u32 s49, s51, 0
	s_add_u32 s8, s48, s8
	s_addc_u32 s48, 0, s49
	s_mul_hi_u32 s49, s33, s8
	s_mul_i32 s8, s33, s8
	s_mul_i32 s48, s33, s48
	v_sub_co_u32 v4, s8, s26, s8
	s_add_i32 s49, s49, s48
	s_cmp_lg_u32 s8, 0
	s_delay_alu instid0(VALU_DEP_1) | instskip(SKIP_3) | instid1(VALU_DEP_2)
	v_sub_co_u32 v5, s8, v4, s33
	s_subb_u32 s48, s9, s49
	s_cmp_lg_u32 s8, 0
	v_cmp_le_u32_e32 vcc_lo, s33, v4
	v_cmp_le_u32_e64 s8, s33, v5
	v_sub_co_u32 v6, s49, v5, s33
	s_subb_u32 s50, s48, 0
	s_cmp_lg_u32 s49, 0
	s_delay_alu instid0(VALU_DEP_2)
	v_cndmask_b32_e64 v7, 0, -1, s8
	s_subb_u32 s49, s50, 0
	s_cmp_eq_u32 s50, 0
	v_mov_b32_e32 v18, s49
	v_cndmask_b32_e64 v12, 0, -1, vcc_lo
	s_cselect_b32 vcc_lo, -1, 0
	s_cmp_eq_u32 s48, 0
	v_cndmask_b32_e32 v7, -1, v7, vcc_lo
	s_cselect_b32 vcc_lo, -1, 0
	v_cndmask_b32_e32 v12, -1, v12, vcc_lo
	s_delay_alu instid0(VALU_DEP_2) | instskip(NEXT) | instid1(VALU_DEP_2)
	v_cmp_ne_u32_e32 vcc_lo, 0, v7
	v_cmp_ne_u32_e64 s8, 0, v12
	v_cndmask_b32_e32 v7, s50, v18, vcc_lo
	v_cndmask_b32_e32 v6, v5, v6, vcc_lo
	s_delay_alu instid0(VALU_DEP_2) | instskip(NEXT) | instid1(VALU_DEP_2)
	v_cndmask_b32_e64 v5, s48, v7, s8
	v_cndmask_b32_e64 v4, v4, v6, s8
	s_mov_b32 s8, 0
	s_branch .LBB138_237
.LBB138_233:                            ;   in Loop: Header=BB138_18 Depth=1
                                        ; implicit-def: $vgpr2_vgpr3
	s_branch .LBB138_187
.LBB138_234:                            ;   in Loop: Header=BB138_18 Depth=1
                                        ; implicit-def: $vgpr2_vgpr3
	s_branch .LBB138_203
.LBB138_235:                            ;   in Loop: Header=BB138_18 Depth=1
	s_mov_b32 s8, -1
	s_mov_b32 s26, 0
                                        ; implicit-def: $sgpr9
                                        ; implicit-def: $vgpr18
	s_branch .LBB138_249
.LBB138_236:                            ;   in Loop: Header=BB138_18 Depth=1
	s_mov_b32 s8, -1
                                        ; implicit-def: $vgpr4_vgpr5
.LBB138_237:                            ;   in Loop: Header=BB138_18 Depth=1
	s_delay_alu instid0(SALU_CYCLE_1)
	s_and_not1_b32 vcc_lo, exec_lo, s8
	s_cbranch_vccnz .LBB138_239
; %bb.238:                              ;   in Loop: Header=BB138_18 Depth=1
	v_cvt_f32_u32_e32 v4, s33
	s_sub_i32 s8, 0, s33
	s_delay_alu instid0(VALU_DEP_1) | instskip(SKIP_2) | instid1(VALU_DEP_1)
	v_rcp_iflag_f32_e32 v4, v4
	s_waitcnt_depctr 0xfff
	v_mul_f32_e32 v4, 0x4f7ffffe, v4
	v_cvt_u32_f32_e32 v4, v4
	s_delay_alu instid0(VALU_DEP_1) | instskip(NEXT) | instid1(VALU_DEP_1)
	v_mul_lo_u32 v5, s8, v4
	v_mul_hi_u32 v5, v4, v5
	s_delay_alu instid0(VALU_DEP_1) | instskip(NEXT) | instid1(VALU_DEP_1)
	v_add_nc_u32_e32 v4, v4, v5
	v_mul_hi_u32 v4, s26, v4
	s_delay_alu instid0(VALU_DEP_1) | instskip(NEXT) | instid1(VALU_DEP_1)
	v_mul_lo_u32 v4, v4, s33
	v_sub_nc_u32_e32 v4, s26, v4
	s_delay_alu instid0(VALU_DEP_1) | instskip(SKIP_1) | instid1(VALU_DEP_2)
	v_subrev_nc_u32_e32 v5, s33, v4
	v_cmp_le_u32_e32 vcc_lo, s33, v4
	v_cndmask_b32_e32 v4, v4, v5, vcc_lo
	s_delay_alu instid0(VALU_DEP_1) | instskip(SKIP_1) | instid1(VALU_DEP_2)
	v_subrev_nc_u32_e32 v5, s33, v4
	v_cmp_le_u32_e32 vcc_lo, s33, v4
	v_cndmask_b32_e32 v12, v4, v5, vcc_lo
	s_delay_alu instid0(VALU_DEP_1)
	v_dual_mov_b32 v4, v12 :: v_dual_mov_b32 v5, v13
.LBB138_239:                            ;   in Loop: Header=BB138_18 Depth=1
	s_delay_alu instid0(VALU_DEP_1) | instskip(NEXT) | instid1(VALU_DEP_2)
	v_sub_co_u32 v4, vcc_lo, s26, v4
	v_sub_co_ci_u32_e32 v5, vcc_lo, s9, v5, vcc_lo
	s_mov_b32 s26, 0
	s_mov_b32 s9, exec_lo
                                        ; implicit-def: $vgpr18
	s_delay_alu instid0(VALU_DEP_1)
	v_cmpx_gt_u64_e64 v[4:5], v[0:1]
	s_cbranch_execz .LBB138_248
; %bb.240:                              ;   in Loop: Header=BB138_18 Depth=1
	v_dual_mov_b32 v12, v0 :: v_dual_mov_b32 v7, v1
	v_mov_b32_e32 v6, v0
                                        ; implicit-def: $sgpr61
	s_set_inst_prefetch_distance 0x1
	s_branch .LBB138_242
	.p2align	6
.LBB138_241:                            ;   in Loop: Header=BB138_242 Depth=2
	s_or_b32 exec_lo, exec_lo, s8
	s_waitcnt lgkmcnt(0)
	s_barrier
	buffer_gl0_inv
	ds_load_u16 v18, v13 offset:3072
	v_add_co_u32 v6, vcc_lo, v6, s33
	v_add_co_ci_u32_e32 v7, vcc_lo, 0, v7, vcc_lo
	v_add_nc_u32_e32 v12, s33, v12
	s_waitcnt lgkmcnt(0)
	s_barrier
	s_delay_alu instid0(VALU_DEP_2) | instskip(SKIP_2) | instid1(VALU_DEP_1)
	v_cmp_ge_u64_e32 vcc_lo, v[6:7], v[4:5]
	buffer_gl0_inv
	v_and_b32_e32 v19, 0xff, v18
	v_cmp_ne_u16_e64 s8, 0, v19
	s_delay_alu instid0(VALU_DEP_1) | instskip(NEXT) | instid1(SALU_CYCLE_1)
	s_or_b32 s48, vcc_lo, s8
	s_and_b32 s48, exec_lo, s48
	s_delay_alu instid0(SALU_CYCLE_1) | instskip(SKIP_2) | instid1(SALU_CYCLE_1)
	s_or_b32 s26, s48, s26
	s_and_not1_b32 s48, s61, exec_lo
	s_and_b32 s8, s8, exec_lo
	s_or_b32 s61, s48, s8
	s_and_not1_b32 exec_lo, exec_lo, s26
	s_cbranch_execz .LBB138_247
.LBB138_242:                            ;   Parent Loop BB138_18 Depth=1
                                        ; =>  This Inner Loop Header: Depth=2
	s_delay_alu instid0(VALU_DEP_1)
	v_cmp_gt_u64_e32 vcc_lo, s[18:19], v[6:7]
	v_mov_b32_e32 v18, 0
	s_and_saveexec_b32 s8, vcc_lo
	s_cbranch_execz .LBB138_244
; %bb.243:                              ;   in Loop: Header=BB138_242 Depth=2
	ds_load_u8 v18, v12
.LBB138_244:                            ;   in Loop: Header=BB138_242 Depth=2
	s_or_b32 exec_lo, exec_lo, s8
	s_and_saveexec_b32 s8, vcc_lo
	s_cbranch_execz .LBB138_241
; %bb.245:                              ;   in Loop: Header=BB138_242 Depth=2
	s_waitcnt lgkmcnt(0)
	v_bfe_i32 v19, v18, 0, 8
	s_delay_alu instid0(VALU_DEP_1) | instskip(NEXT) | instid1(VALU_DEP_1)
	v_add_nc_u32_e32 v19, 0x80, v19
	v_and_b32_e32 v19, v19, v9
	s_delay_alu instid0(VALU_DEP_1)
	v_cmp_eq_u32_e32 vcc_lo, v19, v8
	s_and_b32 exec_lo, exec_lo, vcc_lo
	s_cbranch_execz .LBB138_241
; %bb.246:                              ;   in Loop: Header=BB138_242 Depth=2
	v_lshlrev_b16 v18, 8, v18
	s_delay_alu instid0(VALU_DEP_1)
	v_or_b32_e32 v18, 1, v18
	ds_store_b16 v13, v18 offset:3072
	s_branch .LBB138_241
.LBB138_247:                            ;   in Loop: Header=BB138_18 Depth=1
	s_set_inst_prefetch_distance 0x2
	s_or_b32 exec_lo, exec_lo, s26
	v_lshrrev_b16 v18, 8, v18
	s_and_b32 s26, s61, exec_lo
.LBB138_248:                            ;   in Loop: Header=BB138_18 Depth=1
	s_or_b32 exec_lo, exec_lo, s9
	s_mov_b32 s9, -1
	s_mov_b32 s8, 0
.LBB138_249:                            ;   in Loop: Header=BB138_18 Depth=1
	s_delay_alu instid0(SALU_CYCLE_1)
	s_and_b32 vcc_lo, exec_lo, s8
	s_mov_b32 s18, s8
	s_cbranch_vccz .LBB138_265
; %bb.250:                              ;   in Loop: Header=BB138_18 Depth=1
	s_mov_b32 s26, s73
	s_delay_alu instid0(SALU_CYCLE_1)
	s_cmp_lg_u64 s[26:27], 0
	s_cbranch_scc0 .LBB138_252
; %bb.251:                              ;   in Loop: Header=BB138_18 Depth=1
	v_cvt_f32_u32_e32 v4, s33
	s_sub_u32 s18, 0, s33
	s_subb_u32 s19, 0, 0
	s_delay_alu instid0(VALU_DEP_1) | instskip(NEXT) | instid1(VALU_DEP_1)
	v_fmac_f32_e64 v4, 0, 0x4f800000
	v_rcp_f32_e32 v4, v4
	s_waitcnt_depctr 0xfff
	v_mul_f32_e32 v4, 0x5f7ffffc, v4
	s_delay_alu instid0(VALU_DEP_1) | instskip(NEXT) | instid1(VALU_DEP_1)
	v_mul_f32_e32 v5, 0x2f800000, v4
	v_trunc_f32_e32 v5, v5
	s_delay_alu instid0(VALU_DEP_1) | instskip(SKIP_1) | instid1(VALU_DEP_2)
	v_fmac_f32_e32 v4, 0xcf800000, v5
	v_cvt_u32_f32_e32 v5, v5
	v_cvt_u32_f32_e32 v4, v4
	s_delay_alu instid0(VALU_DEP_2) | instskip(NEXT) | instid1(VALU_DEP_2)
	v_readfirstlane_b32 s8, v5
	v_readfirstlane_b32 s9, v4
	s_delay_alu instid0(VALU_DEP_2) | instskip(NEXT) | instid1(VALU_DEP_1)
	s_mul_i32 s26, s18, s8
	s_mul_hi_u32 s49, s18, s9
	s_mul_i32 s48, s19, s9
	s_add_i32 s26, s49, s26
	s_mul_i32 s50, s18, s9
	s_add_i32 s26, s26, s48
	s_mul_hi_u32 s49, s9, s50
	s_mul_hi_u32 s51, s8, s50
	s_mul_i32 s48, s8, s50
	s_mul_hi_u32 s50, s9, s26
	s_mul_i32 s9, s9, s26
	s_mul_hi_u32 s52, s8, s26
	s_add_u32 s9, s49, s9
	s_addc_u32 s49, 0, s50
	s_add_u32 s9, s9, s48
	s_mul_i32 s26, s8, s26
	s_addc_u32 s9, s49, s51
	s_addc_u32 s48, s52, 0
	s_add_u32 s9, s9, s26
	s_addc_u32 s26, 0, s48
	v_add_co_u32 v4, s9, v4, s9
	s_delay_alu instid0(VALU_DEP_1) | instskip(SKIP_1) | instid1(VALU_DEP_1)
	s_cmp_lg_u32 s9, 0
	s_addc_u32 s8, s8, s26
	v_readfirstlane_b32 s9, v4
	s_mul_i32 s26, s18, s8
	s_delay_alu instid0(VALU_DEP_1)
	s_mul_hi_u32 s48, s18, s9
	s_mul_i32 s19, s19, s9
	s_add_i32 s26, s48, s26
	s_mul_i32 s18, s18, s9
	s_add_i32 s26, s26, s19
	s_mul_hi_u32 s48, s8, s18
	s_mul_i32 s49, s8, s18
	s_mul_hi_u32 s18, s9, s18
	s_mul_hi_u32 s50, s9, s26
	s_mul_i32 s9, s9, s26
	s_mul_hi_u32 s19, s8, s26
	s_add_u32 s9, s18, s9
	s_addc_u32 s18, 0, s50
	s_add_u32 s9, s9, s49
	s_mul_i32 s26, s8, s26
	s_addc_u32 s9, s18, s48
	s_addc_u32 s18, s19, 0
	s_add_u32 s9, s9, s26
	s_addc_u32 s18, 0, s18
	v_add_co_u32 v4, s9, v4, s9
	s_delay_alu instid0(VALU_DEP_1) | instskip(SKIP_1) | instid1(VALU_DEP_1)
	s_cmp_lg_u32 s9, 0
	s_addc_u32 s8, s8, s18
	v_readfirstlane_b32 s9, v4
	s_mul_i32 s19, s88, s8
	s_mul_hi_u32 s18, s88, s8
	s_mul_hi_u32 s26, s27, s8
	s_mul_i32 s8, s27, s8
	s_mul_hi_u32 s48, s88, s9
	s_mul_hi_u32 s49, s27, s9
	s_mul_i32 s9, s27, s9
	s_add_u32 s19, s48, s19
	s_addc_u32 s18, 0, s18
	s_add_u32 s9, s19, s9
	s_addc_u32 s9, s18, s49
	s_addc_u32 s18, s26, 0
	s_add_u32 s8, s9, s8
	s_addc_u32 s9, 0, s18
	s_mul_hi_u32 s18, s33, s8
	s_mul_i32 s8, s33, s8
	s_mul_i32 s9, s33, s9
	v_sub_co_u32 v4, s8, s88, s8
	s_add_i32 s18, s18, s9
	s_cmp_lg_u32 s8, 0
	s_delay_alu instid0(VALU_DEP_1) | instskip(SKIP_3) | instid1(VALU_DEP_2)
	v_sub_co_u32 v5, s8, v4, s33
	s_subb_u32 s9, s27, s18
	s_cmp_lg_u32 s8, 0
	v_cmp_le_u32_e32 vcc_lo, s33, v4
	v_cmp_le_u32_e64 s8, s33, v5
	v_sub_co_u32 v6, s18, v5, s33
	s_subb_u32 s19, s9, 0
	s_cmp_lg_u32 s18, 0
	s_delay_alu instid0(VALU_DEP_2)
	v_cndmask_b32_e64 v7, 0, -1, s8
	s_subb_u32 s18, s19, 0
	s_cmp_eq_u32 s19, 0
	v_mov_b32_e32 v18, s18
	v_cndmask_b32_e64 v12, 0, -1, vcc_lo
	s_cselect_b32 vcc_lo, -1, 0
	s_cmp_eq_u32 s9, 0
	v_cndmask_b32_e32 v7, -1, v7, vcc_lo
	s_cselect_b32 vcc_lo, -1, 0
	v_cndmask_b32_e32 v12, -1, v12, vcc_lo
	s_delay_alu instid0(VALU_DEP_2) | instskip(NEXT) | instid1(VALU_DEP_2)
	v_cmp_ne_u32_e32 vcc_lo, 0, v7
	v_cmp_ne_u32_e64 s8, 0, v12
	v_cndmask_b32_e32 v7, s19, v18, vcc_lo
	v_cndmask_b32_e32 v6, v5, v6, vcc_lo
	s_delay_alu instid0(VALU_DEP_2) | instskip(NEXT) | instid1(VALU_DEP_2)
	v_cndmask_b32_e64 v5, s9, v7, s8
	v_cndmask_b32_e64 v4, v4, v6, s8
	s_mov_b32 s8, 0
	s_branch .LBB138_253
.LBB138_252:                            ;   in Loop: Header=BB138_18 Depth=1
	s_mov_b32 s8, -1
                                        ; implicit-def: $vgpr4_vgpr5
.LBB138_253:                            ;   in Loop: Header=BB138_18 Depth=1
	s_delay_alu instid0(SALU_CYCLE_1)
	s_and_not1_b32 vcc_lo, exec_lo, s8
	s_cbranch_vccnz .LBB138_255
; %bb.254:                              ;   in Loop: Header=BB138_18 Depth=1
	v_cvt_f32_u32_e32 v4, s33
	s_sub_i32 s8, 0, s33
	s_delay_alu instid0(VALU_DEP_1) | instskip(SKIP_2) | instid1(VALU_DEP_1)
	v_rcp_iflag_f32_e32 v4, v4
	s_waitcnt_depctr 0xfff
	v_mul_f32_e32 v4, 0x4f7ffffe, v4
	v_cvt_u32_f32_e32 v4, v4
	s_delay_alu instid0(VALU_DEP_1) | instskip(NEXT) | instid1(VALU_DEP_1)
	v_mul_lo_u32 v5, s8, v4
	v_mul_hi_u32 v5, v4, v5
	s_delay_alu instid0(VALU_DEP_1) | instskip(NEXT) | instid1(VALU_DEP_1)
	v_add_nc_u32_e32 v4, v4, v5
	v_mul_hi_u32 v4, s88, v4
	s_delay_alu instid0(VALU_DEP_1) | instskip(NEXT) | instid1(VALU_DEP_1)
	v_mul_lo_u32 v4, v4, s33
	v_sub_nc_u32_e32 v4, s88, v4
	s_delay_alu instid0(VALU_DEP_1) | instskip(SKIP_1) | instid1(VALU_DEP_2)
	v_subrev_nc_u32_e32 v5, s33, v4
	v_cmp_le_u32_e32 vcc_lo, s33, v4
	v_cndmask_b32_e32 v4, v4, v5, vcc_lo
	s_delay_alu instid0(VALU_DEP_1) | instskip(SKIP_1) | instid1(VALU_DEP_2)
	v_subrev_nc_u32_e32 v5, s33, v4
	v_cmp_le_u32_e32 vcc_lo, s33, v4
	v_cndmask_b32_e32 v12, v4, v5, vcc_lo
	s_delay_alu instid0(VALU_DEP_1)
	v_dual_mov_b32 v4, v12 :: v_dual_mov_b32 v5, v13
.LBB138_255:                            ;   in Loop: Header=BB138_18 Depth=1
	s_delay_alu instid0(VALU_DEP_1) | instskip(NEXT) | instid1(VALU_DEP_2)
	v_sub_co_u32 v4, vcc_lo, s88, v4
	v_sub_co_ci_u32_e32 v5, vcc_lo, s27, v5, vcc_lo
	s_mov_b32 s26, 0
	s_mov_b32 s9, exec_lo
                                        ; implicit-def: $vgpr18
	s_delay_alu instid0(VALU_DEP_1)
	v_cmpx_gt_u64_e64 v[4:5], v[0:1]
	s_cbranch_execz .LBB138_264
; %bb.256:                              ;   in Loop: Header=BB138_18 Depth=1
	v_dual_mov_b32 v7, v1 :: v_dual_mov_b32 v6, v0
	s_mov_b32 s18, 0
                                        ; implicit-def: $sgpr19
	s_branch .LBB138_258
.LBB138_257:                            ;   in Loop: Header=BB138_258 Depth=2
	s_or_b32 exec_lo, exec_lo, s8
	s_waitcnt vmcnt(0) lgkmcnt(0)
	s_barrier
	buffer_gl0_inv
	ds_load_u16 v12, v13 offset:3072
	v_add_co_u32 v6, vcc_lo, v6, s33
	v_add_co_ci_u32_e32 v7, vcc_lo, 0, v7, vcc_lo
	s_waitcnt lgkmcnt(0)
	s_barrier
	buffer_gl0_inv
	v_cmp_ge_u64_e32 vcc_lo, v[6:7], v[4:5]
	v_and_b32_e32 v18, 0xff, v12
	s_delay_alu instid0(VALU_DEP_1) | instskip(NEXT) | instid1(VALU_DEP_1)
	v_cmp_ne_u16_e64 s8, 0, v18
	s_or_b32 s26, vcc_lo, s8
	s_delay_alu instid0(SALU_CYCLE_1) | instskip(NEXT) | instid1(SALU_CYCLE_1)
	s_and_b32 s26, exec_lo, s26
	s_or_b32 s18, s26, s18
	s_and_not1_b32 s19, s19, exec_lo
	s_and_b32 s8, s8, exec_lo
	s_delay_alu instid0(SALU_CYCLE_1)
	s_or_b32 s19, s19, s8
	s_and_not1_b32 exec_lo, exec_lo, s18
	s_cbranch_execz .LBB138_263
.LBB138_258:                            ;   Parent Loop BB138_18 Depth=1
                                        ; =>  This Inner Loop Header: Depth=2
	s_delay_alu instid0(VALU_DEP_1)
	v_cmp_gt_u64_e32 vcc_lo, s[36:37], v[6:7]
	v_mov_b32_e32 v12, 0
	s_and_saveexec_b32 s8, vcc_lo
	s_cbranch_execz .LBB138_260
; %bb.259:                              ;   in Loop: Header=BB138_258 Depth=2
	v_mad_u64_u32 v[18:19], null, v6, s30, s[28:29]
	v_mul_lo_u32 v12, v6, s31
	v_mul_lo_u32 v20, v7, s30
	s_delay_alu instid0(VALU_DEP_1)
	v_add3_u32 v19, v20, v19, v12
	global_load_u8 v12, v[18:19], off
.LBB138_260:                            ;   in Loop: Header=BB138_258 Depth=2
	s_or_b32 exec_lo, exec_lo, s8
	s_and_saveexec_b32 s8, vcc_lo
	s_cbranch_execz .LBB138_257
; %bb.261:                              ;   in Loop: Header=BB138_258 Depth=2
	s_waitcnt vmcnt(0)
	v_bfe_i32 v18, v12, 0, 8
	s_delay_alu instid0(VALU_DEP_1) | instskip(NEXT) | instid1(VALU_DEP_1)
	v_add_nc_u32_e32 v18, 0x80, v18
	v_and_b32_e32 v18, v18, v9
	s_delay_alu instid0(VALU_DEP_1)
	v_cmp_eq_u32_e32 vcc_lo, v18, v8
	s_and_b32 exec_lo, exec_lo, vcc_lo
	s_cbranch_execz .LBB138_257
; %bb.262:                              ;   in Loop: Header=BB138_258 Depth=2
	v_lshlrev_b16 v12, 8, v12
	s_delay_alu instid0(VALU_DEP_1)
	v_or_b32_e32 v12, 1, v12
	ds_store_b16 v13, v12 offset:3072
	s_branch .LBB138_257
.LBB138_263:                            ;   in Loop: Header=BB138_18 Depth=1
	s_or_b32 exec_lo, exec_lo, s18
	v_lshrrev_b16 v18, 8, v12
	s_and_b32 s26, s19, exec_lo
.LBB138_264:                            ;   in Loop: Header=BB138_18 Depth=1
	s_or_b32 exec_lo, exec_lo, s9
	s_mov_b32 s18, -1
	s_mov_b32 s8, 0
	s_mov_b32 s9, 0
.LBB138_265:                            ;   in Loop: Header=BB138_18 Depth=1
	s_or_not1_b32 s26, s26, exec_lo
.LBB138_266:                            ;   in Loop: Header=BB138_18 Depth=1
	s_or_b32 exec_lo, exec_lo, s60
	s_mov_b32 s60, 0
                                        ; implicit-def: $vgpr6
                                        ; implicit-def: $vgpr4_vgpr5
	s_and_saveexec_b32 s19, s26
	s_cbranch_execz .LBB138_278
; %bb.267:                              ;   in Loop: Header=BB138_18 Depth=1
	v_mov_b32_e32 v4, 1
	v_dual_mov_b32 v5, 0 :: v_dual_mov_b32 v6, 1
	s_xor_b32 s48, s71, -1
	s_delay_alu instid0(SALU_CYCLE_1)
	s_and_saveexec_b32 s26, s48
	s_cbranch_execz .LBB138_277
; %bb.268:                              ;   in Loop: Header=BB138_18 Depth=1
                                        ; implicit-def: $sgpr61
	s_mov_b32 s48, exec_lo
	v_cmpx_ge_u64_e64 s[16:17], v[2:3]
	s_xor_b32 s60, exec_lo, s48
	s_cbranch_execz .LBB138_274
; %bb.269:                              ;   in Loop: Header=BB138_18 Depth=1
	ds_load_b64 v[4:5], v13 offset:5120
	s_waitcnt lgkmcnt(0)
	v_cmp_ne_u64_e32 vcc_lo, 0, v[4:5]
	s_cbranch_vccnz .LBB138_273
; %bb.270:                              ;   in Loop: Header=BB138_18 Depth=1
	s_and_saveexec_b32 s61, s5
	s_cbranch_execz .LBB138_272
; %bb.271:                              ;   in Loop: Header=BB138_18 Depth=1
	v_dual_mov_b32 v4, s16 :: v_dual_mov_b32 v5, s17
	ds_store_b64 v13, v[4:5] offset:5128
.LBB138_272:                            ;   in Loop: Header=BB138_18 Depth=1
	s_or_b32 exec_lo, exec_lo, s61
	s_waitcnt lgkmcnt(0)
	s_barrier
	buffer_gl0_inv
.LBB138_273:                            ;   in Loop: Header=BB138_18 Depth=1
	v_or_b32_e32 v8, s20, v8
	v_or_b32_e32 v9, s20, v9
	s_mov_b32 s61, 8
.LBB138_274:                            ;   in Loop: Header=BB138_18 Depth=1
	s_or_saveexec_b32 s60, s60
	v_mov_b32_e32 v6, s61
	s_xor_b32 exec_lo, exec_lo, s60
; %bb.275:                              ;   in Loop: Header=BB138_18 Depth=1
	v_sub_co_u32 v2, vcc_lo, v2, s16
	v_subrev_co_ci_u32_e32 v3, vcc_lo, s17, v3, vcc_lo
	v_mov_b32_e32 v6, 8
; %bb.276:                              ;   in Loop: Header=BB138_18 Depth=1
	s_or_b32 exec_lo, exec_lo, s60
	s_delay_alu instid0(VALU_DEP_2)
	v_dual_mov_b32 v5, v3 :: v_dual_mov_b32 v4, v2
.LBB138_277:                            ;   in Loop: Header=BB138_18 Depth=1
	s_or_b32 exec_lo, exec_lo, s26
	s_delay_alu instid0(SALU_CYCLE_1)
	s_mov_b32 s60, exec_lo
.LBB138_278:                            ;   in Loop: Header=BB138_18 Depth=1
	s_or_b32 exec_lo, exec_lo, s19
	s_delay_alu instid0(VALU_DEP_1)
	v_dual_mov_b32 v2, v4 :: v_dual_mov_b32 v3, v5
	s_or_not1_b32 s19, s60, exec_lo
.LBB138_279:                            ;   in Loop: Header=BB138_18 Depth=1
	s_or_b32 exec_lo, exec_lo, s70
	s_delay_alu instid0(SALU_CYCLE_1)
	s_and_not1_b32 s26, s82, exec_lo
	s_and_b32 s8, s8, exec_lo
	v_dual_mov_b32 v5, v3 :: v_dual_mov_b32 v4, v2
	s_or_b32 s82, s26, s8
	s_and_not1_b32 s8, s84, exec_lo
	s_and_b32 s18, s18, exec_lo
	s_and_not1_b32 s26, s83, exec_lo
	s_and_b32 s9, s9, exec_lo
	s_or_b32 s84, s8, s18
	s_or_b32 s83, s26, s9
	s_and_b32 s26, s19, exec_lo
.LBB138_280:                            ;   in Loop: Header=BB138_18 Depth=1
	s_or_b32 exec_lo, exec_lo, s85
	s_delay_alu instid0(SALU_CYCLE_1)
	s_and_b32 s19, s82, exec_lo
	s_and_b32 s18, s84, exec_lo
	;; [unrolled: 1-line block ×3, first 2 shown]
	s_or_not1_b32 s8, s26, exec_lo
.LBB138_281:                            ;   in Loop: Header=BB138_18 Depth=1
	s_or_b32 exec_lo, exec_lo, s81
	s_delay_alu instid0(SALU_CYCLE_1)
	s_and_not1_b32 s25, s25, exec_lo
	s_and_b32 s19, s19, exec_lo
	v_dual_mov_b32 v2, v4 :: v_dual_mov_b32 v3, v5
	s_or_b32 s25, s25, s19
	s_and_not1_b32 s19, s79, exec_lo
	s_and_b32 s18, s18, exec_lo
	s_and_not1_b32 s26, s78, exec_lo
	s_and_b32 s9, s9, exec_lo
	s_or_b32 s79, s19, s18
	s_or_b32 s78, s26, s9
	s_and_b32 s26, s8, exec_lo
.LBB138_282:                            ;   in Loop: Header=BB138_18 Depth=1
	s_or_b32 exec_lo, exec_lo, s80
	s_delay_alu instid0(SALU_CYCLE_1)
	s_and_b32 s19, s25, exec_lo
	s_and_b32 s18, s79, exec_lo
	;; [unrolled: 1-line block ×3, first 2 shown]
	s_or_not1_b32 s25, s26, exec_lo
.LBB138_283:                            ;   in Loop: Header=BB138_18 Depth=1
	s_or_b32 exec_lo, exec_lo, s24
	s_mov_b32 s8, 0
	s_mov_b32 s24, 0
	s_and_saveexec_b32 s26, s25
	s_delay_alu instid0(SALU_CYCLE_1)
	s_xor_b32 s25, exec_lo, s26
; %bb.284:                              ;   in Loop: Header=BB138_18 Depth=1
	v_cmp_ne_u32_e32 vcc_lo, 8, v6
	v_cmp_eq_u32_e64 s8, 8, v6
	s_and_not1_b32 s19, s19, exec_lo
	s_and_not1_b32 s18, s18, exec_lo
	;; [unrolled: 1-line block ×3, first 2 shown]
	s_and_b32 s24, vcc_lo, exec_lo
	s_and_b32 s8, s8, exec_lo
; %bb.285:                              ;   in Loop: Header=BB138_18 Depth=1
	s_or_b32 exec_lo, exec_lo, s25
	s_delay_alu instid0(SALU_CYCLE_1)
	s_and_not1_b32 s23, s23, exec_lo
	s_and_b32 s19, s19, exec_lo
	s_and_b32 s18, s18, exec_lo
	s_or_b32 s23, s23, s19
	s_and_not1_b32 s19, s72, exec_lo
	s_and_not1_b32 s25, s69, exec_lo
	s_and_b32 s9, s9, exec_lo
	s_or_b32 s72, s19, s18
	s_or_b32 s69, s25, s9
	s_and_b32 s24, s24, exec_lo
	s_and_b32 s25, s8, exec_lo
.LBB138_286:                            ;   in Loop: Header=BB138_18 Depth=1
	s_or_b32 exec_lo, exec_lo, s77
	s_delay_alu instid0(SALU_CYCLE_1)
	s_and_b32 vcc_lo, exec_lo, s76
	s_cbranch_vccz .LBB138_105
.LBB138_287:                            ;   in Loop: Header=BB138_18 Depth=1
	s_cmp_eq_u64 s[16:17], 1
                                        ; implicit-def: $sgpr18
                                        ; implicit-def: $sgpr19
                                        ; implicit-def: $sgpr23
	s_cselect_b32 s8, -1, 0
	s_delay_alu instid0(SALU_CYCLE_1)
	s_and_b32 s70, s8, s7
	s_mov_b32 s7, -1
	s_and_saveexec_b32 s60, s70
	s_cbranch_execz .LBB138_319
; %bb.288:                              ;   in Loop: Header=BB138_18 Depth=1
	ds_load_b64 v[2:3], v13 offset:5120
	s_waitcnt lgkmcnt(0)
	s_barrier
	buffer_gl0_inv
	v_readfirstlane_b32 s8, v2
	v_readfirstlane_b32 s9, v3
	s_and_saveexec_b32 s7, s6
	s_cbranch_execz .LBB138_290
; %bb.289:                              ;   in Loop: Header=BB138_18 Depth=1
	ds_store_b8 v0, v13 offset:3072
.LBB138_290:                            ;   in Loop: Header=BB138_18 Depth=1
	s_or_b32 exec_lo, exec_lo, s7
	v_or_b32_e32 v27, s20, v27
	v_or_b32_e32 v26, s20, v26
	s_cmp_eq_u64 s[8:9], 0
	s_waitcnt lgkmcnt(0)
	s_barrier
	buffer_gl0_inv
	s_cbranch_scc1 .LBB138_302
; %bb.291:                              ;   in Loop: Header=BB138_18 Depth=1
	s_add_u32 s23, s86, s8
	s_addc_u32 s19, s87, s9
	s_mov_b32 s18, s73
	s_delay_alu instid0(SALU_CYCLE_1)
	s_cmp_lg_u64 s[18:19], 0
	s_cbranch_scc0 .LBB138_346
; %bb.292:                              ;   in Loop: Header=BB138_18 Depth=1
	v_cvt_f32_u32_e32 v2, s33
	s_sub_u32 s26, 0, s33
	s_subb_u32 s61, 0, 0
	s_delay_alu instid0(VALU_DEP_1) | instskip(NEXT) | instid1(VALU_DEP_1)
	v_fmac_f32_e64 v2, 0, 0x4f800000
	v_rcp_f32_e32 v2, v2
	s_waitcnt_depctr 0xfff
	v_mul_f32_e32 v2, 0x5f7ffffc, v2
	s_delay_alu instid0(VALU_DEP_1) | instskip(NEXT) | instid1(VALU_DEP_1)
	v_mul_f32_e32 v3, 0x2f800000, v2
	v_trunc_f32_e32 v3, v3
	s_delay_alu instid0(VALU_DEP_1) | instskip(SKIP_1) | instid1(VALU_DEP_2)
	v_fmac_f32_e32 v2, 0xcf800000, v3
	v_cvt_u32_f32_e32 v3, v3
	v_cvt_u32_f32_e32 v2, v2
	s_delay_alu instid0(VALU_DEP_2) | instskip(NEXT) | instid1(VALU_DEP_2)
	v_readfirstlane_b32 s7, v3
	v_readfirstlane_b32 s18, v2
	s_delay_alu instid0(VALU_DEP_2) | instskip(NEXT) | instid1(VALU_DEP_1)
	s_mul_i32 s69, s26, s7
	s_mul_hi_u32 s72, s26, s18
	s_mul_i32 s71, s61, s18
	s_add_i32 s69, s72, s69
	s_mul_i32 s76, s26, s18
	s_add_i32 s69, s69, s71
	s_mul_hi_u32 s72, s18, s76
	s_mul_hi_u32 s77, s7, s76
	s_mul_i32 s71, s7, s76
	s_mul_hi_u32 s76, s18, s69
	s_mul_i32 s18, s18, s69
	s_mul_hi_u32 s78, s7, s69
	s_add_u32 s18, s72, s18
	s_addc_u32 s72, 0, s76
	s_add_u32 s18, s18, s71
	s_mul_i32 s69, s7, s69
	s_addc_u32 s18, s72, s77
	s_addc_u32 s71, s78, 0
	s_add_u32 s18, s18, s69
	s_addc_u32 s69, 0, s71
	v_add_co_u32 v2, s18, v2, s18
	s_delay_alu instid0(VALU_DEP_1) | instskip(SKIP_1) | instid1(VALU_DEP_1)
	s_cmp_lg_u32 s18, 0
	s_addc_u32 s7, s7, s69
	v_readfirstlane_b32 s18, v2
	s_mul_i32 s69, s26, s7
	s_delay_alu instid0(VALU_DEP_1)
	s_mul_hi_u32 s71, s26, s18
	s_mul_i32 s61, s61, s18
	s_add_i32 s69, s71, s69
	s_mul_i32 s26, s26, s18
	s_add_i32 s69, s69, s61
	s_mul_hi_u32 s71, s7, s26
	s_mul_i32 s72, s7, s26
	s_mul_hi_u32 s26, s18, s26
	s_mul_hi_u32 s76, s18, s69
	s_mul_i32 s18, s18, s69
	s_mul_hi_u32 s61, s7, s69
	s_add_u32 s18, s26, s18
	s_addc_u32 s26, 0, s76
	s_add_u32 s18, s18, s72
	s_mul_i32 s69, s7, s69
	s_addc_u32 s18, s26, s71
	s_addc_u32 s26, s61, 0
	s_add_u32 s18, s18, s69
	s_addc_u32 s26, 0, s26
	v_add_co_u32 v2, s18, v2, s18
	s_delay_alu instid0(VALU_DEP_1) | instskip(SKIP_1) | instid1(VALU_DEP_1)
	s_cmp_lg_u32 s18, 0
	s_addc_u32 s7, s7, s26
	v_readfirstlane_b32 s18, v2
	s_mul_i32 s61, s23, s7
	s_mul_hi_u32 s26, s23, s7
	s_mul_hi_u32 s69, s19, s7
	s_mul_i32 s7, s19, s7
	s_mul_hi_u32 s71, s23, s18
	s_mul_hi_u32 s72, s19, s18
	s_mul_i32 s18, s19, s18
	s_add_u32 s61, s71, s61
	s_addc_u32 s26, 0, s26
	s_add_u32 s18, s61, s18
	s_addc_u32 s18, s26, s72
	s_addc_u32 s26, s69, 0
	s_add_u32 s7, s18, s7
	s_addc_u32 s18, 0, s26
	s_mul_hi_u32 s26, s33, s7
	s_mul_i32 s7, s33, s7
	s_mul_i32 s18, s33, s18
	v_sub_co_u32 v2, s7, s23, s7
	s_add_i32 s26, s26, s18
	s_cmp_lg_u32 s7, 0
	s_delay_alu instid0(VALU_DEP_1) | instskip(SKIP_2) | instid1(VALU_DEP_1)
	v_sub_co_u32 v3, s7, v2, s33
	s_subb_u32 s18, s19, s26
	s_cmp_lg_u32 s7, 0
	v_cmp_le_u32_e32 vcc_lo, s33, v3
	v_sub_co_u32 v4, s7, v3, s33
	s_subb_u32 s26, s18, 0
	s_cmp_lg_u32 s7, 0
	v_cndmask_b32_e64 v5, 0, -1, vcc_lo
	s_subb_u32 s7, s26, 0
	s_cmp_eq_u32 s26, 0
	v_mov_b32_e32 v7, s7
	s_cselect_b32 vcc_lo, -1, 0
	s_cmp_eq_u32 s18, 0
	v_cndmask_b32_e32 v5, -1, v5, vcc_lo
	v_cmp_le_u32_e32 vcc_lo, s33, v2
	s_cselect_b32 s7, -1, 0
	v_cndmask_b32_e64 v6, 0, -1, vcc_lo
	s_delay_alu instid0(VALU_DEP_3) | instskip(NEXT) | instid1(VALU_DEP_2)
	v_cmp_ne_u32_e32 vcc_lo, 0, v5
	v_cndmask_b32_e64 v5, -1, v6, s7
	v_cndmask_b32_e32 v6, s26, v7, vcc_lo
	v_cndmask_b32_e32 v4, v3, v4, vcc_lo
	s_delay_alu instid0(VALU_DEP_3) | instskip(NEXT) | instid1(VALU_DEP_3)
	v_cmp_ne_u32_e32 vcc_lo, 0, v5
	v_cndmask_b32_e32 v3, s18, v6, vcc_lo
	s_delay_alu instid0(VALU_DEP_3)
	v_cndmask_b32_e32 v2, v2, v4, vcc_lo
	s_cbranch_execnz .LBB138_294
.LBB138_293:                            ;   in Loop: Header=BB138_18 Depth=1
	v_cvt_f32_u32_e32 v2, s33
	s_sub_i32 s7, 0, s33
	s_delay_alu instid0(VALU_DEP_1) | instskip(SKIP_2) | instid1(VALU_DEP_1)
	v_rcp_iflag_f32_e32 v2, v2
	s_waitcnt_depctr 0xfff
	v_mul_f32_e32 v2, 0x4f7ffffe, v2
	v_cvt_u32_f32_e32 v2, v2
	s_delay_alu instid0(VALU_DEP_1) | instskip(NEXT) | instid1(VALU_DEP_1)
	v_mul_lo_u32 v3, s7, v2
	v_mul_hi_u32 v3, v2, v3
	s_delay_alu instid0(VALU_DEP_1) | instskip(NEXT) | instid1(VALU_DEP_1)
	v_add_nc_u32_e32 v2, v2, v3
	v_mul_hi_u32 v2, s23, v2
	s_delay_alu instid0(VALU_DEP_1) | instskip(NEXT) | instid1(VALU_DEP_1)
	v_mul_lo_u32 v2, v2, s33
	v_sub_nc_u32_e32 v2, s23, v2
	s_delay_alu instid0(VALU_DEP_1) | instskip(SKIP_1) | instid1(VALU_DEP_2)
	v_subrev_nc_u32_e32 v3, s33, v2
	v_cmp_le_u32_e32 vcc_lo, s33, v2
	v_cndmask_b32_e32 v2, v2, v3, vcc_lo
	s_delay_alu instid0(VALU_DEP_1) | instskip(SKIP_1) | instid1(VALU_DEP_2)
	v_subrev_nc_u32_e32 v3, s33, v2
	v_cmp_le_u32_e32 vcc_lo, s33, v2
	v_cndmask_b32_e32 v12, v2, v3, vcc_lo
	s_delay_alu instid0(VALU_DEP_1)
	v_dual_mov_b32 v2, v12 :: v_dual_mov_b32 v3, v13
.LBB138_294:                            ;   in Loop: Header=BB138_18 Depth=1
	s_delay_alu instid0(VALU_DEP_1) | instskip(NEXT) | instid1(VALU_DEP_2)
	v_sub_co_u32 v2, vcc_lo, s23, v2
	v_sub_co_ci_u32_e32 v3, vcc_lo, s19, v3, vcc_lo
	s_mov_b32 s7, 0
	s_mov_b32 s18, exec_lo
                                        ; implicit-def: $vgpr28
	s_delay_alu instid0(VALU_DEP_1)
	v_cmpx_gt_u64_e64 v[2:3], v[0:1]
	s_cbranch_execz .LBB138_304
; %bb.295:                              ;   in Loop: Header=BB138_18 Depth=1
	v_dual_mov_b32 v6, v0 :: v_dual_mov_b32 v5, v1
	v_mov_b32_e32 v4, v0
	s_mov_b32 s19, 0
                                        ; implicit-def: $sgpr23
	s_set_inst_prefetch_distance 0x1
	s_branch .LBB138_297
	.p2align	6
.LBB138_296:                            ;   in Loop: Header=BB138_297 Depth=2
	s_or_b32 exec_lo, exec_lo, s7
	s_waitcnt lgkmcnt(0)
	s_barrier
	buffer_gl0_inv
	ds_load_u16 v7, v13 offset:3072
	v_add_co_u32 v4, vcc_lo, v4, s33
	v_add_co_ci_u32_e32 v5, vcc_lo, 0, v5, vcc_lo
	v_add_nc_u32_e32 v6, s33, v6
	s_waitcnt lgkmcnt(0)
	s_barrier
	s_delay_alu instid0(VALU_DEP_2) | instskip(SKIP_2) | instid1(VALU_DEP_1)
	v_cmp_ge_u64_e32 vcc_lo, v[4:5], v[2:3]
	buffer_gl0_inv
	v_and_b32_e32 v8, 0xff, v7
	v_cmp_ne_u16_e64 s7, 0, v8
	s_delay_alu instid0(VALU_DEP_1) | instskip(NEXT) | instid1(SALU_CYCLE_1)
	s_or_b32 s26, vcc_lo, s7
	s_and_b32 s26, exec_lo, s26
	s_delay_alu instid0(SALU_CYCLE_1) | instskip(SKIP_2) | instid1(SALU_CYCLE_1)
	s_or_b32 s19, s26, s19
	s_and_not1_b32 s23, s23, exec_lo
	s_and_b32 s7, s7, exec_lo
	s_or_b32 s23, s23, s7
	s_and_not1_b32 exec_lo, exec_lo, s19
	s_cbranch_execz .LBB138_303
.LBB138_297:                            ;   Parent Loop BB138_18 Depth=1
                                        ; =>  This Inner Loop Header: Depth=2
	s_delay_alu instid0(VALU_DEP_1)
	v_cmp_gt_u64_e32 vcc_lo, s[8:9], v[4:5]
	v_mov_b32_e32 v7, 0
	s_and_saveexec_b32 s7, vcc_lo
	s_cbranch_execz .LBB138_299
; %bb.298:                              ;   in Loop: Header=BB138_297 Depth=2
	ds_load_u8 v7, v6
.LBB138_299:                            ;   in Loop: Header=BB138_297 Depth=2
	s_or_b32 exec_lo, exec_lo, s7
	s_and_saveexec_b32 s7, vcc_lo
	s_cbranch_execz .LBB138_296
; %bb.300:                              ;   in Loop: Header=BB138_297 Depth=2
	s_waitcnt lgkmcnt(0)
	v_bfe_i32 v8, v7, 0, 8
	s_delay_alu instid0(VALU_DEP_1) | instskip(NEXT) | instid1(VALU_DEP_1)
	v_add_nc_u32_e32 v8, 0x80, v8
	v_and_b32_e32 v8, v8, v26
	s_delay_alu instid0(VALU_DEP_1)
	v_cmp_eq_u32_e32 vcc_lo, v8, v27
	s_and_b32 exec_lo, exec_lo, vcc_lo
	s_cbranch_execz .LBB138_296
; %bb.301:                              ;   in Loop: Header=BB138_297 Depth=2
	v_lshlrev_b16 v7, 8, v7
	s_delay_alu instid0(VALU_DEP_1)
	v_or_b32_e32 v7, 1, v7
	ds_store_b16 v13, v7 offset:3072
	s_branch .LBB138_296
.LBB138_302:                            ;   in Loop: Header=BB138_18 Depth=1
	s_mov_b32 s18, -1
	s_mov_b32 s7, 0
                                        ; implicit-def: $sgpr19
                                        ; implicit-def: $vgpr28
	s_mov_b32 s23, s18
	s_cbranch_execnz .LBB138_305
	s_branch .LBB138_318
.LBB138_303:                            ;   in Loop: Header=BB138_18 Depth=1
	s_set_inst_prefetch_distance 0x2
	s_or_b32 exec_lo, exec_lo, s19
	v_lshrrev_b16 v28, 8, v7
	s_and_b32 s7, s23, exec_lo
.LBB138_304:                            ;   in Loop: Header=BB138_18 Depth=1
	s_or_b32 exec_lo, exec_lo, s18
	s_mov_b32 s18, 0
	s_mov_b32 s19, -1
	s_mov_b32 s23, s18
	s_branch .LBB138_318
.LBB138_305:                            ;   in Loop: Header=BB138_18 Depth=1
	s_mov_b32 s26, s73
	s_delay_alu instid0(SALU_CYCLE_1)
	s_cmp_lg_u64 s[26:27], 0
	s_cbranch_scc0 .LBB138_347
; %bb.306:                              ;   in Loop: Header=BB138_18 Depth=1
	v_cvt_f32_u32_e32 v2, s33
	s_sub_u32 s9, 0, s33
	s_subb_u32 s18, 0, 0
	s_delay_alu instid0(VALU_DEP_1) | instskip(NEXT) | instid1(VALU_DEP_1)
	v_fmac_f32_e64 v2, 0, 0x4f800000
	v_rcp_f32_e32 v2, v2
	s_waitcnt_depctr 0xfff
	v_mul_f32_e32 v2, 0x5f7ffffc, v2
	s_delay_alu instid0(VALU_DEP_1) | instskip(NEXT) | instid1(VALU_DEP_1)
	v_mul_f32_e32 v3, 0x2f800000, v2
	v_trunc_f32_e32 v3, v3
	s_delay_alu instid0(VALU_DEP_1) | instskip(SKIP_1) | instid1(VALU_DEP_2)
	v_fmac_f32_e32 v2, 0xcf800000, v3
	v_cvt_u32_f32_e32 v3, v3
	v_cvt_u32_f32_e32 v2, v2
	s_delay_alu instid0(VALU_DEP_2) | instskip(NEXT) | instid1(VALU_DEP_2)
	v_readfirstlane_b32 s7, v3
	v_readfirstlane_b32 s8, v2
	s_delay_alu instid0(VALU_DEP_2) | instskip(NEXT) | instid1(VALU_DEP_1)
	s_mul_i32 s19, s9, s7
	s_mul_hi_u32 s26, s9, s8
	s_mul_i32 s23, s18, s8
	s_add_i32 s19, s26, s19
	s_mul_i32 s61, s9, s8
	s_add_i32 s19, s19, s23
	s_mul_hi_u32 s26, s8, s61
	s_mul_hi_u32 s69, s7, s61
	s_mul_i32 s23, s7, s61
	s_mul_hi_u32 s61, s8, s19
	s_mul_i32 s8, s8, s19
	s_mul_hi_u32 s71, s7, s19
	s_add_u32 s8, s26, s8
	s_addc_u32 s26, 0, s61
	s_add_u32 s8, s8, s23
	s_mul_i32 s19, s7, s19
	s_addc_u32 s8, s26, s69
	s_addc_u32 s23, s71, 0
	s_add_u32 s8, s8, s19
	s_addc_u32 s19, 0, s23
	v_add_co_u32 v2, s8, v2, s8
	s_delay_alu instid0(VALU_DEP_1) | instskip(SKIP_1) | instid1(VALU_DEP_1)
	s_cmp_lg_u32 s8, 0
	s_addc_u32 s7, s7, s19
	v_readfirstlane_b32 s8, v2
	s_mul_i32 s19, s9, s7
	s_delay_alu instid0(VALU_DEP_1)
	s_mul_hi_u32 s23, s9, s8
	s_mul_i32 s18, s18, s8
	s_add_i32 s19, s23, s19
	s_mul_i32 s9, s9, s8
	s_add_i32 s19, s19, s18
	s_mul_hi_u32 s23, s7, s9
	s_mul_i32 s26, s7, s9
	s_mul_hi_u32 s9, s8, s9
	s_mul_hi_u32 s61, s8, s19
	s_mul_i32 s8, s8, s19
	s_mul_hi_u32 s18, s7, s19
	s_add_u32 s8, s9, s8
	s_addc_u32 s9, 0, s61
	s_add_u32 s8, s8, s26
	s_mul_i32 s19, s7, s19
	s_addc_u32 s8, s9, s23
	s_addc_u32 s9, s18, 0
	s_add_u32 s8, s8, s19
	s_addc_u32 s9, 0, s9
	v_add_co_u32 v2, s8, v2, s8
	s_delay_alu instid0(VALU_DEP_1) | instskip(SKIP_1) | instid1(VALU_DEP_1)
	s_cmp_lg_u32 s8, 0
	s_addc_u32 s7, s7, s9
	v_readfirstlane_b32 s8, v2
	s_mul_i32 s18, s88, s7
	s_mul_hi_u32 s9, s88, s7
	s_mul_hi_u32 s19, s27, s7
	s_mul_i32 s7, s27, s7
	s_mul_hi_u32 s23, s88, s8
	s_mul_hi_u32 s26, s27, s8
	s_mul_i32 s8, s27, s8
	s_add_u32 s18, s23, s18
	s_addc_u32 s9, 0, s9
	s_add_u32 s8, s18, s8
	s_addc_u32 s8, s9, s26
	s_addc_u32 s9, s19, 0
	s_add_u32 s7, s8, s7
	s_addc_u32 s8, 0, s9
	s_mul_hi_u32 s9, s33, s7
	s_mul_i32 s7, s33, s7
	s_mul_i32 s8, s33, s8
	v_sub_co_u32 v2, s7, s88, s7
	s_add_i32 s9, s9, s8
	s_cmp_lg_u32 s7, 0
	s_delay_alu instid0(VALU_DEP_1) | instskip(SKIP_2) | instid1(VALU_DEP_1)
	v_sub_co_u32 v3, s7, v2, s33
	s_subb_u32 s8, s27, s9
	s_cmp_lg_u32 s7, 0
	v_cmp_le_u32_e32 vcc_lo, s33, v3
	v_sub_co_u32 v4, s7, v3, s33
	s_subb_u32 s9, s8, 0
	s_cmp_lg_u32 s7, 0
	v_cndmask_b32_e64 v5, 0, -1, vcc_lo
	s_subb_u32 s7, s9, 0
	s_cmp_eq_u32 s9, 0
	v_mov_b32_e32 v7, s7
	s_cselect_b32 vcc_lo, -1, 0
	s_cmp_eq_u32 s8, 0
	v_cndmask_b32_e32 v5, -1, v5, vcc_lo
	v_cmp_le_u32_e32 vcc_lo, s33, v2
	s_cselect_b32 s7, -1, 0
	v_cndmask_b32_e64 v6, 0, -1, vcc_lo
	s_delay_alu instid0(VALU_DEP_3) | instskip(NEXT) | instid1(VALU_DEP_2)
	v_cmp_ne_u32_e32 vcc_lo, 0, v5
	v_cndmask_b32_e64 v5, -1, v6, s7
	v_cndmask_b32_e32 v6, s9, v7, vcc_lo
	v_cndmask_b32_e32 v4, v3, v4, vcc_lo
	s_delay_alu instid0(VALU_DEP_3) | instskip(NEXT) | instid1(VALU_DEP_3)
	v_cmp_ne_u32_e32 vcc_lo, 0, v5
	v_cndmask_b32_e32 v3, s8, v6, vcc_lo
	s_delay_alu instid0(VALU_DEP_3)
	v_cndmask_b32_e32 v2, v2, v4, vcc_lo
	s_cbranch_execnz .LBB138_308
.LBB138_307:                            ;   in Loop: Header=BB138_18 Depth=1
	v_cvt_f32_u32_e32 v2, s33
	s_sub_i32 s7, 0, s33
	s_delay_alu instid0(VALU_DEP_1) | instskip(SKIP_2) | instid1(VALU_DEP_1)
	v_rcp_iflag_f32_e32 v2, v2
	s_waitcnt_depctr 0xfff
	v_mul_f32_e32 v2, 0x4f7ffffe, v2
	v_cvt_u32_f32_e32 v2, v2
	s_delay_alu instid0(VALU_DEP_1) | instskip(NEXT) | instid1(VALU_DEP_1)
	v_mul_lo_u32 v3, s7, v2
	v_mul_hi_u32 v3, v2, v3
	s_delay_alu instid0(VALU_DEP_1) | instskip(NEXT) | instid1(VALU_DEP_1)
	v_add_nc_u32_e32 v2, v2, v3
	v_mul_hi_u32 v2, s88, v2
	s_delay_alu instid0(VALU_DEP_1) | instskip(NEXT) | instid1(VALU_DEP_1)
	v_mul_lo_u32 v2, v2, s33
	v_sub_nc_u32_e32 v2, s88, v2
	s_delay_alu instid0(VALU_DEP_1) | instskip(SKIP_1) | instid1(VALU_DEP_2)
	v_subrev_nc_u32_e32 v3, s33, v2
	v_cmp_le_u32_e32 vcc_lo, s33, v2
	v_cndmask_b32_e32 v2, v2, v3, vcc_lo
	s_delay_alu instid0(VALU_DEP_1) | instskip(SKIP_1) | instid1(VALU_DEP_2)
	v_subrev_nc_u32_e32 v3, s33, v2
	v_cmp_le_u32_e32 vcc_lo, s33, v2
	v_cndmask_b32_e32 v12, v2, v3, vcc_lo
	s_delay_alu instid0(VALU_DEP_1)
	v_dual_mov_b32 v2, v12 :: v_dual_mov_b32 v3, v13
.LBB138_308:                            ;   in Loop: Header=BB138_18 Depth=1
	s_delay_alu instid0(VALU_DEP_1) | instskip(NEXT) | instid1(VALU_DEP_2)
	v_sub_co_u32 v2, vcc_lo, s88, v2
	v_sub_co_ci_u32_e32 v3, vcc_lo, s27, v3, vcc_lo
	s_mov_b32 s7, 0
	s_mov_b32 s8, exec_lo
                                        ; implicit-def: $vgpr28
	s_delay_alu instid0(VALU_DEP_1)
	v_cmpx_gt_u64_e64 v[2:3], v[0:1]
	s_cbranch_execz .LBB138_317
; %bb.309:                              ;   in Loop: Header=BB138_18 Depth=1
	v_dual_mov_b32 v5, v1 :: v_dual_mov_b32 v4, v0
	s_mov_b32 s9, 0
                                        ; implicit-def: $sgpr18
	s_branch .LBB138_311
.LBB138_310:                            ;   in Loop: Header=BB138_311 Depth=2
	s_or_b32 exec_lo, exec_lo, s7
	s_waitcnt vmcnt(0) lgkmcnt(0)
	s_barrier
	buffer_gl0_inv
	ds_load_u16 v6, v13 offset:3072
	v_add_co_u32 v4, vcc_lo, v4, s33
	v_add_co_ci_u32_e32 v5, vcc_lo, 0, v5, vcc_lo
	s_waitcnt lgkmcnt(0)
	s_barrier
	buffer_gl0_inv
	v_cmp_ge_u64_e32 vcc_lo, v[4:5], v[2:3]
	v_and_b32_e32 v7, 0xff, v6
	s_delay_alu instid0(VALU_DEP_1) | instskip(NEXT) | instid1(VALU_DEP_1)
	v_cmp_ne_u16_e64 s7, 0, v7
	s_or_b32 s19, vcc_lo, s7
	s_delay_alu instid0(SALU_CYCLE_1) | instskip(NEXT) | instid1(SALU_CYCLE_1)
	s_and_b32 s19, exec_lo, s19
	s_or_b32 s9, s19, s9
	s_and_not1_b32 s18, s18, exec_lo
	s_and_b32 s7, s7, exec_lo
	s_delay_alu instid0(SALU_CYCLE_1)
	s_or_b32 s18, s18, s7
	s_and_not1_b32 exec_lo, exec_lo, s9
	s_cbranch_execz .LBB138_316
.LBB138_311:                            ;   Parent Loop BB138_18 Depth=1
                                        ; =>  This Inner Loop Header: Depth=2
	s_delay_alu instid0(VALU_DEP_1)
	v_cmp_gt_u64_e32 vcc_lo, s[36:37], v[4:5]
	v_mov_b32_e32 v6, 0
	s_and_saveexec_b32 s7, vcc_lo
	s_cbranch_execz .LBB138_313
; %bb.312:                              ;   in Loop: Header=BB138_311 Depth=2
	v_mad_u64_u32 v[6:7], null, v4, s30, s[28:29]
	v_mul_lo_u32 v8, v4, s31
	v_mul_lo_u32 v9, v5, s30
	s_delay_alu instid0(VALU_DEP_1)
	v_add3_u32 v7, v9, v7, v8
	global_load_u8 v6, v[6:7], off
.LBB138_313:                            ;   in Loop: Header=BB138_311 Depth=2
	s_or_b32 exec_lo, exec_lo, s7
	s_and_saveexec_b32 s7, vcc_lo
	s_cbranch_execz .LBB138_310
; %bb.314:                              ;   in Loop: Header=BB138_311 Depth=2
	s_waitcnt vmcnt(0)
	v_bfe_i32 v7, v6, 0, 8
	s_delay_alu instid0(VALU_DEP_1) | instskip(NEXT) | instid1(VALU_DEP_1)
	v_add_nc_u32_e32 v7, 0x80, v7
	v_and_b32_e32 v7, v7, v26
	s_delay_alu instid0(VALU_DEP_1)
	v_cmp_eq_u32_e32 vcc_lo, v7, v27
	s_and_b32 exec_lo, exec_lo, vcc_lo
	s_cbranch_execz .LBB138_310
; %bb.315:                              ;   in Loop: Header=BB138_311 Depth=2
	v_lshlrev_b16 v6, 8, v6
	s_delay_alu instid0(VALU_DEP_1)
	v_or_b32_e32 v6, 1, v6
	ds_store_b16 v13, v6 offset:3072
	s_branch .LBB138_310
.LBB138_316:                            ;   in Loop: Header=BB138_18 Depth=1
	s_or_b32 exec_lo, exec_lo, s9
	v_lshrrev_b16 v28, 8, v6
	s_and_b32 s7, s18, exec_lo
.LBB138_317:                            ;   in Loop: Header=BB138_18 Depth=1
	s_or_b32 exec_lo, exec_lo, s8
	s_mov_b32 s19, 0
	s_mov_b32 s18, -1
	s_mov_b32 s23, 0
.LBB138_318:                            ;   in Loop: Header=BB138_18 Depth=1
	s_or_not1_b32 s7, s7, exec_lo
.LBB138_319:                            ;   in Loop: Header=BB138_18 Depth=1
	s_or_b32 exec_lo, exec_lo, s60
                                        ; implicit-def: $vgpr6
                                        ; implicit-def: $vgpr2_vgpr3
                                        ; implicit-def: $vgpr8
                                        ; implicit-def: $vgpr9
                                        ; implicit-def: $vgpr18
	s_and_saveexec_b32 s69, s7
	s_cbranch_execz .LBB138_482
; %bb.320:                              ;   in Loop: Header=BB138_18 Depth=1
	v_mov_b32_e32 v2, 1
	v_dual_mov_b32 v3, 0 :: v_dual_mov_b32 v6, 1
	s_xor_b32 s8, s70, -1
	s_mov_b32 s26, 0
	s_and_saveexec_b32 s7, s8
	s_cbranch_execz .LBB138_330
; %bb.321:                              ;   in Loop: Header=BB138_18 Depth=1
	s_mov_b32 s9, exec_lo
                                        ; implicit-def: $sgpr26
                                        ; implicit-def: $sgpr8
	v_cmpx_ge_u64_e64 s[16:17], v[16:17]
	s_xor_b32 s9, exec_lo, s9
	s_cbranch_execz .LBB138_327
; %bb.322:                              ;   in Loop: Header=BB138_18 Depth=1
	ds_load_b64 v[2:3], v13 offset:5120
	s_waitcnt lgkmcnt(0)
	v_cmp_ne_u64_e32 vcc_lo, 0, v[2:3]
	s_cbranch_vccnz .LBB138_326
; %bb.323:                              ;   in Loop: Header=BB138_18 Depth=1
	s_and_saveexec_b32 s8, s5
	s_cbranch_execz .LBB138_325
; %bb.324:                              ;   in Loop: Header=BB138_18 Depth=1
	v_dual_mov_b32 v2, s16 :: v_dual_mov_b32 v3, s17
	ds_store_b64 v13, v[2:3] offset:5128
.LBB138_325:                            ;   in Loop: Header=BB138_18 Depth=1
	s_or_b32 exec_lo, exec_lo, s8
	s_waitcnt lgkmcnt(0)
	s_barrier
	buffer_gl0_inv
.LBB138_326:                            ;   in Loop: Header=BB138_18 Depth=1
	v_or_b32_e32 v27, s20, v27
	v_or_b32_e32 v26, s20, v26
	s_mov_b32 s8, 0
	s_mov_b32 s26, 5
.LBB138_327:                            ;   in Loop: Header=BB138_18 Depth=1
	s_or_saveexec_b32 s9, s9
	v_mov_b32_e32 v6, s26
	s_xor_b32 exec_lo, exec_lo, s9
; %bb.328:                              ;   in Loop: Header=BB138_18 Depth=1
	v_sub_co_u32 v16, vcc_lo, v16, s16
	v_subrev_co_ci_u32_e32 v17, vcc_lo, s17, v17, vcc_lo
	v_mov_b32_e32 v6, 0
	s_or_b32 s8, s8, exec_lo
; %bb.329:                              ;   in Loop: Header=BB138_18 Depth=1
	s_or_b32 exec_lo, exec_lo, s9
	s_delay_alu instid0(VALU_DEP_2)
	v_dual_mov_b32 v2, v16 :: v_dual_mov_b32 v3, v17
	s_and_b32 s26, s8, exec_lo
.LBB138_330:                            ;   in Loop: Header=BB138_18 Depth=1
	s_or_b32 exec_lo, exec_lo, s7
	s_mov_b32 s17, -1
                                        ; implicit-def: $sgpr8
                                        ; implicit-def: $sgpr9
                                        ; implicit-def: $sgpr16
	s_and_saveexec_b32 s7, s26
	s_delay_alu instid0(SALU_CYCLE_1)
	s_xor_b32 s72, exec_lo, s7
	s_cbranch_execz .LBB138_479
; %bb.331:                              ;   in Loop: Header=BB138_18 Depth=1
	v_cmp_eq_u64_e32 vcc_lo, 1, v[2:3]
	s_cmp_eq_u64 s[14:15], 1
                                        ; implicit-def: $sgpr16
                                        ; implicit-def: $sgpr17
                                        ; implicit-def: $sgpr76
	s_cselect_b32 s7, -1, 0
	s_delay_alu instid0(SALU_CYCLE_1)
	s_and_b32 s70, s7, vcc_lo
	s_mov_b32 s7, -1
	s_and_saveexec_b32 s60, s70
	s_cbranch_execz .LBB138_365
; %bb.332:                              ;   in Loop: Header=BB138_18 Depth=1
	ds_load_b64 v[4:5], v13 offset:5120
	s_waitcnt lgkmcnt(0)
	s_barrier
	buffer_gl0_inv
	v_readfirstlane_b32 s8, v4
	v_readfirstlane_b32 s9, v5
	s_and_saveexec_b32 s7, s6
	s_cbranch_execz .LBB138_334
; %bb.333:                              ;   in Loop: Header=BB138_18 Depth=1
	ds_store_b8 v0, v13 offset:3072
.LBB138_334:                            ;   in Loop: Header=BB138_18 Depth=1
	s_or_b32 exec_lo, exec_lo, s7
	s_lshl_b32 s7, 2, s22
	v_or_b32_e32 v26, s20, v26
	v_and_or_b32 v27, v27, s21, s7
	s_cmp_eq_u64 s[8:9], 0
	s_waitcnt lgkmcnt(0)
	s_barrier
	buffer_gl0_inv
	s_cbranch_scc1 .LBB138_348
; %bb.335:                              ;   in Loop: Header=BB138_18 Depth=1
	s_add_u32 s26, s86, s8
	s_addc_u32 s17, s87, s9
	s_mov_b32 s16, s73
	s_delay_alu instid0(SALU_CYCLE_1)
	s_cmp_lg_u64 s[16:17], 0
	s_cbranch_scc0 .LBB138_392
; %bb.336:                              ;   in Loop: Header=BB138_18 Depth=1
	v_cvt_f32_u32_e32 v4, s33
	s_sub_u32 s61, 0, s33
	s_subb_u32 s71, 0, 0
	s_delay_alu instid0(VALU_DEP_1) | instskip(NEXT) | instid1(VALU_DEP_1)
	v_fmac_f32_e64 v4, 0, 0x4f800000
	v_rcp_f32_e32 v4, v4
	s_waitcnt_depctr 0xfff
	v_mul_f32_e32 v4, 0x5f7ffffc, v4
	s_delay_alu instid0(VALU_DEP_1) | instskip(NEXT) | instid1(VALU_DEP_1)
	v_mul_f32_e32 v5, 0x2f800000, v4
	v_trunc_f32_e32 v5, v5
	s_delay_alu instid0(VALU_DEP_1) | instskip(SKIP_1) | instid1(VALU_DEP_2)
	v_fmac_f32_e32 v4, 0xcf800000, v5
	v_cvt_u32_f32_e32 v5, v5
	v_cvt_u32_f32_e32 v4, v4
	s_delay_alu instid0(VALU_DEP_2) | instskip(NEXT) | instid1(VALU_DEP_2)
	v_readfirstlane_b32 s7, v5
	v_readfirstlane_b32 s16, v4
	s_delay_alu instid0(VALU_DEP_2) | instskip(NEXT) | instid1(VALU_DEP_1)
	s_mul_i32 s76, s61, s7
	s_mul_hi_u32 s78, s61, s16
	s_mul_i32 s77, s71, s16
	s_add_i32 s76, s78, s76
	s_mul_i32 s79, s61, s16
	s_add_i32 s76, s76, s77
	s_mul_hi_u32 s78, s16, s79
	s_mul_hi_u32 s80, s7, s79
	s_mul_i32 s77, s7, s79
	s_mul_hi_u32 s79, s16, s76
	s_mul_i32 s16, s16, s76
	s_mul_hi_u32 s81, s7, s76
	s_add_u32 s16, s78, s16
	s_addc_u32 s78, 0, s79
	s_add_u32 s16, s16, s77
	s_mul_i32 s76, s7, s76
	s_addc_u32 s16, s78, s80
	s_addc_u32 s77, s81, 0
	s_add_u32 s16, s16, s76
	s_addc_u32 s76, 0, s77
	v_add_co_u32 v4, s16, v4, s16
	s_delay_alu instid0(VALU_DEP_1) | instskip(SKIP_1) | instid1(VALU_DEP_1)
	s_cmp_lg_u32 s16, 0
	s_addc_u32 s7, s7, s76
	v_readfirstlane_b32 s16, v4
	s_mul_i32 s76, s61, s7
	s_delay_alu instid0(VALU_DEP_1)
	s_mul_hi_u32 s77, s61, s16
	s_mul_i32 s71, s71, s16
	s_add_i32 s76, s77, s76
	s_mul_i32 s61, s61, s16
	s_add_i32 s76, s76, s71
	s_mul_hi_u32 s77, s7, s61
	s_mul_i32 s78, s7, s61
	s_mul_hi_u32 s61, s16, s61
	s_mul_hi_u32 s79, s16, s76
	s_mul_i32 s16, s16, s76
	s_mul_hi_u32 s71, s7, s76
	s_add_u32 s16, s61, s16
	s_addc_u32 s61, 0, s79
	s_add_u32 s16, s16, s78
	s_mul_i32 s76, s7, s76
	s_addc_u32 s16, s61, s77
	s_addc_u32 s61, s71, 0
	s_add_u32 s16, s16, s76
	s_addc_u32 s61, 0, s61
	v_add_co_u32 v4, s16, v4, s16
	s_delay_alu instid0(VALU_DEP_1) | instskip(SKIP_1) | instid1(VALU_DEP_1)
	s_cmp_lg_u32 s16, 0
	s_addc_u32 s7, s7, s61
	v_readfirstlane_b32 s16, v4
	s_mul_i32 s71, s26, s7
	s_mul_hi_u32 s61, s26, s7
	s_mul_hi_u32 s76, s17, s7
	s_mul_i32 s7, s17, s7
	s_mul_hi_u32 s77, s26, s16
	s_mul_hi_u32 s78, s17, s16
	s_mul_i32 s16, s17, s16
	s_add_u32 s71, s77, s71
	s_addc_u32 s61, 0, s61
	s_add_u32 s16, s71, s16
	s_addc_u32 s16, s61, s78
	s_addc_u32 s61, s76, 0
	s_add_u32 s7, s16, s7
	s_addc_u32 s16, 0, s61
	s_mul_hi_u32 s61, s33, s7
	s_mul_i32 s7, s33, s7
	s_mul_i32 s16, s33, s16
	v_sub_co_u32 v4, s7, s26, s7
	s_add_i32 s61, s61, s16
	s_cmp_lg_u32 s7, 0
	s_delay_alu instid0(VALU_DEP_1) | instskip(SKIP_3) | instid1(VALU_DEP_2)
	v_sub_co_u32 v5, s7, v4, s33
	s_subb_u32 s16, s17, s61
	s_cmp_lg_u32 s7, 0
	v_cmp_le_u32_e32 vcc_lo, s33, v4
	v_cmp_le_u32_e64 s7, s33, v5
	v_sub_co_u32 v6, s61, v5, s33
	s_subb_u32 s71, s16, 0
	s_cmp_lg_u32 s61, 0
	s_delay_alu instid0(VALU_DEP_2)
	v_cndmask_b32_e64 v7, 0, -1, s7
	s_subb_u32 s61, s71, 0
	s_cmp_eq_u32 s71, 0
	v_mov_b32_e32 v9, s61
	v_cndmask_b32_e64 v8, 0, -1, vcc_lo
	s_cselect_b32 vcc_lo, -1, 0
	s_cmp_eq_u32 s16, 0
	v_cndmask_b32_e32 v7, -1, v7, vcc_lo
	s_cselect_b32 vcc_lo, -1, 0
	v_cndmask_b32_e32 v8, -1, v8, vcc_lo
	s_delay_alu instid0(VALU_DEP_2) | instskip(NEXT) | instid1(VALU_DEP_2)
	v_cmp_ne_u32_e32 vcc_lo, 0, v7
	v_cmp_ne_u32_e64 s7, 0, v8
	v_cndmask_b32_e32 v7, s71, v9, vcc_lo
	v_cndmask_b32_e32 v6, v5, v6, vcc_lo
	s_delay_alu instid0(VALU_DEP_2) | instskip(NEXT) | instid1(VALU_DEP_2)
	v_cndmask_b32_e64 v5, s16, v7, s7
	v_cndmask_b32_e64 v4, v4, v6, s7
	s_cbranch_execnz .LBB138_338
.LBB138_337:                            ;   in Loop: Header=BB138_18 Depth=1
	v_cvt_f32_u32_e32 v4, s33
	s_sub_i32 s7, 0, s33
	s_delay_alu instid0(VALU_DEP_1) | instskip(SKIP_2) | instid1(VALU_DEP_1)
	v_rcp_iflag_f32_e32 v4, v4
	s_waitcnt_depctr 0xfff
	v_mul_f32_e32 v4, 0x4f7ffffe, v4
	v_cvt_u32_f32_e32 v4, v4
	s_delay_alu instid0(VALU_DEP_1) | instskip(NEXT) | instid1(VALU_DEP_1)
	v_mul_lo_u32 v5, s7, v4
	v_mul_hi_u32 v5, v4, v5
	s_delay_alu instid0(VALU_DEP_1) | instskip(NEXT) | instid1(VALU_DEP_1)
	v_add_nc_u32_e32 v4, v4, v5
	v_mul_hi_u32 v4, s26, v4
	s_delay_alu instid0(VALU_DEP_1) | instskip(NEXT) | instid1(VALU_DEP_1)
	v_mul_lo_u32 v4, v4, s33
	v_sub_nc_u32_e32 v4, s26, v4
	s_delay_alu instid0(VALU_DEP_1) | instskip(SKIP_1) | instid1(VALU_DEP_2)
	v_subrev_nc_u32_e32 v5, s33, v4
	v_cmp_le_u32_e32 vcc_lo, s33, v4
	v_cndmask_b32_e32 v4, v4, v5, vcc_lo
	s_delay_alu instid0(VALU_DEP_1) | instskip(SKIP_1) | instid1(VALU_DEP_2)
	v_subrev_nc_u32_e32 v5, s33, v4
	v_cmp_le_u32_e32 vcc_lo, s33, v4
	v_cndmask_b32_e32 v12, v4, v5, vcc_lo
	s_delay_alu instid0(VALU_DEP_1)
	v_dual_mov_b32 v4, v12 :: v_dual_mov_b32 v5, v13
.LBB138_338:                            ;   in Loop: Header=BB138_18 Depth=1
	s_delay_alu instid0(VALU_DEP_1) | instskip(NEXT) | instid1(VALU_DEP_2)
	v_sub_co_u32 v4, vcc_lo, s26, v4
	v_sub_co_ci_u32_e32 v5, vcc_lo, s17, v5, vcc_lo
	s_mov_b32 s7, 0
	s_mov_b32 s16, exec_lo
                                        ; implicit-def: $vgpr28
	s_delay_alu instid0(VALU_DEP_1)
	v_cmpx_gt_u64_e64 v[4:5], v[0:1]
	s_cbranch_execz .LBB138_350
; %bb.339:                              ;   in Loop: Header=BB138_18 Depth=1
	v_dual_mov_b32 v8, v0 :: v_dual_mov_b32 v7, v1
	v_mov_b32_e32 v6, v0
	s_mov_b32 s17, 0
                                        ; implicit-def: $sgpr26
	s_set_inst_prefetch_distance 0x1
	s_branch .LBB138_341
	.p2align	6
.LBB138_340:                            ;   in Loop: Header=BB138_341 Depth=2
	s_or_b32 exec_lo, exec_lo, s7
	s_waitcnt lgkmcnt(0)
	s_barrier
	buffer_gl0_inv
	ds_load_u16 v9, v13 offset:3072
	v_add_co_u32 v6, vcc_lo, v6, s33
	v_add_co_ci_u32_e32 v7, vcc_lo, 0, v7, vcc_lo
	v_add_nc_u32_e32 v8, s33, v8
	s_waitcnt lgkmcnt(0)
	s_barrier
	s_delay_alu instid0(VALU_DEP_2) | instskip(SKIP_2) | instid1(VALU_DEP_1)
	v_cmp_ge_u64_e32 vcc_lo, v[6:7], v[4:5]
	buffer_gl0_inv
	v_and_b32_e32 v12, 0xff, v9
	v_cmp_ne_u16_e64 s7, 0, v12
	s_delay_alu instid0(VALU_DEP_1) | instskip(NEXT) | instid1(SALU_CYCLE_1)
	s_or_b32 s61, vcc_lo, s7
	s_and_b32 s61, exec_lo, s61
	s_delay_alu instid0(SALU_CYCLE_1) | instskip(SKIP_2) | instid1(SALU_CYCLE_1)
	s_or_b32 s17, s61, s17
	s_and_not1_b32 s26, s26, exec_lo
	s_and_b32 s7, s7, exec_lo
	s_or_b32 s26, s26, s7
	s_and_not1_b32 exec_lo, exec_lo, s17
	s_cbranch_execz .LBB138_349
.LBB138_341:                            ;   Parent Loop BB138_18 Depth=1
                                        ; =>  This Inner Loop Header: Depth=2
	s_delay_alu instid0(VALU_DEP_1)
	v_cmp_gt_u64_e32 vcc_lo, s[8:9], v[6:7]
	v_mov_b32_e32 v9, 0
	s_and_saveexec_b32 s7, vcc_lo
	s_cbranch_execz .LBB138_343
; %bb.342:                              ;   in Loop: Header=BB138_341 Depth=2
	ds_load_u8 v9, v8
.LBB138_343:                            ;   in Loop: Header=BB138_341 Depth=2
	s_or_b32 exec_lo, exec_lo, s7
	s_and_saveexec_b32 s7, vcc_lo
	s_cbranch_execz .LBB138_340
; %bb.344:                              ;   in Loop: Header=BB138_341 Depth=2
	s_waitcnt lgkmcnt(0)
	v_bfe_i32 v12, v9, 0, 8
	s_delay_alu instid0(VALU_DEP_1) | instskip(NEXT) | instid1(VALU_DEP_1)
	v_add_nc_u32_e32 v12, 0x80, v12
	v_and_b32_e32 v12, v12, v26
	s_delay_alu instid0(VALU_DEP_1)
	v_cmp_eq_u32_e32 vcc_lo, v12, v27
	s_and_b32 exec_lo, exec_lo, vcc_lo
	s_cbranch_execz .LBB138_340
; %bb.345:                              ;   in Loop: Header=BB138_341 Depth=2
	v_lshlrev_b16 v9, 8, v9
	s_delay_alu instid0(VALU_DEP_1)
	v_or_b32_e32 v9, 1, v9
	ds_store_b16 v13, v9 offset:3072
	s_branch .LBB138_340
.LBB138_346:                            ;   in Loop: Header=BB138_18 Depth=1
                                        ; implicit-def: $vgpr2_vgpr3
	s_branch .LBB138_293
.LBB138_347:                            ;   in Loop: Header=BB138_18 Depth=1
                                        ; implicit-def: $vgpr2_vgpr3
	s_branch .LBB138_307
.LBB138_348:                            ;   in Loop: Header=BB138_18 Depth=1
	s_mov_b32 s16, -1
	s_mov_b32 s7, 0
                                        ; implicit-def: $sgpr17
                                        ; implicit-def: $vgpr28
	s_mov_b32 s76, s16
	s_cbranch_execnz .LBB138_351
	s_branch .LBB138_364
.LBB138_349:                            ;   in Loop: Header=BB138_18 Depth=1
	s_set_inst_prefetch_distance 0x2
	s_or_b32 exec_lo, exec_lo, s17
	v_lshrrev_b16 v28, 8, v9
	s_and_b32 s7, s26, exec_lo
.LBB138_350:                            ;   in Loop: Header=BB138_18 Depth=1
	s_or_b32 exec_lo, exec_lo, s16
	s_mov_b32 s16, 0
	s_mov_b32 s17, -1
	s_mov_b32 s76, s16
	s_branch .LBB138_364
.LBB138_351:                            ;   in Loop: Header=BB138_18 Depth=1
	s_mov_b32 s26, s73
	s_delay_alu instid0(SALU_CYCLE_1)
	s_cmp_lg_u64 s[26:27], 0
	s_cbranch_scc0 .LBB138_393
; %bb.352:                              ;   in Loop: Header=BB138_18 Depth=1
	v_cvt_f32_u32_e32 v4, s33
	s_sub_u32 s9, 0, s33
	s_subb_u32 s16, 0, 0
	s_delay_alu instid0(VALU_DEP_1) | instskip(NEXT) | instid1(VALU_DEP_1)
	v_fmac_f32_e64 v4, 0, 0x4f800000
	v_rcp_f32_e32 v4, v4
	s_waitcnt_depctr 0xfff
	v_mul_f32_e32 v4, 0x5f7ffffc, v4
	s_delay_alu instid0(VALU_DEP_1) | instskip(NEXT) | instid1(VALU_DEP_1)
	v_mul_f32_e32 v5, 0x2f800000, v4
	v_trunc_f32_e32 v5, v5
	s_delay_alu instid0(VALU_DEP_1) | instskip(SKIP_1) | instid1(VALU_DEP_2)
	v_fmac_f32_e32 v4, 0xcf800000, v5
	v_cvt_u32_f32_e32 v5, v5
	v_cvt_u32_f32_e32 v4, v4
	s_delay_alu instid0(VALU_DEP_2) | instskip(NEXT) | instid1(VALU_DEP_2)
	v_readfirstlane_b32 s7, v5
	v_readfirstlane_b32 s8, v4
	s_delay_alu instid0(VALU_DEP_2) | instskip(NEXT) | instid1(VALU_DEP_1)
	s_mul_i32 s17, s9, s7
	s_mul_hi_u32 s61, s9, s8
	s_mul_i32 s26, s16, s8
	s_add_i32 s17, s61, s17
	s_mul_i32 s71, s9, s8
	s_add_i32 s17, s17, s26
	s_mul_hi_u32 s61, s8, s71
	s_mul_hi_u32 s76, s7, s71
	s_mul_i32 s26, s7, s71
	s_mul_hi_u32 s71, s8, s17
	s_mul_i32 s8, s8, s17
	s_mul_hi_u32 s77, s7, s17
	s_add_u32 s8, s61, s8
	s_addc_u32 s61, 0, s71
	s_add_u32 s8, s8, s26
	s_mul_i32 s17, s7, s17
	s_addc_u32 s8, s61, s76
	s_addc_u32 s26, s77, 0
	s_add_u32 s8, s8, s17
	s_addc_u32 s17, 0, s26
	v_add_co_u32 v4, s8, v4, s8
	s_delay_alu instid0(VALU_DEP_1) | instskip(SKIP_1) | instid1(VALU_DEP_1)
	s_cmp_lg_u32 s8, 0
	s_addc_u32 s7, s7, s17
	v_readfirstlane_b32 s8, v4
	s_mul_i32 s17, s9, s7
	s_delay_alu instid0(VALU_DEP_1)
	s_mul_hi_u32 s26, s9, s8
	s_mul_i32 s16, s16, s8
	s_add_i32 s17, s26, s17
	s_mul_i32 s9, s9, s8
	s_add_i32 s17, s17, s16
	s_mul_hi_u32 s26, s7, s9
	s_mul_i32 s61, s7, s9
	s_mul_hi_u32 s9, s8, s9
	s_mul_hi_u32 s71, s8, s17
	s_mul_i32 s8, s8, s17
	s_mul_hi_u32 s16, s7, s17
	s_add_u32 s8, s9, s8
	s_addc_u32 s9, 0, s71
	s_add_u32 s8, s8, s61
	s_mul_i32 s17, s7, s17
	s_addc_u32 s8, s9, s26
	s_addc_u32 s9, s16, 0
	s_add_u32 s8, s8, s17
	s_addc_u32 s9, 0, s9
	v_add_co_u32 v4, s8, v4, s8
	s_delay_alu instid0(VALU_DEP_1) | instskip(SKIP_1) | instid1(VALU_DEP_1)
	s_cmp_lg_u32 s8, 0
	s_addc_u32 s7, s7, s9
	v_readfirstlane_b32 s8, v4
	s_mul_i32 s16, s88, s7
	s_mul_hi_u32 s9, s88, s7
	s_mul_hi_u32 s17, s27, s7
	s_mul_i32 s7, s27, s7
	s_mul_hi_u32 s26, s88, s8
	s_mul_hi_u32 s61, s27, s8
	s_mul_i32 s8, s27, s8
	s_add_u32 s16, s26, s16
	s_addc_u32 s9, 0, s9
	s_add_u32 s8, s16, s8
	s_addc_u32 s8, s9, s61
	s_addc_u32 s9, s17, 0
	s_add_u32 s7, s8, s7
	s_addc_u32 s8, 0, s9
	s_mul_hi_u32 s9, s33, s7
	s_mul_i32 s7, s33, s7
	s_mul_i32 s8, s33, s8
	v_sub_co_u32 v4, s7, s88, s7
	s_add_i32 s9, s9, s8
	s_cmp_lg_u32 s7, 0
	s_delay_alu instid0(VALU_DEP_1) | instskip(SKIP_2) | instid1(VALU_DEP_1)
	v_sub_co_u32 v5, s7, v4, s33
	s_subb_u32 s8, s27, s9
	s_cmp_lg_u32 s7, 0
	v_cmp_le_u32_e32 vcc_lo, s33, v5
	v_sub_co_u32 v6, s7, v5, s33
	s_subb_u32 s9, s8, 0
	s_cmp_lg_u32 s7, 0
	v_cndmask_b32_e64 v7, 0, -1, vcc_lo
	s_subb_u32 s7, s9, 0
	s_cmp_eq_u32 s9, 0
	v_mov_b32_e32 v9, s7
	s_cselect_b32 vcc_lo, -1, 0
	s_cmp_eq_u32 s8, 0
	v_cndmask_b32_e32 v7, -1, v7, vcc_lo
	v_cmp_le_u32_e32 vcc_lo, s33, v4
	s_cselect_b32 s7, -1, 0
	v_cndmask_b32_e64 v8, 0, -1, vcc_lo
	s_delay_alu instid0(VALU_DEP_3) | instskip(NEXT) | instid1(VALU_DEP_2)
	v_cmp_ne_u32_e32 vcc_lo, 0, v7
	v_cndmask_b32_e64 v7, -1, v8, s7
	v_cndmask_b32_e32 v8, s9, v9, vcc_lo
	v_cndmask_b32_e32 v6, v5, v6, vcc_lo
	s_delay_alu instid0(VALU_DEP_3) | instskip(NEXT) | instid1(VALU_DEP_3)
	v_cmp_ne_u32_e32 vcc_lo, 0, v7
	v_cndmask_b32_e32 v5, s8, v8, vcc_lo
	s_delay_alu instid0(VALU_DEP_3)
	v_cndmask_b32_e32 v4, v4, v6, vcc_lo
	s_cbranch_execnz .LBB138_354
.LBB138_353:                            ;   in Loop: Header=BB138_18 Depth=1
	v_cvt_f32_u32_e32 v4, s33
	s_sub_i32 s7, 0, s33
	s_delay_alu instid0(VALU_DEP_1) | instskip(SKIP_2) | instid1(VALU_DEP_1)
	v_rcp_iflag_f32_e32 v4, v4
	s_waitcnt_depctr 0xfff
	v_mul_f32_e32 v4, 0x4f7ffffe, v4
	v_cvt_u32_f32_e32 v4, v4
	s_delay_alu instid0(VALU_DEP_1) | instskip(NEXT) | instid1(VALU_DEP_1)
	v_mul_lo_u32 v5, s7, v4
	v_mul_hi_u32 v5, v4, v5
	s_delay_alu instid0(VALU_DEP_1) | instskip(NEXT) | instid1(VALU_DEP_1)
	v_add_nc_u32_e32 v4, v4, v5
	v_mul_hi_u32 v4, s88, v4
	s_delay_alu instid0(VALU_DEP_1) | instskip(NEXT) | instid1(VALU_DEP_1)
	v_mul_lo_u32 v4, v4, s33
	v_sub_nc_u32_e32 v4, s88, v4
	s_delay_alu instid0(VALU_DEP_1) | instskip(SKIP_1) | instid1(VALU_DEP_2)
	v_subrev_nc_u32_e32 v5, s33, v4
	v_cmp_le_u32_e32 vcc_lo, s33, v4
	v_cndmask_b32_e32 v4, v4, v5, vcc_lo
	s_delay_alu instid0(VALU_DEP_1) | instskip(SKIP_1) | instid1(VALU_DEP_2)
	v_subrev_nc_u32_e32 v5, s33, v4
	v_cmp_le_u32_e32 vcc_lo, s33, v4
	v_cndmask_b32_e32 v12, v4, v5, vcc_lo
	s_delay_alu instid0(VALU_DEP_1)
	v_dual_mov_b32 v4, v12 :: v_dual_mov_b32 v5, v13
.LBB138_354:                            ;   in Loop: Header=BB138_18 Depth=1
	s_delay_alu instid0(VALU_DEP_1) | instskip(NEXT) | instid1(VALU_DEP_2)
	v_sub_co_u32 v4, vcc_lo, s88, v4
	v_sub_co_ci_u32_e32 v5, vcc_lo, s27, v5, vcc_lo
	s_mov_b32 s7, 0
	s_mov_b32 s8, exec_lo
                                        ; implicit-def: $vgpr28
	s_delay_alu instid0(VALU_DEP_1)
	v_cmpx_gt_u64_e64 v[4:5], v[0:1]
	s_cbranch_execz .LBB138_363
; %bb.355:                              ;   in Loop: Header=BB138_18 Depth=1
	v_dual_mov_b32 v7, v1 :: v_dual_mov_b32 v6, v0
	s_mov_b32 s9, 0
                                        ; implicit-def: $sgpr16
	s_branch .LBB138_357
.LBB138_356:                            ;   in Loop: Header=BB138_357 Depth=2
	s_or_b32 exec_lo, exec_lo, s7
	s_waitcnt vmcnt(0) lgkmcnt(0)
	s_barrier
	buffer_gl0_inv
	ds_load_u16 v8, v13 offset:3072
	v_add_co_u32 v6, vcc_lo, v6, s33
	v_add_co_ci_u32_e32 v7, vcc_lo, 0, v7, vcc_lo
	s_waitcnt lgkmcnt(0)
	s_barrier
	buffer_gl0_inv
	v_cmp_ge_u64_e32 vcc_lo, v[6:7], v[4:5]
	v_and_b32_e32 v9, 0xff, v8
	s_delay_alu instid0(VALU_DEP_1) | instskip(NEXT) | instid1(VALU_DEP_1)
	v_cmp_ne_u16_e64 s7, 0, v9
	s_or_b32 s17, vcc_lo, s7
	s_delay_alu instid0(SALU_CYCLE_1) | instskip(NEXT) | instid1(SALU_CYCLE_1)
	s_and_b32 s17, exec_lo, s17
	s_or_b32 s9, s17, s9
	s_and_not1_b32 s16, s16, exec_lo
	s_and_b32 s7, s7, exec_lo
	s_delay_alu instid0(SALU_CYCLE_1)
	s_or_b32 s16, s16, s7
	s_and_not1_b32 exec_lo, exec_lo, s9
	s_cbranch_execz .LBB138_362
.LBB138_357:                            ;   Parent Loop BB138_18 Depth=1
                                        ; =>  This Inner Loop Header: Depth=2
	s_delay_alu instid0(VALU_DEP_1)
	v_cmp_gt_u64_e32 vcc_lo, s[36:37], v[6:7]
	v_mov_b32_e32 v8, 0
	s_and_saveexec_b32 s7, vcc_lo
	s_cbranch_execz .LBB138_359
; %bb.358:                              ;   in Loop: Header=BB138_357 Depth=2
	v_mad_u64_u32 v[8:9], null, v6, s30, s[28:29]
	v_mul_lo_u32 v12, v6, s31
	v_mul_lo_u32 v16, v7, s30
	s_delay_alu instid0(VALU_DEP_1)
	v_add3_u32 v9, v16, v9, v12
	global_load_u8 v8, v[8:9], off
.LBB138_359:                            ;   in Loop: Header=BB138_357 Depth=2
	s_or_b32 exec_lo, exec_lo, s7
	s_and_saveexec_b32 s7, vcc_lo
	s_cbranch_execz .LBB138_356
; %bb.360:                              ;   in Loop: Header=BB138_357 Depth=2
	s_waitcnt vmcnt(0)
	v_bfe_i32 v9, v8, 0, 8
	s_delay_alu instid0(VALU_DEP_1) | instskip(NEXT) | instid1(VALU_DEP_1)
	v_add_nc_u32_e32 v9, 0x80, v9
	v_and_b32_e32 v9, v9, v26
	s_delay_alu instid0(VALU_DEP_1)
	v_cmp_eq_u32_e32 vcc_lo, v9, v27
	s_and_b32 exec_lo, exec_lo, vcc_lo
	s_cbranch_execz .LBB138_356
; %bb.361:                              ;   in Loop: Header=BB138_357 Depth=2
	v_lshlrev_b16 v8, 8, v8
	s_delay_alu instid0(VALU_DEP_1)
	v_or_b32_e32 v8, 1, v8
	ds_store_b16 v13, v8 offset:3072
	s_branch .LBB138_356
.LBB138_362:                            ;   in Loop: Header=BB138_18 Depth=1
	s_or_b32 exec_lo, exec_lo, s9
	v_lshrrev_b16 v28, 8, v8
	s_and_b32 s7, s16, exec_lo
.LBB138_363:                            ;   in Loop: Header=BB138_18 Depth=1
	s_or_b32 exec_lo, exec_lo, s8
	s_mov_b32 s17, 0
	s_mov_b32 s16, -1
	s_mov_b32 s76, 0
.LBB138_364:                            ;   in Loop: Header=BB138_18 Depth=1
	s_or_not1_b32 s7, s7, exec_lo
.LBB138_365:                            ;   in Loop: Header=BB138_18 Depth=1
	s_or_b32 exec_lo, exec_lo, s60
	s_mov_b32 s26, 0
                                        ; implicit-def: $vgpr6
	s_and_saveexec_b32 s77, s7
	s_cbranch_execz .LBB138_478
; %bb.366:                              ;   in Loop: Header=BB138_18 Depth=1
	v_mov_b32_e32 v4, 1
	v_dual_mov_b32 v5, 0 :: v_dual_mov_b32 v6, 1
	s_xor_b32 s8, s70, -1
	s_delay_alu instid0(SALU_CYCLE_1)
	s_and_saveexec_b32 s7, s8
	s_cbranch_execz .LBB138_376
; %bb.367:                              ;   in Loop: Header=BB138_18 Depth=1
	s_mov_b32 s9, exec_lo
                                        ; implicit-def: $sgpr26
                                        ; implicit-def: $sgpr8
	v_cmpx_ge_u64_e64 s[14:15], v[2:3]
	s_xor_b32 s9, exec_lo, s9
	s_cbranch_execz .LBB138_373
; %bb.368:                              ;   in Loop: Header=BB138_18 Depth=1
	ds_load_b64 v[4:5], v13 offset:5120
	s_waitcnt lgkmcnt(0)
	v_cmp_ne_u64_e32 vcc_lo, 0, v[4:5]
	s_cbranch_vccnz .LBB138_372
; %bb.369:                              ;   in Loop: Header=BB138_18 Depth=1
	s_and_saveexec_b32 s8, s5
	s_cbranch_execz .LBB138_371
; %bb.370:                              ;   in Loop: Header=BB138_18 Depth=1
	v_dual_mov_b32 v4, s14 :: v_dual_mov_b32 v5, s15
	ds_store_b64 v13, v[4:5] offset:5128
.LBB138_371:                            ;   in Loop: Header=BB138_18 Depth=1
	s_or_b32 exec_lo, exec_lo, s8
	s_waitcnt lgkmcnt(0)
	s_barrier
	buffer_gl0_inv
.LBB138_372:                            ;   in Loop: Header=BB138_18 Depth=1
	s_lshl_b32 s8, 2, s22
	v_or_b32_e32 v26, s20, v26
	v_and_or_b32 v27, v27, s21, s8
	s_mov_b32 s8, 0
	s_mov_b32 s26, 5
.LBB138_373:                            ;   in Loop: Header=BB138_18 Depth=1
	s_or_saveexec_b32 s9, s9
	v_mov_b32_e32 v6, s26
	s_xor_b32 exec_lo, exec_lo, s9
; %bb.374:                              ;   in Loop: Header=BB138_18 Depth=1
	v_sub_co_u32 v2, vcc_lo, v2, s14
	v_subrev_co_ci_u32_e32 v3, vcc_lo, s15, v3, vcc_lo
	v_mov_b32_e32 v6, 0
	s_or_b32 s8, s8, exec_lo
; %bb.375:                              ;   in Loop: Header=BB138_18 Depth=1
	s_or_b32 exec_lo, exec_lo, s9
	s_delay_alu instid0(VALU_DEP_2)
	v_dual_mov_b32 v5, v3 :: v_dual_mov_b32 v4, v2
	s_and_b32 s26, s8, exec_lo
.LBB138_376:                            ;   in Loop: Header=BB138_18 Depth=1
	s_or_b32 exec_lo, exec_lo, s7
	s_mov_b32 s7, -1
                                        ; implicit-def: $sgpr8
                                        ; implicit-def: $sgpr9
                                        ; implicit-def: $sgpr14
	s_and_saveexec_b32 s78, s26
	s_cbranch_execz .LBB138_477
; %bb.377:                              ;   in Loop: Header=BB138_18 Depth=1
	v_cmp_eq_u64_e32 vcc_lo, 1, v[4:5]
	s_cmp_eq_u64 s[12:13], 1
                                        ; implicit-def: $sgpr14
                                        ; implicit-def: $sgpr15
                                        ; implicit-def: $sgpr79
	s_cselect_b32 s7, -1, 0
	s_delay_alu instid0(SALU_CYCLE_1)
	s_and_b32 s70, s7, vcc_lo
	s_mov_b32 s7, -1
	s_and_saveexec_b32 s71, s70
	s_cbranch_execz .LBB138_411
; %bb.378:                              ;   in Loop: Header=BB138_18 Depth=1
	ds_load_b64 v[2:3], v13 offset:5120
	s_waitcnt lgkmcnt(0)
	s_barrier
	buffer_gl0_inv
	v_readfirstlane_b32 s8, v2
	v_readfirstlane_b32 s9, v3
	s_and_saveexec_b32 s7, s6
	s_cbranch_execz .LBB138_380
; %bb.379:                              ;   in Loop: Header=BB138_18 Depth=1
	ds_store_b8 v0, v13 offset:3072
.LBB138_380:                            ;   in Loop: Header=BB138_18 Depth=1
	s_or_b32 exec_lo, exec_lo, s7
	s_lshl_b32 s7, 1, s22
	v_or_b32_e32 v26, s20, v26
	v_and_or_b32 v27, v27, s21, s7
	s_cmp_eq_u64 s[8:9], 0
	s_waitcnt lgkmcnt(0)
	s_barrier
	buffer_gl0_inv
	s_cbranch_scc1 .LBB138_394
; %bb.381:                              ;   in Loop: Header=BB138_18 Depth=1
	s_add_u32 s26, s86, s8
	s_addc_u32 s15, s87, s9
	s_mov_b32 s14, s73
	s_delay_alu instid0(SALU_CYCLE_1)
	s_cmp_lg_u64 s[14:15], 0
	s_cbranch_scc0 .LBB138_429
; %bb.382:                              ;   in Loop: Header=BB138_18 Depth=1
	v_cvt_f32_u32_e32 v2, s33
	s_sub_u32 s60, 0, s33
	s_subb_u32 s61, 0, 0
	s_delay_alu instid0(VALU_DEP_1) | instskip(NEXT) | instid1(VALU_DEP_1)
	v_fmac_f32_e64 v2, 0, 0x4f800000
	v_rcp_f32_e32 v2, v2
	s_waitcnt_depctr 0xfff
	v_mul_f32_e32 v2, 0x5f7ffffc, v2
	s_delay_alu instid0(VALU_DEP_1) | instskip(NEXT) | instid1(VALU_DEP_1)
	v_mul_f32_e32 v3, 0x2f800000, v2
	v_trunc_f32_e32 v3, v3
	s_delay_alu instid0(VALU_DEP_1) | instskip(SKIP_1) | instid1(VALU_DEP_2)
	v_fmac_f32_e32 v2, 0xcf800000, v3
	v_cvt_u32_f32_e32 v3, v3
	v_cvt_u32_f32_e32 v2, v2
	s_delay_alu instid0(VALU_DEP_2) | instskip(NEXT) | instid1(VALU_DEP_2)
	v_readfirstlane_b32 s7, v3
	v_readfirstlane_b32 s14, v2
	s_delay_alu instid0(VALU_DEP_2) | instskip(NEXT) | instid1(VALU_DEP_1)
	s_mul_i32 s79, s60, s7
	s_mul_hi_u32 s81, s60, s14
	s_mul_i32 s80, s61, s14
	s_add_i32 s79, s81, s79
	s_mul_i32 s82, s60, s14
	s_add_i32 s79, s79, s80
	s_mul_hi_u32 s81, s14, s82
	s_mul_hi_u32 s83, s7, s82
	s_mul_i32 s80, s7, s82
	s_mul_hi_u32 s82, s14, s79
	s_mul_i32 s14, s14, s79
	s_mul_hi_u32 s84, s7, s79
	s_add_u32 s14, s81, s14
	s_addc_u32 s81, 0, s82
	s_add_u32 s14, s14, s80
	s_mul_i32 s79, s7, s79
	s_addc_u32 s14, s81, s83
	s_addc_u32 s80, s84, 0
	s_add_u32 s14, s14, s79
	s_addc_u32 s79, 0, s80
	v_add_co_u32 v2, s14, v2, s14
	s_delay_alu instid0(VALU_DEP_1) | instskip(SKIP_1) | instid1(VALU_DEP_1)
	s_cmp_lg_u32 s14, 0
	s_addc_u32 s7, s7, s79
	v_readfirstlane_b32 s14, v2
	s_mul_i32 s79, s60, s7
	s_delay_alu instid0(VALU_DEP_1)
	s_mul_hi_u32 s80, s60, s14
	s_mul_i32 s61, s61, s14
	s_add_i32 s79, s80, s79
	s_mul_i32 s60, s60, s14
	s_add_i32 s79, s79, s61
	s_mul_hi_u32 s80, s7, s60
	s_mul_i32 s81, s7, s60
	s_mul_hi_u32 s60, s14, s60
	s_mul_hi_u32 s82, s14, s79
	s_mul_i32 s14, s14, s79
	s_mul_hi_u32 s61, s7, s79
	s_add_u32 s14, s60, s14
	s_addc_u32 s60, 0, s82
	s_add_u32 s14, s14, s81
	s_mul_i32 s79, s7, s79
	s_addc_u32 s14, s60, s80
	s_addc_u32 s60, s61, 0
	s_add_u32 s14, s14, s79
	s_addc_u32 s60, 0, s60
	v_add_co_u32 v2, s14, v2, s14
	s_delay_alu instid0(VALU_DEP_1) | instskip(SKIP_1) | instid1(VALU_DEP_1)
	s_cmp_lg_u32 s14, 0
	s_addc_u32 s7, s7, s60
	v_readfirstlane_b32 s14, v2
	s_mul_i32 s61, s26, s7
	s_mul_hi_u32 s60, s26, s7
	s_mul_hi_u32 s79, s15, s7
	s_mul_i32 s7, s15, s7
	s_mul_hi_u32 s80, s26, s14
	s_mul_hi_u32 s81, s15, s14
	s_mul_i32 s14, s15, s14
	s_add_u32 s61, s80, s61
	s_addc_u32 s60, 0, s60
	s_add_u32 s14, s61, s14
	s_addc_u32 s14, s60, s81
	s_addc_u32 s60, s79, 0
	s_add_u32 s7, s14, s7
	s_addc_u32 s14, 0, s60
	s_mul_hi_u32 s60, s33, s7
	s_mul_i32 s7, s33, s7
	s_mul_i32 s14, s33, s14
	v_sub_co_u32 v2, s7, s26, s7
	s_add_i32 s60, s60, s14
	s_cmp_lg_u32 s7, 0
	s_delay_alu instid0(VALU_DEP_1) | instskip(SKIP_3) | instid1(VALU_DEP_2)
	v_sub_co_u32 v3, s7, v2, s33
	s_subb_u32 s14, s15, s60
	s_cmp_lg_u32 s7, 0
	v_cmp_le_u32_e32 vcc_lo, s33, v2
	v_cmp_le_u32_e64 s7, s33, v3
	v_sub_co_u32 v6, s60, v3, s33
	s_subb_u32 s61, s14, 0
	s_cmp_lg_u32 s60, 0
	s_delay_alu instid0(VALU_DEP_2)
	v_cndmask_b32_e64 v7, 0, -1, s7
	s_subb_u32 s60, s61, 0
	s_cmp_eq_u32 s61, 0
	v_mov_b32_e32 v9, s60
	v_cndmask_b32_e64 v8, 0, -1, vcc_lo
	s_cselect_b32 vcc_lo, -1, 0
	s_cmp_eq_u32 s14, 0
	v_cndmask_b32_e32 v7, -1, v7, vcc_lo
	s_cselect_b32 vcc_lo, -1, 0
	v_cndmask_b32_e32 v8, -1, v8, vcc_lo
	s_delay_alu instid0(VALU_DEP_2) | instskip(NEXT) | instid1(VALU_DEP_2)
	v_cmp_ne_u32_e32 vcc_lo, 0, v7
	v_cmp_ne_u32_e64 s7, 0, v8
	v_cndmask_b32_e32 v7, s61, v9, vcc_lo
	v_cndmask_b32_e32 v6, v3, v6, vcc_lo
	s_delay_alu instid0(VALU_DEP_2) | instskip(NEXT) | instid1(VALU_DEP_2)
	v_cndmask_b32_e64 v3, s14, v7, s7
	v_cndmask_b32_e64 v2, v2, v6, s7
	s_cbranch_execnz .LBB138_384
.LBB138_383:                            ;   in Loop: Header=BB138_18 Depth=1
	v_cvt_f32_u32_e32 v2, s33
	s_sub_i32 s7, 0, s33
	s_delay_alu instid0(VALU_DEP_1) | instskip(SKIP_2) | instid1(VALU_DEP_1)
	v_rcp_iflag_f32_e32 v2, v2
	s_waitcnt_depctr 0xfff
	v_mul_f32_e32 v2, 0x4f7ffffe, v2
	v_cvt_u32_f32_e32 v2, v2
	s_delay_alu instid0(VALU_DEP_1) | instskip(NEXT) | instid1(VALU_DEP_1)
	v_mul_lo_u32 v3, s7, v2
	v_mul_hi_u32 v3, v2, v3
	s_delay_alu instid0(VALU_DEP_1) | instskip(NEXT) | instid1(VALU_DEP_1)
	v_add_nc_u32_e32 v2, v2, v3
	v_mul_hi_u32 v2, s26, v2
	s_delay_alu instid0(VALU_DEP_1) | instskip(NEXT) | instid1(VALU_DEP_1)
	v_mul_lo_u32 v2, v2, s33
	v_sub_nc_u32_e32 v2, s26, v2
	s_delay_alu instid0(VALU_DEP_1) | instskip(SKIP_1) | instid1(VALU_DEP_2)
	v_subrev_nc_u32_e32 v3, s33, v2
	v_cmp_le_u32_e32 vcc_lo, s33, v2
	v_cndmask_b32_e32 v2, v2, v3, vcc_lo
	s_delay_alu instid0(VALU_DEP_1) | instskip(SKIP_1) | instid1(VALU_DEP_2)
	v_subrev_nc_u32_e32 v3, s33, v2
	v_cmp_le_u32_e32 vcc_lo, s33, v2
	v_cndmask_b32_e32 v12, v2, v3, vcc_lo
	s_delay_alu instid0(VALU_DEP_1)
	v_dual_mov_b32 v2, v12 :: v_dual_mov_b32 v3, v13
.LBB138_384:                            ;   in Loop: Header=BB138_18 Depth=1
	s_delay_alu instid0(VALU_DEP_1) | instskip(NEXT) | instid1(VALU_DEP_2)
	v_sub_co_u32 v2, vcc_lo, s26, v2
	v_sub_co_ci_u32_e32 v3, vcc_lo, s15, v3, vcc_lo
	s_mov_b32 s7, 0
	s_mov_b32 s14, exec_lo
                                        ; implicit-def: $vgpr28
	s_delay_alu instid0(VALU_DEP_1)
	v_cmpx_gt_u64_e64 v[2:3], v[0:1]
	s_cbranch_execz .LBB138_396
; %bb.385:                              ;   in Loop: Header=BB138_18 Depth=1
	v_dual_mov_b32 v8, v0 :: v_dual_mov_b32 v7, v1
	v_mov_b32_e32 v6, v0
	s_mov_b32 s15, 0
                                        ; implicit-def: $sgpr26
	s_set_inst_prefetch_distance 0x1
	s_branch .LBB138_387
	.p2align	6
.LBB138_386:                            ;   in Loop: Header=BB138_387 Depth=2
	s_or_b32 exec_lo, exec_lo, s7
	s_waitcnt lgkmcnt(0)
	s_barrier
	buffer_gl0_inv
	ds_load_u16 v9, v13 offset:3072
	v_add_co_u32 v6, vcc_lo, v6, s33
	v_add_co_ci_u32_e32 v7, vcc_lo, 0, v7, vcc_lo
	v_add_nc_u32_e32 v8, s33, v8
	s_waitcnt lgkmcnt(0)
	s_barrier
	s_delay_alu instid0(VALU_DEP_2) | instskip(SKIP_2) | instid1(VALU_DEP_1)
	v_cmp_ge_u64_e32 vcc_lo, v[6:7], v[2:3]
	buffer_gl0_inv
	v_and_b32_e32 v12, 0xff, v9
	v_cmp_ne_u16_e64 s7, 0, v12
	s_delay_alu instid0(VALU_DEP_1) | instskip(NEXT) | instid1(SALU_CYCLE_1)
	s_or_b32 s60, vcc_lo, s7
	s_and_b32 s60, exec_lo, s60
	s_delay_alu instid0(SALU_CYCLE_1) | instskip(SKIP_2) | instid1(SALU_CYCLE_1)
	s_or_b32 s15, s60, s15
	s_and_not1_b32 s26, s26, exec_lo
	s_and_b32 s7, s7, exec_lo
	s_or_b32 s26, s26, s7
	s_and_not1_b32 exec_lo, exec_lo, s15
	s_cbranch_execz .LBB138_395
.LBB138_387:                            ;   Parent Loop BB138_18 Depth=1
                                        ; =>  This Inner Loop Header: Depth=2
	s_delay_alu instid0(VALU_DEP_1)
	v_cmp_gt_u64_e32 vcc_lo, s[8:9], v[6:7]
	v_mov_b32_e32 v9, 0
	s_and_saveexec_b32 s7, vcc_lo
	s_cbranch_execz .LBB138_389
; %bb.388:                              ;   in Loop: Header=BB138_387 Depth=2
	ds_load_u8 v9, v8
.LBB138_389:                            ;   in Loop: Header=BB138_387 Depth=2
	s_or_b32 exec_lo, exec_lo, s7
	s_and_saveexec_b32 s7, vcc_lo
	s_cbranch_execz .LBB138_386
; %bb.390:                              ;   in Loop: Header=BB138_387 Depth=2
	s_waitcnt lgkmcnt(0)
	v_bfe_i32 v12, v9, 0, 8
	s_delay_alu instid0(VALU_DEP_1) | instskip(NEXT) | instid1(VALU_DEP_1)
	v_add_nc_u32_e32 v12, 0x80, v12
	v_and_b32_e32 v12, v12, v26
	s_delay_alu instid0(VALU_DEP_1)
	v_cmp_eq_u32_e32 vcc_lo, v12, v27
	s_and_b32 exec_lo, exec_lo, vcc_lo
	s_cbranch_execz .LBB138_386
; %bb.391:                              ;   in Loop: Header=BB138_387 Depth=2
	v_lshlrev_b16 v9, 8, v9
	s_delay_alu instid0(VALU_DEP_1)
	v_or_b32_e32 v9, 1, v9
	ds_store_b16 v13, v9 offset:3072
	s_branch .LBB138_386
.LBB138_392:                            ;   in Loop: Header=BB138_18 Depth=1
                                        ; implicit-def: $vgpr4_vgpr5
	s_branch .LBB138_337
.LBB138_393:                            ;   in Loop: Header=BB138_18 Depth=1
                                        ; implicit-def: $vgpr4_vgpr5
	s_branch .LBB138_353
.LBB138_394:                            ;   in Loop: Header=BB138_18 Depth=1
	s_mov_b32 s14, -1
	s_mov_b32 s7, 0
                                        ; implicit-def: $sgpr15
                                        ; implicit-def: $vgpr28
	s_mov_b32 s79, s14
	s_cbranch_execnz .LBB138_397
	s_branch .LBB138_410
.LBB138_395:                            ;   in Loop: Header=BB138_18 Depth=1
	s_set_inst_prefetch_distance 0x2
	s_or_b32 exec_lo, exec_lo, s15
	v_lshrrev_b16 v28, 8, v9
	s_and_b32 s7, s26, exec_lo
.LBB138_396:                            ;   in Loop: Header=BB138_18 Depth=1
	s_or_b32 exec_lo, exec_lo, s14
	s_mov_b32 s14, 0
	s_mov_b32 s15, -1
	s_mov_b32 s79, s14
	s_branch .LBB138_410
.LBB138_397:                            ;   in Loop: Header=BB138_18 Depth=1
	s_mov_b32 s26, s73
	s_delay_alu instid0(SALU_CYCLE_1)
	s_cmp_lg_u64 s[26:27], 0
	s_cbranch_scc0 .LBB138_430
; %bb.398:                              ;   in Loop: Header=BB138_18 Depth=1
	v_cvt_f32_u32_e32 v2, s33
	s_sub_u32 s9, 0, s33
	s_subb_u32 s14, 0, 0
	s_delay_alu instid0(VALU_DEP_1) | instskip(NEXT) | instid1(VALU_DEP_1)
	v_fmac_f32_e64 v2, 0, 0x4f800000
	v_rcp_f32_e32 v2, v2
	s_waitcnt_depctr 0xfff
	v_mul_f32_e32 v2, 0x5f7ffffc, v2
	s_delay_alu instid0(VALU_DEP_1) | instskip(NEXT) | instid1(VALU_DEP_1)
	v_mul_f32_e32 v3, 0x2f800000, v2
	v_trunc_f32_e32 v3, v3
	s_delay_alu instid0(VALU_DEP_1) | instskip(SKIP_1) | instid1(VALU_DEP_2)
	v_fmac_f32_e32 v2, 0xcf800000, v3
	v_cvt_u32_f32_e32 v3, v3
	v_cvt_u32_f32_e32 v2, v2
	s_delay_alu instid0(VALU_DEP_2) | instskip(NEXT) | instid1(VALU_DEP_2)
	v_readfirstlane_b32 s7, v3
	v_readfirstlane_b32 s8, v2
	s_delay_alu instid0(VALU_DEP_2) | instskip(NEXT) | instid1(VALU_DEP_1)
	s_mul_i32 s15, s9, s7
	s_mul_hi_u32 s60, s9, s8
	s_mul_i32 s26, s14, s8
	s_add_i32 s15, s60, s15
	s_mul_i32 s61, s9, s8
	s_add_i32 s15, s15, s26
	s_mul_hi_u32 s60, s8, s61
	s_mul_hi_u32 s79, s7, s61
	s_mul_i32 s26, s7, s61
	s_mul_hi_u32 s61, s8, s15
	s_mul_i32 s8, s8, s15
	s_mul_hi_u32 s80, s7, s15
	s_add_u32 s8, s60, s8
	s_addc_u32 s60, 0, s61
	s_add_u32 s8, s8, s26
	s_mul_i32 s15, s7, s15
	s_addc_u32 s8, s60, s79
	s_addc_u32 s26, s80, 0
	s_add_u32 s8, s8, s15
	s_addc_u32 s15, 0, s26
	v_add_co_u32 v2, s8, v2, s8
	s_delay_alu instid0(VALU_DEP_1) | instskip(SKIP_1) | instid1(VALU_DEP_1)
	s_cmp_lg_u32 s8, 0
	s_addc_u32 s7, s7, s15
	v_readfirstlane_b32 s8, v2
	s_mul_i32 s15, s9, s7
	s_delay_alu instid0(VALU_DEP_1)
	s_mul_hi_u32 s26, s9, s8
	s_mul_i32 s14, s14, s8
	s_add_i32 s15, s26, s15
	s_mul_i32 s9, s9, s8
	s_add_i32 s15, s15, s14
	s_mul_hi_u32 s26, s7, s9
	s_mul_i32 s60, s7, s9
	s_mul_hi_u32 s9, s8, s9
	s_mul_hi_u32 s61, s8, s15
	s_mul_i32 s8, s8, s15
	s_mul_hi_u32 s14, s7, s15
	s_add_u32 s8, s9, s8
	s_addc_u32 s9, 0, s61
	s_add_u32 s8, s8, s60
	s_mul_i32 s15, s7, s15
	s_addc_u32 s8, s9, s26
	s_addc_u32 s9, s14, 0
	s_add_u32 s8, s8, s15
	s_addc_u32 s9, 0, s9
	v_add_co_u32 v2, s8, v2, s8
	s_delay_alu instid0(VALU_DEP_1) | instskip(SKIP_1) | instid1(VALU_DEP_1)
	s_cmp_lg_u32 s8, 0
	s_addc_u32 s7, s7, s9
	v_readfirstlane_b32 s8, v2
	s_mul_i32 s14, s88, s7
	s_mul_hi_u32 s9, s88, s7
	s_mul_hi_u32 s15, s27, s7
	s_mul_i32 s7, s27, s7
	s_mul_hi_u32 s26, s88, s8
	s_mul_hi_u32 s60, s27, s8
	s_mul_i32 s8, s27, s8
	s_add_u32 s14, s26, s14
	s_addc_u32 s9, 0, s9
	s_add_u32 s8, s14, s8
	s_addc_u32 s8, s9, s60
	s_addc_u32 s9, s15, 0
	s_add_u32 s7, s8, s7
	s_addc_u32 s8, 0, s9
	s_mul_hi_u32 s9, s33, s7
	s_mul_i32 s7, s33, s7
	s_mul_i32 s8, s33, s8
	v_sub_co_u32 v2, s7, s88, s7
	s_add_i32 s9, s9, s8
	s_cmp_lg_u32 s7, 0
	s_delay_alu instid0(VALU_DEP_1) | instskip(SKIP_3) | instid1(VALU_DEP_2)
	v_sub_co_u32 v3, s7, v2, s33
	s_subb_u32 s8, s27, s9
	s_cmp_lg_u32 s7, 0
	v_cmp_le_u32_e32 vcc_lo, s33, v2
	v_cmp_le_u32_e64 s7, s33, v3
	v_sub_co_u32 v6, s9, v3, s33
	s_subb_u32 s14, s8, 0
	s_cmp_lg_u32 s9, 0
	s_delay_alu instid0(VALU_DEP_2)
	v_cndmask_b32_e64 v7, 0, -1, s7
	s_subb_u32 s9, s14, 0
	s_cmp_eq_u32 s14, 0
	v_mov_b32_e32 v9, s9
	v_cndmask_b32_e64 v8, 0, -1, vcc_lo
	s_cselect_b32 vcc_lo, -1, 0
	s_cmp_eq_u32 s8, 0
	v_cndmask_b32_e32 v7, -1, v7, vcc_lo
	s_cselect_b32 vcc_lo, -1, 0
	v_cndmask_b32_e32 v8, -1, v8, vcc_lo
	s_delay_alu instid0(VALU_DEP_2) | instskip(NEXT) | instid1(VALU_DEP_2)
	v_cmp_ne_u32_e32 vcc_lo, 0, v7
	v_cmp_ne_u32_e64 s7, 0, v8
	v_cndmask_b32_e32 v7, s14, v9, vcc_lo
	v_cndmask_b32_e32 v6, v3, v6, vcc_lo
	s_delay_alu instid0(VALU_DEP_2) | instskip(NEXT) | instid1(VALU_DEP_2)
	v_cndmask_b32_e64 v3, s8, v7, s7
	v_cndmask_b32_e64 v2, v2, v6, s7
	s_cbranch_execnz .LBB138_400
.LBB138_399:                            ;   in Loop: Header=BB138_18 Depth=1
	v_cvt_f32_u32_e32 v2, s33
	s_sub_i32 s7, 0, s33
	s_delay_alu instid0(VALU_DEP_1) | instskip(SKIP_2) | instid1(VALU_DEP_1)
	v_rcp_iflag_f32_e32 v2, v2
	s_waitcnt_depctr 0xfff
	v_mul_f32_e32 v2, 0x4f7ffffe, v2
	v_cvt_u32_f32_e32 v2, v2
	s_delay_alu instid0(VALU_DEP_1) | instskip(NEXT) | instid1(VALU_DEP_1)
	v_mul_lo_u32 v3, s7, v2
	v_mul_hi_u32 v3, v2, v3
	s_delay_alu instid0(VALU_DEP_1) | instskip(NEXT) | instid1(VALU_DEP_1)
	v_add_nc_u32_e32 v2, v2, v3
	v_mul_hi_u32 v2, s88, v2
	s_delay_alu instid0(VALU_DEP_1) | instskip(NEXT) | instid1(VALU_DEP_1)
	v_mul_lo_u32 v2, v2, s33
	v_sub_nc_u32_e32 v2, s88, v2
	s_delay_alu instid0(VALU_DEP_1) | instskip(SKIP_1) | instid1(VALU_DEP_2)
	v_subrev_nc_u32_e32 v3, s33, v2
	v_cmp_le_u32_e32 vcc_lo, s33, v2
	v_cndmask_b32_e32 v2, v2, v3, vcc_lo
	s_delay_alu instid0(VALU_DEP_1) | instskip(SKIP_1) | instid1(VALU_DEP_2)
	v_subrev_nc_u32_e32 v3, s33, v2
	v_cmp_le_u32_e32 vcc_lo, s33, v2
	v_cndmask_b32_e32 v12, v2, v3, vcc_lo
	s_delay_alu instid0(VALU_DEP_1)
	v_dual_mov_b32 v2, v12 :: v_dual_mov_b32 v3, v13
.LBB138_400:                            ;   in Loop: Header=BB138_18 Depth=1
	s_delay_alu instid0(VALU_DEP_1) | instskip(NEXT) | instid1(VALU_DEP_2)
	v_sub_co_u32 v2, vcc_lo, s88, v2
	v_sub_co_ci_u32_e32 v3, vcc_lo, s27, v3, vcc_lo
	s_mov_b32 s7, 0
	s_mov_b32 s8, exec_lo
                                        ; implicit-def: $vgpr28
	s_delay_alu instid0(VALU_DEP_1)
	v_cmpx_gt_u64_e64 v[2:3], v[0:1]
	s_cbranch_execz .LBB138_409
; %bb.401:                              ;   in Loop: Header=BB138_18 Depth=1
	v_dual_mov_b32 v7, v1 :: v_dual_mov_b32 v6, v0
	s_mov_b32 s9, 0
                                        ; implicit-def: $sgpr14
	s_branch .LBB138_403
.LBB138_402:                            ;   in Loop: Header=BB138_403 Depth=2
	s_or_b32 exec_lo, exec_lo, s7
	s_waitcnt vmcnt(0) lgkmcnt(0)
	s_barrier
	buffer_gl0_inv
	ds_load_u16 v8, v13 offset:3072
	v_add_co_u32 v6, vcc_lo, v6, s33
	v_add_co_ci_u32_e32 v7, vcc_lo, 0, v7, vcc_lo
	s_waitcnt lgkmcnt(0)
	s_barrier
	buffer_gl0_inv
	v_cmp_ge_u64_e32 vcc_lo, v[6:7], v[2:3]
	v_and_b32_e32 v9, 0xff, v8
	s_delay_alu instid0(VALU_DEP_1) | instskip(NEXT) | instid1(VALU_DEP_1)
	v_cmp_ne_u16_e64 s7, 0, v9
	s_or_b32 s15, vcc_lo, s7
	s_delay_alu instid0(SALU_CYCLE_1) | instskip(NEXT) | instid1(SALU_CYCLE_1)
	s_and_b32 s15, exec_lo, s15
	s_or_b32 s9, s15, s9
	s_and_not1_b32 s14, s14, exec_lo
	s_and_b32 s7, s7, exec_lo
	s_delay_alu instid0(SALU_CYCLE_1)
	s_or_b32 s14, s14, s7
	s_and_not1_b32 exec_lo, exec_lo, s9
	s_cbranch_execz .LBB138_408
.LBB138_403:                            ;   Parent Loop BB138_18 Depth=1
                                        ; =>  This Inner Loop Header: Depth=2
	s_delay_alu instid0(VALU_DEP_1)
	v_cmp_gt_u64_e32 vcc_lo, s[36:37], v[6:7]
	v_mov_b32_e32 v8, 0
	s_and_saveexec_b32 s7, vcc_lo
	s_cbranch_execz .LBB138_405
; %bb.404:                              ;   in Loop: Header=BB138_403 Depth=2
	v_mad_u64_u32 v[8:9], null, v6, s30, s[28:29]
	v_mul_lo_u32 v12, v6, s31
	v_mul_lo_u32 v16, v7, s30
	s_delay_alu instid0(VALU_DEP_1)
	v_add3_u32 v9, v16, v9, v12
	global_load_u8 v8, v[8:9], off
.LBB138_405:                            ;   in Loop: Header=BB138_403 Depth=2
	s_or_b32 exec_lo, exec_lo, s7
	s_and_saveexec_b32 s7, vcc_lo
	s_cbranch_execz .LBB138_402
; %bb.406:                              ;   in Loop: Header=BB138_403 Depth=2
	s_waitcnt vmcnt(0)
	v_bfe_i32 v9, v8, 0, 8
	s_delay_alu instid0(VALU_DEP_1) | instskip(NEXT) | instid1(VALU_DEP_1)
	v_add_nc_u32_e32 v9, 0x80, v9
	v_and_b32_e32 v9, v9, v26
	s_delay_alu instid0(VALU_DEP_1)
	v_cmp_eq_u32_e32 vcc_lo, v9, v27
	s_and_b32 exec_lo, exec_lo, vcc_lo
	s_cbranch_execz .LBB138_402
; %bb.407:                              ;   in Loop: Header=BB138_403 Depth=2
	v_lshlrev_b16 v8, 8, v8
	s_delay_alu instid0(VALU_DEP_1)
	v_or_b32_e32 v8, 1, v8
	ds_store_b16 v13, v8 offset:3072
	s_branch .LBB138_402
.LBB138_408:                            ;   in Loop: Header=BB138_18 Depth=1
	s_or_b32 exec_lo, exec_lo, s9
	v_lshrrev_b16 v28, 8, v8
	s_and_b32 s7, s14, exec_lo
.LBB138_409:                            ;   in Loop: Header=BB138_18 Depth=1
	s_or_b32 exec_lo, exec_lo, s8
	s_mov_b32 s15, 0
	s_mov_b32 s14, -1
	s_mov_b32 s79, 0
.LBB138_410:                            ;   in Loop: Header=BB138_18 Depth=1
	s_or_not1_b32 s7, s7, exec_lo
.LBB138_411:                            ;   in Loop: Header=BB138_18 Depth=1
	s_or_b32 exec_lo, exec_lo, s71
	s_mov_b32 s26, 0
                                        ; implicit-def: $vgpr6
	s_and_saveexec_b32 s80, s7
	s_cbranch_execz .LBB138_476
; %bb.412:                              ;   in Loop: Header=BB138_18 Depth=1
	v_mov_b32_e32 v2, 1
	v_dual_mov_b32 v3, 0 :: v_dual_mov_b32 v6, 1
	s_xor_b32 s8, s70, -1
	s_delay_alu instid0(SALU_CYCLE_1)
	s_and_saveexec_b32 s7, s8
	s_cbranch_execz .LBB138_422
; %bb.413:                              ;   in Loop: Header=BB138_18 Depth=1
	s_mov_b32 s9, exec_lo
                                        ; implicit-def: $sgpr26
                                        ; implicit-def: $sgpr8
	v_cmpx_ge_u64_e64 s[12:13], v[4:5]
	s_xor_b32 s9, exec_lo, s9
	s_cbranch_execz .LBB138_419
; %bb.414:                              ;   in Loop: Header=BB138_18 Depth=1
	ds_load_b64 v[2:3], v13 offset:5120
	s_waitcnt lgkmcnt(0)
	v_cmp_ne_u64_e32 vcc_lo, 0, v[2:3]
	s_cbranch_vccnz .LBB138_418
; %bb.415:                              ;   in Loop: Header=BB138_18 Depth=1
	s_and_saveexec_b32 s8, s5
	s_cbranch_execz .LBB138_417
; %bb.416:                              ;   in Loop: Header=BB138_18 Depth=1
	v_dual_mov_b32 v2, s12 :: v_dual_mov_b32 v3, s13
	ds_store_b64 v13, v[2:3] offset:5128
.LBB138_417:                            ;   in Loop: Header=BB138_18 Depth=1
	s_or_b32 exec_lo, exec_lo, s8
	s_waitcnt lgkmcnt(0)
	s_barrier
	buffer_gl0_inv
.LBB138_418:                            ;   in Loop: Header=BB138_18 Depth=1
	s_lshl_b32 s8, 1, s22
	v_or_b32_e32 v26, s20, v26
	v_and_or_b32 v27, v27, s21, s8
	s_mov_b32 s8, 0
	s_mov_b32 s26, 5
.LBB138_419:                            ;   in Loop: Header=BB138_18 Depth=1
	s_or_saveexec_b32 s9, s9
	v_mov_b32_e32 v6, s26
	s_xor_b32 exec_lo, exec_lo, s9
; %bb.420:                              ;   in Loop: Header=BB138_18 Depth=1
	v_sub_co_u32 v4, vcc_lo, v4, s12
	v_subrev_co_ci_u32_e32 v5, vcc_lo, s13, v5, vcc_lo
	v_mov_b32_e32 v6, 0
	s_or_b32 s8, s8, exec_lo
; %bb.421:                              ;   in Loop: Header=BB138_18 Depth=1
	s_or_b32 exec_lo, exec_lo, s9
	s_delay_alu instid0(VALU_DEP_2)
	v_dual_mov_b32 v2, v4 :: v_dual_mov_b32 v3, v5
	s_and_b32 s26, s8, exec_lo
.LBB138_422:                            ;   in Loop: Header=BB138_18 Depth=1
	s_or_b32 exec_lo, exec_lo, s7
	s_mov_b32 s12, -1
                                        ; implicit-def: $sgpr7
                                        ; implicit-def: $sgpr8
                                        ; implicit-def: $sgpr9
	s_and_saveexec_b32 s22, s26
	s_cbranch_execz .LBB138_475
; %bb.423:                              ;   in Loop: Header=BB138_18 Depth=1
	v_cmp_eq_u64_e32 vcc_lo, 1, v[2:3]
	s_cmp_eq_u64 s[10:11], 1
	s_mov_b32 s13, -1
	s_cselect_b32 s7, -1, 0
                                        ; implicit-def: $sgpr8
                                        ; implicit-def: $sgpr9
	s_delay_alu instid0(SALU_CYCLE_1) | instskip(NEXT) | instid1(SALU_CYCLE_1)
	s_and_b32 s70, s7, vcc_lo
                                        ; implicit-def: $sgpr7
	s_and_saveexec_b32 s71, s70
	s_cbranch_execz .LBB138_462
; %bb.424:                              ;   in Loop: Header=BB138_18 Depth=1
	ds_load_b64 v[4:5], v13 offset:5120
	s_waitcnt lgkmcnt(0)
	s_barrier
	buffer_gl0_inv
	v_readfirstlane_b32 s8, v4
	v_readfirstlane_b32 s9, v5
	s_and_saveexec_b32 s7, s6
	s_cbranch_execz .LBB138_426
; %bb.425:                              ;   in Loop: Header=BB138_18 Depth=1
	ds_store_b8 v0, v13 offset:3072
.LBB138_426:                            ;   in Loop: Header=BB138_18 Depth=1
	s_or_b32 exec_lo, exec_lo, s7
	v_and_b32_e32 v27, s21, v27
	v_or_b32_e32 v26, s20, v26
	s_cmp_eq_u64 s[8:9], 0
	s_waitcnt lgkmcnt(0)
	s_barrier
	buffer_gl0_inv
	s_cbranch_scc1 .LBB138_431
; %bb.427:                              ;   in Loop: Header=BB138_18 Depth=1
	s_add_u32 s26, s86, s8
	s_addc_u32 s13, s87, s9
	s_mov_b32 s12, s73
	s_delay_alu instid0(SALU_CYCLE_1)
	s_cmp_lg_u64 s[12:13], 0
	s_cbranch_scc0 .LBB138_432
; %bb.428:                              ;   in Loop: Header=BB138_18 Depth=1
	v_cvt_f32_u32_e32 v4, s33
	s_sub_u32 s60, 0, s33
	s_subb_u32 s61, 0, 0
	s_delay_alu instid0(VALU_DEP_1) | instskip(NEXT) | instid1(VALU_DEP_1)
	v_fmac_f32_e64 v4, 0, 0x4f800000
	v_rcp_f32_e32 v4, v4
	s_waitcnt_depctr 0xfff
	v_mul_f32_e32 v4, 0x5f7ffffc, v4
	s_delay_alu instid0(VALU_DEP_1) | instskip(NEXT) | instid1(VALU_DEP_1)
	v_mul_f32_e32 v5, 0x2f800000, v4
	v_trunc_f32_e32 v5, v5
	s_delay_alu instid0(VALU_DEP_1) | instskip(SKIP_1) | instid1(VALU_DEP_2)
	v_fmac_f32_e32 v4, 0xcf800000, v5
	v_cvt_u32_f32_e32 v5, v5
	v_cvt_u32_f32_e32 v4, v4
	s_delay_alu instid0(VALU_DEP_2) | instskip(NEXT) | instid1(VALU_DEP_2)
	v_readfirstlane_b32 s7, v5
	v_readfirstlane_b32 s12, v4
	s_delay_alu instid0(VALU_DEP_2) | instskip(NEXT) | instid1(VALU_DEP_1)
	s_mul_i32 s81, s60, s7
	s_mul_hi_u32 s83, s60, s12
	s_mul_i32 s82, s61, s12
	s_add_i32 s81, s83, s81
	s_mul_i32 s84, s60, s12
	s_add_i32 s81, s81, s82
	s_mul_hi_u32 s83, s12, s84
	s_mul_hi_u32 s85, s7, s84
	s_mul_i32 s82, s7, s84
	s_mul_hi_u32 s84, s12, s81
	s_mul_i32 s12, s12, s81
	s_mul_hi_u32 vcc_lo, s7, s81
	s_add_u32 s12, s83, s12
	s_addc_u32 s83, 0, s84
	s_add_u32 s12, s12, s82
	s_mul_i32 s81, s7, s81
	s_addc_u32 s12, s83, s85
	s_addc_u32 s82, vcc_lo, 0
	s_add_u32 s12, s12, s81
	s_addc_u32 s81, 0, s82
	v_add_co_u32 v4, s12, v4, s12
	s_delay_alu instid0(VALU_DEP_1) | instskip(SKIP_1) | instid1(VALU_DEP_1)
	s_cmp_lg_u32 s12, 0
	s_addc_u32 s7, s7, s81
	v_readfirstlane_b32 s12, v4
	s_mul_i32 s81, s60, s7
	s_delay_alu instid0(VALU_DEP_1)
	s_mul_hi_u32 s82, s60, s12
	s_mul_i32 s61, s61, s12
	s_add_i32 s81, s82, s81
	s_mul_i32 s60, s60, s12
	s_add_i32 s81, s81, s61
	s_mul_hi_u32 s82, s7, s60
	s_mul_i32 s83, s7, s60
	s_mul_hi_u32 s60, s12, s60
	s_mul_hi_u32 s84, s12, s81
	s_mul_i32 s12, s12, s81
	s_mul_hi_u32 s61, s7, s81
	s_add_u32 s12, s60, s12
	s_addc_u32 s60, 0, s84
	s_add_u32 s12, s12, s83
	s_mul_i32 s81, s7, s81
	s_addc_u32 s12, s60, s82
	s_addc_u32 s60, s61, 0
	s_add_u32 s12, s12, s81
	s_addc_u32 s60, 0, s60
	v_add_co_u32 v4, s12, v4, s12
	s_delay_alu instid0(VALU_DEP_1) | instskip(SKIP_1) | instid1(VALU_DEP_1)
	s_cmp_lg_u32 s12, 0
	s_addc_u32 s7, s7, s60
	v_readfirstlane_b32 s12, v4
	s_mul_i32 s61, s26, s7
	s_mul_hi_u32 s60, s26, s7
	s_mul_hi_u32 s81, s13, s7
	s_mul_i32 s7, s13, s7
	s_mul_hi_u32 s82, s26, s12
	s_mul_hi_u32 s83, s13, s12
	s_mul_i32 s12, s13, s12
	s_add_u32 s61, s82, s61
	s_addc_u32 s60, 0, s60
	s_add_u32 s12, s61, s12
	s_addc_u32 s12, s60, s83
	s_addc_u32 s60, s81, 0
	s_add_u32 s7, s12, s7
	s_addc_u32 s12, 0, s60
	s_mul_hi_u32 s60, s33, s7
	s_mul_i32 s7, s33, s7
	s_mul_i32 s12, s33, s12
	v_sub_co_u32 v4, s7, s26, s7
	s_add_i32 s60, s60, s12
	s_cmp_lg_u32 s7, 0
	s_delay_alu instid0(VALU_DEP_1) | instskip(SKIP_3) | instid1(VALU_DEP_2)
	v_sub_co_u32 v5, s7, v4, s33
	s_subb_u32 s12, s13, s60
	s_cmp_lg_u32 s7, 0
	v_cmp_le_u32_e32 vcc_lo, s33, v4
	v_cmp_le_u32_e64 s7, s33, v5
	v_sub_co_u32 v6, s60, v5, s33
	s_subb_u32 s61, s12, 0
	s_cmp_lg_u32 s60, 0
	s_delay_alu instid0(VALU_DEP_2)
	v_cndmask_b32_e64 v7, 0, -1, s7
	s_subb_u32 s60, s61, 0
	s_cmp_eq_u32 s61, 0
	v_mov_b32_e32 v9, s60
	v_cndmask_b32_e64 v8, 0, -1, vcc_lo
	s_cselect_b32 vcc_lo, -1, 0
	s_cmp_eq_u32 s12, 0
	v_cndmask_b32_e32 v7, -1, v7, vcc_lo
	s_cselect_b32 vcc_lo, -1, 0
	v_cndmask_b32_e32 v8, -1, v8, vcc_lo
	s_delay_alu instid0(VALU_DEP_2) | instskip(NEXT) | instid1(VALU_DEP_2)
	v_cmp_ne_u32_e32 vcc_lo, 0, v7
	v_cmp_ne_u32_e64 s7, 0, v8
	v_cndmask_b32_e32 v7, s61, v9, vcc_lo
	v_cndmask_b32_e32 v6, v5, v6, vcc_lo
	s_delay_alu instid0(VALU_DEP_2) | instskip(NEXT) | instid1(VALU_DEP_2)
	v_cndmask_b32_e64 v5, s12, v7, s7
	v_cndmask_b32_e64 v4, v4, v6, s7
	s_mov_b32 s7, 0
	s_branch .LBB138_433
.LBB138_429:                            ;   in Loop: Header=BB138_18 Depth=1
                                        ; implicit-def: $vgpr2_vgpr3
	s_branch .LBB138_383
.LBB138_430:                            ;   in Loop: Header=BB138_18 Depth=1
                                        ; implicit-def: $vgpr2_vgpr3
	s_branch .LBB138_399
.LBB138_431:                            ;   in Loop: Header=BB138_18 Depth=1
	s_mov_b32 s7, -1
	s_mov_b32 s13, 0
                                        ; implicit-def: $sgpr8
                                        ; implicit-def: $vgpr28
	s_branch .LBB138_445
.LBB138_432:                            ;   in Loop: Header=BB138_18 Depth=1
	s_mov_b32 s7, -1
                                        ; implicit-def: $vgpr4_vgpr5
.LBB138_433:                            ;   in Loop: Header=BB138_18 Depth=1
	s_delay_alu instid0(SALU_CYCLE_1)
	s_and_not1_b32 vcc_lo, exec_lo, s7
	s_cbranch_vccnz .LBB138_435
; %bb.434:                              ;   in Loop: Header=BB138_18 Depth=1
	v_cvt_f32_u32_e32 v4, s33
	s_sub_i32 s7, 0, s33
	s_delay_alu instid0(VALU_DEP_1) | instskip(SKIP_2) | instid1(VALU_DEP_1)
	v_rcp_iflag_f32_e32 v4, v4
	s_waitcnt_depctr 0xfff
	v_mul_f32_e32 v4, 0x4f7ffffe, v4
	v_cvt_u32_f32_e32 v4, v4
	s_delay_alu instid0(VALU_DEP_1) | instskip(NEXT) | instid1(VALU_DEP_1)
	v_mul_lo_u32 v5, s7, v4
	v_mul_hi_u32 v5, v4, v5
	s_delay_alu instid0(VALU_DEP_1) | instskip(NEXT) | instid1(VALU_DEP_1)
	v_add_nc_u32_e32 v4, v4, v5
	v_mul_hi_u32 v4, s26, v4
	s_delay_alu instid0(VALU_DEP_1) | instskip(NEXT) | instid1(VALU_DEP_1)
	v_mul_lo_u32 v4, v4, s33
	v_sub_nc_u32_e32 v4, s26, v4
	s_delay_alu instid0(VALU_DEP_1) | instskip(SKIP_1) | instid1(VALU_DEP_2)
	v_subrev_nc_u32_e32 v5, s33, v4
	v_cmp_le_u32_e32 vcc_lo, s33, v4
	v_cndmask_b32_e32 v4, v4, v5, vcc_lo
	s_delay_alu instid0(VALU_DEP_1) | instskip(SKIP_1) | instid1(VALU_DEP_2)
	v_subrev_nc_u32_e32 v5, s33, v4
	v_cmp_le_u32_e32 vcc_lo, s33, v4
	v_cndmask_b32_e32 v12, v4, v5, vcc_lo
	s_delay_alu instid0(VALU_DEP_1)
	v_dual_mov_b32 v4, v12 :: v_dual_mov_b32 v5, v13
.LBB138_435:                            ;   in Loop: Header=BB138_18 Depth=1
	s_delay_alu instid0(VALU_DEP_1) | instskip(NEXT) | instid1(VALU_DEP_2)
	v_sub_co_u32 v4, vcc_lo, s26, v4
	v_sub_co_ci_u32_e32 v5, vcc_lo, s13, v5, vcc_lo
	s_mov_b32 s13, 0
	s_mov_b32 s12, exec_lo
                                        ; implicit-def: $vgpr28
	s_delay_alu instid0(VALU_DEP_1)
	v_cmpx_gt_u64_e64 v[4:5], v[0:1]
	s_cbranch_execz .LBB138_444
; %bb.436:                              ;   in Loop: Header=BB138_18 Depth=1
	v_dual_mov_b32 v8, v0 :: v_dual_mov_b32 v7, v1
	v_mov_b32_e32 v6, v0
                                        ; implicit-def: $sgpr26
	s_set_inst_prefetch_distance 0x1
	s_branch .LBB138_438
	.p2align	6
.LBB138_437:                            ;   in Loop: Header=BB138_438 Depth=2
	s_or_b32 exec_lo, exec_lo, s7
	s_waitcnt lgkmcnt(0)
	s_barrier
	buffer_gl0_inv
	ds_load_u16 v9, v13 offset:3072
	v_add_co_u32 v6, vcc_lo, v6, s33
	v_add_co_ci_u32_e32 v7, vcc_lo, 0, v7, vcc_lo
	v_add_nc_u32_e32 v8, s33, v8
	s_waitcnt lgkmcnt(0)
	s_barrier
	s_delay_alu instid0(VALU_DEP_2) | instskip(SKIP_2) | instid1(VALU_DEP_1)
	v_cmp_ge_u64_e32 vcc_lo, v[6:7], v[4:5]
	buffer_gl0_inv
	v_and_b32_e32 v12, 0xff, v9
	v_cmp_ne_u16_e64 s7, 0, v12
	s_delay_alu instid0(VALU_DEP_1) | instskip(NEXT) | instid1(SALU_CYCLE_1)
	s_or_b32 s60, vcc_lo, s7
	s_and_b32 s60, exec_lo, s60
	s_delay_alu instid0(SALU_CYCLE_1) | instskip(SKIP_2) | instid1(SALU_CYCLE_1)
	s_or_b32 s13, s60, s13
	s_and_not1_b32 s26, s26, exec_lo
	s_and_b32 s7, s7, exec_lo
	s_or_b32 s26, s26, s7
	s_and_not1_b32 exec_lo, exec_lo, s13
	s_cbranch_execz .LBB138_443
.LBB138_438:                            ;   Parent Loop BB138_18 Depth=1
                                        ; =>  This Inner Loop Header: Depth=2
	s_delay_alu instid0(VALU_DEP_1)
	v_cmp_gt_u64_e32 vcc_lo, s[8:9], v[6:7]
	v_mov_b32_e32 v9, 0
	s_and_saveexec_b32 s7, vcc_lo
	s_cbranch_execz .LBB138_440
; %bb.439:                              ;   in Loop: Header=BB138_438 Depth=2
	ds_load_u8 v9, v8
.LBB138_440:                            ;   in Loop: Header=BB138_438 Depth=2
	s_or_b32 exec_lo, exec_lo, s7
	s_and_saveexec_b32 s7, vcc_lo
	s_cbranch_execz .LBB138_437
; %bb.441:                              ;   in Loop: Header=BB138_438 Depth=2
	s_waitcnt lgkmcnt(0)
	v_bfe_i32 v12, v9, 0, 8
	s_delay_alu instid0(VALU_DEP_1) | instskip(NEXT) | instid1(VALU_DEP_1)
	v_add_nc_u32_e32 v12, 0x80, v12
	v_and_b32_e32 v12, v12, v26
	s_delay_alu instid0(VALU_DEP_1)
	v_cmp_eq_u32_e32 vcc_lo, v12, v27
	s_and_b32 exec_lo, exec_lo, vcc_lo
	s_cbranch_execz .LBB138_437
; %bb.442:                              ;   in Loop: Header=BB138_438 Depth=2
	v_lshlrev_b16 v9, 8, v9
	s_delay_alu instid0(VALU_DEP_1)
	v_or_b32_e32 v9, 1, v9
	ds_store_b16 v13, v9 offset:3072
	s_branch .LBB138_437
.LBB138_443:                            ;   in Loop: Header=BB138_18 Depth=1
	s_set_inst_prefetch_distance 0x2
	s_or_b32 exec_lo, exec_lo, s13
	v_lshrrev_b16 v28, 8, v9
	s_and_b32 s13, s26, exec_lo
.LBB138_444:                            ;   in Loop: Header=BB138_18 Depth=1
	s_or_b32 exec_lo, exec_lo, s12
	s_mov_b32 s7, 0
	s_mov_b32 s8, -1
.LBB138_445:                            ;   in Loop: Header=BB138_18 Depth=1
	s_and_b32 vcc_lo, exec_lo, s7
	s_mov_b32 s9, s7
	s_cbranch_vccz .LBB138_461
; %bb.446:                              ;   in Loop: Header=BB138_18 Depth=1
	s_mov_b32 s26, s73
	s_delay_alu instid0(SALU_CYCLE_1)
	s_cmp_lg_u64 s[26:27], 0
	s_cbranch_scc0 .LBB138_448
; %bb.447:                              ;   in Loop: Header=BB138_18 Depth=1
	v_cvt_f32_u32_e32 v4, s33
	s_sub_u32 s9, 0, s33
	s_subb_u32 s12, 0, 0
	s_delay_alu instid0(VALU_DEP_1) | instskip(NEXT) | instid1(VALU_DEP_1)
	v_fmac_f32_e64 v4, 0, 0x4f800000
	v_rcp_f32_e32 v4, v4
	s_waitcnt_depctr 0xfff
	v_mul_f32_e32 v4, 0x5f7ffffc, v4
	s_delay_alu instid0(VALU_DEP_1) | instskip(NEXT) | instid1(VALU_DEP_1)
	v_mul_f32_e32 v5, 0x2f800000, v4
	v_trunc_f32_e32 v5, v5
	s_delay_alu instid0(VALU_DEP_1) | instskip(SKIP_1) | instid1(VALU_DEP_2)
	v_fmac_f32_e32 v4, 0xcf800000, v5
	v_cvt_u32_f32_e32 v5, v5
	v_cvt_u32_f32_e32 v4, v4
	s_delay_alu instid0(VALU_DEP_2) | instskip(NEXT) | instid1(VALU_DEP_2)
	v_readfirstlane_b32 s7, v5
	v_readfirstlane_b32 s8, v4
	s_delay_alu instid0(VALU_DEP_2) | instskip(NEXT) | instid1(VALU_DEP_1)
	s_mul_i32 s13, s9, s7
	s_mul_hi_u32 s60, s9, s8
	s_mul_i32 s26, s12, s8
	s_add_i32 s13, s60, s13
	s_mul_i32 s61, s9, s8
	s_add_i32 s13, s13, s26
	s_mul_hi_u32 s60, s8, s61
	s_mul_hi_u32 s81, s7, s61
	s_mul_i32 s26, s7, s61
	s_mul_hi_u32 s61, s8, s13
	s_mul_i32 s8, s8, s13
	s_mul_hi_u32 s82, s7, s13
	s_add_u32 s8, s60, s8
	s_addc_u32 s60, 0, s61
	s_add_u32 s8, s8, s26
	s_mul_i32 s13, s7, s13
	s_addc_u32 s8, s60, s81
	s_addc_u32 s26, s82, 0
	s_add_u32 s8, s8, s13
	s_addc_u32 s13, 0, s26
	v_add_co_u32 v4, s8, v4, s8
	s_delay_alu instid0(VALU_DEP_1) | instskip(SKIP_1) | instid1(VALU_DEP_1)
	s_cmp_lg_u32 s8, 0
	s_addc_u32 s7, s7, s13
	v_readfirstlane_b32 s8, v4
	s_mul_i32 s13, s9, s7
	s_delay_alu instid0(VALU_DEP_1)
	s_mul_hi_u32 s26, s9, s8
	s_mul_i32 s12, s12, s8
	s_add_i32 s13, s26, s13
	s_mul_i32 s9, s9, s8
	s_add_i32 s13, s13, s12
	s_mul_hi_u32 s26, s7, s9
	s_mul_i32 s60, s7, s9
	s_mul_hi_u32 s9, s8, s9
	s_mul_hi_u32 s61, s8, s13
	s_mul_i32 s8, s8, s13
	s_mul_hi_u32 s12, s7, s13
	s_add_u32 s8, s9, s8
	s_addc_u32 s9, 0, s61
	s_add_u32 s8, s8, s60
	s_mul_i32 s13, s7, s13
	s_addc_u32 s8, s9, s26
	s_addc_u32 s9, s12, 0
	s_add_u32 s8, s8, s13
	s_addc_u32 s9, 0, s9
	v_add_co_u32 v4, s8, v4, s8
	s_delay_alu instid0(VALU_DEP_1) | instskip(SKIP_1) | instid1(VALU_DEP_1)
	s_cmp_lg_u32 s8, 0
	s_addc_u32 s7, s7, s9
	v_readfirstlane_b32 s8, v4
	s_mul_i32 s12, s88, s7
	s_mul_hi_u32 s9, s88, s7
	s_mul_hi_u32 s13, s27, s7
	s_mul_i32 s7, s27, s7
	s_mul_hi_u32 s26, s88, s8
	s_mul_hi_u32 s60, s27, s8
	s_mul_i32 s8, s27, s8
	s_add_u32 s12, s26, s12
	s_addc_u32 s9, 0, s9
	s_add_u32 s8, s12, s8
	s_addc_u32 s8, s9, s60
	s_addc_u32 s9, s13, 0
	s_add_u32 s7, s8, s7
	s_addc_u32 s8, 0, s9
	s_mul_hi_u32 s9, s33, s7
	s_mul_i32 s7, s33, s7
	s_mul_i32 s8, s33, s8
	v_sub_co_u32 v4, s7, s88, s7
	s_add_i32 s9, s9, s8
	s_cmp_lg_u32 s7, 0
	s_delay_alu instid0(VALU_DEP_1) | instskip(SKIP_3) | instid1(VALU_DEP_2)
	v_sub_co_u32 v5, s7, v4, s33
	s_subb_u32 s8, s27, s9
	s_cmp_lg_u32 s7, 0
	v_cmp_le_u32_e32 vcc_lo, s33, v4
	v_cmp_le_u32_e64 s7, s33, v5
	v_sub_co_u32 v6, s9, v5, s33
	s_subb_u32 s12, s8, 0
	s_cmp_lg_u32 s9, 0
	s_delay_alu instid0(VALU_DEP_2)
	v_cndmask_b32_e64 v7, 0, -1, s7
	s_subb_u32 s9, s12, 0
	s_cmp_eq_u32 s12, 0
	v_mov_b32_e32 v9, s9
	v_cndmask_b32_e64 v8, 0, -1, vcc_lo
	s_cselect_b32 vcc_lo, -1, 0
	s_cmp_eq_u32 s8, 0
	v_cndmask_b32_e32 v7, -1, v7, vcc_lo
	s_cselect_b32 vcc_lo, -1, 0
	v_cndmask_b32_e32 v8, -1, v8, vcc_lo
	s_delay_alu instid0(VALU_DEP_2) | instskip(NEXT) | instid1(VALU_DEP_2)
	v_cmp_ne_u32_e32 vcc_lo, 0, v7
	v_cmp_ne_u32_e64 s7, 0, v8
	v_cndmask_b32_e32 v7, s12, v9, vcc_lo
	v_cndmask_b32_e32 v6, v5, v6, vcc_lo
	s_delay_alu instid0(VALU_DEP_2) | instskip(NEXT) | instid1(VALU_DEP_2)
	v_cndmask_b32_e64 v5, s8, v7, s7
	v_cndmask_b32_e64 v4, v4, v6, s7
	s_mov_b32 s7, 0
	s_branch .LBB138_449
.LBB138_448:                            ;   in Loop: Header=BB138_18 Depth=1
	s_mov_b32 s7, -1
                                        ; implicit-def: $vgpr4_vgpr5
.LBB138_449:                            ;   in Loop: Header=BB138_18 Depth=1
	s_delay_alu instid0(SALU_CYCLE_1)
	s_and_not1_b32 vcc_lo, exec_lo, s7
	s_cbranch_vccnz .LBB138_451
; %bb.450:                              ;   in Loop: Header=BB138_18 Depth=1
	v_cvt_f32_u32_e32 v4, s33
	s_sub_i32 s7, 0, s33
	s_delay_alu instid0(VALU_DEP_1) | instskip(SKIP_2) | instid1(VALU_DEP_1)
	v_rcp_iflag_f32_e32 v4, v4
	s_waitcnt_depctr 0xfff
	v_mul_f32_e32 v4, 0x4f7ffffe, v4
	v_cvt_u32_f32_e32 v4, v4
	s_delay_alu instid0(VALU_DEP_1) | instskip(NEXT) | instid1(VALU_DEP_1)
	v_mul_lo_u32 v5, s7, v4
	v_mul_hi_u32 v5, v4, v5
	s_delay_alu instid0(VALU_DEP_1) | instskip(NEXT) | instid1(VALU_DEP_1)
	v_add_nc_u32_e32 v4, v4, v5
	v_mul_hi_u32 v4, s88, v4
	s_delay_alu instid0(VALU_DEP_1) | instskip(NEXT) | instid1(VALU_DEP_1)
	v_mul_lo_u32 v4, v4, s33
	v_sub_nc_u32_e32 v4, s88, v4
	s_delay_alu instid0(VALU_DEP_1) | instskip(SKIP_1) | instid1(VALU_DEP_2)
	v_subrev_nc_u32_e32 v5, s33, v4
	v_cmp_le_u32_e32 vcc_lo, s33, v4
	v_cndmask_b32_e32 v4, v4, v5, vcc_lo
	s_delay_alu instid0(VALU_DEP_1) | instskip(SKIP_1) | instid1(VALU_DEP_2)
	v_subrev_nc_u32_e32 v5, s33, v4
	v_cmp_le_u32_e32 vcc_lo, s33, v4
	v_cndmask_b32_e32 v12, v4, v5, vcc_lo
	s_delay_alu instid0(VALU_DEP_1)
	v_dual_mov_b32 v4, v12 :: v_dual_mov_b32 v5, v13
.LBB138_451:                            ;   in Loop: Header=BB138_18 Depth=1
	s_delay_alu instid0(VALU_DEP_1) | instskip(NEXT) | instid1(VALU_DEP_2)
	v_sub_co_u32 v4, vcc_lo, s88, v4
	v_sub_co_ci_u32_e32 v5, vcc_lo, s27, v5, vcc_lo
	s_mov_b32 s13, 0
	s_mov_b32 s8, exec_lo
                                        ; implicit-def: $vgpr28
	s_delay_alu instid0(VALU_DEP_1)
	v_cmpx_gt_u64_e64 v[4:5], v[0:1]
	s_cbranch_execz .LBB138_460
; %bb.452:                              ;   in Loop: Header=BB138_18 Depth=1
	v_dual_mov_b32 v7, v1 :: v_dual_mov_b32 v6, v0
	s_mov_b32 s9, 0
                                        ; implicit-def: $sgpr12
	s_branch .LBB138_454
.LBB138_453:                            ;   in Loop: Header=BB138_454 Depth=2
	s_or_b32 exec_lo, exec_lo, s7
	s_waitcnt vmcnt(0) lgkmcnt(0)
	s_barrier
	buffer_gl0_inv
	ds_load_u16 v8, v13 offset:3072
	v_add_co_u32 v6, vcc_lo, v6, s33
	v_add_co_ci_u32_e32 v7, vcc_lo, 0, v7, vcc_lo
	s_waitcnt lgkmcnt(0)
	s_barrier
	buffer_gl0_inv
	v_cmp_ge_u64_e32 vcc_lo, v[6:7], v[4:5]
	v_and_b32_e32 v9, 0xff, v8
	s_delay_alu instid0(VALU_DEP_1) | instskip(NEXT) | instid1(VALU_DEP_1)
	v_cmp_ne_u16_e64 s7, 0, v9
	s_or_b32 s13, vcc_lo, s7
	s_delay_alu instid0(SALU_CYCLE_1) | instskip(NEXT) | instid1(SALU_CYCLE_1)
	s_and_b32 s13, exec_lo, s13
	s_or_b32 s9, s13, s9
	s_and_not1_b32 s12, s12, exec_lo
	s_and_b32 s7, s7, exec_lo
	s_delay_alu instid0(SALU_CYCLE_1)
	s_or_b32 s12, s12, s7
	s_and_not1_b32 exec_lo, exec_lo, s9
	s_cbranch_execz .LBB138_459
.LBB138_454:                            ;   Parent Loop BB138_18 Depth=1
                                        ; =>  This Inner Loop Header: Depth=2
	s_delay_alu instid0(VALU_DEP_1)
	v_cmp_gt_u64_e32 vcc_lo, s[36:37], v[6:7]
	v_mov_b32_e32 v8, 0
	s_and_saveexec_b32 s7, vcc_lo
	s_cbranch_execz .LBB138_456
; %bb.455:                              ;   in Loop: Header=BB138_454 Depth=2
	v_mad_u64_u32 v[8:9], null, v6, s30, s[28:29]
	v_mul_lo_u32 v12, v6, s31
	v_mul_lo_u32 v16, v7, s30
	s_delay_alu instid0(VALU_DEP_1)
	v_add3_u32 v9, v16, v9, v12
	global_load_u8 v8, v[8:9], off
.LBB138_456:                            ;   in Loop: Header=BB138_454 Depth=2
	s_or_b32 exec_lo, exec_lo, s7
	s_and_saveexec_b32 s7, vcc_lo
	s_cbranch_execz .LBB138_453
; %bb.457:                              ;   in Loop: Header=BB138_454 Depth=2
	s_waitcnt vmcnt(0)
	v_bfe_i32 v9, v8, 0, 8
	s_delay_alu instid0(VALU_DEP_1) | instskip(NEXT) | instid1(VALU_DEP_1)
	v_add_nc_u32_e32 v9, 0x80, v9
	v_and_b32_e32 v9, v9, v26
	s_delay_alu instid0(VALU_DEP_1)
	v_cmp_eq_u32_e32 vcc_lo, v9, v27
	s_and_b32 exec_lo, exec_lo, vcc_lo
	s_cbranch_execz .LBB138_453
; %bb.458:                              ;   in Loop: Header=BB138_454 Depth=2
	v_lshlrev_b16 v8, 8, v8
	s_delay_alu instid0(VALU_DEP_1)
	v_or_b32_e32 v8, 1, v8
	ds_store_b16 v13, v8 offset:3072
	s_branch .LBB138_453
.LBB138_459:                            ;   in Loop: Header=BB138_18 Depth=1
	s_or_b32 exec_lo, exec_lo, s9
	v_lshrrev_b16 v28, 8, v8
	s_and_b32 s13, s12, exec_lo
.LBB138_460:                            ;   in Loop: Header=BB138_18 Depth=1
	s_or_b32 exec_lo, exec_lo, s8
	s_mov_b32 s8, 0
	s_mov_b32 s7, -1
	s_mov_b32 s9, 0
.LBB138_461:                            ;   in Loop: Header=BB138_18 Depth=1
	s_or_not1_b32 s13, s13, exec_lo
.LBB138_462:                            ;   in Loop: Header=BB138_18 Depth=1
	s_or_b32 exec_lo, exec_lo, s71
	s_mov_b32 s26, 0
                                        ; implicit-def: $vgpr6
                                        ; implicit-def: $vgpr4_vgpr5
	s_and_saveexec_b32 s12, s13
	s_cbranch_execz .LBB138_474
; %bb.463:                              ;   in Loop: Header=BB138_18 Depth=1
	v_mov_b32_e32 v4, 1
	v_dual_mov_b32 v5, 0 :: v_dual_mov_b32 v6, 1
	s_xor_b32 s26, s70, -1
	s_delay_alu instid0(SALU_CYCLE_1)
	s_and_saveexec_b32 s13, s26
	s_cbranch_execz .LBB138_473
; %bb.464:                              ;   in Loop: Header=BB138_18 Depth=1
	s_mov_b32 s26, exec_lo
                                        ; implicit-def: $sgpr60
	v_cmpx_ge_u64_e64 s[10:11], v[2:3]
	s_xor_b32 s26, exec_lo, s26
	s_cbranch_execz .LBB138_470
; %bb.465:                              ;   in Loop: Header=BB138_18 Depth=1
	ds_load_b64 v[4:5], v13 offset:5120
	s_waitcnt lgkmcnt(0)
	v_cmp_ne_u64_e32 vcc_lo, 0, v[4:5]
	s_cbranch_vccnz .LBB138_469
; %bb.466:                              ;   in Loop: Header=BB138_18 Depth=1
	s_and_saveexec_b32 s60, s5
	s_cbranch_execz .LBB138_468
; %bb.467:                              ;   in Loop: Header=BB138_18 Depth=1
	v_dual_mov_b32 v4, s10 :: v_dual_mov_b32 v5, s11
	ds_store_b64 v13, v[4:5] offset:5128
.LBB138_468:                            ;   in Loop: Header=BB138_18 Depth=1
	s_or_b32 exec_lo, exec_lo, s60
	s_waitcnt lgkmcnt(0)
	s_barrier
	buffer_gl0_inv
.LBB138_469:                            ;   in Loop: Header=BB138_18 Depth=1
	v_and_b32_e32 v27, s21, v27
	v_or_b32_e32 v26, s20, v26
	s_mov_b32 s60, 5
.LBB138_470:                            ;   in Loop: Header=BB138_18 Depth=1
	s_or_saveexec_b32 s20, s26
	v_mov_b32_e32 v6, s60
	s_xor_b32 exec_lo, exec_lo, s20
; %bb.471:                              ;   in Loop: Header=BB138_18 Depth=1
	v_sub_co_u32 v2, vcc_lo, v2, s10
	v_subrev_co_ci_u32_e32 v3, vcc_lo, s11, v3, vcc_lo
	v_mov_b32_e32 v6, 5
; %bb.472:                              ;   in Loop: Header=BB138_18 Depth=1
	s_or_b32 exec_lo, exec_lo, s20
	s_delay_alu instid0(VALU_DEP_2)
	v_dual_mov_b32 v5, v3 :: v_dual_mov_b32 v4, v2
.LBB138_473:                            ;   in Loop: Header=BB138_18 Depth=1
	s_or_b32 exec_lo, exec_lo, s13
	s_delay_alu instid0(SALU_CYCLE_1)
	s_mov_b32 s26, exec_lo
.LBB138_474:                            ;   in Loop: Header=BB138_18 Depth=1
	s_or_b32 exec_lo, exec_lo, s12
	s_delay_alu instid0(VALU_DEP_1)
	v_dual_mov_b32 v2, v4 :: v_dual_mov_b32 v3, v5
	s_or_not1_b32 s12, s26, exec_lo
.LBB138_475:                            ;   in Loop: Header=BB138_18 Depth=1
	s_or_b32 exec_lo, exec_lo, s22
	s_delay_alu instid0(SALU_CYCLE_1)
	s_and_not1_b32 s10, s14, exec_lo
	s_and_b32 s7, s7, exec_lo
	s_and_b32 s8, s8, exec_lo
	s_or_b32 s14, s10, s7
	s_and_not1_b32 s7, s15, exec_lo
	s_and_not1_b32 s10, s79, exec_lo
	s_and_b32 s9, s9, exec_lo
	v_dual_mov_b32 v5, v3 :: v_dual_mov_b32 v4, v2
	s_or_b32 s15, s7, s8
	s_or_b32 s79, s10, s9
	s_and_b32 s26, s12, exec_lo
.LBB138_476:                            ;   in Loop: Header=BB138_18 Depth=1
	s_or_b32 exec_lo, exec_lo, s80
	s_delay_alu instid0(SALU_CYCLE_1)
	s_and_b32 s14, s14, exec_lo
	s_and_b32 s9, s15, exec_lo
	;; [unrolled: 1-line block ×3, first 2 shown]
	s_or_not1_b32 s7, s26, exec_lo
.LBB138_477:                            ;   in Loop: Header=BB138_18 Depth=1
	s_or_b32 exec_lo, exec_lo, s78
	s_delay_alu instid0(SALU_CYCLE_1)
	s_and_not1_b32 s10, s16, exec_lo
	s_and_b32 s11, s14, exec_lo
	s_and_b32 s9, s9, exec_lo
	s_or_b32 s16, s10, s11
	s_and_not1_b32 s10, s17, exec_lo
	s_and_not1_b32 s11, s76, exec_lo
	s_and_b32 s8, s8, exec_lo
	v_dual_mov_b32 v2, v4 :: v_dual_mov_b32 v3, v5
	s_or_b32 s17, s10, s9
	s_or_b32 s76, s11, s8
	s_and_b32 s26, s7, exec_lo
.LBB138_478:                            ;   in Loop: Header=BB138_18 Depth=1
	s_or_b32 exec_lo, exec_lo, s77
	s_delay_alu instid0(SALU_CYCLE_1)
	s_and_b32 s16, s16, exec_lo
	s_and_b32 s9, s17, exec_lo
	;; [unrolled: 1-line block ×3, first 2 shown]
	s_or_not1_b32 s17, s26, exec_lo
.LBB138_479:                            ;   in Loop: Header=BB138_18 Depth=1
	s_or_b32 exec_lo, exec_lo, s72
	s_mov_b32 s7, s25
	s_mov_b32 s10, s24
	s_and_saveexec_b32 s11, s17
; %bb.480:                              ;   in Loop: Header=BB138_18 Depth=1
	v_cmp_eq_u32_e32 vcc_lo, 5, v6
	v_cmp_ne_u32_e64 s7, 5, v6
	s_and_not1_b32 s10, s24, exec_lo
	s_and_not1_b32 s12, s25, exec_lo
	s_and_not1_b32 s16, s16, exec_lo
	s_and_b32 s13, vcc_lo, exec_lo
	s_and_b32 s7, s7, exec_lo
	s_and_not1_b32 s9, s9, exec_lo
	s_and_not1_b32 s8, s8, exec_lo
	s_or_b32 s10, s10, s7
	s_or_b32 s7, s12, s13
; %bb.481:                              ;   in Loop: Header=BB138_18 Depth=1
	s_or_b32 exec_lo, exec_lo, s11
	s_delay_alu instid0(SALU_CYCLE_1)
	s_and_not1_b32 s11, s18, exec_lo
	s_and_b32 s12, s16, exec_lo
	s_and_b32 s9, s9, exec_lo
	s_or_b32 s18, s11, s12
	s_and_not1_b32 s11, s19, exec_lo
	s_and_not1_b32 s12, s23, exec_lo
	s_and_b32 s8, s8, exec_lo
	v_dual_mov_b32 v8, v27 :: v_dual_mov_b32 v9, v26
	v_mov_b32_e32 v18, v28
	s_or_b32 s19, s11, s9
	s_or_b32 s23, s12, s8
	s_and_not1_b32 s8, s24, exec_lo
	s_and_b32 s9, s10, exec_lo
	s_and_not1_b32 s10, s25, exec_lo
	s_and_b32 s7, s7, exec_lo
	s_or_b32 s24, s8, s9
	s_or_b32 s25, s10, s7
.LBB138_482:                            ;   in Loop: Header=BB138_18 Depth=1
	s_or_b32 exec_lo, exec_lo, s69
	s_mov_b32 s72, s23
	s_mov_b32 s69, s23
	s_and_saveexec_b32 s7, s25
.LBB138_483:                            ;   in Loop: Header=BB138_18 Depth=1
	v_mov_b32_e32 v6, 0
	s_and_not1_b32 s23, s23, exec_lo
	s_and_not1_b32 s18, s18, exec_lo
	;; [unrolled: 1-line block ×5, first 2 shown]
	s_or_b32 s24, s24, exec_lo
.LBB138_484:                            ;   in Loop: Header=BB138_18 Depth=1
	s_or_b32 exec_lo, exec_lo, s7
	s_delay_alu instid0(SALU_CYCLE_1)
	s_and_not1_b32 s7, s68, exec_lo
	s_and_b32 s9, s23, exec_lo
	s_and_not1_b32 s10, s103, exec_lo
	s_or_b32 s68, s7, s9
	s_and_not1_b32 s7, vcc_hi, exec_lo
	s_and_b32 s9, s18, exec_lo
	s_and_b32 s11, s19, exec_lo
	s_or_b32 vcc_hi, s7, s9
	s_or_b32 s103, s10, s11
	s_and_not1_b32 s7, s104, exec_lo
	s_and_b32 s9, s72, exec_lo
	s_and_not1_b32 s10, s102, exec_lo
	s_and_b32 s11, s69, exec_lo
	s_mov_b32 s8, -1
	s_or_b32 s104, s7, s9
	s_or_b32 s102, s10, s11
                                        ; implicit-def: $vgpr26
                                        ; implicit-def: $vgpr27
                                        ; implicit-def: $vgpr16_vgpr17
                                        ; implicit-def: $vgpr28
	s_and_saveexec_b32 s7, s24
	s_delay_alu instid0(SALU_CYCLE_1)
	s_xor_b32 s7, exec_lo, s7
	s_cbranch_execz .LBB138_17
; %bb.485:                              ;   in Loop: Header=BB138_18 Depth=1
	s_mov_b32 s9, -1
	s_mov_b32 s10, exec_lo
	v_cmpx_eq_u32_e32 0, v6
	s_cbranch_execz .LBB138_16
; %bb.486:                              ;   in Loop: Header=BB138_18 Depth=1
	s_xor_b32 s97, s97, 1
	s_add_i32 s11, s93, -2
	s_cmp_eq_u32 s93, 0
	s_mov_b32 s93, s11
	s_cselect_b32 s8, -1, 0
	s_xor_b32 s9, exec_lo, -1
	s_or_not1_b32 s8, s8, exec_lo
	s_branch .LBB138_16
.LBB138_487:
	s_or_b32 exec_lo, exec_lo, s94
	s_xor_b32 s7, s101, -1
	s_xor_b32 s9, s99, -1
	;; [unrolled: 1-line block ×5, first 2 shown]
	s_mov_b32 s8, 0
	s_and_saveexec_b32 s12, s11
	s_delay_alu instid0(SALU_CYCLE_1)
	s_xor_b32 s14, exec_lo, s12
	s_cbranch_execz .LBB138_544
; %bb.488:
	s_and_saveexec_b32 s11, s10
	s_delay_alu instid0(SALU_CYCLE_1)
	s_xor_b32 s15, exec_lo, s11
	s_cbranch_execz .LBB138_542
; %bb.489:
	;; [unrolled: 5-line block ×4, first 2 shown]
	s_and_saveexec_b32 s7, s6
	s_delay_alu instid0(SALU_CYCLE_1)
	s_xor_b32 s6, exec_lo, s7
; %bb.492:
	v_xor_b32_e32 v18, 0xffffff80, v8
; %bb.493:
	s_or_b32 exec_lo, exec_lo, s6
	s_and_saveexec_b32 s6, s5
	s_cbranch_execz .LBB138_495
; %bb.494:
	v_mov_b32_e32 v2, 0
	s_delay_alu instid0(VALU_DEP_1)
	v_mov_b32_e32 v3, v2
	ds_store_b64 v2, v[2:3] offset:5136
.LBB138_495:
	s_or_b32 exec_lo, exec_lo, s6
	v_mov_b32_e32 v14, 0
	s_waitcnt lgkmcnt(0)
	s_barrier
	buffer_gl0_inv
	s_and_saveexec_b32 s5, s4
	s_cbranch_execz .LBB138_497
; %bb.496:
	global_load_u8 v14, v[10:11], off
.LBB138_497:
	s_or_b32 exec_lo, exec_lo, s5
	s_clause 0x1
	s_load_b64 s[26:27], s[0:1], 0x450
	s_load_b128 s[48:51], s[0:1], 0x298
	s_add_u32 s5, s36, 31
	s_addc_u32 s7, s37, 0
	s_and_b32 s6, s5, 0xffffffe0
	s_mul_i32 s5, s64, s47
	s_mul_hi_u32 s8, s64, s46
	s_mul_i32 s9, s64, s46
	s_add_i32 s8, s8, s5
	s_sub_u32 s5, s34, s9
	s_subb_u32 s8, 0, s8
	s_load_b64 s[22:23], s[0:1], 0x2a8
	s_mul_i32 s13, s58, s42
	s_mul_hi_u32 s20, s62, s44
	s_mul_i32 s21, s62, s44
	s_waitcnt lgkmcnt(0)
	s_mul_i32 s9, s5, s27
	s_mul_hi_u32 s10, s5, s26
	s_mul_i32 s8, s8, s26
	s_add_i32 s9, s10, s9
	s_mul_i32 s10, s56, s40
	s_add_i32 s19, s9, s8
	s_mul_i32 s8, s56, s41
	s_mul_hi_u32 s9, s56, s40
	s_mul_hi_u32 s12, s56, s48
	s_add_i32 s9, s9, s8
	s_sub_u32 s8, s58, s10
	s_subb_u32 s9, s59, s9
	s_mul_i32 s10, s8, s51
	s_mul_hi_u32 s11, s8, s50
	s_mul_i32 s9, s9, s50
	s_add_i32 s10, s11, s10
	s_mul_i32 s11, s56, s49
	s_add_i32 s10, s10, s9
	s_add_i32 s12, s12, s11
	s_mul_i32 s9, s58, s43
	s_mul_hi_u32 s11, s58, s42
	s_load_b128 s[40:43], s[0:1], 0x440
	s_add_i32 s11, s11, s9
	s_sub_u32 s9, s34, s13
	s_load_b64 s[34:35], s[0:1], 0x1c8
	s_mul_i32 s13, s9, s23
	s_mul_hi_u32 s18, s9, s22
	s_subb_u32 s11, 0, s11
	s_add_i32 s13, s18, s13
	s_mul_i32 s11, s11, s22
	s_mul_i32 s25, s9, s22
	s_add_i32 s13, s13, s11
	s_mul_i32 s11, s62, s45
	s_mul_i32 s18, s56, s48
	s_add_i32 s20, s20, s11
	s_sub_u32 s24, s64, s21
	s_subb_u32 s20, s65, s20
	s_mul_i32 s8, s8, s50
	s_waitcnt lgkmcnt(0)
	s_mul_i32 s9, s24, s43
	s_mul_hi_u32 s11, s24, s42
	s_mul_i32 s20, s20, s42
	s_add_i32 s9, s11, s9
	s_mul_i32 s11, s62, s41
	s_mul_hi_u32 s22, s62, s40
	s_add_i32 s21, s9, s20
	s_add_i32 s23, s22, s11
	s_add_u32 s9, s34, s18
	s_addc_u32 s11, s35, s12
	s_add_u32 s12, s9, s8
	s_addc_u32 s18, s11, s10
	s_clause 0x1
	s_load_b64 s[8:9], s[0:1], 0x368
	s_load_b64 s[10:11], s[0:1], 0x510
	s_mul_i32 s22, s62, s40
	s_add_u32 s12, s12, s25
	s_addc_u32 s13, s18, s13
	s_lshl_b64 s[0:1], s[22:23], 3
	v_readlane_b32 s22, v33, 0
	v_readlane_b32 s23, v33, 1
	s_mul_i32 s20, s24, s42
	s_mul_i32 s18, s5, s26
	s_delay_alu instid0(VALU_DEP_2) | instskip(NEXT) | instid1(VALU_DEP_1)
	s_add_u32 s22, s22, s0
	s_addc_u32 s23, s23, s1
	s_lshl_b64 s[0:1], s[20:21], 3
	s_mov_b32 s20, exec_lo
	s_add_u32 s0, s22, s0
	s_addc_u32 s5, s23, s1
	s_lshl_b64 s[18:19], s[18:19], 3
	s_delay_alu instid0(SALU_CYCLE_1)
	s_add_u32 s1, s0, s18
	s_addc_u32 s5, s5, s19
	s_mov_b32 s0, -1
	s_mov_b32 s19, 0
	s_mov_b32 s18, 0
	v_cmpx_gt_u64_e64 s[6:7], v[0:1]
	s_cbranch_execz .LBB138_513
; %bb.498:
	v_bfe_i32 v2, v18, 0, 8
	v_mov_b32_e32 v9, v1
	v_dual_mov_b32 v3, 0 :: v_dual_mov_b32 v8, v0
                                        ; implicit-def: $sgpr21
                                        ; implicit-def: $vgpr6_vgpr7
	s_delay_alu instid0(VALU_DEP_3)
	v_add_nc_u32_e32 v15, 0x80, v2
	s_branch .LBB138_500
.LBB138_499:                            ;   in Loop: Header=BB138_500 Depth=1
	s_or_b32 exec_lo, exec_lo, s22
	s_xor_b32 s22, s24, -1
	s_and_b32 s0, exec_lo, s0
	v_dual_mov_b32 v14, v16 :: v_dual_mov_b32 v9, v5
	s_or_b32 s18, s0, s18
	v_mov_b32_e32 v8, v4
	s_and_not1_b32 s0, s21, exec_lo
	s_and_b32 s21, s22, exec_lo
	s_delay_alu instid0(SALU_CYCLE_1)
	s_or_b32 s21, s0, s21
	s_and_not1_b32 exec_lo, exec_lo, s18
	s_cbranch_execz .LBB138_512
.LBB138_500:                            ; =>This Inner Loop Header: Depth=1
	s_delay_alu instid0(VALU_DEP_2) | instskip(SKIP_3) | instid1(VALU_DEP_2)
	v_add_co_u32 v4, vcc_lo, v8, s33
	v_add_co_ci_u32_e32 v5, vcc_lo, 0, v9, vcc_lo
	v_mov_b32_e32 v16, 0
	s_mov_b32 s0, exec_lo
	v_cmpx_gt_u64_e64 s[36:37], v[4:5]
	s_cbranch_execz .LBB138_502
; %bb.501:                              ;   in Loop: Header=BB138_500 Depth=1
	v_mad_u64_u32 v[12:13], null, v4, s30, s[28:29]
	v_mul_lo_u32 v2, v4, s31
	v_mul_lo_u32 v16, v5, s30
	s_delay_alu instid0(VALU_DEP_1)
	v_add3_u32 v13, v16, v13, v2
	global_load_u8 v16, v[12:13], off
.LBB138_502:                            ;   in Loop: Header=BB138_500 Depth=1
	s_or_b32 exec_lo, exec_lo, s0
	s_waitcnt vmcnt(0)
	v_bfe_i32 v2, v14, 0, 8
	s_delay_alu instid0(VALU_DEP_1) | instskip(NEXT) | instid1(VALU_DEP_1)
	v_add_nc_u32_e32 v2, 0x80, v2
	v_cmp_gt_u32_e32 vcc_lo, v2, v15
	v_cndmask_b32_e64 v12, 0, 1, vcc_lo
	v_cmp_lt_u32_e32 vcc_lo, v2, v15
	v_cndmask_b32_e64 v2, 0, 1, vcc_lo
	v_cmp_gt_u64_e32 vcc_lo, s[36:37], v[8:9]
	s_delay_alu instid0(VALU_DEP_2) | instskip(NEXT) | instid1(VALU_DEP_1)
	v_cndmask_b32_e64 v2, v2, v12, s3
	v_and_b32_e32 v2, 1, v2
	s_delay_alu instid0(VALU_DEP_1) | instskip(NEXT) | instid1(VALU_DEP_1)
	v_cmp_eq_u32_e64 s0, 1, v2
	s_and_b32 s22, vcc_lo, s0
	s_delay_alu instid0(SALU_CYCLE_1) | instskip(NEXT) | instid1(VALU_DEP_1)
	v_cndmask_b32_e64 v2, 0, 1, s22
	v_cmp_ne_u32_e32 vcc_lo, 0, v2
	s_cmp_lg_u32 vcc_lo, 0
	s_cselect_b32 s0, -1, 0
	s_delay_alu instid0(SALU_CYCLE_1) | instskip(NEXT) | instid1(SALU_CYCLE_1)
	s_and_b32 s0, s2, s0
	s_and_saveexec_b32 s23, s0
	s_cbranch_execz .LBB138_506
; %bb.503:                              ;   in Loop: Header=BB138_500 Depth=1
	s_mov_b32 s26, exec_lo
	s_bcnt1_i32_b32 s24, vcc_lo
	v_mbcnt_lo_u32_b32 v12, s26, 0
	s_mov_b32 s25, exec_lo
                                        ; implicit-def: $vgpr6_vgpr7
	s_delay_alu instid0(VALU_DEP_1)
	v_cmpx_eq_u32_e32 0, v12
	s_cbranch_execz .LBB138_505
; %bb.504:                              ;   in Loop: Header=BB138_500 Depth=1
	s_bcnt1_i32_b32 s0, s26
	s_delay_alu instid0(SALU_CYCLE_1) | instskip(NEXT) | instid1(SALU_CYCLE_1)
	s_mul_i32 s0, s24, s0
	v_mov_b32_e32 v2, s0
	s_waitcnt lgkmcnt(0)
	ds_add_rtn_u64 v[6:7], v3, v[2:3] offset:5136
.LBB138_505:                            ;   in Loop: Header=BB138_500 Depth=1
	s_or_b32 exec_lo, exec_lo, s25
	s_waitcnt lgkmcnt(0)
	v_readfirstlane_b32 s27, v7
	v_readfirstlane_b32 s26, v6
	s_delay_alu instid0(VALU_DEP_1)
	v_mad_u64_u32 v[6:7], null, s24, v12, s[26:27]
.LBB138_506:                            ;   in Loop: Header=BB138_500 Depth=1
	s_or_b32 exec_lo, exec_lo, s23
	s_waitcnt lgkmcnt(0)
	ds_bpermute_b32 v6, v3, v6
	ds_bpermute_b32 v7, v3, v7
	s_mov_b32 s0, -1
	s_mov_b32 s25, -1
                                        ; implicit-def: $sgpr24
	s_and_saveexec_b32 s23, s22
	s_cbranch_execz .LBB138_510
; %bb.507:                              ;   in Loop: Header=BB138_500 Depth=1
	v_and_b32_e32 v2, vcc_lo, v22
	s_mov_b32 s22, 0
	s_mov_b32 s24, exec_lo
	s_delay_alu instid0(VALU_DEP_1) | instskip(SKIP_1) | instid1(VALU_DEP_1)
	v_bcnt_u32_b32 v2, v2, 0
	s_waitcnt lgkmcnt(0)
	v_add_co_u32 v12, vcc_lo, v6, v2
	v_add_co_ci_u32_e32 v13, vcc_lo, 0, v7, vcc_lo
	s_delay_alu instid0(VALU_DEP_1)
	v_cmpx_gt_u64_e64 s[38:39], v[12:13]
	s_cbranch_execz .LBB138_509
; %bb.508:                              ;   in Loop: Header=BB138_500 Depth=1
	v_mul_lo_u32 v2, v13, s10
	v_mul_lo_u32 v17, v12, s11
	v_mad_u64_u32 v[19:20], null, v12, s10, 0
	v_mad_u64_u32 v[23:24], null, v12, s8, s[12:13]
	v_mul_lo_u32 v21, v12, s9
	s_mov_b32 s22, exec_lo
	s_delay_alu instid0(VALU_DEP_3) | instskip(SKIP_1) | instid1(VALU_DEP_2)
	v_add3_u32 v20, v20, v17, v2
	v_mul_lo_u32 v2, v13, s8
	v_lshlrev_b64 v[12:13], 3, v[19:20]
	s_delay_alu instid0(VALU_DEP_2) | instskip(NEXT) | instid1(VALU_DEP_2)
	v_add3_u32 v24, v2, v24, v21
	v_add_co_u32 v12, vcc_lo, s1, v12
	s_delay_alu instid0(VALU_DEP_3)
	v_add_co_ci_u32_e32 v13, vcc_lo, s5, v13, vcc_lo
	global_store_b8 v[23:24], v14, off
	global_store_b64 v[12:13], v[8:9], off
.LBB138_509:                            ;   in Loop: Header=BB138_500 Depth=1
	s_or_b32 exec_lo, exec_lo, s24
	s_mov_b32 s24, -1
	s_or_not1_b32 s25, s22, exec_lo
.LBB138_510:                            ;   in Loop: Header=BB138_500 Depth=1
	s_or_b32 exec_lo, exec_lo, s23
	s_and_saveexec_b32 s22, s25
	s_cbranch_execz .LBB138_499
; %bb.511:                              ;   in Loop: Header=BB138_500 Depth=1
	v_cmp_le_u64_e32 vcc_lo, s[6:7], v[4:5]
	s_and_not1_b32 s24, s24, exec_lo
	s_or_not1_b32 s0, vcc_lo, exec_lo
	s_branch .LBB138_499
.LBB138_512:
	s_or_b32 exec_lo, exec_lo, s18
	s_delay_alu instid0(SALU_CYCLE_1)
	s_mov_b32 s18, exec_lo
	s_or_not1_b32 s0, s21, exec_lo
.LBB138_513:
	s_or_b32 exec_lo, exec_lo, s20
	s_and_saveexec_b32 s3, s0
	s_cbranch_execz .LBB138_536
; %bb.514:
	v_dual_mov_b32 v3, 0 :: v_dual_mov_b32 v8, 0
	s_waitcnt vmcnt(0) lgkmcnt(0)
	s_waitcnt_vscnt null, 0x0
	s_barrier
	buffer_gl0_inv
	s_and_saveexec_b32 s0, s4
	s_cbranch_execz .LBB138_516
; %bb.515:
	global_load_u8 v8, v[10:11], off
.LBB138_516:
	s_or_b32 exec_lo, exec_lo, s0
	v_and_b32_e32 v10, 0xff, v18
	s_mov_b32 s19, 0
                                        ; implicit-def: $sgpr4
                                        ; implicit-def: $sgpr20
                                        ; implicit-def: $sgpr21
                                        ; implicit-def: $vgpr4_vgpr5
	s_branch .LBB138_519
.LBB138_517:                            ;   in Loop: Header=BB138_519 Depth=1
	s_or_b32 exec_lo, exec_lo, s24
	v_dual_mov_b32 v0, v6 :: v_dual_mov_b32 v1, v7
	s_and_not1_b32 s0, s21, exec_lo
	s_and_b32 s21, s26, exec_lo
	s_and_not1_b32 s20, s20, exec_lo
	s_and_b32 s23, s23, exec_lo
	s_or_b32 s21, s0, s21
	s_or_b32 s20, s20, s23
.LBB138_518:                            ;   in Loop: Header=BB138_519 Depth=1
	s_or_b32 exec_lo, exec_lo, s22
	s_xor_b32 s0, s21, -1
	s_and_b32 s22, exec_lo, s20
	s_delay_alu instid0(SALU_CYCLE_1) | instskip(SKIP_2) | instid1(SALU_CYCLE_1)
	s_or_b32 s19, s22, s19
	s_and_not1_b32 s4, s4, exec_lo
	s_and_b32 s0, s0, exec_lo
	s_or_b32 s4, s4, s0
	s_and_not1_b32 exec_lo, exec_lo, s19
	s_cbranch_execz .LBB138_534
.LBB138_519:                            ; =>This Inner Loop Header: Depth=1
	s_or_b32 s21, s21, exec_lo
	s_or_b32 s20, s20, exec_lo
	s_mov_b32 s22, exec_lo
	v_cmpx_gt_u64_e64 s[6:7], v[0:1]
	s_cbranch_execz .LBB138_518
; %bb.520:                              ;   in Loop: Header=BB138_519 Depth=1
	v_add_co_u32 v6, vcc_lo, v0, s33
	v_add_co_ci_u32_e32 v7, vcc_lo, 0, v1, vcc_lo
	v_mov_b32_e32 v11, 0
	s_mov_b32 s0, exec_lo
	s_delay_alu instid0(VALU_DEP_2)
	v_cmpx_gt_u64_e64 s[36:37], v[6:7]
	s_cbranch_execz .LBB138_522
; %bb.521:                              ;   in Loop: Header=BB138_519 Depth=1
	v_mad_u64_u32 v[11:12], null, v6, s30, s[28:29]
	v_mul_lo_u32 v2, v6, s31
	v_mul_lo_u32 v9, v7, s30
	s_delay_alu instid0(VALU_DEP_1)
	v_add3_u32 v12, v9, v12, v2
	global_load_u8 v11, v[11:12], off
.LBB138_522:                            ;   in Loop: Header=BB138_519 Depth=1
	s_or_b32 exec_lo, exec_lo, s0
	s_waitcnt vmcnt(0)
	v_and_b32_e32 v2, 0xff, v8
	v_cmp_gt_u64_e32 vcc_lo, s[36:37], v[0:1]
	s_delay_alu instid0(VALU_DEP_2) | instskip(NEXT) | instid1(VALU_DEP_1)
	v_cmp_eq_u16_e64 s0, v2, v10
	s_and_b32 s24, vcc_lo, s0
	s_delay_alu instid0(SALU_CYCLE_1) | instskip(NEXT) | instid1(VALU_DEP_1)
	v_cndmask_b32_e64 v2, 0, 1, s24
	v_cmp_ne_u32_e32 vcc_lo, 0, v2
	s_cmp_lg_u32 vcc_lo, 0
	s_cselect_b32 s0, -1, 0
	s_delay_alu instid0(SALU_CYCLE_1) | instskip(NEXT) | instid1(SALU_CYCLE_1)
	s_and_b32 s0, s2, s0
	s_and_saveexec_b32 s23, s0
	s_cbranch_execz .LBB138_526
; %bb.523:                              ;   in Loop: Header=BB138_519 Depth=1
	s_mov_b32 s27, exec_lo
	s_bcnt1_i32_b32 s25, vcc_lo
	v_mbcnt_lo_u32_b32 v9, s27, 0
	s_mov_b32 s26, exec_lo
                                        ; implicit-def: $vgpr4_vgpr5
	s_delay_alu instid0(VALU_DEP_1)
	v_cmpx_eq_u32_e32 0, v9
	s_cbranch_execz .LBB138_525
; %bb.524:                              ;   in Loop: Header=BB138_519 Depth=1
	s_bcnt1_i32_b32 s0, s27
	s_delay_alu instid0(SALU_CYCLE_1) | instskip(NEXT) | instid1(SALU_CYCLE_1)
	s_mul_i32 s0, s25, s0
	v_mov_b32_e32 v2, s0
	ds_add_rtn_u64 v[4:5], v3, v[2:3] offset:5136
.LBB138_525:                            ;   in Loop: Header=BB138_519 Depth=1
	s_or_b32 exec_lo, exec_lo, s26
	s_waitcnt lgkmcnt(0)
	v_readfirstlane_b32 s27, v5
	v_readfirstlane_b32 s26, v4
	s_delay_alu instid0(VALU_DEP_1)
	v_mad_u64_u32 v[4:5], null, s25, v9, s[26:27]
.LBB138_526:                            ;   in Loop: Header=BB138_519 Depth=1
	s_or_b32 exec_lo, exec_lo, s23
	ds_bpermute_b32 v4, v3, v4
	ds_bpermute_b32 v5, v3, v5
	s_cmp_eq_u32 vcc_lo, 0
	s_mov_b32 s23, -1
	s_cselect_b32 s25, -1, 0
	s_mov_b32 s26, -1
	s_waitcnt lgkmcnt(0)
	v_cmp_gt_u64_e64 s0, s[38:39], v[4:5]
	s_delay_alu instid0(VALU_DEP_1) | instskip(SKIP_3) | instid1(SALU_CYCLE_1)
	s_or_b32 s0, s25, s0
	s_mov_b32 s25, -1
	v_cndmask_b32_e64 v8, v8, v11, s0
	s_and_b32 s27, s24, s0
	s_and_saveexec_b32 s24, s27
	s_cbranch_execz .LBB138_532
; %bb.527:                              ;   in Loop: Header=BB138_519 Depth=1
	v_and_b32_e32 v2, vcc_lo, v22
	v_sub_co_u32 v8, vcc_lo, s38, v4
	v_sub_co_ci_u32_e32 v9, vcc_lo, s39, v5, vcc_lo
	s_delay_alu instid0(VALU_DEP_3) | instskip(SKIP_2) | instid1(VALU_DEP_1)
	v_bcnt_u32_b32 v2, v2, 0
	s_mov_b32 s27, -1
	s_mov_b32 s26, exec_lo
	v_cmp_le_u64_e64 s25, v[8:9], v[2:3]
	v_cmpx_gt_u64_e64 v[8:9], v[2:3]
	s_cbranch_execz .LBB138_531
; %bb.528:                              ;   in Loop: Header=BB138_519 Depth=1
	v_add_co_u32 v8, vcc_lo, v4, v2
	v_add_co_ci_u32_e32 v9, vcc_lo, 0, v5, vcc_lo
	s_delay_alu instid0(VALU_DEP_4) | instskip(SKIP_1) | instid1(VALU_DEP_1)
	s_mov_b32 s34, s25
	s_mov_b32 s27, exec_lo
	v_cmpx_gt_u64_e64 s[38:39], v[8:9]
	s_cbranch_execz .LBB138_530
; %bb.529:                              ;   in Loop: Header=BB138_519 Depth=1
	v_mul_lo_u32 v2, v9, s10
	v_mul_lo_u32 v16, v8, s11
	v_mad_u64_u32 v[12:13], null, v8, s10, 0
	v_mad_u64_u32 v[14:15], null, v8, s8, s[12:13]
	v_mul_lo_u32 v17, v8, s9
	s_or_b32 s34, s25, exec_lo
	s_delay_alu instid0(VALU_DEP_3) | instskip(SKIP_1) | instid1(VALU_DEP_2)
	v_add3_u32 v13, v13, v16, v2
	v_mul_lo_u32 v2, v9, s8
	v_lshlrev_b64 v[8:9], 3, v[12:13]
	s_delay_alu instid0(VALU_DEP_2) | instskip(NEXT) | instid1(VALU_DEP_2)
	v_add3_u32 v15, v2, v15, v17
	v_add_co_u32 v8, vcc_lo, s1, v8
	s_delay_alu instid0(VALU_DEP_3)
	v_add_co_ci_u32_e32 v9, vcc_lo, s5, v9, vcc_lo
	global_store_b8 v[14:15], v18, off
	global_store_b64 v[8:9], v[0:1], off
.LBB138_530:                            ;   in Loop: Header=BB138_519 Depth=1
	s_or_b32 exec_lo, exec_lo, s27
	s_delay_alu instid0(SALU_CYCLE_1)
	s_and_not1_b32 s25, s25, exec_lo
	s_and_b32 s34, s34, exec_lo
	s_xor_b32 s27, exec_lo, -1
	s_or_b32 s25, s25, s34
.LBB138_531:                            ;   in Loop: Header=BB138_519 Depth=1
	s_or_b32 exec_lo, exec_lo, s26
	v_mov_b32_e32 v8, v11
	s_or_not1_b32 s26, s27, exec_lo
	s_or_b32 s0, s0, exec_lo
	s_or_not1_b32 s25, s25, exec_lo
.LBB138_532:                            ;   in Loop: Header=BB138_519 Depth=1
	s_or_b32 exec_lo, exec_lo, s24
	s_and_saveexec_b32 s24, s25
	s_cbranch_execz .LBB138_517
; %bb.533:                              ;   in Loop: Header=BB138_519 Depth=1
	s_xor_b32 s0, s0, -1
	s_or_b32 s26, s26, exec_lo
	s_or_not1_b32 s23, s0, exec_lo
	s_branch .LBB138_517
.LBB138_534:
	s_or_b32 exec_lo, exec_lo, s19
	s_mov_b32 s0, 0
	s_and_saveexec_b32 s1, s4
	s_delay_alu instid0(SALU_CYCLE_1)
	s_xor_b32 s1, exec_lo, s1
	s_cbranch_execnz .LBB138_566
.LBB138_535:
	s_or_b32 exec_lo, exec_lo, s1
	s_delay_alu instid0(SALU_CYCLE_1)
	s_and_b32 s19, s0, exec_lo
	s_and_not1_b32 s18, s18, exec_lo
.LBB138_536:
	s_or_b32 exec_lo, exec_lo, s3
	s_and_saveexec_b32 s0, s18
	s_delay_alu instid0(SALU_CYCLE_1)
	s_xor_b32 s0, exec_lo, s0
	s_cbranch_execnz .LBB138_562
.LBB138_537:
	s_or_b32 exec_lo, exec_lo, s0
	s_waitcnt lgkmcnt(0)
	s_and_b32 s8, s19, exec_lo
.LBB138_538:
	s_and_not1_saveexec_b32 s0, s17
	s_cbranch_execnz .LBB138_558
.LBB138_539:
	s_or_b32 exec_lo, exec_lo, s0
	s_delay_alu instid0(SALU_CYCLE_1)
	s_and_b32 s8, s8, exec_lo
.LBB138_540:
	s_and_not1_saveexec_b32 s0, s16
	s_cbranch_execnz .LBB138_554
.LBB138_541:
	s_or_b32 exec_lo, exec_lo, s0
	s_delay_alu instid0(SALU_CYCLE_1)
	s_and_b32 s8, s8, exec_lo
.LBB138_542:
	s_and_not1_saveexec_b32 s0, s15
	s_cbranch_execnz .LBB138_550
.LBB138_543:
	s_or_b32 exec_lo, exec_lo, s0
	s_delay_alu instid0(SALU_CYCLE_1)
	s_and_b32 s8, s8, exec_lo
.LBB138_544:
	s_and_not1_saveexec_b32 s0, s14
	s_cbranch_execnz .LBB138_548
; %bb.545:
	s_or_b32 exec_lo, exec_lo, s0
	s_and_saveexec_b32 s0, s8
.LBB138_546:
	; divergent unreachable
.LBB138_547:
	s_nop 0
	s_sendmsg sendmsg(MSG_DEALLOC_VGPRS)
	s_endpgm
.LBB138_548:
	s_cbranch_execnz .LBB138_552
; %bb.549:
	s_or_b32 s8, s8, exec_lo
	s_or_b32 exec_lo, exec_lo, s0
	s_and_saveexec_b32 s0, s8
	s_cbranch_execnz .LBB138_546
	s_branch .LBB138_547
.LBB138_550:
	s_cbranch_execnz .LBB138_556
; %bb.551:
	s_or_b32 s8, s8, exec_lo
	s_branch .LBB138_543
.LBB138_552:
	s_trap 2
	s_sendmsg_rtn_b32 s0, sendmsg(MSG_RTN_GET_DOORBELL)
	s_mov_b32 ttmp2, m0
	s_waitcnt lgkmcnt(0)
	s_and_b32 s0, s0, 0x3ff
	s_delay_alu instid0(SALU_CYCLE_1) | instskip(NEXT) | instid1(SALU_CYCLE_1)
	s_bitset1_b32 s0, 10
	s_mov_b32 m0, s0
	s_sendmsg sendmsg(MSG_INTERRUPT)
	s_mov_b32 m0, ttmp2
.LBB138_553:                            ; =>This Inner Loop Header: Depth=1
	s_sethalt 5
	s_branch .LBB138_553
.LBB138_554:
	s_cbranch_execnz .LBB138_560
; %bb.555:
	s_or_b32 s8, s8, exec_lo
	s_branch .LBB138_541
.LBB138_556:
	s_trap 2
	s_sendmsg_rtn_b32 s0, sendmsg(MSG_RTN_GET_DOORBELL)
	s_mov_b32 ttmp2, m0
	s_waitcnt lgkmcnt(0)
	s_and_b32 s0, s0, 0x3ff
	s_delay_alu instid0(SALU_CYCLE_1) | instskip(NEXT) | instid1(SALU_CYCLE_1)
	s_bitset1_b32 s0, 10
	s_mov_b32 m0, s0
	s_sendmsg sendmsg(MSG_INTERRUPT)
	s_mov_b32 m0, ttmp2
.LBB138_557:                            ; =>This Inner Loop Header: Depth=1
	s_sethalt 5
	s_branch .LBB138_557
.LBB138_558:
	s_cbranch_execnz .LBB138_564
; %bb.559:
	s_or_b32 s8, s8, exec_lo
	s_branch .LBB138_539
.LBB138_560:
	s_trap 2
	s_sendmsg_rtn_b32 s0, sendmsg(MSG_RTN_GET_DOORBELL)
	s_mov_b32 ttmp2, m0
	s_waitcnt lgkmcnt(0)
	s_and_b32 s0, s0, 0x3ff
	s_delay_alu instid0(SALU_CYCLE_1) | instskip(NEXT) | instid1(SALU_CYCLE_1)
	s_bitset1_b32 s0, 10
	s_mov_b32 m0, s0
	s_sendmsg sendmsg(MSG_INTERRUPT)
	s_mov_b32 m0, ttmp2
.LBB138_561:                            ; =>This Inner Loop Header: Depth=1
	s_sethalt 5
	s_branch .LBB138_561
.LBB138_562:
	s_cbranch_execnz .LBB138_568
; %bb.563:
	s_or_b32 s19, s19, exec_lo
	s_branch .LBB138_537
.LBB138_564:
	s_trap 2
	s_sendmsg_rtn_b32 s0, sendmsg(MSG_RTN_GET_DOORBELL)
	s_mov_b32 ttmp2, m0
	s_waitcnt lgkmcnt(0)
	s_and_b32 s0, s0, 0x3ff
	s_delay_alu instid0(SALU_CYCLE_1) | instskip(NEXT) | instid1(SALU_CYCLE_1)
	s_bitset1_b32 s0, 10
	s_mov_b32 m0, s0
	s_sendmsg sendmsg(MSG_INTERRUPT)
	s_mov_b32 m0, ttmp2
.LBB138_565:                            ; =>This Inner Loop Header: Depth=1
	s_sethalt 5
	s_branch .LBB138_565
.LBB138_566:
	s_cbranch_execnz .LBB138_570
; %bb.567:
	s_mov_b32 s0, exec_lo
	s_branch .LBB138_535
.LBB138_568:
	s_trap 2
	s_sendmsg_rtn_b32 s0, sendmsg(MSG_RTN_GET_DOORBELL)
	s_mov_b32 ttmp2, m0
	s_waitcnt lgkmcnt(0)
	s_and_b32 s0, s0, 0x3ff
	s_delay_alu instid0(SALU_CYCLE_1) | instskip(NEXT) | instid1(SALU_CYCLE_1)
	s_bitset1_b32 s0, 10
	s_mov_b32 m0, s0
	s_sendmsg sendmsg(MSG_INTERRUPT)
	s_mov_b32 m0, ttmp2
.LBB138_569:                            ; =>This Inner Loop Header: Depth=1
	s_sethalt 5
	s_branch .LBB138_569
.LBB138_570:
	s_trap 2
	s_sendmsg_rtn_b32 s0, sendmsg(MSG_RTN_GET_DOORBELL)
	s_mov_b32 ttmp2, m0
	s_waitcnt lgkmcnt(0)
	s_and_b32 s0, s0, 0x3ff
	s_delay_alu instid0(SALU_CYCLE_1) | instskip(NEXT) | instid1(SALU_CYCLE_1)
	s_bitset1_b32 s0, 10
	s_mov_b32 m0, s0
	s_sendmsg sendmsg(MSG_INTERRUPT)
	s_mov_b32 m0, ttmp2
.LBB138_571:                            ; =>This Inner Loop Header: Depth=1
	s_sethalt 5
	s_branch .LBB138_571
	.section	.rodata,"a",@progbits
	.p2align	6, 0x0
	.amdhsa_kernel _ZN2at6native6sbtopk10gatherTopKIamLi3ELb0EEEvNS_4cuda6detail10TensorInfoIKT_T0_EES8_S8_bS8_S8_NS5_IS6_S8_EES8_NS5_IlS8_EES8_PS6_
		.amdhsa_group_segment_fixed_size 5152
		.amdhsa_private_segment_fixed_size 0
		.amdhsa_kernarg_size 1568
		.amdhsa_user_sgpr_count 13
		.amdhsa_user_sgpr_dispatch_ptr 0
		.amdhsa_user_sgpr_queue_ptr 0
		.amdhsa_user_sgpr_kernarg_segment_ptr 1
		.amdhsa_user_sgpr_dispatch_id 0
		.amdhsa_user_sgpr_private_segment_size 0
		.amdhsa_wavefront_size32 1
		.amdhsa_uses_dynamic_stack 0
		.amdhsa_enable_private_segment 0
		.amdhsa_system_sgpr_workgroup_id_x 1
		.amdhsa_system_sgpr_workgroup_id_y 1
		.amdhsa_system_sgpr_workgroup_id_z 1
		.amdhsa_system_sgpr_workgroup_info 0
		.amdhsa_system_vgpr_workitem_id 0
		.amdhsa_next_free_vgpr 34
		.amdhsa_next_free_sgpr 105
		.amdhsa_reserve_vcc 1
		.amdhsa_float_round_mode_32 0
		.amdhsa_float_round_mode_16_64 0
		.amdhsa_float_denorm_mode_32 3
		.amdhsa_float_denorm_mode_16_64 3
		.amdhsa_dx10_clamp 1
		.amdhsa_ieee_mode 1
		.amdhsa_fp16_overflow 0
		.amdhsa_workgroup_processor_mode 1
		.amdhsa_memory_ordered 1
		.amdhsa_forward_progress 0
		.amdhsa_shared_vgpr_count 0
		.amdhsa_exception_fp_ieee_invalid_op 0
		.amdhsa_exception_fp_denorm_src 0
		.amdhsa_exception_fp_ieee_div_zero 0
		.amdhsa_exception_fp_ieee_overflow 0
		.amdhsa_exception_fp_ieee_underflow 0
		.amdhsa_exception_fp_ieee_inexact 0
		.amdhsa_exception_int_div_zero 0
	.end_amdhsa_kernel
	.section	.text._ZN2at6native6sbtopk10gatherTopKIamLi3ELb0EEEvNS_4cuda6detail10TensorInfoIKT_T0_EES8_S8_bS8_S8_NS5_IS6_S8_EES8_NS5_IlS8_EES8_PS6_,"axG",@progbits,_ZN2at6native6sbtopk10gatherTopKIamLi3ELb0EEEvNS_4cuda6detail10TensorInfoIKT_T0_EES8_S8_bS8_S8_NS5_IS6_S8_EES8_NS5_IlS8_EES8_PS6_,comdat
.Lfunc_end138:
	.size	_ZN2at6native6sbtopk10gatherTopKIamLi3ELb0EEEvNS_4cuda6detail10TensorInfoIKT_T0_EES8_S8_bS8_S8_NS5_IS6_S8_EES8_NS5_IlS8_EES8_PS6_, .Lfunc_end138-_ZN2at6native6sbtopk10gatherTopKIamLi3ELb0EEEvNS_4cuda6detail10TensorInfoIKT_T0_EES8_S8_bS8_S8_NS5_IS6_S8_EES8_NS5_IlS8_EES8_PS6_
                                        ; -- End function
	.section	.AMDGPU.csdata,"",@progbits
; Kernel info:
; codeLenInByte = 29696
; NumSgprs: 107
; NumVgprs: 34
; ScratchSize: 0
; MemoryBound: 0
; FloatMode: 240
; IeeeMode: 1
; LDSByteSize: 5152 bytes/workgroup (compile time only)
; SGPRBlocks: 13
; VGPRBlocks: 4
; NumSGPRsForWavesPerEU: 107
; NumVGPRsForWavesPerEU: 34
; Occupancy: 16
; WaveLimiterHint : 1
; COMPUTE_PGM_RSRC2:SCRATCH_EN: 0
; COMPUTE_PGM_RSRC2:USER_SGPR: 13
; COMPUTE_PGM_RSRC2:TRAP_HANDLER: 0
; COMPUTE_PGM_RSRC2:TGID_X_EN: 1
; COMPUTE_PGM_RSRC2:TGID_Y_EN: 1
; COMPUTE_PGM_RSRC2:TGID_Z_EN: 1
; COMPUTE_PGM_RSRC2:TIDIG_COMP_CNT: 0
	.section	.text._ZN2at6native6mbtopk23computeBlockDigitCountsIamjLin1EEEvNS_4cuda6detail10TensorInfoIKT_T0_EEjPjjS8_iijT1_PSB_Ps,"axG",@progbits,_ZN2at6native6mbtopk23computeBlockDigitCountsIamjLin1EEEvNS_4cuda6detail10TensorInfoIKT_T0_EEjPjjS8_iijT1_PSB_Ps,comdat
	.protected	_ZN2at6native6mbtopk23computeBlockDigitCountsIamjLin1EEEvNS_4cuda6detail10TensorInfoIKT_T0_EEjPjjS8_iijT1_PSB_Ps ; -- Begin function _ZN2at6native6mbtopk23computeBlockDigitCountsIamjLin1EEEvNS_4cuda6detail10TensorInfoIKT_T0_EEjPjjS8_iijT1_PSB_Ps
	.globl	_ZN2at6native6mbtopk23computeBlockDigitCountsIamjLin1EEEvNS_4cuda6detail10TensorInfoIKT_T0_EEjPjjS8_iijT1_PSB_Ps
	.p2align	8
	.type	_ZN2at6native6mbtopk23computeBlockDigitCountsIamjLin1EEEvNS_4cuda6detail10TensorInfoIKT_T0_EEjPjjS8_iijT1_PSB_Ps,@function
_ZN2at6native6mbtopk23computeBlockDigitCountsIamjLin1EEEvNS_4cuda6detail10TensorInfoIKT_T0_EEjPjjS8_iijT1_PSB_Ps: ; @_ZN2at6native6mbtopk23computeBlockDigitCountsIamjLin1EEEvNS_4cuda6detail10TensorInfoIKT_T0_EEjPjjS8_iijT1_PSB_Ps
; %bb.0:
	s_clause 0x2
	s_load_b128 s[8:11], s[0:1], 0x1c0
	s_load_b32 s5, s[0:1], 0x1b0
	s_load_b64 s[2:3], s[0:1], 0x1e0
	s_waitcnt lgkmcnt(0)
	v_cvt_f32_u32_e32 v1, s10
	s_sub_i32 s6, 0, s10
	s_mul_i32 s3, s3, s15
	s_delay_alu instid0(SALU_CYCLE_1) | instskip(NEXT) | instid1(VALU_DEP_1)
	s_add_i32 s3, s3, s14
	v_rcp_iflag_f32_e32 v1, v1
	s_mul_i32 s24, s3, s2
	s_delay_alu instid0(SALU_CYCLE_1) | instskip(SKIP_3) | instid1(VALU_DEP_1)
	s_add_i32 s24, s24, s13
	s_mov_b32 s13, 0
	s_waitcnt_depctr 0xfff
	v_mul_f32_e32 v1, 0x4f7ffffe, v1
	v_cvt_u32_f32_e32 v1, v1
	s_delay_alu instid0(VALU_DEP_1) | instskip(NEXT) | instid1(VALU_DEP_1)
	v_readfirstlane_b32 s4, v1
	s_mul_i32 s6, s6, s4
	s_delay_alu instid0(SALU_CYCLE_1) | instskip(NEXT) | instid1(SALU_CYCLE_1)
	s_mul_hi_u32 s2, s4, s6
	s_add_i32 s4, s4, s2
	s_delay_alu instid0(SALU_CYCLE_1) | instskip(NEXT) | instid1(SALU_CYCLE_1)
	s_mul_hi_u32 s2, s24, s4
	s_mul_i32 s3, s2, s10
	s_add_i32 s4, s2, 1
	s_sub_i32 s3, s24, s3
	s_delay_alu instid0(SALU_CYCLE_1)
	s_sub_i32 s6, s3, s10
	s_cmp_ge_u32 s3, s10
	s_cselect_b32 s2, s4, s2
	s_cselect_b32 s3, s6, s3
	s_add_i32 s4, s2, 1
	s_cmp_ge_u32 s3, s10
	s_cselect_b32 s12, s4, s2
	s_delay_alu instid0(SALU_CYCLE_1)
	s_cmp_ge_u32 s12, s5
	s_cbranch_scc1 .LBB139_32
; %bb.1:
	s_clause 0x1
	s_load_b128 s[4:7], s[0:1], 0x1d0
	s_load_b32 s15, s[0:1], 0x198
	s_lshl_b64 s[2:3], s[12:13], 2
	s_mov_b64 s[18:19], s[12:13]
	s_waitcnt lgkmcnt(0)
	s_add_u32 s4, s4, s2
	s_addc_u32 s5, s5, s3
	s_cmp_lt_i32 s15, 2
	s_mov_b64 s[2:3], 0
	s_cbranch_scc1 .LBB139_9
; %bb.2:
	s_mov_b32 s14, 0
	s_add_i32 s2, s15, -1
	s_mov_b32 s3, s14
	s_add_i32 s13, s15, 1
	s_lshl_b64 s[2:3], s[2:3], 3
	s_delay_alu instid0(SALU_CYCLE_1)
	s_add_u32 s2, s2, s0
	s_addc_u32 s3, s3, s1
	s_add_u32 s16, s2, 8
	s_addc_u32 s17, s3, 0
	s_mov_b64 s[2:3], 0
.LBB139_3:                              ; =>This Inner Loop Header: Depth=1
	s_load_b64 s[20:21], s[16:17], 0x0
	s_waitcnt lgkmcnt(0)
	s_or_b64 s[22:23], s[18:19], s[20:21]
	s_delay_alu instid0(SALU_CYCLE_1) | instskip(NEXT) | instid1(SALU_CYCLE_1)
	s_mov_b32 s15, s23
                                        ; implicit-def: $sgpr22_sgpr23
	s_cmp_lg_u64 s[14:15], 0
	s_mov_b32 s15, -1
	s_cbranch_scc0 .LBB139_5
; %bb.4:                                ;   in Loop: Header=BB139_3 Depth=1
	v_cvt_f32_u32_e32 v1, s20
	v_cvt_f32_u32_e32 v2, s21
	s_sub_u32 s23, 0, s20
	s_subb_u32 s25, 0, s21
	s_waitcnt_depctr 0xfff
	v_fmac_f32_e32 v1, 0x4f800000, v2
	s_delay_alu instid0(VALU_DEP_1) | instskip(SKIP_2) | instid1(VALU_DEP_1)
	v_rcp_f32_e32 v1, v1
	s_waitcnt_depctr 0xfff
	v_mul_f32_e32 v1, 0x5f7ffffc, v1
	v_mul_f32_e32 v2, 0x2f800000, v1
	s_delay_alu instid0(VALU_DEP_1) | instskip(NEXT) | instid1(VALU_DEP_1)
	v_trunc_f32_e32 v2, v2
	v_fmac_f32_e32 v1, 0xcf800000, v2
	v_cvt_u32_f32_e32 v2, v2
	s_delay_alu instid0(VALU_DEP_2) | instskip(NEXT) | instid1(VALU_DEP_2)
	v_cvt_u32_f32_e32 v1, v1
	v_readfirstlane_b32 s15, v2
	s_delay_alu instid0(VALU_DEP_2) | instskip(NEXT) | instid1(VALU_DEP_2)
	v_readfirstlane_b32 s22, v1
	s_mul_i32 s26, s23, s15
	s_delay_alu instid0(VALU_DEP_1)
	s_mul_hi_u32 s28, s23, s22
	s_mul_i32 s27, s25, s22
	s_add_i32 s26, s28, s26
	s_mul_i32 s29, s23, s22
	s_add_i32 s26, s26, s27
	s_mul_hi_u32 s28, s22, s29
	s_mul_hi_u32 s30, s15, s29
	s_mul_i32 s27, s15, s29
	s_mul_hi_u32 s29, s22, s26
	s_mul_i32 s22, s22, s26
	s_mul_hi_u32 s31, s15, s26
	s_add_u32 s22, s28, s22
	s_addc_u32 s28, 0, s29
	s_add_u32 s22, s22, s27
	s_mul_i32 s26, s15, s26
	s_addc_u32 s22, s28, s30
	s_addc_u32 s27, s31, 0
	s_add_u32 s22, s22, s26
	s_addc_u32 s26, 0, s27
	v_add_co_u32 v1, s22, v1, s22
	s_delay_alu instid0(VALU_DEP_1) | instskip(SKIP_1) | instid1(VALU_DEP_1)
	s_cmp_lg_u32 s22, 0
	s_addc_u32 s15, s15, s26
	v_readfirstlane_b32 s22, v1
	s_mul_i32 s26, s23, s15
	s_delay_alu instid0(VALU_DEP_1)
	s_mul_hi_u32 s27, s23, s22
	s_mul_i32 s25, s25, s22
	s_add_i32 s26, s27, s26
	s_mul_i32 s23, s23, s22
	s_add_i32 s26, s26, s25
	s_mul_hi_u32 s27, s15, s23
	s_mul_i32 s28, s15, s23
	s_mul_hi_u32 s23, s22, s23
	s_mul_hi_u32 s29, s22, s26
	s_mul_i32 s22, s22, s26
	s_mul_hi_u32 s25, s15, s26
	s_add_u32 s22, s23, s22
	s_addc_u32 s23, 0, s29
	s_add_u32 s22, s22, s28
	s_mul_i32 s26, s15, s26
	s_addc_u32 s22, s23, s27
	s_addc_u32 s23, s25, 0
	s_add_u32 s22, s22, s26
	s_addc_u32 s23, 0, s23
	v_add_co_u32 v1, s22, v1, s22
	s_delay_alu instid0(VALU_DEP_1) | instskip(SKIP_1) | instid1(VALU_DEP_1)
	s_cmp_lg_u32 s22, 0
	s_addc_u32 s15, s15, s23
	v_readfirstlane_b32 s22, v1
	s_mul_i32 s25, s18, s15
	s_mul_hi_u32 s23, s18, s15
	s_mul_hi_u32 s26, s19, s15
	s_mul_i32 s15, s19, s15
	s_mul_hi_u32 s27, s18, s22
	s_mul_hi_u32 s28, s19, s22
	s_mul_i32 s22, s19, s22
	s_add_u32 s25, s27, s25
	s_addc_u32 s23, 0, s23
	s_add_u32 s22, s25, s22
	s_addc_u32 s22, s23, s28
	s_addc_u32 s23, s26, 0
	s_add_u32 s22, s22, s15
	s_addc_u32 s23, 0, s23
	s_mul_hi_u32 s15, s20, s22
	s_mul_i32 s26, s20, s23
	s_mul_i32 s27, s20, s22
	s_add_i32 s15, s15, s26
	v_sub_co_u32 v1, s26, s18, s27
	s_mul_i32 s25, s21, s22
	s_delay_alu instid0(SALU_CYCLE_1) | instskip(NEXT) | instid1(VALU_DEP_1)
	s_add_i32 s15, s15, s25
	v_sub_co_u32 v2, s27, v1, s20
	s_sub_i32 s25, s19, s15
	s_cmp_lg_u32 s26, 0
	s_subb_u32 s25, s25, s21
	s_cmp_lg_u32 s27, 0
	v_readfirstlane_b32 s27, v2
	s_subb_u32 s25, s25, 0
	s_delay_alu instid0(SALU_CYCLE_1) | instskip(SKIP_1) | instid1(VALU_DEP_1)
	s_cmp_ge_u32 s25, s21
	s_cselect_b32 s28, -1, 0
	s_cmp_ge_u32 s27, s20
	s_cselect_b32 s27, -1, 0
	s_cmp_eq_u32 s25, s21
	s_cselect_b32 s25, s27, s28
	s_add_u32 s27, s22, 1
	s_addc_u32 s28, s23, 0
	s_add_u32 s29, s22, 2
	s_addc_u32 s30, s23, 0
	s_cmp_lg_u32 s25, 0
	s_cselect_b32 s25, s29, s27
	s_cselect_b32 s27, s30, s28
	s_cmp_lg_u32 s26, 0
	v_readfirstlane_b32 s26, v1
	s_subb_u32 s15, s19, s15
	s_delay_alu instid0(SALU_CYCLE_1) | instskip(SKIP_1) | instid1(VALU_DEP_1)
	s_cmp_ge_u32 s15, s21
	s_cselect_b32 s28, -1, 0
	s_cmp_ge_u32 s26, s20
	s_cselect_b32 s26, -1, 0
	s_cmp_eq_u32 s15, s21
	s_cselect_b32 s15, s26, s28
	s_delay_alu instid0(SALU_CYCLE_1)
	s_cmp_lg_u32 s15, 0
	s_mov_b32 s15, 0
	s_cselect_b32 s23, s27, s23
	s_cselect_b32 s22, s25, s22
.LBB139_5:                              ;   in Loop: Header=BB139_3 Depth=1
	s_and_not1_b32 vcc_lo, exec_lo, s15
	s_cbranch_vccnz .LBB139_7
; %bb.6:                                ;   in Loop: Header=BB139_3 Depth=1
	v_cvt_f32_u32_e32 v1, s20
	s_sub_i32 s22, 0, s20
	s_waitcnt_depctr 0xfff
	v_rcp_iflag_f32_e32 v1, v1
	s_waitcnt_depctr 0xfff
	v_mul_f32_e32 v1, 0x4f7ffffe, v1
	s_delay_alu instid0(VALU_DEP_1) | instskip(NEXT) | instid1(VALU_DEP_1)
	v_cvt_u32_f32_e32 v1, v1
	v_readfirstlane_b32 s15, v1
	s_delay_alu instid0(VALU_DEP_1) | instskip(NEXT) | instid1(SALU_CYCLE_1)
	s_mul_i32 s22, s22, s15
	s_mul_hi_u32 s22, s15, s22
	s_delay_alu instid0(SALU_CYCLE_1) | instskip(NEXT) | instid1(SALU_CYCLE_1)
	s_add_i32 s15, s15, s22
	s_mul_hi_u32 s15, s18, s15
	s_delay_alu instid0(SALU_CYCLE_1) | instskip(SKIP_2) | instid1(SALU_CYCLE_1)
	s_mul_i32 s22, s15, s20
	s_add_i32 s23, s15, 1
	s_sub_i32 s22, s18, s22
	s_sub_i32 s25, s22, s20
	s_cmp_ge_u32 s22, s20
	s_cselect_b32 s15, s23, s15
	s_cselect_b32 s22, s25, s22
	s_add_i32 s23, s15, 1
	s_cmp_ge_u32 s22, s20
	s_cselect_b32 s22, s23, s15
	s_mov_b32 s23, s14
.LBB139_7:                              ;   in Loop: Header=BB139_3 Depth=1
	s_load_b64 s[26:27], s[16:17], 0xc8
	s_mul_i32 s15, s22, s21
	s_mul_hi_u32 s21, s22, s20
	s_mul_i32 s25, s23, s20
	s_add_i32 s15, s21, s15
	s_mul_i32 s20, s22, s20
	s_add_i32 s15, s15, s25
	s_sub_u32 s18, s18, s20
	s_subb_u32 s15, s19, s15
	s_waitcnt lgkmcnt(0)
	s_mul_i32 s15, s26, s15
	s_mul_hi_u32 s19, s26, s18
	s_mul_i32 s20, s27, s18
	s_add_i32 s15, s19, s15
	s_mul_i32 s18, s26, s18
	s_add_i32 s15, s15, s20
	s_add_u32 s2, s18, s2
	s_addc_u32 s3, s15, s3
	s_add_i32 s13, s13, -1
	s_add_u32 s16, s16, -8
	s_addc_u32 s17, s17, -1
	s_cmp_gt_u32 s13, 2
	s_cbranch_scc0 .LBB139_10
; %bb.8:                                ;   in Loop: Header=BB139_3 Depth=1
	s_mov_b64 s[18:19], s[22:23]
	s_branch .LBB139_3
.LBB139_9:
	s_mov_b64 s[22:23], s[18:19]
.LBB139_10:
	s_load_b32 s13, s[4:5], 0x0
	v_cmp_gt_u32_e32 vcc_lo, 0x100, v0
	v_lshlrev_b32_e32 v1, 2, v0
	s_and_saveexec_b32 s4, vcc_lo
	s_cbranch_execz .LBB139_12
; %bb.11:
	v_mov_b32_e32 v2, 0
	ds_store_b32 v1, v2
.LBB139_12:
	s_or_b32 exec_lo, exec_lo, s4
	s_load_b32 s14, s[0:1], 0x1a0
	s_mul_i32 s4, s12, s10
	s_waitcnt lgkmcnt(0)
	s_sub_i32 s4, s24, s4
	s_barrier
	s_mul_i32 s5, s9, s4
	s_add_i32 s4, s4, 1
	s_lshl_b32 s12, s5, 8
	buffer_gl0_inv
	s_sub_i32 s5, s14, s12
	s_delay_alu instid0(SALU_CYCLE_1) | instskip(SKIP_4) | instid1(VALU_DEP_1)
	s_add_u32 s5, s5, 0xff
	s_addc_u32 s15, 0, 0
	s_cmp_lt_u32 s4, s10
	v_alignbit_b32 v2, s15, s5, 8
	s_mov_b32 s10, 0
	v_readfirstlane_b32 s5, v2
	s_delay_alu instid0(VALU_DEP_1) | instskip(NEXT) | instid1(SALU_CYCLE_1)
	s_cselect_b32 s9, s9, s5
	s_cmp_lt_i32 s9, 1
	s_cbranch_scc1 .LBB139_28
; %bb.13:
	s_clause 0x2
	s_load_b64 s[16:17], s[0:1], 0xd0
	s_load_b64 s[4:5], s[0:1], 0x1b8
	;; [unrolled: 1-line block ×3, first 2 shown]
	v_add_nc_u32_e32 v2, s12, v0
	s_waitcnt lgkmcnt(0)
	s_mul_i32 s12, s16, s23
	s_mul_hi_u32 s15, s16, s22
	s_mul_i32 s17, s17, s22
	s_add_i32 s12, s15, s12
	s_mul_i32 s15, s16, s22
	s_add_i32 s12, s12, s17
	s_add_u32 s0, s0, s15
	s_addc_u32 s1, s1, s12
	s_add_u32 s2, s0, s2
	s_addc_u32 s3, s1, s3
	s_and_b32 s1, s8, 0xff
	s_cmp_eq_u32 s9, 1
	s_cbranch_scc1 .LBB139_23
; %bb.14:
	v_dual_mov_b32 v3, 1 :: v_dual_mov_b32 v4, v2
	s_and_b32 s8, s9, 0x7ffffffe
	s_branch .LBB139_16
.LBB139_15:                             ;   in Loop: Header=BB139_16 Depth=1
	s_or_b32 exec_lo, exec_lo, s12
	v_add_nc_u32_e32 v4, 0x200, v4
	s_add_i32 s10, s10, 2
	s_delay_alu instid0(SALU_CYCLE_1)
	s_cmp_eq_u32 s8, s10
	s_cbranch_scc1 .LBB139_22
.LBB139_16:                             ; =>This Inner Loop Header: Depth=1
	s_mov_b32 s12, exec_lo
	s_delay_alu instid0(VALU_DEP_1)
	v_cmpx_gt_u32_e64 s14, v4
	s_cbranch_execz .LBB139_19
; %bb.17:                               ;   in Loop: Header=BB139_16 Depth=1
	v_mad_u64_u32 v[5:6], null, v4, s4, s[2:3]
	s_delay_alu instid0(VALU_DEP_1) | instskip(NEXT) | instid1(VALU_DEP_1)
	v_mad_u64_u32 v[7:8], null, v4, s5, v[6:7]
	v_mov_b32_e32 v6, v7
	global_load_i8 v5, v[5:6], off
	s_waitcnt vmcnt(0)
	v_add_nc_u32_e32 v5, 0x80, v5
	s_delay_alu instid0(VALU_DEP_1) | instskip(NEXT) | instid1(VALU_DEP_1)
	v_xor_b32_e32 v6, s13, v5
	v_and_b32_e32 v6, s11, v6
	s_delay_alu instid0(VALU_DEP_1) | instskip(NEXT) | instid1(VALU_DEP_1)
	v_cmp_eq_u32_e64 s0, 0, v6
	s_and_b32 exec_lo, exec_lo, s0
	s_cbranch_execz .LBB139_19
; %bb.18:                               ;   in Loop: Header=BB139_16 Depth=1
	v_lshrrev_b32_e32 v5, s1, v5
	s_delay_alu instid0(VALU_DEP_1)
	v_lshlrev_b32_e32 v5, 2, v5
	ds_add_u32 v5, v3
.LBB139_19:                             ;   in Loop: Header=BB139_16 Depth=1
	s_or_b32 exec_lo, exec_lo, s12
	v_add_nc_u32_e32 v5, 0x100, v4
	s_mov_b32 s12, exec_lo
	s_delay_alu instid0(VALU_DEP_1)
	v_cmpx_gt_u32_e64 s14, v5
	s_cbranch_execz .LBB139_15
; %bb.20:                               ;   in Loop: Header=BB139_16 Depth=1
	v_mad_u64_u32 v[6:7], null, v5, s4, s[2:3]
	s_delay_alu instid0(VALU_DEP_1) | instskip(NEXT) | instid1(VALU_DEP_1)
	v_mad_u64_u32 v[8:9], null, v5, s5, v[7:8]
	v_mov_b32_e32 v7, v8
	global_load_i8 v5, v[6:7], off
	s_waitcnt vmcnt(0)
	v_add_nc_u32_e32 v5, 0x80, v5
	s_delay_alu instid0(VALU_DEP_1) | instskip(NEXT) | instid1(VALU_DEP_1)
	v_xor_b32_e32 v6, s13, v5
	v_and_b32_e32 v6, s11, v6
	s_delay_alu instid0(VALU_DEP_1) | instskip(NEXT) | instid1(VALU_DEP_1)
	v_cmp_eq_u32_e64 s0, 0, v6
	s_and_b32 exec_lo, exec_lo, s0
	s_cbranch_execz .LBB139_15
; %bb.21:                               ;   in Loop: Header=BB139_16 Depth=1
	v_lshrrev_b32_e32 v5, s1, v5
	s_delay_alu instid0(VALU_DEP_1)
	v_lshlrev_b32_e32 v5, 2, v5
	ds_add_u32 v5, v3
	s_branch .LBB139_15
.LBB139_22:
	s_lshl_b32 s10, s8, 8
.LBB139_23:
	s_bitcmp0_b32 s9, 0
	s_cbranch_scc1 .LBB139_28
; %bb.24:
	v_add_nc_u32_e32 v2, s10, v2
	s_mov_b32 s8, exec_lo
	s_delay_alu instid0(VALU_DEP_1)
	v_cmpx_gt_u32_e64 s14, v2
	s_cbranch_execz .LBB139_27
; %bb.25:
	v_mad_u64_u32 v[3:4], null, v2, s4, s[2:3]
	s_delay_alu instid0(VALU_DEP_1) | instskip(NEXT) | instid1(VALU_DEP_1)
	v_mad_u64_u32 v[5:6], null, v2, s5, v[4:5]
	v_mov_b32_e32 v4, v5
	global_load_i8 v2, v[3:4], off
	s_waitcnt vmcnt(0)
	v_add_nc_u32_e32 v2, 0x80, v2
	s_delay_alu instid0(VALU_DEP_1) | instskip(NEXT) | instid1(VALU_DEP_1)
	v_xor_b32_e32 v3, s13, v2
	v_and_b32_e32 v3, s11, v3
	s_delay_alu instid0(VALU_DEP_1) | instskip(NEXT) | instid1(VALU_DEP_1)
	v_cmp_eq_u32_e64 s0, 0, v3
	s_and_b32 exec_lo, exec_lo, s0
	s_cbranch_execz .LBB139_27
; %bb.26:
	v_lshrrev_b32_e32 v2, s1, v2
	s_delay_alu instid0(VALU_DEP_1)
	v_dual_mov_b32 v3, 1 :: v_dual_lshlrev_b32 v2, 2, v2
	ds_add_u32 v2, v3
.LBB139_27:
	s_or_b32 exec_lo, exec_lo, s8
.LBB139_28:
	v_mov_b32_e32 v2, 0
	s_waitcnt lgkmcnt(0)
	s_barrier
	buffer_gl0_inv
	s_and_saveexec_b32 s0, vcc_lo
	s_cbranch_execz .LBB139_30
; %bb.29:
	ds_load_b32 v2, v1
.LBB139_30:
	s_or_b32 exec_lo, exec_lo, s0
	s_and_saveexec_b32 s0, vcc_lo
	s_cbranch_execz .LBB139_32
; %bb.31:
	v_lshl_or_b32 v0, s24, 8, v0
	v_mov_b32_e32 v1, 0
	s_delay_alu instid0(VALU_DEP_1) | instskip(NEXT) | instid1(VALU_DEP_1)
	v_lshlrev_b64 v[0:1], 1, v[0:1]
	v_add_co_u32 v0, vcc_lo, s6, v0
	s_delay_alu instid0(VALU_DEP_2)
	v_add_co_ci_u32_e32 v1, vcc_lo, s7, v1, vcc_lo
	s_waitcnt lgkmcnt(0)
	global_store_b16 v[0:1], v2, off
.LBB139_32:
	s_nop 0
	s_sendmsg sendmsg(MSG_DEALLOC_VGPRS)
	s_endpgm
	.section	.rodata,"a",@progbits
	.p2align	6, 0x0
	.amdhsa_kernel _ZN2at6native6mbtopk23computeBlockDigitCountsIamjLin1EEEvNS_4cuda6detail10TensorInfoIKT_T0_EEjPjjS8_iijT1_PSB_Ps
		.amdhsa_group_segment_fixed_size 1024
		.amdhsa_private_segment_fixed_size 0
		.amdhsa_kernarg_size 736
		.amdhsa_user_sgpr_count 13
		.amdhsa_user_sgpr_dispatch_ptr 0
		.amdhsa_user_sgpr_queue_ptr 0
		.amdhsa_user_sgpr_kernarg_segment_ptr 1
		.amdhsa_user_sgpr_dispatch_id 0
		.amdhsa_user_sgpr_private_segment_size 0
		.amdhsa_wavefront_size32 1
		.amdhsa_uses_dynamic_stack 0
		.amdhsa_enable_private_segment 0
		.amdhsa_system_sgpr_workgroup_id_x 1
		.amdhsa_system_sgpr_workgroup_id_y 1
		.amdhsa_system_sgpr_workgroup_id_z 1
		.amdhsa_system_sgpr_workgroup_info 0
		.amdhsa_system_vgpr_workitem_id 0
		.amdhsa_next_free_vgpr 10
		.amdhsa_next_free_sgpr 32
		.amdhsa_reserve_vcc 1
		.amdhsa_float_round_mode_32 0
		.amdhsa_float_round_mode_16_64 0
		.amdhsa_float_denorm_mode_32 3
		.amdhsa_float_denorm_mode_16_64 3
		.amdhsa_dx10_clamp 1
		.amdhsa_ieee_mode 1
		.amdhsa_fp16_overflow 0
		.amdhsa_workgroup_processor_mode 1
		.amdhsa_memory_ordered 1
		.amdhsa_forward_progress 0
		.amdhsa_shared_vgpr_count 0
		.amdhsa_exception_fp_ieee_invalid_op 0
		.amdhsa_exception_fp_denorm_src 0
		.amdhsa_exception_fp_ieee_div_zero 0
		.amdhsa_exception_fp_ieee_overflow 0
		.amdhsa_exception_fp_ieee_underflow 0
		.amdhsa_exception_fp_ieee_inexact 0
		.amdhsa_exception_int_div_zero 0
	.end_amdhsa_kernel
	.section	.text._ZN2at6native6mbtopk23computeBlockDigitCountsIamjLin1EEEvNS_4cuda6detail10TensorInfoIKT_T0_EEjPjjS8_iijT1_PSB_Ps,"axG",@progbits,_ZN2at6native6mbtopk23computeBlockDigitCountsIamjLin1EEEvNS_4cuda6detail10TensorInfoIKT_T0_EEjPjjS8_iijT1_PSB_Ps,comdat
.Lfunc_end139:
	.size	_ZN2at6native6mbtopk23computeBlockDigitCountsIamjLin1EEEvNS_4cuda6detail10TensorInfoIKT_T0_EEjPjjS8_iijT1_PSB_Ps, .Lfunc_end139-_ZN2at6native6mbtopk23computeBlockDigitCountsIamjLin1EEEvNS_4cuda6detail10TensorInfoIKT_T0_EEjPjjS8_iijT1_PSB_Ps
                                        ; -- End function
	.section	.AMDGPU.csdata,"",@progbits
; Kernel info:
; codeLenInByte = 1872
; NumSgprs: 34
; NumVgprs: 10
; ScratchSize: 0
; MemoryBound: 0
; FloatMode: 240
; IeeeMode: 1
; LDSByteSize: 1024 bytes/workgroup (compile time only)
; SGPRBlocks: 4
; VGPRBlocks: 1
; NumSGPRsForWavesPerEU: 34
; NumVGPRsForWavesPerEU: 10
; Occupancy: 16
; WaveLimiterHint : 0
; COMPUTE_PGM_RSRC2:SCRATCH_EN: 0
; COMPUTE_PGM_RSRC2:USER_SGPR: 13
; COMPUTE_PGM_RSRC2:TRAP_HANDLER: 0
; COMPUTE_PGM_RSRC2:TGID_X_EN: 1
; COMPUTE_PGM_RSRC2:TGID_Y_EN: 1
; COMPUTE_PGM_RSRC2:TGID_Z_EN: 1
; COMPUTE_PGM_RSRC2:TIDIG_COMP_CNT: 0
	.section	.text._ZN2at6native6mbtopk10gatherTopKIamLin1EEEvNS_4cuda6detail10TensorInfoIKT_T0_EES8_S8_bjS8_NS5_IS6_S8_EES8_NS5_IlS8_EES8_jjPS6_PjSD_j,"axG",@progbits,_ZN2at6native6mbtopk10gatherTopKIamLin1EEEvNS_4cuda6detail10TensorInfoIKT_T0_EES8_S8_bjS8_NS5_IS6_S8_EES8_NS5_IlS8_EES8_jjPS6_PjSD_j,comdat
	.protected	_ZN2at6native6mbtopk10gatherTopKIamLin1EEEvNS_4cuda6detail10TensorInfoIKT_T0_EES8_S8_bjS8_NS5_IS6_S8_EES8_NS5_IlS8_EES8_jjPS6_PjSD_j ; -- Begin function _ZN2at6native6mbtopk10gatherTopKIamLin1EEEvNS_4cuda6detail10TensorInfoIKT_T0_EES8_S8_bjS8_NS5_IS6_S8_EES8_NS5_IlS8_EES8_jjPS6_PjSD_j
	.globl	_ZN2at6native6mbtopk10gatherTopKIamLin1EEEvNS_4cuda6detail10TensorInfoIKT_T0_EES8_S8_bjS8_NS5_IS6_S8_EES8_NS5_IlS8_EES8_jjPS6_PjSD_j
	.p2align	8
	.type	_ZN2at6native6mbtopk10gatherTopKIamLin1EEEvNS_4cuda6detail10TensorInfoIKT_T0_EES8_S8_bjS8_NS5_IS6_S8_EES8_NS5_IlS8_EES8_jjPS6_PjSD_j,@function
_ZN2at6native6mbtopk10gatherTopKIamLin1EEEvNS_4cuda6detail10TensorInfoIKT_T0_EES8_S8_bjS8_NS5_IS6_S8_EES8_NS5_IlS8_EES8_jjPS6_PjSD_j: ; @_ZN2at6native6mbtopk10gatherTopKIamLin1EEEvNS_4cuda6detail10TensorInfoIKT_T0_EES8_S8_bjS8_NS5_IS6_S8_EES8_NS5_IlS8_EES8_jjPS6_PjSD_j
; %bb.0:
	s_clause 0x1
	s_load_b64 s[2:3], s[0:1], 0x538
	s_load_b32 s4, s[0:1], 0x530
	s_waitcnt lgkmcnt(0)
	s_mul_i32 s3, s3, s15
	s_delay_alu instid0(SALU_CYCLE_1) | instskip(NEXT) | instid1(SALU_CYCLE_1)
	s_add_i32 s3, s3, s14
	s_mul_i32 s3, s3, s2
	s_delay_alu instid0(SALU_CYCLE_1) | instskip(NEXT) | instid1(SALU_CYCLE_1)
	s_add_i32 s3, s3, s13
	s_cmp_ge_u32 s3, s4
	s_cbranch_scc1 .LBB140_67
; %bb.1:
	s_load_b64 s[16:17], s[0:1], 0x510
	s_waitcnt lgkmcnt(0)
	v_cvt_f32_u32_e32 v1, s17
	s_sub_i32 s4, 0, s17
	s_lshl_b32 s33, s16, 8
	s_delay_alu instid0(VALU_DEP_1) | instskip(SKIP_2) | instid1(VALU_DEP_1)
	v_rcp_iflag_f32_e32 v1, v1
	s_waitcnt_depctr 0xfff
	v_mul_f32_e32 v1, 0x4f7ffffe, v1
	v_cvt_u32_f32_e32 v1, v1
	s_delay_alu instid0(VALU_DEP_1) | instskip(NEXT) | instid1(VALU_DEP_1)
	v_readfirstlane_b32 s2, v1
	s_mul_i32 s4, s4, s2
	s_delay_alu instid0(SALU_CYCLE_1) | instskip(NEXT) | instid1(SALU_CYCLE_1)
	s_mul_hi_u32 s4, s2, s4
	s_add_i32 s2, s2, s4
	s_load_b128 s[4:7], s[0:1], 0x1a0
	s_mul_hi_u32 s2, s3, s2
	s_delay_alu instid0(SALU_CYCLE_1) | instskip(SKIP_2) | instid1(SALU_CYCLE_1)
	s_mul_i32 s8, s2, s17
	s_add_i32 s9, s2, 1
	s_sub_i32 s8, s3, s8
	s_sub_i32 s10, s8, s17
	s_cmp_ge_u32 s8, s17
	s_cselect_b32 s2, s9, s2
	s_cselect_b32 s8, s10, s8
	s_add_i32 s9, s2, 1
	s_cmp_ge_u32 s8, s17
	s_cselect_b32 s2, s9, s2
	s_delay_alu instid0(SALU_CYCLE_1) | instskip(NEXT) | instid1(SALU_CYCLE_1)
	s_mul_i32 s20, s2, s17
	s_sub_i32 s50, s3, s20
	s_delay_alu instid0(SALU_CYCLE_1) | instskip(NEXT) | instid1(SALU_CYCLE_1)
	s_add_i32 s3, s50, 1
	s_cmp_lt_u32 s3, s17
	s_mov_b32 s3, 0
	s_cbranch_scc1 .LBB140_3
; %bb.2:
	s_mul_i32 s8, s50, s33
	s_waitcnt lgkmcnt(0)
	s_sub_u32 s8, s4, s8
	s_subb_u32 s9, s5, 0
	s_add_u32 s8, s8, 0xff
	s_addc_u32 s9, s9, 0
	s_delay_alu instid0(SALU_CYCLE_1) | instskip(NEXT) | instid1(SALU_CYCLE_1)
	s_ashr_i32 s10, s9, 31
	s_lshr_b32 s10, s10, 24
	s_delay_alu instid0(SALU_CYCLE_1) | instskip(SKIP_1) | instid1(SALU_CYCLE_1)
	s_add_u32 s8, s8, s10
	s_addc_u32 s9, s9, 0
	v_alignbit_b32 v1, s9, s8, 8
	s_delay_alu instid0(VALU_DEP_1)
	v_readfirstlane_b32 s16, v1
.LBB140_3:
	s_load_b32 s9, s[0:1], 0x198
	s_mov_b64 s[18:19], 0
	s_mov_b64 s[22:23], s[2:3]
	s_waitcnt lgkmcnt(0)
	s_cmp_lt_i32 s9, 2
	s_cbranch_scc1 .LBB140_11
; %bb.4:
	s_mov_b32 s8, 0
	s_add_i32 s10, s9, -1
	s_mov_b32 s11, s8
	s_add_i32 s21, s9, 1
	s_lshl_b64 s[10:11], s[10:11], 3
	s_mov_b64 s[12:13], s[2:3]
	s_add_u32 s9, s10, s0
	s_addc_u32 s11, s11, s1
	s_add_u32 s10, s9, 8
	s_addc_u32 s11, s11, 0
.LBB140_5:                              ; =>This Inner Loop Header: Depth=1
	s_load_b64 s[14:15], s[10:11], 0x0
	s_waitcnt lgkmcnt(0)
	s_or_b64 s[22:23], s[12:13], s[14:15]
	s_delay_alu instid0(SALU_CYCLE_1) | instskip(NEXT) | instid1(SALU_CYCLE_1)
	s_mov_b32 s9, s23
                                        ; implicit-def: $sgpr22_sgpr23
	s_cmp_lg_u64 s[8:9], 0
	s_mov_b32 s9, -1
	s_cbranch_scc0 .LBB140_7
; %bb.6:                                ;   in Loop: Header=BB140_5 Depth=1
	v_cvt_f32_u32_e32 v1, s14
	v_cvt_f32_u32_e32 v2, s15
	s_sub_u32 s23, 0, s14
	s_subb_u32 s24, 0, s15
	s_waitcnt_depctr 0xfff
	v_fmac_f32_e32 v1, 0x4f800000, v2
	s_delay_alu instid0(VALU_DEP_1) | instskip(SKIP_2) | instid1(VALU_DEP_1)
	v_rcp_f32_e32 v1, v1
	s_waitcnt_depctr 0xfff
	v_mul_f32_e32 v1, 0x5f7ffffc, v1
	v_mul_f32_e32 v2, 0x2f800000, v1
	s_delay_alu instid0(VALU_DEP_1) | instskip(NEXT) | instid1(VALU_DEP_1)
	v_trunc_f32_e32 v2, v2
	v_fmac_f32_e32 v1, 0xcf800000, v2
	v_cvt_u32_f32_e32 v2, v2
	s_delay_alu instid0(VALU_DEP_2) | instskip(NEXT) | instid1(VALU_DEP_2)
	v_cvt_u32_f32_e32 v1, v1
	v_readfirstlane_b32 s9, v2
	s_delay_alu instid0(VALU_DEP_2) | instskip(NEXT) | instid1(VALU_DEP_2)
	v_readfirstlane_b32 s22, v1
	s_mul_i32 s25, s23, s9
	s_delay_alu instid0(VALU_DEP_1)
	s_mul_hi_u32 s27, s23, s22
	s_mul_i32 s26, s24, s22
	s_add_i32 s25, s27, s25
	s_mul_i32 s28, s23, s22
	s_add_i32 s25, s25, s26
	s_mul_hi_u32 s27, s22, s28
	s_mul_hi_u32 s29, s9, s28
	s_mul_i32 s26, s9, s28
	s_mul_hi_u32 s28, s22, s25
	s_mul_i32 s22, s22, s25
	s_mul_hi_u32 s30, s9, s25
	s_add_u32 s22, s27, s22
	s_addc_u32 s27, 0, s28
	s_add_u32 s22, s22, s26
	s_mul_i32 s25, s9, s25
	s_addc_u32 s22, s27, s29
	s_addc_u32 s26, s30, 0
	s_add_u32 s22, s22, s25
	s_addc_u32 s25, 0, s26
	v_add_co_u32 v1, s22, v1, s22
	s_delay_alu instid0(VALU_DEP_1) | instskip(SKIP_1) | instid1(VALU_DEP_1)
	s_cmp_lg_u32 s22, 0
	s_addc_u32 s9, s9, s25
	v_readfirstlane_b32 s22, v1
	s_mul_i32 s25, s23, s9
	s_delay_alu instid0(VALU_DEP_1)
	s_mul_hi_u32 s26, s23, s22
	s_mul_i32 s24, s24, s22
	s_add_i32 s25, s26, s25
	s_mul_i32 s23, s23, s22
	s_add_i32 s25, s25, s24
	s_mul_hi_u32 s26, s9, s23
	s_mul_i32 s27, s9, s23
	s_mul_hi_u32 s23, s22, s23
	s_mul_hi_u32 s28, s22, s25
	s_mul_i32 s22, s22, s25
	s_mul_hi_u32 s24, s9, s25
	s_add_u32 s22, s23, s22
	s_addc_u32 s23, 0, s28
	s_add_u32 s22, s22, s27
	s_mul_i32 s25, s9, s25
	s_addc_u32 s22, s23, s26
	s_addc_u32 s23, s24, 0
	s_add_u32 s22, s22, s25
	s_addc_u32 s23, 0, s23
	v_add_co_u32 v1, s22, v1, s22
	s_delay_alu instid0(VALU_DEP_1) | instskip(SKIP_1) | instid1(VALU_DEP_1)
	s_cmp_lg_u32 s22, 0
	s_addc_u32 s9, s9, s23
	v_readfirstlane_b32 s22, v1
	s_mul_i32 s24, s12, s9
	s_mul_hi_u32 s23, s12, s9
	s_mul_hi_u32 s25, s13, s9
	s_mul_i32 s9, s13, s9
	s_mul_hi_u32 s26, s12, s22
	s_mul_hi_u32 s27, s13, s22
	s_mul_i32 s22, s13, s22
	s_add_u32 s24, s26, s24
	s_addc_u32 s23, 0, s23
	s_add_u32 s22, s24, s22
	s_addc_u32 s22, s23, s27
	s_addc_u32 s23, s25, 0
	s_add_u32 s22, s22, s9
	s_addc_u32 s23, 0, s23
	s_mul_hi_u32 s9, s14, s22
	s_mul_i32 s25, s14, s23
	s_mul_i32 s26, s14, s22
	s_add_i32 s9, s9, s25
	v_sub_co_u32 v1, s25, s12, s26
	s_mul_i32 s24, s15, s22
	s_delay_alu instid0(SALU_CYCLE_1) | instskip(NEXT) | instid1(VALU_DEP_1)
	s_add_i32 s9, s9, s24
	v_sub_co_u32 v2, s26, v1, s14
	s_sub_i32 s24, s13, s9
	s_cmp_lg_u32 s25, 0
	s_subb_u32 s24, s24, s15
	s_cmp_lg_u32 s26, 0
	v_readfirstlane_b32 s26, v2
	s_subb_u32 s24, s24, 0
	s_delay_alu instid0(SALU_CYCLE_1) | instskip(SKIP_1) | instid1(VALU_DEP_1)
	s_cmp_ge_u32 s24, s15
	s_cselect_b32 s27, -1, 0
	s_cmp_ge_u32 s26, s14
	s_cselect_b32 s26, -1, 0
	s_cmp_eq_u32 s24, s15
	s_cselect_b32 s24, s26, s27
	s_add_u32 s26, s22, 1
	s_addc_u32 s27, s23, 0
	s_add_u32 s28, s22, 2
	s_addc_u32 s29, s23, 0
	s_cmp_lg_u32 s24, 0
	s_cselect_b32 s24, s28, s26
	s_cselect_b32 s26, s29, s27
	s_cmp_lg_u32 s25, 0
	v_readfirstlane_b32 s25, v1
	s_subb_u32 s9, s13, s9
	s_delay_alu instid0(SALU_CYCLE_1) | instskip(SKIP_1) | instid1(VALU_DEP_1)
	s_cmp_ge_u32 s9, s15
	s_cselect_b32 s27, -1, 0
	s_cmp_ge_u32 s25, s14
	s_cselect_b32 s25, -1, 0
	s_cmp_eq_u32 s9, s15
	s_cselect_b32 s9, s25, s27
	s_delay_alu instid0(SALU_CYCLE_1)
	s_cmp_lg_u32 s9, 0
	s_mov_b32 s9, 0
	s_cselect_b32 s23, s26, s23
	s_cselect_b32 s22, s24, s22
.LBB140_7:                              ;   in Loop: Header=BB140_5 Depth=1
	s_and_not1_b32 vcc_lo, exec_lo, s9
	s_cbranch_vccnz .LBB140_9
; %bb.8:                                ;   in Loop: Header=BB140_5 Depth=1
	v_cvt_f32_u32_e32 v1, s14
	s_sub_i32 s22, 0, s14
	s_waitcnt_depctr 0xfff
	v_rcp_iflag_f32_e32 v1, v1
	s_waitcnt_depctr 0xfff
	v_mul_f32_e32 v1, 0x4f7ffffe, v1
	s_delay_alu instid0(VALU_DEP_1) | instskip(NEXT) | instid1(VALU_DEP_1)
	v_cvt_u32_f32_e32 v1, v1
	v_readfirstlane_b32 s9, v1
	s_delay_alu instid0(VALU_DEP_1) | instskip(NEXT) | instid1(SALU_CYCLE_1)
	s_mul_i32 s22, s22, s9
	s_mul_hi_u32 s22, s9, s22
	s_delay_alu instid0(SALU_CYCLE_1) | instskip(NEXT) | instid1(SALU_CYCLE_1)
	s_add_i32 s9, s9, s22
	s_mul_hi_u32 s9, s12, s9
	s_delay_alu instid0(SALU_CYCLE_1) | instskip(SKIP_2) | instid1(SALU_CYCLE_1)
	s_mul_i32 s22, s9, s14
	s_add_i32 s23, s9, 1
	s_sub_i32 s22, s12, s22
	s_sub_i32 s24, s22, s14
	s_cmp_ge_u32 s22, s14
	s_cselect_b32 s9, s23, s9
	s_cselect_b32 s22, s24, s22
	s_add_i32 s23, s9, 1
	s_cmp_ge_u32 s22, s14
	s_cselect_b32 s22, s23, s9
	s_mov_b32 s23, s8
.LBB140_9:                              ;   in Loop: Header=BB140_5 Depth=1
	s_load_b64 s[24:25], s[10:11], 0xc8
	s_mul_i32 s9, s22, s15
	s_mul_hi_u32 s15, s22, s14
	s_mul_i32 s26, s23, s14
	s_add_i32 s9, s15, s9
	s_mul_i32 s14, s22, s14
	s_add_i32 s9, s9, s26
	s_sub_u32 s12, s12, s14
	s_subb_u32 s9, s13, s9
	s_waitcnt lgkmcnt(0)
	s_mul_i32 s9, s24, s9
	s_mul_hi_u32 s13, s24, s12
	s_mul_i32 s14, s25, s12
	s_add_i32 s9, s13, s9
	s_mul_i32 s12, s24, s12
	s_add_i32 s9, s9, s14
	s_add_u32 s18, s12, s18
	s_addc_u32 s19, s9, s19
	s_add_i32 s21, s21, -1
	s_add_u32 s10, s10, -8
	s_addc_u32 s11, s11, -1
	s_cmp_gt_u32 s21, 2
	s_cbranch_scc0 .LBB140_11
; %bb.10:                               ;   in Loop: Header=BB140_5 Depth=1
	s_mov_b64 s[12:13], s[22:23]
	s_branch .LBB140_5
.LBB140_11:
	s_clause 0x1
	s_load_b32 s11, s[0:1], 0x358
	s_load_b64 s[26:27], s[0:1], 0xd0
	s_add_u32 s8, s0, 0x1c0
	s_addc_u32 s9, s1, 0
	s_mov_b64 s[24:25], 0
	s_mov_b64 s[28:29], s[2:3]
	s_waitcnt lgkmcnt(0)
	s_cmp_lt_i32 s11, 2
	s_cbranch_scc1 .LBB140_19
; %bb.12:
	s_mov_b32 s10, 0
	s_add_i32 s12, s11, -1
	s_mov_b32 s13, s10
	s_add_i32 s21, s11, 1
	s_lshl_b64 s[12:13], s[12:13], 3
	s_mov_b64 s[14:15], s[2:3]
	s_add_u32 s11, s12, s8
	s_addc_u32 s13, s13, s9
	s_add_u32 s12, s11, 8
	s_addc_u32 s13, s13, 0
.LBB140_13:                             ; =>This Inner Loop Header: Depth=1
	s_load_b64 s[30:31], s[12:13], 0x0
	s_waitcnt lgkmcnt(0)
	s_or_b64 s[28:29], s[14:15], s[30:31]
	s_delay_alu instid0(SALU_CYCLE_1) | instskip(NEXT) | instid1(SALU_CYCLE_1)
	s_mov_b32 s11, s29
                                        ; implicit-def: $sgpr28_sgpr29
	s_cmp_lg_u64 s[10:11], 0
	s_mov_b32 s11, -1
	s_cbranch_scc0 .LBB140_15
; %bb.14:                               ;   in Loop: Header=BB140_13 Depth=1
	v_cvt_f32_u32_e32 v1, s30
	v_cvt_f32_u32_e32 v2, s31
	s_sub_u32 s29, 0, s30
	s_subb_u32 s34, 0, s31
	s_waitcnt_depctr 0xfff
	v_fmac_f32_e32 v1, 0x4f800000, v2
	s_delay_alu instid0(VALU_DEP_1) | instskip(SKIP_2) | instid1(VALU_DEP_1)
	v_rcp_f32_e32 v1, v1
	s_waitcnt_depctr 0xfff
	v_mul_f32_e32 v1, 0x5f7ffffc, v1
	v_mul_f32_e32 v2, 0x2f800000, v1
	s_delay_alu instid0(VALU_DEP_1) | instskip(NEXT) | instid1(VALU_DEP_1)
	v_trunc_f32_e32 v2, v2
	v_fmac_f32_e32 v1, 0xcf800000, v2
	v_cvt_u32_f32_e32 v2, v2
	s_delay_alu instid0(VALU_DEP_2) | instskip(NEXT) | instid1(VALU_DEP_2)
	v_cvt_u32_f32_e32 v1, v1
	v_readfirstlane_b32 s11, v2
	s_delay_alu instid0(VALU_DEP_2) | instskip(NEXT) | instid1(VALU_DEP_2)
	v_readfirstlane_b32 s28, v1
	s_mul_i32 s35, s29, s11
	s_delay_alu instid0(VALU_DEP_1)
	s_mul_hi_u32 s37, s29, s28
	s_mul_i32 s36, s34, s28
	s_add_i32 s35, s37, s35
	s_mul_i32 s38, s29, s28
	s_add_i32 s35, s35, s36
	s_mul_hi_u32 s37, s28, s38
	s_mul_hi_u32 s39, s11, s38
	s_mul_i32 s36, s11, s38
	s_mul_hi_u32 s38, s28, s35
	s_mul_i32 s28, s28, s35
	s_mul_hi_u32 s40, s11, s35
	s_add_u32 s28, s37, s28
	s_addc_u32 s37, 0, s38
	s_add_u32 s28, s28, s36
	s_mul_i32 s35, s11, s35
	s_addc_u32 s28, s37, s39
	s_addc_u32 s36, s40, 0
	s_add_u32 s28, s28, s35
	s_addc_u32 s35, 0, s36
	v_add_co_u32 v1, s28, v1, s28
	s_delay_alu instid0(VALU_DEP_1) | instskip(SKIP_1) | instid1(VALU_DEP_1)
	s_cmp_lg_u32 s28, 0
	s_addc_u32 s11, s11, s35
	v_readfirstlane_b32 s28, v1
	s_mul_i32 s35, s29, s11
	s_delay_alu instid0(VALU_DEP_1)
	s_mul_hi_u32 s36, s29, s28
	s_mul_i32 s34, s34, s28
	s_add_i32 s35, s36, s35
	s_mul_i32 s29, s29, s28
	s_add_i32 s35, s35, s34
	s_mul_hi_u32 s36, s11, s29
	s_mul_i32 s37, s11, s29
	s_mul_hi_u32 s29, s28, s29
	s_mul_hi_u32 s38, s28, s35
	s_mul_i32 s28, s28, s35
	s_mul_hi_u32 s34, s11, s35
	s_add_u32 s28, s29, s28
	s_addc_u32 s29, 0, s38
	s_add_u32 s28, s28, s37
	s_mul_i32 s35, s11, s35
	s_addc_u32 s28, s29, s36
	s_addc_u32 s29, s34, 0
	s_add_u32 s28, s28, s35
	s_addc_u32 s29, 0, s29
	v_add_co_u32 v1, s28, v1, s28
	s_delay_alu instid0(VALU_DEP_1) | instskip(SKIP_1) | instid1(VALU_DEP_1)
	s_cmp_lg_u32 s28, 0
	s_addc_u32 s11, s11, s29
	v_readfirstlane_b32 s28, v1
	s_mul_i32 s34, s14, s11
	s_mul_hi_u32 s29, s14, s11
	s_mul_hi_u32 s35, s15, s11
	s_mul_i32 s11, s15, s11
	s_mul_hi_u32 s36, s14, s28
	s_mul_hi_u32 s37, s15, s28
	s_mul_i32 s28, s15, s28
	s_add_u32 s34, s36, s34
	s_addc_u32 s29, 0, s29
	s_add_u32 s28, s34, s28
	s_addc_u32 s28, s29, s37
	s_addc_u32 s29, s35, 0
	s_add_u32 s28, s28, s11
	s_addc_u32 s29, 0, s29
	s_mul_hi_u32 s11, s30, s28
	s_mul_i32 s35, s30, s29
	s_mul_i32 s36, s30, s28
	s_add_i32 s11, s11, s35
	v_sub_co_u32 v1, s35, s14, s36
	s_mul_i32 s34, s31, s28
	s_delay_alu instid0(SALU_CYCLE_1) | instskip(NEXT) | instid1(VALU_DEP_1)
	s_add_i32 s11, s11, s34
	v_sub_co_u32 v2, s36, v1, s30
	s_sub_i32 s34, s15, s11
	s_cmp_lg_u32 s35, 0
	s_subb_u32 s34, s34, s31
	s_cmp_lg_u32 s36, 0
	v_readfirstlane_b32 s36, v2
	s_subb_u32 s34, s34, 0
	s_delay_alu instid0(SALU_CYCLE_1) | instskip(SKIP_1) | instid1(VALU_DEP_1)
	s_cmp_ge_u32 s34, s31
	s_cselect_b32 s37, -1, 0
	s_cmp_ge_u32 s36, s30
	s_cselect_b32 s36, -1, 0
	s_cmp_eq_u32 s34, s31
	s_cselect_b32 s34, s36, s37
	s_add_u32 s36, s28, 1
	s_addc_u32 s37, s29, 0
	s_add_u32 s38, s28, 2
	s_addc_u32 s39, s29, 0
	s_cmp_lg_u32 s34, 0
	s_cselect_b32 s34, s38, s36
	s_cselect_b32 s36, s39, s37
	s_cmp_lg_u32 s35, 0
	v_readfirstlane_b32 s35, v1
	s_subb_u32 s11, s15, s11
	s_delay_alu instid0(SALU_CYCLE_1) | instskip(SKIP_1) | instid1(VALU_DEP_1)
	s_cmp_ge_u32 s11, s31
	s_cselect_b32 s37, -1, 0
	s_cmp_ge_u32 s35, s30
	s_cselect_b32 s35, -1, 0
	s_cmp_eq_u32 s11, s31
	s_cselect_b32 s11, s35, s37
	s_delay_alu instid0(SALU_CYCLE_1)
	s_cmp_lg_u32 s11, 0
	s_mov_b32 s11, 0
	s_cselect_b32 s29, s36, s29
	s_cselect_b32 s28, s34, s28
.LBB140_15:                             ;   in Loop: Header=BB140_13 Depth=1
	s_and_not1_b32 vcc_lo, exec_lo, s11
	s_cbranch_vccnz .LBB140_17
; %bb.16:                               ;   in Loop: Header=BB140_13 Depth=1
	v_cvt_f32_u32_e32 v1, s30
	s_sub_i32 s28, 0, s30
	s_waitcnt_depctr 0xfff
	v_rcp_iflag_f32_e32 v1, v1
	s_waitcnt_depctr 0xfff
	v_mul_f32_e32 v1, 0x4f7ffffe, v1
	s_delay_alu instid0(VALU_DEP_1) | instskip(NEXT) | instid1(VALU_DEP_1)
	v_cvt_u32_f32_e32 v1, v1
	v_readfirstlane_b32 s11, v1
	s_delay_alu instid0(VALU_DEP_1) | instskip(NEXT) | instid1(SALU_CYCLE_1)
	s_mul_i32 s28, s28, s11
	s_mul_hi_u32 s28, s11, s28
	s_delay_alu instid0(SALU_CYCLE_1) | instskip(NEXT) | instid1(SALU_CYCLE_1)
	s_add_i32 s11, s11, s28
	s_mul_hi_u32 s11, s14, s11
	s_delay_alu instid0(SALU_CYCLE_1) | instskip(SKIP_2) | instid1(SALU_CYCLE_1)
	s_mul_i32 s28, s11, s30
	s_add_i32 s29, s11, 1
	s_sub_i32 s28, s14, s28
	s_sub_i32 s34, s28, s30
	s_cmp_ge_u32 s28, s30
	s_cselect_b32 s11, s29, s11
	s_cselect_b32 s28, s34, s28
	s_add_i32 s29, s11, 1
	s_cmp_ge_u32 s28, s30
	s_cselect_b32 s28, s29, s11
	s_mov_b32 s29, s10
.LBB140_17:                             ;   in Loop: Header=BB140_13 Depth=1
	s_load_b64 s[34:35], s[12:13], 0xc8
	s_mul_i32 s11, s28, s31
	s_mul_hi_u32 s31, s28, s30
	s_mul_i32 s36, s29, s30
	s_add_i32 s11, s31, s11
	s_mul_i32 s30, s28, s30
	s_add_i32 s11, s11, s36
	s_sub_u32 s14, s14, s30
	s_subb_u32 s11, s15, s11
	s_waitcnt lgkmcnt(0)
	s_mul_i32 s11, s34, s11
	s_mul_hi_u32 s15, s34, s14
	s_mul_i32 s30, s35, s14
	s_add_i32 s11, s15, s11
	s_mul_i32 s14, s34, s14
	s_add_i32 s11, s11, s30
	s_add_u32 s24, s14, s24
	s_addc_u32 s25, s11, s25
	s_add_i32 s21, s21, -1
	s_add_u32 s12, s12, -8
	s_addc_u32 s13, s13, -1
	s_cmp_gt_u32 s21, 2
	s_cbranch_scc0 .LBB140_19
; %bb.18:                               ;   in Loop: Header=BB140_13 Depth=1
	s_mov_b64 s[14:15], s[28:29]
	s_branch .LBB140_13
.LBB140_19:
	s_clause 0x1
	s_load_b32 s11, s[0:1], 0x500
	s_load_b64 s[34:35], s[8:9], 0xd0
	s_add_u32 s9, s0, 0x368
	s_addc_u32 s10, s1, 0
	s_mov_b64 s[30:31], 0
	s_waitcnt lgkmcnt(0)
	s_cmp_lt_i32 s11, 2
	s_cbranch_scc1 .LBB140_27
; %bb.20:
	s_mov_b32 s8, 0
	s_add_i32 s12, s11, -1
	s_mov_b32 s13, s8
	s_add_i32 s21, s11, 1
	s_lshl_b64 s[12:13], s[12:13], 3
	s_delay_alu instid0(SALU_CYCLE_1)
	s_add_u32 s9, s12, s9
	s_addc_u32 s11, s13, s10
	s_add_u32 s10, s9, 8
	s_addc_u32 s11, s11, 0
	s_mov_b64 s[12:13], s[2:3]
.LBB140_21:                             ; =>This Inner Loop Header: Depth=1
	s_load_b64 s[14:15], s[10:11], 0x0
	s_mov_b32 s3, -1
	s_waitcnt lgkmcnt(0)
	s_or_b64 s[36:37], s[12:13], s[14:15]
	s_delay_alu instid0(SALU_CYCLE_1) | instskip(NEXT) | instid1(SALU_CYCLE_1)
	s_mov_b32 s9, s37
                                        ; implicit-def: $sgpr36_sgpr37
	s_cmp_lg_u64 s[8:9], 0
	s_cbranch_scc0 .LBB140_23
; %bb.22:                               ;   in Loop: Header=BB140_21 Depth=1
	v_cvt_f32_u32_e32 v1, s14
	v_cvt_f32_u32_e32 v2, s15
	s_sub_u32 s36, 0, s14
	s_subb_u32 s37, 0, s15
	s_waitcnt_depctr 0xfff
	v_fmac_f32_e32 v1, 0x4f800000, v2
	s_delay_alu instid0(VALU_DEP_1) | instskip(SKIP_2) | instid1(VALU_DEP_1)
	v_rcp_f32_e32 v1, v1
	s_waitcnt_depctr 0xfff
	v_mul_f32_e32 v1, 0x5f7ffffc, v1
	v_mul_f32_e32 v2, 0x2f800000, v1
	s_delay_alu instid0(VALU_DEP_1) | instskip(NEXT) | instid1(VALU_DEP_1)
	v_trunc_f32_e32 v2, v2
	v_fmac_f32_e32 v1, 0xcf800000, v2
	v_cvt_u32_f32_e32 v2, v2
	s_delay_alu instid0(VALU_DEP_2) | instskip(NEXT) | instid1(VALU_DEP_2)
	v_cvt_u32_f32_e32 v1, v1
	v_readfirstlane_b32 s3, v2
	s_delay_alu instid0(VALU_DEP_2) | instskip(NEXT) | instid1(VALU_DEP_2)
	v_readfirstlane_b32 s9, v1
	s_mul_i32 s38, s36, s3
	s_delay_alu instid0(VALU_DEP_1)
	s_mul_hi_u32 s40, s36, s9
	s_mul_i32 s39, s37, s9
	s_add_i32 s38, s40, s38
	s_mul_i32 s41, s36, s9
	s_add_i32 s38, s38, s39
	s_mul_hi_u32 s40, s9, s41
	s_mul_hi_u32 s42, s3, s41
	s_mul_i32 s39, s3, s41
	s_mul_hi_u32 s41, s9, s38
	s_mul_i32 s9, s9, s38
	s_mul_hi_u32 s43, s3, s38
	s_add_u32 s9, s40, s9
	s_addc_u32 s40, 0, s41
	s_add_u32 s9, s9, s39
	s_mul_i32 s38, s3, s38
	s_addc_u32 s9, s40, s42
	s_addc_u32 s39, s43, 0
	s_add_u32 s9, s9, s38
	s_addc_u32 s38, 0, s39
	v_add_co_u32 v1, s9, v1, s9
	s_delay_alu instid0(VALU_DEP_1) | instskip(SKIP_1) | instid1(VALU_DEP_1)
	s_cmp_lg_u32 s9, 0
	s_addc_u32 s3, s3, s38
	v_readfirstlane_b32 s9, v1
	s_mul_i32 s38, s36, s3
	s_delay_alu instid0(VALU_DEP_1)
	s_mul_hi_u32 s39, s36, s9
	s_mul_i32 s37, s37, s9
	s_add_i32 s38, s39, s38
	s_mul_i32 s36, s36, s9
	s_add_i32 s38, s38, s37
	s_mul_hi_u32 s39, s3, s36
	s_mul_i32 s40, s3, s36
	s_mul_hi_u32 s36, s9, s36
	s_mul_hi_u32 s41, s9, s38
	s_mul_i32 s9, s9, s38
	s_mul_hi_u32 s37, s3, s38
	s_add_u32 s9, s36, s9
	s_addc_u32 s36, 0, s41
	s_add_u32 s9, s9, s40
	s_mul_i32 s38, s3, s38
	s_addc_u32 s9, s36, s39
	s_addc_u32 s36, s37, 0
	s_add_u32 s9, s9, s38
	s_addc_u32 s36, 0, s36
	v_add_co_u32 v1, s9, v1, s9
	s_delay_alu instid0(VALU_DEP_1) | instskip(SKIP_1) | instid1(VALU_DEP_1)
	s_cmp_lg_u32 s9, 0
	s_addc_u32 s3, s3, s36
	v_readfirstlane_b32 s9, v1
	s_mul_i32 s37, s12, s3
	s_mul_hi_u32 s36, s12, s3
	s_mul_hi_u32 s38, s13, s3
	s_mul_i32 s3, s13, s3
	s_mul_hi_u32 s39, s12, s9
	s_mul_hi_u32 s40, s13, s9
	s_mul_i32 s9, s13, s9
	s_add_u32 s37, s39, s37
	s_addc_u32 s36, 0, s36
	s_add_u32 s9, s37, s9
	s_addc_u32 s9, s36, s40
	s_addc_u32 s36, s38, 0
	s_add_u32 s9, s9, s3
	s_addc_u32 s36, 0, s36
	s_mul_hi_u32 s3, s14, s9
	s_mul_i32 s38, s14, s36
	s_mul_i32 s39, s14, s9
	s_add_i32 s3, s3, s38
	v_sub_co_u32 v1, s38, s12, s39
	s_mul_i32 s37, s15, s9
	s_delay_alu instid0(SALU_CYCLE_1) | instskip(NEXT) | instid1(VALU_DEP_1)
	s_add_i32 s3, s3, s37
	v_sub_co_u32 v2, s39, v1, s14
	s_sub_i32 s37, s13, s3
	s_cmp_lg_u32 s38, 0
	s_subb_u32 s37, s37, s15
	s_cmp_lg_u32 s39, 0
	v_readfirstlane_b32 s39, v2
	s_subb_u32 s37, s37, 0
	s_delay_alu instid0(SALU_CYCLE_1) | instskip(SKIP_1) | instid1(VALU_DEP_1)
	s_cmp_ge_u32 s37, s15
	s_cselect_b32 s40, -1, 0
	s_cmp_ge_u32 s39, s14
	s_cselect_b32 s39, -1, 0
	s_cmp_eq_u32 s37, s15
	s_cselect_b32 s37, s39, s40
	s_add_u32 s39, s9, 1
	s_addc_u32 s40, s36, 0
	s_add_u32 s41, s9, 2
	s_addc_u32 s42, s36, 0
	s_cmp_lg_u32 s37, 0
	s_cselect_b32 s39, s41, s39
	s_cselect_b32 s37, s42, s40
	s_cmp_lg_u32 s38, 0
	v_readfirstlane_b32 s38, v1
	s_subb_u32 s3, s13, s3
	s_delay_alu instid0(SALU_CYCLE_1) | instskip(SKIP_1) | instid1(VALU_DEP_1)
	s_cmp_ge_u32 s3, s15
	s_cselect_b32 s40, -1, 0
	s_cmp_ge_u32 s38, s14
	s_cselect_b32 s38, -1, 0
	s_cmp_eq_u32 s3, s15
	s_cselect_b32 s3, s38, s40
	s_delay_alu instid0(SALU_CYCLE_1)
	s_cmp_lg_u32 s3, 0
	s_mov_b32 s3, 0
	s_cselect_b32 s37, s37, s36
	s_cselect_b32 s36, s39, s9
.LBB140_23:                             ;   in Loop: Header=BB140_21 Depth=1
	s_and_not1_b32 vcc_lo, exec_lo, s3
	s_cbranch_vccnz .LBB140_25
; %bb.24:                               ;   in Loop: Header=BB140_21 Depth=1
	v_cvt_f32_u32_e32 v1, s14
	s_sub_i32 s9, 0, s14
	s_waitcnt_depctr 0xfff
	v_rcp_iflag_f32_e32 v1, v1
	s_waitcnt_depctr 0xfff
	v_mul_f32_e32 v1, 0x4f7ffffe, v1
	s_delay_alu instid0(VALU_DEP_1) | instskip(NEXT) | instid1(VALU_DEP_1)
	v_cvt_u32_f32_e32 v1, v1
	v_readfirstlane_b32 s3, v1
	s_delay_alu instid0(VALU_DEP_1) | instskip(NEXT) | instid1(SALU_CYCLE_1)
	s_mul_i32 s9, s9, s3
	s_mul_hi_u32 s9, s3, s9
	s_delay_alu instid0(SALU_CYCLE_1) | instskip(NEXT) | instid1(SALU_CYCLE_1)
	s_add_i32 s3, s3, s9
	s_mul_hi_u32 s3, s12, s3
	s_delay_alu instid0(SALU_CYCLE_1) | instskip(SKIP_2) | instid1(SALU_CYCLE_1)
	s_mul_i32 s9, s3, s14
	s_add_i32 s36, s3, 1
	s_sub_i32 s9, s12, s9
	s_sub_i32 s37, s9, s14
	s_cmp_ge_u32 s9, s14
	s_cselect_b32 s3, s36, s3
	s_cselect_b32 s9, s37, s9
	s_add_i32 s36, s3, 1
	s_cmp_ge_u32 s9, s14
	s_mov_b32 s37, s8
	s_cselect_b32 s36, s36, s3
.LBB140_25:                             ;   in Loop: Header=BB140_21 Depth=1
	s_load_b64 s[38:39], s[10:11], 0xc8
	s_mul_i32 s3, s36, s15
	s_mul_hi_u32 s9, s36, s14
	s_mul_i32 s15, s37, s14
	s_add_i32 s3, s9, s3
	s_mul_i32 s9, s36, s14
	s_add_i32 s3, s3, s15
	s_sub_u32 s9, s12, s9
	s_subb_u32 s3, s13, s3
	s_waitcnt lgkmcnt(0)
	s_mul_i32 s3, s38, s3
	s_mul_hi_u32 s12, s38, s9
	s_mul_i32 s13, s39, s9
	s_add_i32 s3, s12, s3
	s_mul_i32 s9, s38, s9
	s_add_i32 s3, s3, s13
	s_add_u32 s30, s9, s30
	s_addc_u32 s31, s3, s31
	s_add_i32 s21, s21, -1
	s_add_u32 s10, s10, -8
	s_addc_u32 s11, s11, -1
	s_cmp_gt_u32 s21, 2
	s_cbranch_scc0 .LBB140_28
; %bb.26:                               ;   in Loop: Header=BB140_21 Depth=1
	s_mov_b64 s[12:13], s[36:37]
	s_branch .LBB140_21
.LBB140_27:
	s_mov_b64 s[36:37], s[2:3]
.LBB140_28:
	s_load_b128 s[8:11], s[0:1], 0x518
	v_mov_b32_e32 v1, 0
	s_mov_b32 s21, 0
	s_waitcnt lgkmcnt(0)
	s_add_u32 s2, s8, s2
	s_addc_u32 s3, s9, 0
	global_load_u8 v4, v1, s[2:3]
	s_clause 0x3
	s_load_b64 s[8:9], s[0:1], 0x0
	s_load_b64 s[40:41], s[0:1], 0x1c0
	;; [unrolled: 1-line block ×4, first 2 shown]
	v_cmp_ne_u32_e64 s2, 0, v0
	v_cmp_eq_u32_e64 s3, 0, v0
	s_delay_alu instid0(VALU_DEP_1)
	s_and_saveexec_b32 s51, s3
	s_cbranch_execz .LBB140_44
; %bb.29:
	s_load_b64 s[44:45], s[0:1], 0x528
	s_lshl_b64 s[46:47], s[20:21], 2
	s_mov_b32 s20, 0
	s_add_u32 s12, s10, s46
	s_addc_u32 s13, s11, s47
	s_mov_b32 s52, 0
	s_waitcnt lgkmcnt(0)
	s_add_u32 s14, s44, s46
	s_addc_u32 s15, s45, s47
	s_cmp_lt_u32 s17, 4
	s_cbranch_scc1 .LBB140_41
; %bb.30:
	s_mov_b32 s53, 0
.LBB140_31:                             ; =>This Inner Loop Header: Depth=1
	s_add_u32 s12, s10, s46
	s_addc_u32 s13, s11, s47
	s_add_u32 s48, s44, s46
	s_load_b128 s[12:15], s[12:13], 0x0
	s_addc_u32 s49, s45, s47
	s_cmp_ge_u32 s53, s50
	s_cbranch_scc0 .LBB140_38
; %bb.32:                               ;   in Loop: Header=BB140_31 Depth=1
	s_add_i32 s54, s53, 1
	s_delay_alu instid0(SALU_CYCLE_1)
	s_cmp_ge_u32 s54, s50
	s_cbranch_scc0 .LBB140_39
.LBB140_33:                             ;   in Loop: Header=BB140_31 Depth=1
	s_add_i32 s54, s54, 1
	s_delay_alu instid0(SALU_CYCLE_1)
	s_cmp_ge_u32 s54, s50
	s_cbranch_scc0 .LBB140_40
.LBB140_34:                             ;   in Loop: Header=BB140_31 Depth=1
	s_add_i32 s54, s54, 1
	s_delay_alu instid0(SALU_CYCLE_1)
	s_cmp_ge_u32 s54, s50
	s_cbranch_scc1 .LBB140_36
.LBB140_35:                             ;   in Loop: Header=BB140_31 Depth=1
	s_load_b32 s48, s[48:49], 0xc
	s_waitcnt lgkmcnt(0)
	s_add_i32 s21, s21, s15
	s_add_i32 s20, s48, s20
.LBB140_36:                             ;   in Loop: Header=BB140_31 Depth=1
	s_waitcnt lgkmcnt(0)
	s_add_i32 s12, s12, s52
	s_delay_alu instid0(SALU_CYCLE_1) | instskip(NEXT) | instid1(SALU_CYCLE_1)
	s_add_i32 s12, s12, s13
	s_add_i32 s12, s12, s14
	s_delay_alu instid0(SALU_CYCLE_1)
	s_add_i32 s52, s12, s15
	s_add_u32 s10, s10, 16
	s_addc_u32 s11, s11, 0
	s_add_u32 s44, s44, 16
	s_addc_u32 s45, s45, 0
	s_add_i32 s49, s54, 4
	s_add_u32 s14, s44, s46
	s_addc_u32 s15, s45, s47
	s_add_u32 s12, s10, s46
	s_addc_u32 s13, s11, s47
	s_add_i32 s48, s54, 1
	s_cmp_ge_u32 s49, s17
	s_cbranch_scc1 .LBB140_42
; %bb.37:                               ;   in Loop: Header=BB140_31 Depth=1
	s_mov_b32 s53, s48
	s_branch .LBB140_31
.LBB140_38:                             ;   in Loop: Header=BB140_31 Depth=1
	s_load_b32 s54, s[48:49], 0x0
	s_waitcnt lgkmcnt(0)
	s_add_i32 s21, s12, s21
	s_add_i32 s20, s54, s20
	;; [unrolled: 1-line block ×3, first 2 shown]
	s_delay_alu instid0(SALU_CYCLE_1)
	s_cmp_ge_u32 s54, s50
	s_cbranch_scc1 .LBB140_33
.LBB140_39:                             ;   in Loop: Header=BB140_31 Depth=1
	s_load_b32 s55, s[48:49], 0x4
	s_waitcnt lgkmcnt(0)
	s_add_i32 s21, s21, s13
	s_add_i32 s20, s55, s20
	;; [unrolled: 1-line block ×3, first 2 shown]
	s_delay_alu instid0(SALU_CYCLE_1)
	s_cmp_ge_u32 s54, s50
	s_cbranch_scc1 .LBB140_34
.LBB140_40:                             ;   in Loop: Header=BB140_31 Depth=1
	s_load_b32 s55, s[48:49], 0x8
	s_waitcnt lgkmcnt(0)
	s_add_i32 s21, s21, s14
	s_add_i32 s20, s55, s20
	;; [unrolled: 1-line block ×3, first 2 shown]
	s_delay_alu instid0(SALU_CYCLE_1)
	s_cmp_ge_u32 s54, s50
	s_cbranch_scc0 .LBB140_35
	s_branch .LBB140_36
.LBB140_41:
	s_mov_b32 s10, 0
	s_delay_alu instid0(SALU_CYCLE_1)
	s_cmp_ge_u32 s10, s17
	s_cbranch_scc0 .LBB140_65
	s_branch .LBB140_43
.LBB140_42:
	s_add_i32 s10, s53, 4
	s_delay_alu instid0(SALU_CYCLE_1)
	s_cmp_ge_u32 s10, s17
	s_cbranch_scc0 .LBB140_65
.LBB140_43:
	v_dual_mov_b32 v1, s20 :: v_dual_mov_b32 v2, s52
	v_mov_b32_e32 v3, s21
	v_mov_b32_e32 v5, 0
	ds_store_b96 v5, v[1:3] offset:1056
.LBB140_44:
	s_or_b32 exec_lo, exec_lo, s51
	s_cmp_eq_u32 s16, 0
	s_waitcnt vmcnt(0) lgkmcnt(0)
	s_barrier
	buffer_gl0_inv
	s_cbranch_scc1 .LBB140_67
; %bb.45:
	v_bfe_i32 v6, v4, 0, 8
	v_mov_b32_e32 v5, 0
	s_mul_i32 s10, s34, s29
	s_mul_hi_u32 s11, s34, s28
	s_mul_i32 s12, s35, s28
	v_add_nc_u32_e32 v8, 0x80, v6
	s_add_i32 s10, s11, s10
	ds_load_b96 v[1:3], v5 offset:1056
	s_add_i32 s10, s10, s12
	s_mul_i32 s11, s26, s23
	s_mul_hi_u32 s12, s26, s22
	s_mul_i32 s13, s42, s37
	s_add_i32 s11, s12, s11
	s_mul_i32 s12, s27, s22
	s_mul_hi_u32 s15, s42, s36
	s_add_i32 s11, s11, s12
	s_add_i32 s12, s15, s13
	s_mul_i32 s13, s43, s36
	s_mul_i32 s15, s26, s22
	s_add_i32 s13, s12, s13
	s_add_u32 s8, s8, s15
	s_addc_u32 s9, s9, s11
	s_mul_i32 s14, s34, s28
	s_add_u32 s8, s8, s18
	s_addc_u32 s9, s9, s19
	s_add_u32 s11, s40, s14
	s_mul_i32 s12, s42, s36
	s_addc_u32 s14, s41, s10
	s_add_u32 s10, s11, s24
	s_addc_u32 s11, s14, s25
	s_lshl_b64 s[12:13], s[12:13], 3
	v_lshrrev_b32_e32 v6, 5, v0
	s_add_u32 s14, s38, s12
	s_addc_u32 s15, s39, s13
	s_lshl_b64 s[12:13], s[30:31], 3
	s_waitcnt lgkmcnt(0)
	v_add_nc_u32_e32 v1, v1, v2
	s_add_u32 s17, s14, s12
	s_addc_u32 s20, s15, s13
	s_clause 0x3
	s_load_b32 s21, s[0:1], 0x1b0
	s_load_b64 s[12:13], s[0:1], 0x1b8
	s_load_b64 s[14:15], s[0:1], 0x360
	s_load_b64 s[18:19], s[0:1], 0x508
	v_add_lshl_u32 v9, v6, v0, 2
	v_mad_u64_u32 v[6:7], null, s50, s33, v[0:1]
	v_add_nc_u32_e32 v11, -1, v0
	v_lshlrev_b32_e32 v2, 3, v0
	v_lshrrev_b32_e32 v12, 2, v0
	v_mbcnt_lo_u32_b32 v10, -1, 0
	v_cmp_gt_u32_e64 s0, 32, v0
                                        ; implicit-def: $vgpr16
	s_delay_alu instid0(VALU_DEP_3)
	v_add_lshl_u32 v0, v12, v2, 2
	v_and_b32_e32 v12, 0xff, v4
	v_mov_b32_e32 v4, v6
	v_lshrrev_b32_e32 v13, 5, v11
	v_bfe_i32 v14, v10, 4, 1
	v_add_nc_u32_e32 v15, -1, v10
	s_waitcnt lgkmcnt(0)
	s_bitcmp1_b32 s21, 0
	v_add_lshl_u32 v11, v13, v11, 2
	v_and_b32_e32 v13, 15, v10
	s_cselect_b32 s1, -1, 0
	s_branch .LBB140_48
.LBB140_46:                             ;   in Loop: Header=BB140_48 Depth=1
	s_or_b32 exec_lo, exec_lo, s21
	v_add_nc_u32_e32 v1, v2, v1
.LBB140_47:                             ;   in Loop: Header=BB140_48 Depth=1
	v_add_nc_u32_e32 v3, v17, v3
	v_add_nc_u32_e32 v4, 0x100, v4
	s_add_i32 s16, s16, -1
	s_delay_alu instid0(SALU_CYCLE_1)
	s_cmp_lg_u32 s16, 0
	s_cbranch_scc0 .LBB140_67
.LBB140_48:                             ; =>This Inner Loop Header: Depth=1
	v_mov_b32_e32 v2, v5
	v_mov_b32_e32 v6, v5
	s_mov_b32 s21, exec_lo
	v_cmpx_gt_u64_e64 s[4:5], v[4:5]
	s_cbranch_execz .LBB140_50
; %bb.49:                               ;   in Loop: Header=BB140_48 Depth=1
	v_mad_u64_u32 v[6:7], null, v4, s12, s[8:9]
	s_delay_alu instid0(VALU_DEP_1) | instskip(NEXT) | instid1(VALU_DEP_1)
	v_mov_b32_e32 v2, v7
	v_mad_u64_u32 v[16:17], null, v4, s13, v[2:3]
	s_delay_alu instid0(VALU_DEP_1) | instskip(SKIP_3) | instid1(VALU_DEP_1)
	v_mov_b32_e32 v7, v16
	global_load_u8 v16, v[6:7], off
	s_waitcnt vmcnt(0)
	v_bfe_i32 v2, v16, 0, 8
	v_add_nc_u32_e32 v2, 0x80, v2
	s_delay_alu instid0(VALU_DEP_1) | instskip(SKIP_4) | instid1(VALU_DEP_2)
	v_cmp_gt_u32_e32 vcc_lo, v2, v8
	v_cndmask_b32_e64 v6, 0, 1, vcc_lo
	v_cmp_lt_u32_e32 vcc_lo, v2, v8
	v_cndmask_b32_e64 v2, 0, 1, vcc_lo
	v_cmp_eq_u16_e32 vcc_lo, v16, v12
	v_cndmask_b32_e64 v2, v2, v6, s1
	v_cndmask_b32_e64 v6, 0, 1, vcc_lo
	s_delay_alu instid0(VALU_DEP_2)
	v_and_b32_e32 v2, 1, v2
.LBB140_50:                             ;   in Loop: Header=BB140_48 Depth=1
	s_or_b32 exec_lo, exec_lo, s21
	ds_store_b32 v9, v2
	s_waitcnt lgkmcnt(0)
	s_waitcnt_vscnt null, 0x0
	s_barrier
	buffer_gl0_inv
	s_and_saveexec_b32 s21, s0
	s_cbranch_execz .LBB140_52
; %bb.51:                               ;   in Loop: Header=BB140_48 Depth=1
	ds_load_2addr_b32 v[17:18], v0 offset1:1
	ds_load_2addr_b32 v[19:20], v0 offset0:2 offset1:3
	ds_load_2addr_b32 v[21:22], v0 offset0:4 offset1:5
	;; [unrolled: 1-line block ×3, first 2 shown]
	v_cmp_ne_u32_e32 vcc_lo, 0, v13
	; wave barrier
	s_waitcnt lgkmcnt(3)
	v_add_nc_u32_e32 v7, v18, v17
	s_waitcnt lgkmcnt(2)
	s_delay_alu instid0(VALU_DEP_1) | instskip(SKIP_1) | instid1(VALU_DEP_1)
	v_add3_u32 v7, v7, v19, v20
	s_waitcnt lgkmcnt(1)
	v_add3_u32 v7, v7, v21, v22
	s_waitcnt lgkmcnt(0)
	s_delay_alu instid0(VALU_DEP_1) | instskip(NEXT) | instid1(VALU_DEP_1)
	v_add3_u32 v7, v7, v23, v24
	v_mov_b32_dpp v18, v7 row_shr:1 row_mask:0xf bank_mask:0xf
	s_delay_alu instid0(VALU_DEP_1) | instskip(SKIP_1) | instid1(VALU_DEP_2)
	v_cndmask_b32_e32 v18, 0, v18, vcc_lo
	v_cmp_lt_u32_e32 vcc_lo, 1, v13
	v_add_nc_u32_e32 v7, v18, v7
	s_delay_alu instid0(VALU_DEP_1) | instskip(NEXT) | instid1(VALU_DEP_1)
	v_mov_b32_dpp v18, v7 row_shr:2 row_mask:0xf bank_mask:0xf
	v_cndmask_b32_e32 v18, 0, v18, vcc_lo
	v_cmp_lt_u32_e32 vcc_lo, 3, v13
	s_delay_alu instid0(VALU_DEP_2) | instskip(NEXT) | instid1(VALU_DEP_1)
	v_add_nc_u32_e32 v7, v7, v18
	v_mov_b32_dpp v18, v7 row_shr:4 row_mask:0xf bank_mask:0xf
	s_delay_alu instid0(VALU_DEP_1) | instskip(SKIP_1) | instid1(VALU_DEP_2)
	v_cndmask_b32_e32 v18, 0, v18, vcc_lo
	v_cmp_lt_u32_e32 vcc_lo, 7, v13
	v_add_nc_u32_e32 v7, v7, v18
	s_delay_alu instid0(VALU_DEP_1) | instskip(NEXT) | instid1(VALU_DEP_1)
	v_mov_b32_dpp v18, v7 row_shr:8 row_mask:0xf bank_mask:0xf
	v_cndmask_b32_e32 v18, 0, v18, vcc_lo
	v_cmp_gt_i32_e32 vcc_lo, 0, v15
	s_delay_alu instid0(VALU_DEP_2)
	v_add_nc_u32_e32 v7, v7, v18
	v_cndmask_b32_e32 v19, v15, v10, vcc_lo
	ds_swizzle_b32 v18, v7 offset:swizzle(BROADCAST,32,15)
	v_lshlrev_b32_e32 v19, 2, v19
	s_waitcnt lgkmcnt(0)
	v_and_b32_e32 v18, v14, v18
	s_delay_alu instid0(VALU_DEP_1) | instskip(SKIP_3) | instid1(VALU_DEP_1)
	v_add_nc_u32_e32 v7, v7, v18
	ds_bpermute_b32 v7, v19, v7
	s_waitcnt lgkmcnt(0)
	v_add_nc_u32_e32 v7, v7, v17
	v_cndmask_b32_e64 v7, v7, v2, s3
	ds_store_b32 v0, v7
	; wave barrier
	ds_load_2addr_b32 v[17:18], v0 offset0:1 offset1:2
	ds_load_2addr_b32 v[19:20], v0 offset0:3 offset1:4
	ds_load_2addr_b32 v[21:22], v0 offset0:5 offset1:6
	ds_load_b32 v23, v0 offset:28
	s_waitcnt lgkmcnt(3)
	v_add_nc_u32_e32 v7, v17, v7
	s_delay_alu instid0(VALU_DEP_1) | instskip(SKIP_1) | instid1(VALU_DEP_1)
	v_add_nc_u32_e32 v17, v18, v7
	s_waitcnt lgkmcnt(2)
	v_add_nc_u32_e32 v18, v19, v17
	s_delay_alu instid0(VALU_DEP_1) | instskip(SKIP_1) | instid1(VALU_DEP_1)
	v_add_nc_u32_e32 v19, v20, v18
	;; [unrolled: 4-line block ×3, first 2 shown]
	s_waitcnt lgkmcnt(0)
	v_add_nc_u32_e32 v22, v23, v21
	ds_store_2addr_b32 v0, v7, v17 offset0:1 offset1:2
	ds_store_2addr_b32 v0, v18, v19 offset0:3 offset1:4
	;; [unrolled: 1-line block ×3, first 2 shown]
	ds_store_b32 v0, v22 offset:28
.LBB140_52:                             ;   in Loop: Header=BB140_48 Depth=1
	s_or_b32 exec_lo, exec_lo, s21
	v_mov_b32_e32 v7, 0
	s_waitcnt lgkmcnt(0)
	s_barrier
	buffer_gl0_inv
	s_and_saveexec_b32 s21, s2
	s_cbranch_execz .LBB140_54
; %bb.53:                               ;   in Loop: Header=BB140_48 Depth=1
	ds_load_b32 v7, v11
.LBB140_54:                             ;   in Loop: Header=BB140_48 Depth=1
	s_or_b32 exec_lo, exec_lo, s21
	ds_load_b32 v17, v5 offset:1048
	s_mov_b32 s21, exec_lo
	s_waitcnt lgkmcnt(0)
	s_barrier
	buffer_gl0_inv
	v_cmpx_ne_u32_e32 0, v2
	s_cbranch_execz .LBB140_56
; %bb.55:                               ;   in Loop: Header=BB140_48 Depth=1
	v_add_nc_u32_e32 v7, v7, v3
	s_delay_alu instid0(VALU_DEP_1) | instskip(SKIP_1) | instid1(VALU_DEP_2)
	v_mad_u64_u32 v[18:19], null, v7, s18, 0
	v_mad_u64_u32 v[20:21], null, v7, s14, s[10:11]
	v_mov_b32_e32 v2, v19
	s_delay_alu instid0(VALU_DEP_1) | instskip(NEXT) | instid1(VALU_DEP_1)
	v_mad_u64_u32 v[22:23], null, v7, s19, v[2:3]
	v_dual_mov_b32 v2, v21 :: v_dual_mov_b32 v19, v22
	s_delay_alu instid0(VALU_DEP_1) | instskip(NEXT) | instid1(VALU_DEP_2)
	v_mad_u64_u32 v[21:22], null, v7, s15, v[2:3]
	v_lshlrev_b64 v[18:19], 3, v[18:19]
	s_delay_alu instid0(VALU_DEP_1) | instskip(NEXT) | instid1(VALU_DEP_2)
	v_add_co_u32 v18, vcc_lo, s17, v18
	v_add_co_ci_u32_e32 v19, vcc_lo, s20, v19, vcc_lo
	global_store_b8 v[20:21], v16, off
	global_store_b64 v[18:19], v[4:5], off
.LBB140_56:                             ;   in Loop: Header=BB140_48 Depth=1
	s_or_b32 exec_lo, exec_lo, s21
	v_mov_b32_e32 v2, v5
	s_delay_alu instid0(VALU_DEP_1)
	v_cmp_le_u64_e32 vcc_lo, s[6:7], v[1:2]
	s_cbranch_vccnz .LBB140_47
; %bb.57:                               ;   in Loop: Header=BB140_48 Depth=1
	ds_store_b32 v9, v6
	s_waitcnt lgkmcnt(0)
	s_waitcnt_vscnt null, 0x0
	s_barrier
	buffer_gl0_inv
	s_and_saveexec_b32 s21, s0
	s_cbranch_execz .LBB140_59
; %bb.58:                               ;   in Loop: Header=BB140_48 Depth=1
	ds_load_2addr_b32 v[18:19], v0 offset1:1
	ds_load_2addr_b32 v[20:21], v0 offset0:2 offset1:3
	ds_load_2addr_b32 v[22:23], v0 offset0:4 offset1:5
	;; [unrolled: 1-line block ×3, first 2 shown]
	v_cmp_ne_u32_e32 vcc_lo, 0, v13
	; wave barrier
	s_waitcnt lgkmcnt(3)
	v_add_nc_u32_e32 v2, v19, v18
	s_waitcnt lgkmcnt(2)
	s_delay_alu instid0(VALU_DEP_1) | instskip(SKIP_1) | instid1(VALU_DEP_1)
	v_add3_u32 v2, v2, v20, v21
	s_waitcnt lgkmcnt(1)
	v_add3_u32 v2, v2, v22, v23
	s_waitcnt lgkmcnt(0)
	s_delay_alu instid0(VALU_DEP_1) | instskip(NEXT) | instid1(VALU_DEP_1)
	v_add3_u32 v2, v2, v24, v25
	v_mov_b32_dpp v7, v2 row_shr:1 row_mask:0xf bank_mask:0xf
	s_delay_alu instid0(VALU_DEP_1) | instskip(SKIP_1) | instid1(VALU_DEP_2)
	v_cndmask_b32_e32 v7, 0, v7, vcc_lo
	v_cmp_lt_u32_e32 vcc_lo, 1, v13
	v_add_nc_u32_e32 v2, v7, v2
	s_delay_alu instid0(VALU_DEP_1) | instskip(NEXT) | instid1(VALU_DEP_1)
	v_mov_b32_dpp v7, v2 row_shr:2 row_mask:0xf bank_mask:0xf
	v_cndmask_b32_e32 v7, 0, v7, vcc_lo
	v_cmp_lt_u32_e32 vcc_lo, 3, v13
	s_delay_alu instid0(VALU_DEP_2) | instskip(NEXT) | instid1(VALU_DEP_1)
	v_add_nc_u32_e32 v2, v2, v7
	v_mov_b32_dpp v7, v2 row_shr:4 row_mask:0xf bank_mask:0xf
	s_delay_alu instid0(VALU_DEP_1) | instskip(SKIP_1) | instid1(VALU_DEP_2)
	v_cndmask_b32_e32 v7, 0, v7, vcc_lo
	v_cmp_lt_u32_e32 vcc_lo, 7, v13
	v_add_nc_u32_e32 v2, v2, v7
	s_delay_alu instid0(VALU_DEP_1) | instskip(NEXT) | instid1(VALU_DEP_1)
	v_mov_b32_dpp v7, v2 row_shr:8 row_mask:0xf bank_mask:0xf
	v_cndmask_b32_e32 v7, 0, v7, vcc_lo
	v_cmp_gt_i32_e32 vcc_lo, 0, v15
	s_delay_alu instid0(VALU_DEP_2) | instskip(SKIP_4) | instid1(VALU_DEP_1)
	v_dual_cndmask_b32 v19, v15, v10 :: v_dual_add_nc_u32 v2, v2, v7
	ds_swizzle_b32 v7, v2 offset:swizzle(BROADCAST,32,15)
	v_lshlrev_b32_e32 v19, 2, v19
	s_waitcnt lgkmcnt(0)
	v_and_b32_e32 v7, v14, v7
	v_add_nc_u32_e32 v2, v2, v7
	ds_bpermute_b32 v2, v19, v2
	s_waitcnt lgkmcnt(0)
	v_add_nc_u32_e32 v2, v2, v18
	s_delay_alu instid0(VALU_DEP_1)
	v_cndmask_b32_e64 v2, v2, v6, s3
	ds_store_b32 v0, v2
	; wave barrier
	ds_load_2addr_b32 v[18:19], v0 offset0:1 offset1:2
	ds_load_2addr_b32 v[20:21], v0 offset0:3 offset1:4
	;; [unrolled: 1-line block ×3, first 2 shown]
	ds_load_b32 v7, v0 offset:28
	s_waitcnt lgkmcnt(3)
	v_add_nc_u32_e32 v2, v18, v2
	s_delay_alu instid0(VALU_DEP_1) | instskip(SKIP_1) | instid1(VALU_DEP_1)
	v_add_nc_u32_e32 v18, v19, v2
	s_waitcnt lgkmcnt(2)
	v_add_nc_u32_e32 v19, v20, v18
	s_delay_alu instid0(VALU_DEP_1) | instskip(SKIP_1) | instid1(VALU_DEP_1)
	v_add_nc_u32_e32 v20, v21, v19
	;; [unrolled: 4-line block ×3, first 2 shown]
	s_waitcnt lgkmcnt(0)
	v_add_nc_u32_e32 v7, v7, v22
	ds_store_2addr_b32 v0, v2, v18 offset0:1 offset1:2
	ds_store_2addr_b32 v0, v19, v20 offset0:3 offset1:4
	;; [unrolled: 1-line block ×3, first 2 shown]
	ds_store_b32 v0, v7 offset:28
.LBB140_59:                             ;   in Loop: Header=BB140_48 Depth=1
	s_or_b32 exec_lo, exec_lo, s21
	v_mov_b32_e32 v7, 0
	s_waitcnt lgkmcnt(0)
	s_barrier
	buffer_gl0_inv
	s_and_saveexec_b32 s21, s2
	s_cbranch_execz .LBB140_61
; %bb.60:                               ;   in Loop: Header=BB140_48 Depth=1
	ds_load_b32 v7, v11
.LBB140_61:                             ;   in Loop: Header=BB140_48 Depth=1
	s_or_b32 exec_lo, exec_lo, s21
	ds_load_b32 v2, v5 offset:1048
	s_mov_b32 s21, exec_lo
	s_waitcnt lgkmcnt(0)
	s_barrier
	buffer_gl0_inv
	v_cmpx_ne_u32_e32 0, v6
	s_cbranch_execz .LBB140_46
; %bb.62:                               ;   in Loop: Header=BB140_48 Depth=1
	v_dual_mov_b32 v7, v5 :: v_dual_add_nc_u32 v6, v7, v1
	s_delay_alu instid0(VALU_DEP_1)
	v_cmp_gt_u64_e32 vcc_lo, s[6:7], v[6:7]
	s_and_b32 exec_lo, exec_lo, vcc_lo
	s_cbranch_execz .LBB140_46
; %bb.63:                               ;   in Loop: Header=BB140_48 Depth=1
	v_mad_u64_u32 v[18:19], null, v6, s18, 0
	v_mad_u64_u32 v[20:21], null, v6, s14, s[10:11]
	s_delay_alu instid0(VALU_DEP_2) | instskip(NEXT) | instid1(VALU_DEP_1)
	v_mov_b32_e32 v7, v19
	v_mad_u64_u32 v[22:23], null, v6, s19, v[7:8]
	s_delay_alu instid0(VALU_DEP_3) | instskip(NEXT) | instid1(VALU_DEP_2)
	v_mov_b32_e32 v7, v21
	v_mov_b32_e32 v19, v22
	s_delay_alu instid0(VALU_DEP_2) | instskip(NEXT) | instid1(VALU_DEP_2)
	v_mad_u64_u32 v[21:22], null, v6, s15, v[7:8]
	v_lshlrev_b64 v[6:7], 3, v[18:19]
	s_delay_alu instid0(VALU_DEP_1) | instskip(NEXT) | instid1(VALU_DEP_2)
	v_add_co_u32 v6, vcc_lo, s17, v6
	v_add_co_ci_u32_e32 v7, vcc_lo, s20, v7, vcc_lo
	global_store_b8 v[20:21], v16, off
	global_store_b64 v[6:7], v[4:5], off
	s_branch .LBB140_46
	.p2align	6
.LBB140_64:                             ;   in Loop: Header=BB140_65 Depth=1
	s_add_u32 s12, s12, 4
	s_addc_u32 s13, s13, 0
	s_waitcnt lgkmcnt(0)
	s_add_i32 s52, s11, s52
	s_add_u32 s14, s14, 4
	s_addc_u32 s15, s15, 0
	s_add_i32 s10, s10, 1
	s_delay_alu instid0(SALU_CYCLE_1)
	s_cmp_lt_u32 s10, s17
	s_cbranch_scc0 .LBB140_43
.LBB140_65:                             ; =>This Inner Loop Header: Depth=1
	s_load_b32 s11, s[12:13], 0x0
	s_cmp_ge_u32 s10, s50
	s_cbranch_scc1 .LBB140_64
; %bb.66:                               ;   in Loop: Header=BB140_65 Depth=1
	s_load_b32 s44, s[14:15], 0x0
	s_waitcnt lgkmcnt(0)
	s_add_i32 s21, s11, s21
	s_add_i32 s20, s44, s20
	s_branch .LBB140_64
.LBB140_67:
	s_nop 0
	s_sendmsg sendmsg(MSG_DEALLOC_VGPRS)
	s_endpgm
	.section	.rodata,"a",@progbits
	.p2align	6, 0x0
	.amdhsa_kernel _ZN2at6native6mbtopk10gatherTopKIamLin1EEEvNS_4cuda6detail10TensorInfoIKT_T0_EES8_S8_bjS8_NS5_IS6_S8_EES8_NS5_IlS8_EES8_jjPS6_PjSD_j
		.amdhsa_group_segment_fixed_size 1068
		.amdhsa_private_segment_fixed_size 0
		.amdhsa_kernarg_size 1592
		.amdhsa_user_sgpr_count 13
		.amdhsa_user_sgpr_dispatch_ptr 0
		.amdhsa_user_sgpr_queue_ptr 0
		.amdhsa_user_sgpr_kernarg_segment_ptr 1
		.amdhsa_user_sgpr_dispatch_id 0
		.amdhsa_user_sgpr_private_segment_size 0
		.amdhsa_wavefront_size32 1
		.amdhsa_uses_dynamic_stack 0
		.amdhsa_enable_private_segment 0
		.amdhsa_system_sgpr_workgroup_id_x 1
		.amdhsa_system_sgpr_workgroup_id_y 1
		.amdhsa_system_sgpr_workgroup_id_z 1
		.amdhsa_system_sgpr_workgroup_info 0
		.amdhsa_system_vgpr_workitem_id 0
		.amdhsa_next_free_vgpr 26
		.amdhsa_next_free_sgpr 56
		.amdhsa_reserve_vcc 1
		.amdhsa_float_round_mode_32 0
		.amdhsa_float_round_mode_16_64 0
		.amdhsa_float_denorm_mode_32 3
		.amdhsa_float_denorm_mode_16_64 3
		.amdhsa_dx10_clamp 1
		.amdhsa_ieee_mode 1
		.amdhsa_fp16_overflow 0
		.amdhsa_workgroup_processor_mode 1
		.amdhsa_memory_ordered 1
		.amdhsa_forward_progress 0
		.amdhsa_shared_vgpr_count 0
		.amdhsa_exception_fp_ieee_invalid_op 0
		.amdhsa_exception_fp_denorm_src 0
		.amdhsa_exception_fp_ieee_div_zero 0
		.amdhsa_exception_fp_ieee_overflow 0
		.amdhsa_exception_fp_ieee_underflow 0
		.amdhsa_exception_fp_ieee_inexact 0
		.amdhsa_exception_int_div_zero 0
	.end_amdhsa_kernel
	.section	.text._ZN2at6native6mbtopk10gatherTopKIamLin1EEEvNS_4cuda6detail10TensorInfoIKT_T0_EES8_S8_bjS8_NS5_IS6_S8_EES8_NS5_IlS8_EES8_jjPS6_PjSD_j,"axG",@progbits,_ZN2at6native6mbtopk10gatherTopKIamLin1EEEvNS_4cuda6detail10TensorInfoIKT_T0_EES8_S8_bjS8_NS5_IS6_S8_EES8_NS5_IlS8_EES8_jjPS6_PjSD_j,comdat
.Lfunc_end140:
	.size	_ZN2at6native6mbtopk10gatherTopKIamLin1EEEvNS_4cuda6detail10TensorInfoIKT_T0_EES8_S8_bjS8_NS5_IS6_S8_EES8_NS5_IlS8_EES8_jjPS6_PjSD_j, .Lfunc_end140-_ZN2at6native6mbtopk10gatherTopKIamLin1EEEvNS_4cuda6detail10TensorInfoIKT_T0_EES8_S8_bjS8_NS5_IS6_S8_EES8_NS5_IlS8_EES8_jjPS6_PjSD_j
                                        ; -- End function
	.section	.AMDGPU.csdata,"",@progbits
; Kernel info:
; codeLenInByte = 5328
; NumSgprs: 58
; NumVgprs: 26
; ScratchSize: 0
; MemoryBound: 0
; FloatMode: 240
; IeeeMode: 1
; LDSByteSize: 1068 bytes/workgroup (compile time only)
; SGPRBlocks: 7
; VGPRBlocks: 3
; NumSGPRsForWavesPerEU: 58
; NumVGPRsForWavesPerEU: 26
; Occupancy: 16
; WaveLimiterHint : 1
; COMPUTE_PGM_RSRC2:SCRATCH_EN: 0
; COMPUTE_PGM_RSRC2:USER_SGPR: 13
; COMPUTE_PGM_RSRC2:TRAP_HANDLER: 0
; COMPUTE_PGM_RSRC2:TGID_X_EN: 1
; COMPUTE_PGM_RSRC2:TGID_Y_EN: 1
; COMPUTE_PGM_RSRC2:TGID_Z_EN: 1
; COMPUTE_PGM_RSRC2:TIDIG_COMP_CNT: 0
	.section	.text._ZN2at6native6sbtopk10gatherTopKIamLin1ELb0EEEvNS_4cuda6detail10TensorInfoIKT_T0_EES8_S8_bS8_S8_NS5_IS6_S8_EES8_NS5_IlS8_EES8_PS6_,"axG",@progbits,_ZN2at6native6sbtopk10gatherTopKIamLin1ELb0EEEvNS_4cuda6detail10TensorInfoIKT_T0_EES8_S8_bS8_S8_NS5_IS6_S8_EES8_NS5_IlS8_EES8_PS6_,comdat
	.protected	_ZN2at6native6sbtopk10gatherTopKIamLin1ELb0EEEvNS_4cuda6detail10TensorInfoIKT_T0_EES8_S8_bS8_S8_NS5_IS6_S8_EES8_NS5_IlS8_EES8_PS6_ ; -- Begin function _ZN2at6native6sbtopk10gatherTopKIamLin1ELb0EEEvNS_4cuda6detail10TensorInfoIKT_T0_EES8_S8_bS8_S8_NS5_IS6_S8_EES8_NS5_IlS8_EES8_PS6_
	.globl	_ZN2at6native6sbtopk10gatherTopKIamLin1ELb0EEEvNS_4cuda6detail10TensorInfoIKT_T0_EES8_S8_bS8_S8_NS5_IS6_S8_EES8_NS5_IlS8_EES8_PS6_
	.p2align	8
	.type	_ZN2at6native6sbtopk10gatherTopKIamLin1ELb0EEEvNS_4cuda6detail10TensorInfoIKT_T0_EES8_S8_bS8_S8_NS5_IS6_S8_EES8_NS5_IlS8_EES8_PS6_,@function
_ZN2at6native6sbtopk10gatherTopKIamLin1ELb0EEEvNS_4cuda6detail10TensorInfoIKT_T0_EES8_S8_bS8_S8_NS5_IS6_S8_EES8_NS5_IlS8_EES8_PS6_: ; @_ZN2at6native6sbtopk10gatherTopKIamLin1ELb0EEEvNS_4cuda6detail10TensorInfoIKT_T0_EES8_S8_bS8_S8_NS5_IS6_S8_EES8_NS5_IlS8_EES8_PS6_
; %bb.0:
	s_clause 0x1
	s_load_b64 s[16:17], s[0:1], 0x520
	s_load_b128 s[28:31], s[0:1], 0x1b8
	s_add_u32 s10, s0, 0x520
	s_addc_u32 s11, s1, 0
	s_mov_b32 s3, 0
	s_waitcnt lgkmcnt(0)
	s_mul_i32 s2, s17, s15
	s_delay_alu instid0(SALU_CYCLE_1) | instskip(NEXT) | instid1(SALU_CYCLE_1)
	s_add_i32 s2, s2, s14
	s_mul_i32 s2, s2, s16
	s_delay_alu instid0(SALU_CYCLE_1) | instskip(NEXT) | instid1(SALU_CYCLE_1)
	s_add_i32 s2, s2, s13
	v_cmp_ge_u64_e64 s4, s[2:3], s[28:29]
	s_delay_alu instid0(VALU_DEP_1)
	s_and_b32 vcc_lo, exec_lo, s4
	s_cbranch_vccnz .LBB141_560
; %bb.1:
	s_load_b32 s5, s[0:1], 0x198
	s_mov_b64 s[8:9], 0
	s_mov_b64 s[6:7], s[2:3]
	s_waitcnt lgkmcnt(0)
	s_cmp_lt_i32 s5, 2
	s_cbranch_scc1 .LBB141_9
; %bb.2:
	s_mov_b32 s4, 0
	s_add_i32 s6, s5, -1
	s_mov_b32 s7, s4
	s_add_i32 s12, s5, 1
	s_lshl_b64 s[6:7], s[6:7], 3
	s_mov_b64 s[18:19], s[2:3]
	s_add_u32 s5, s6, s0
	s_addc_u32 s6, s7, s1
	s_add_u32 s14, s5, 8
	s_addc_u32 s15, s6, 0
.LBB141_3:                              ; =>This Inner Loop Header: Depth=1
	s_load_b64 s[20:21], s[14:15], 0x0
	s_waitcnt lgkmcnt(0)
	s_or_b64 s[6:7], s[18:19], s[20:21]
	s_delay_alu instid0(SALU_CYCLE_1) | instskip(NEXT) | instid1(SALU_CYCLE_1)
	s_mov_b32 s5, s7
                                        ; implicit-def: $sgpr6_sgpr7
	s_cmp_lg_u64 s[4:5], 0
	s_mov_b32 s5, -1
	s_cbranch_scc0 .LBB141_5
; %bb.4:                                ;   in Loop: Header=BB141_3 Depth=1
	v_cvt_f32_u32_e32 v1, s20
	v_cvt_f32_u32_e32 v2, s21
	s_sub_u32 s7, 0, s20
	s_subb_u32 s17, 0, s21
	s_waitcnt_depctr 0xfff
	v_fmac_f32_e32 v1, 0x4f800000, v2
	s_delay_alu instid0(VALU_DEP_1) | instskip(SKIP_2) | instid1(VALU_DEP_1)
	v_rcp_f32_e32 v1, v1
	s_waitcnt_depctr 0xfff
	v_mul_f32_e32 v1, 0x5f7ffffc, v1
	v_mul_f32_e32 v2, 0x2f800000, v1
	s_delay_alu instid0(VALU_DEP_1) | instskip(NEXT) | instid1(VALU_DEP_1)
	v_trunc_f32_e32 v2, v2
	v_fmac_f32_e32 v1, 0xcf800000, v2
	v_cvt_u32_f32_e32 v2, v2
	s_delay_alu instid0(VALU_DEP_2) | instskip(NEXT) | instid1(VALU_DEP_2)
	v_cvt_u32_f32_e32 v1, v1
	v_readfirstlane_b32 s5, v2
	s_delay_alu instid0(VALU_DEP_2) | instskip(NEXT) | instid1(VALU_DEP_2)
	v_readfirstlane_b32 s6, v1
	s_mul_i32 s22, s7, s5
	s_delay_alu instid0(VALU_DEP_1)
	s_mul_hi_u32 s24, s7, s6
	s_mul_i32 s23, s17, s6
	s_add_i32 s22, s24, s22
	s_mul_i32 s25, s7, s6
	s_add_i32 s22, s22, s23
	s_mul_hi_u32 s24, s6, s25
	s_mul_hi_u32 s26, s5, s25
	s_mul_i32 s23, s5, s25
	s_mul_hi_u32 s25, s6, s22
	s_mul_i32 s6, s6, s22
	s_mul_hi_u32 s27, s5, s22
	s_add_u32 s6, s24, s6
	s_addc_u32 s24, 0, s25
	s_add_u32 s6, s6, s23
	s_mul_i32 s22, s5, s22
	s_addc_u32 s6, s24, s26
	s_addc_u32 s23, s27, 0
	s_add_u32 s6, s6, s22
	s_addc_u32 s22, 0, s23
	v_add_co_u32 v1, s6, v1, s6
	s_delay_alu instid0(VALU_DEP_1) | instskip(SKIP_1) | instid1(VALU_DEP_1)
	s_cmp_lg_u32 s6, 0
	s_addc_u32 s5, s5, s22
	v_readfirstlane_b32 s6, v1
	s_mul_i32 s22, s7, s5
	s_delay_alu instid0(VALU_DEP_1)
	s_mul_hi_u32 s23, s7, s6
	s_mul_i32 s17, s17, s6
	s_add_i32 s22, s23, s22
	s_mul_i32 s7, s7, s6
	s_add_i32 s22, s22, s17
	s_mul_hi_u32 s23, s5, s7
	s_mul_i32 s24, s5, s7
	s_mul_hi_u32 s7, s6, s7
	s_mul_hi_u32 s25, s6, s22
	s_mul_i32 s6, s6, s22
	s_mul_hi_u32 s17, s5, s22
	s_add_u32 s6, s7, s6
	s_addc_u32 s7, 0, s25
	s_add_u32 s6, s6, s24
	s_mul_i32 s22, s5, s22
	s_addc_u32 s6, s7, s23
	s_addc_u32 s7, s17, 0
	s_add_u32 s6, s6, s22
	s_addc_u32 s7, 0, s7
	v_add_co_u32 v1, s6, v1, s6
	s_delay_alu instid0(VALU_DEP_1) | instskip(SKIP_1) | instid1(VALU_DEP_1)
	s_cmp_lg_u32 s6, 0
	s_addc_u32 s5, s5, s7
	v_readfirstlane_b32 s6, v1
	s_mul_i32 s17, s18, s5
	s_mul_hi_u32 s7, s18, s5
	s_mul_hi_u32 s22, s19, s5
	s_mul_i32 s5, s19, s5
	s_mul_hi_u32 s23, s18, s6
	s_mul_hi_u32 s24, s19, s6
	s_mul_i32 s6, s19, s6
	s_add_u32 s17, s23, s17
	s_addc_u32 s7, 0, s7
	s_add_u32 s6, s17, s6
	s_addc_u32 s6, s7, s24
	s_addc_u32 s7, s22, 0
	s_add_u32 s6, s6, s5
	s_addc_u32 s7, 0, s7
	s_mul_hi_u32 s5, s20, s6
	s_mul_i32 s22, s20, s7
	s_mul_i32 s23, s20, s6
	s_add_i32 s5, s5, s22
	v_sub_co_u32 v1, s22, s18, s23
	s_mul_i32 s17, s21, s6
	s_delay_alu instid0(SALU_CYCLE_1) | instskip(NEXT) | instid1(VALU_DEP_1)
	s_add_i32 s5, s5, s17
	v_sub_co_u32 v2, s23, v1, s20
	s_sub_i32 s17, s19, s5
	s_cmp_lg_u32 s22, 0
	s_subb_u32 s17, s17, s21
	s_cmp_lg_u32 s23, 0
	v_readfirstlane_b32 s23, v2
	s_subb_u32 s17, s17, 0
	s_delay_alu instid0(SALU_CYCLE_1) | instskip(SKIP_1) | instid1(VALU_DEP_1)
	s_cmp_ge_u32 s17, s21
	s_cselect_b32 s24, -1, 0
	s_cmp_ge_u32 s23, s20
	s_cselect_b32 s23, -1, 0
	s_cmp_eq_u32 s17, s21
	s_cselect_b32 s17, s23, s24
	s_add_u32 s23, s6, 1
	s_addc_u32 s24, s7, 0
	s_add_u32 s25, s6, 2
	s_addc_u32 s26, s7, 0
	s_cmp_lg_u32 s17, 0
	s_cselect_b32 s17, s25, s23
	s_cselect_b32 s23, s26, s24
	s_cmp_lg_u32 s22, 0
	v_readfirstlane_b32 s22, v1
	s_subb_u32 s5, s19, s5
	s_delay_alu instid0(SALU_CYCLE_1) | instskip(SKIP_1) | instid1(VALU_DEP_1)
	s_cmp_ge_u32 s5, s21
	s_cselect_b32 s24, -1, 0
	s_cmp_ge_u32 s22, s20
	s_cselect_b32 s22, -1, 0
	s_cmp_eq_u32 s5, s21
	s_cselect_b32 s5, s22, s24
	s_delay_alu instid0(SALU_CYCLE_1)
	s_cmp_lg_u32 s5, 0
	s_mov_b32 s5, 0
	s_cselect_b32 s7, s23, s7
	s_cselect_b32 s6, s17, s6
.LBB141_5:                              ;   in Loop: Header=BB141_3 Depth=1
	s_and_not1_b32 vcc_lo, exec_lo, s5
	s_cbranch_vccnz .LBB141_7
; %bb.6:                                ;   in Loop: Header=BB141_3 Depth=1
	v_cvt_f32_u32_e32 v1, s20
	s_sub_i32 s6, 0, s20
	s_waitcnt_depctr 0xfff
	v_rcp_iflag_f32_e32 v1, v1
	s_waitcnt_depctr 0xfff
	v_mul_f32_e32 v1, 0x4f7ffffe, v1
	s_delay_alu instid0(VALU_DEP_1) | instskip(NEXT) | instid1(VALU_DEP_1)
	v_cvt_u32_f32_e32 v1, v1
	v_readfirstlane_b32 s5, v1
	s_delay_alu instid0(VALU_DEP_1) | instskip(NEXT) | instid1(SALU_CYCLE_1)
	s_mul_i32 s6, s6, s5
	s_mul_hi_u32 s6, s5, s6
	s_delay_alu instid0(SALU_CYCLE_1) | instskip(NEXT) | instid1(SALU_CYCLE_1)
	s_add_i32 s5, s5, s6
	s_mul_hi_u32 s5, s18, s5
	s_delay_alu instid0(SALU_CYCLE_1) | instskip(SKIP_2) | instid1(SALU_CYCLE_1)
	s_mul_i32 s6, s5, s20
	s_add_i32 s7, s5, 1
	s_sub_i32 s6, s18, s6
	s_sub_i32 s17, s6, s20
	s_cmp_ge_u32 s6, s20
	s_cselect_b32 s5, s7, s5
	s_cselect_b32 s6, s17, s6
	s_add_i32 s7, s5, 1
	s_cmp_ge_u32 s6, s20
	s_cselect_b32 s6, s7, s5
	s_mov_b32 s7, s4
.LBB141_7:                              ;   in Loop: Header=BB141_3 Depth=1
	s_load_b64 s[22:23], s[14:15], 0xc8
	s_mul_i32 s5, s6, s21
	s_mul_hi_u32 s17, s6, s20
	s_mul_i32 s21, s7, s20
	s_add_i32 s5, s17, s5
	s_mul_i32 s17, s6, s20
	s_add_i32 s5, s5, s21
	s_sub_u32 s17, s18, s17
	s_subb_u32 s5, s19, s5
	s_waitcnt lgkmcnt(0)
	s_mul_i32 s5, s22, s5
	s_mul_hi_u32 s18, s22, s17
	s_mul_i32 s19, s23, s17
	s_add_i32 s5, s18, s5
	s_mul_i32 s17, s22, s17
	s_add_i32 s5, s5, s19
	s_add_u32 s8, s17, s8
	s_addc_u32 s9, s5, s9
	s_add_i32 s12, s12, -1
	s_add_u32 s14, s14, -8
	s_addc_u32 s15, s15, -1
	s_cmp_gt_u32 s12, 2
	s_cbranch_scc0 .LBB141_9
; %bb.8:                                ;   in Loop: Header=BB141_3 Depth=1
	s_mov_b64 s[18:19], s[6:7]
	s_branch .LBB141_3
.LBB141_9:
	s_clause 0x1
	s_load_b32 s12, s[0:1], 0x360
	s_load_b64 s[14:15], s[0:1], 0xd0
	s_add_u32 s4, s0, 0x1c8
	s_addc_u32 s5, s1, 0
	s_mov_b64 s[28:29], 0
	s_mov_b64 s[34:35], s[2:3]
	s_waitcnt lgkmcnt(0)
	s_cmp_lt_i32 s12, 2
	s_cbranch_scc1 .LBB141_17
; %bb.10:
	s_mov_b32 s18, 0
	s_add_i32 s20, s12, -1
	s_mov_b32 s21, s18
	s_add_i32 s12, s12, 1
	s_lshl_b64 s[20:21], s[20:21], 3
	s_mov_b64 s[22:23], s[2:3]
	s_add_u32 s17, s20, s4
	s_addc_u32 s19, s21, s5
	s_add_u32 s20, s17, 8
	s_addc_u32 s21, s19, 0
.LBB141_11:                             ; =>This Inner Loop Header: Depth=1
	s_load_b64 s[24:25], s[20:21], 0x0
	s_mov_b32 s17, -1
                                        ; implicit-def: $sgpr34_sgpr35
	s_waitcnt lgkmcnt(0)
	s_or_b64 s[26:27], s[22:23], s[24:25]
	s_delay_alu instid0(SALU_CYCLE_1) | instskip(NEXT) | instid1(SALU_CYCLE_1)
	s_mov_b32 s19, s27
	s_cmp_lg_u64 s[18:19], 0
	s_cbranch_scc0 .LBB141_13
; %bb.12:                               ;   in Loop: Header=BB141_11 Depth=1
	v_cvt_f32_u32_e32 v1, s24
	v_cvt_f32_u32_e32 v2, s25
	s_sub_u32 s26, 0, s24
	s_subb_u32 s27, 0, s25
	s_waitcnt_depctr 0xfff
	v_fmac_f32_e32 v1, 0x4f800000, v2
	s_delay_alu instid0(VALU_DEP_1) | instskip(SKIP_2) | instid1(VALU_DEP_1)
	v_rcp_f32_e32 v1, v1
	s_waitcnt_depctr 0xfff
	v_mul_f32_e32 v1, 0x5f7ffffc, v1
	v_mul_f32_e32 v2, 0x2f800000, v1
	s_delay_alu instid0(VALU_DEP_1) | instskip(NEXT) | instid1(VALU_DEP_1)
	v_trunc_f32_e32 v2, v2
	v_fmac_f32_e32 v1, 0xcf800000, v2
	v_cvt_u32_f32_e32 v2, v2
	s_delay_alu instid0(VALU_DEP_2) | instskip(NEXT) | instid1(VALU_DEP_2)
	v_cvt_u32_f32_e32 v1, v1
	v_readfirstlane_b32 s17, v2
	s_delay_alu instid0(VALU_DEP_2) | instskip(NEXT) | instid1(VALU_DEP_2)
	v_readfirstlane_b32 s19, v1
	s_mul_i32 s33, s26, s17
	s_delay_alu instid0(VALU_DEP_1)
	s_mul_hi_u32 s35, s26, s19
	s_mul_i32 s34, s27, s19
	s_add_i32 s33, s35, s33
	s_mul_i32 s36, s26, s19
	s_add_i32 s33, s33, s34
	s_mul_hi_u32 s35, s19, s36
	s_mul_hi_u32 s37, s17, s36
	s_mul_i32 s34, s17, s36
	s_mul_hi_u32 s36, s19, s33
	s_mul_i32 s19, s19, s33
	s_mul_hi_u32 s38, s17, s33
	s_add_u32 s19, s35, s19
	s_addc_u32 s35, 0, s36
	s_add_u32 s19, s19, s34
	s_mul_i32 s33, s17, s33
	s_addc_u32 s19, s35, s37
	s_addc_u32 s34, s38, 0
	s_add_u32 s19, s19, s33
	s_addc_u32 s33, 0, s34
	v_add_co_u32 v1, s19, v1, s19
	s_delay_alu instid0(VALU_DEP_1) | instskip(SKIP_1) | instid1(VALU_DEP_1)
	s_cmp_lg_u32 s19, 0
	s_addc_u32 s17, s17, s33
	v_readfirstlane_b32 s19, v1
	s_mul_i32 s33, s26, s17
	s_delay_alu instid0(VALU_DEP_1)
	s_mul_hi_u32 s34, s26, s19
	s_mul_i32 s27, s27, s19
	s_add_i32 s33, s34, s33
	s_mul_i32 s26, s26, s19
	s_add_i32 s33, s33, s27
	s_mul_hi_u32 s34, s17, s26
	s_mul_i32 s35, s17, s26
	s_mul_hi_u32 s26, s19, s26
	s_mul_hi_u32 s36, s19, s33
	s_mul_i32 s19, s19, s33
	s_mul_hi_u32 s27, s17, s33
	s_add_u32 s19, s26, s19
	s_addc_u32 s26, 0, s36
	s_add_u32 s19, s19, s35
	s_mul_i32 s33, s17, s33
	s_addc_u32 s19, s26, s34
	s_addc_u32 s26, s27, 0
	s_add_u32 s19, s19, s33
	s_addc_u32 s26, 0, s26
	v_add_co_u32 v1, s19, v1, s19
	s_delay_alu instid0(VALU_DEP_1) | instskip(SKIP_1) | instid1(VALU_DEP_1)
	s_cmp_lg_u32 s19, 0
	s_addc_u32 s17, s17, s26
	v_readfirstlane_b32 s19, v1
	s_mul_i32 s27, s22, s17
	s_mul_hi_u32 s26, s22, s17
	s_mul_hi_u32 s33, s23, s17
	s_mul_i32 s17, s23, s17
	s_mul_hi_u32 s34, s22, s19
	s_mul_hi_u32 s35, s23, s19
	s_mul_i32 s19, s23, s19
	s_add_u32 s27, s34, s27
	s_addc_u32 s26, 0, s26
	s_add_u32 s19, s27, s19
	s_addc_u32 s19, s26, s35
	s_addc_u32 s26, s33, 0
	s_add_u32 s19, s19, s17
	s_addc_u32 s26, 0, s26
	s_mul_hi_u32 s17, s24, s19
	s_mul_i32 s33, s24, s26
	s_mul_i32 s34, s24, s19
	s_add_i32 s17, s17, s33
	v_sub_co_u32 v1, s33, s22, s34
	s_mul_i32 s27, s25, s19
	s_delay_alu instid0(SALU_CYCLE_1) | instskip(NEXT) | instid1(VALU_DEP_1)
	s_add_i32 s17, s17, s27
	v_sub_co_u32 v2, s34, v1, s24
	s_sub_i32 s27, s23, s17
	s_cmp_lg_u32 s33, 0
	s_subb_u32 s27, s27, s25
	s_cmp_lg_u32 s34, 0
	v_readfirstlane_b32 s34, v2
	s_subb_u32 s27, s27, 0
	s_delay_alu instid0(SALU_CYCLE_1) | instskip(SKIP_1) | instid1(VALU_DEP_1)
	s_cmp_ge_u32 s27, s25
	s_cselect_b32 s35, -1, 0
	s_cmp_ge_u32 s34, s24
	s_cselect_b32 s34, -1, 0
	s_cmp_eq_u32 s27, s25
	s_cselect_b32 s27, s34, s35
	s_add_u32 s34, s19, 1
	s_addc_u32 s35, s26, 0
	s_add_u32 s36, s19, 2
	s_addc_u32 s37, s26, 0
	s_cmp_lg_u32 s27, 0
	s_cselect_b32 s27, s36, s34
	s_cselect_b32 s34, s37, s35
	s_cmp_lg_u32 s33, 0
	v_readfirstlane_b32 s33, v1
	s_subb_u32 s17, s23, s17
	s_delay_alu instid0(SALU_CYCLE_1) | instskip(SKIP_1) | instid1(VALU_DEP_1)
	s_cmp_ge_u32 s17, s25
	s_cselect_b32 s35, -1, 0
	s_cmp_ge_u32 s33, s24
	s_cselect_b32 s33, -1, 0
	s_cmp_eq_u32 s17, s25
	s_cselect_b32 s17, s33, s35
	s_delay_alu instid0(SALU_CYCLE_1)
	s_cmp_lg_u32 s17, 0
	s_mov_b32 s17, 0
	s_cselect_b32 s35, s34, s26
	s_cselect_b32 s34, s27, s19
.LBB141_13:                             ;   in Loop: Header=BB141_11 Depth=1
	s_and_not1_b32 vcc_lo, exec_lo, s17
	s_cbranch_vccnz .LBB141_15
; %bb.14:                               ;   in Loop: Header=BB141_11 Depth=1
	v_cvt_f32_u32_e32 v1, s24
	s_sub_i32 s19, 0, s24
	s_mov_b32 s35, s18
	s_waitcnt_depctr 0xfff
	v_rcp_iflag_f32_e32 v1, v1
	s_waitcnt_depctr 0xfff
	v_mul_f32_e32 v1, 0x4f7ffffe, v1
	s_delay_alu instid0(VALU_DEP_1) | instskip(NEXT) | instid1(VALU_DEP_1)
	v_cvt_u32_f32_e32 v1, v1
	v_readfirstlane_b32 s17, v1
	s_delay_alu instid0(VALU_DEP_1) | instskip(NEXT) | instid1(SALU_CYCLE_1)
	s_mul_i32 s19, s19, s17
	s_mul_hi_u32 s19, s17, s19
	s_delay_alu instid0(SALU_CYCLE_1) | instskip(NEXT) | instid1(SALU_CYCLE_1)
	s_add_i32 s17, s17, s19
	s_mul_hi_u32 s17, s22, s17
	s_delay_alu instid0(SALU_CYCLE_1) | instskip(SKIP_2) | instid1(SALU_CYCLE_1)
	s_mul_i32 s19, s17, s24
	s_add_i32 s26, s17, 1
	s_sub_i32 s19, s22, s19
	s_sub_i32 s27, s19, s24
	s_cmp_ge_u32 s19, s24
	s_cselect_b32 s17, s26, s17
	s_cselect_b32 s19, s27, s19
	s_add_i32 s26, s17, 1
	s_cmp_ge_u32 s19, s24
	s_cselect_b32 s34, s26, s17
.LBB141_15:                             ;   in Loop: Header=BB141_11 Depth=1
	s_load_b64 s[26:27], s[20:21], 0xc8
	s_mul_i32 s17, s34, s25
	s_mul_hi_u32 s19, s34, s24
	s_mul_i32 s25, s35, s24
	s_add_i32 s17, s19, s17
	s_mul_i32 s19, s34, s24
	s_add_i32 s17, s17, s25
	s_sub_u32 s19, s22, s19
	s_subb_u32 s17, s23, s17
	s_waitcnt lgkmcnt(0)
	s_mul_i32 s17, s26, s17
	s_mul_hi_u32 s22, s26, s19
	s_mul_i32 s23, s27, s19
	s_add_i32 s17, s22, s17
	s_mul_i32 s19, s26, s19
	s_add_i32 s17, s17, s23
	s_add_u32 s28, s19, s28
	s_addc_u32 s29, s17, s29
	s_add_i32 s12, s12, -1
	s_add_u32 s20, s20, -8
	s_addc_u32 s21, s21, -1
	s_cmp_gt_u32 s12, 2
	s_cbranch_scc0 .LBB141_17
; %bb.16:                               ;   in Loop: Header=BB141_11 Depth=1
	s_mov_b64 s[22:23], s[34:35]
	s_branch .LBB141_11
.LBB141_17:
	s_clause 0x1
	s_load_b32 s12, s[0:1], 0x508
	s_load_b64 s[4:5], s[4:5], 0xd0
                                        ; implicit-def: $vgpr45 : SGPR spill to VGPR lane
	s_mov_b64 s[40:41], 0
	s_waitcnt lgkmcnt(0)
	v_writelane_b32 v45, s4, 0
	v_writelane_b32 v45, s5, 1
	s_add_u32 s5, s0, 0x370
	s_addc_u32 s17, s1, 0
	s_cmp_lt_i32 s12, 2
	s_cbranch_scc1 .LBB141_25
; %bb.18:
	s_mov_b32 s4, 0
	s_add_i32 s18, s12, -1
	s_mov_b32 s19, s4
	s_add_i32 s12, s12, 1
	s_lshl_b64 s[18:19], s[18:19], 3
	s_delay_alu instid0(SALU_CYCLE_1)
	s_add_u32 s5, s18, s5
	s_addc_u32 s17, s19, s17
	s_add_u32 s18, s5, 8
	s_addc_u32 s19, s17, 0
.LBB141_19:                             ; =>This Inner Loop Header: Depth=1
	s_load_b64 s[20:21], s[18:19], 0x0
                                        ; implicit-def: $sgpr46_sgpr47
	s_waitcnt lgkmcnt(0)
	s_or_b64 s[22:23], s[2:3], s[20:21]
	s_delay_alu instid0(SALU_CYCLE_1) | instskip(NEXT) | instid1(SALU_CYCLE_1)
	s_mov_b32 s5, s23
	s_cmp_lg_u64 s[4:5], 0
	s_mov_b32 s5, -1
	s_cbranch_scc0 .LBB141_21
; %bb.20:                               ;   in Loop: Header=BB141_19 Depth=1
	v_cvt_f32_u32_e32 v1, s20
	v_cvt_f32_u32_e32 v2, s21
	s_sub_u32 s22, 0, s20
	s_subb_u32 s23, 0, s21
	s_waitcnt_depctr 0xfff
	v_fmac_f32_e32 v1, 0x4f800000, v2
	s_delay_alu instid0(VALU_DEP_1) | instskip(SKIP_2) | instid1(VALU_DEP_1)
	v_rcp_f32_e32 v1, v1
	s_waitcnt_depctr 0xfff
	v_mul_f32_e32 v1, 0x5f7ffffc, v1
	v_mul_f32_e32 v2, 0x2f800000, v1
	s_delay_alu instid0(VALU_DEP_1) | instskip(NEXT) | instid1(VALU_DEP_1)
	v_trunc_f32_e32 v2, v2
	v_fmac_f32_e32 v1, 0xcf800000, v2
	v_cvt_u32_f32_e32 v2, v2
	s_delay_alu instid0(VALU_DEP_2) | instskip(NEXT) | instid1(VALU_DEP_2)
	v_cvt_u32_f32_e32 v1, v1
	v_readfirstlane_b32 s5, v2
	s_delay_alu instid0(VALU_DEP_2) | instskip(NEXT) | instid1(VALU_DEP_2)
	v_readfirstlane_b32 s17, v1
	s_mul_i32 s24, s22, s5
	s_delay_alu instid0(VALU_DEP_1)
	s_mul_hi_u32 s26, s22, s17
	s_mul_i32 s25, s23, s17
	s_add_i32 s24, s26, s24
	s_mul_i32 s27, s22, s17
	s_add_i32 s24, s24, s25
	s_mul_hi_u32 s26, s17, s27
	s_mul_hi_u32 s33, s5, s27
	s_mul_i32 s25, s5, s27
	s_mul_hi_u32 s27, s17, s24
	s_mul_i32 s17, s17, s24
	s_mul_hi_u32 s36, s5, s24
	s_add_u32 s17, s26, s17
	s_addc_u32 s26, 0, s27
	s_add_u32 s17, s17, s25
	s_mul_i32 s24, s5, s24
	s_addc_u32 s17, s26, s33
	s_addc_u32 s25, s36, 0
	s_add_u32 s17, s17, s24
	s_addc_u32 s24, 0, s25
	v_add_co_u32 v1, s17, v1, s17
	s_delay_alu instid0(VALU_DEP_1) | instskip(SKIP_1) | instid1(VALU_DEP_1)
	s_cmp_lg_u32 s17, 0
	s_addc_u32 s5, s5, s24
	v_readfirstlane_b32 s17, v1
	s_mul_i32 s24, s22, s5
	s_delay_alu instid0(VALU_DEP_1)
	s_mul_hi_u32 s25, s22, s17
	s_mul_i32 s23, s23, s17
	s_add_i32 s24, s25, s24
	s_mul_i32 s22, s22, s17
	s_add_i32 s24, s24, s23
	s_mul_hi_u32 s25, s5, s22
	s_mul_i32 s26, s5, s22
	s_mul_hi_u32 s22, s17, s22
	s_mul_hi_u32 s27, s17, s24
	s_mul_i32 s17, s17, s24
	s_mul_hi_u32 s23, s5, s24
	s_add_u32 s17, s22, s17
	s_addc_u32 s22, 0, s27
	s_add_u32 s17, s17, s26
	s_mul_i32 s24, s5, s24
	s_addc_u32 s17, s22, s25
	s_addc_u32 s22, s23, 0
	s_add_u32 s17, s17, s24
	s_addc_u32 s22, 0, s22
	v_add_co_u32 v1, s17, v1, s17
	s_delay_alu instid0(VALU_DEP_1) | instskip(SKIP_1) | instid1(VALU_DEP_1)
	s_cmp_lg_u32 s17, 0
	s_addc_u32 s5, s5, s22
	v_readfirstlane_b32 s17, v1
	s_mul_i32 s23, s2, s5
	s_mul_hi_u32 s22, s2, s5
	s_mul_hi_u32 s24, s3, s5
	s_mul_i32 s5, s3, s5
	s_mul_hi_u32 s25, s2, s17
	s_mul_hi_u32 s26, s3, s17
	s_mul_i32 s17, s3, s17
	s_add_u32 s23, s25, s23
	s_addc_u32 s22, 0, s22
	s_add_u32 s17, s23, s17
	s_addc_u32 s17, s22, s26
	s_addc_u32 s22, s24, 0
	s_add_u32 s17, s17, s5
	s_addc_u32 s22, 0, s22
	s_mul_hi_u32 s5, s20, s17
	s_mul_i32 s24, s20, s22
	s_mul_i32 s25, s20, s17
	s_add_i32 s5, s5, s24
	v_sub_co_u32 v1, s24, s2, s25
	s_mul_i32 s23, s21, s17
	s_delay_alu instid0(SALU_CYCLE_1) | instskip(NEXT) | instid1(VALU_DEP_1)
	s_add_i32 s5, s5, s23
	v_sub_co_u32 v2, s25, v1, s20
	s_sub_i32 s23, s3, s5
	s_cmp_lg_u32 s24, 0
	s_subb_u32 s23, s23, s21
	s_cmp_lg_u32 s25, 0
	v_readfirstlane_b32 s25, v2
	s_subb_u32 s23, s23, 0
	s_delay_alu instid0(SALU_CYCLE_1) | instskip(SKIP_1) | instid1(VALU_DEP_1)
	s_cmp_ge_u32 s23, s21
	s_cselect_b32 s26, -1, 0
	s_cmp_ge_u32 s25, s20
	s_cselect_b32 s25, -1, 0
	s_cmp_eq_u32 s23, s21
	s_cselect_b32 s23, s25, s26
	s_add_u32 s25, s17, 1
	s_addc_u32 s26, s22, 0
	s_add_u32 s27, s17, 2
	s_addc_u32 s33, s22, 0
	s_cmp_lg_u32 s23, 0
	s_cselect_b32 s23, s27, s25
	s_cselect_b32 s25, s33, s26
	s_cmp_lg_u32 s24, 0
	v_readfirstlane_b32 s24, v1
	s_subb_u32 s5, s3, s5
	s_delay_alu instid0(SALU_CYCLE_1) | instskip(SKIP_1) | instid1(VALU_DEP_1)
	s_cmp_ge_u32 s5, s21
	s_cselect_b32 s26, -1, 0
	s_cmp_ge_u32 s24, s20
	s_cselect_b32 s24, -1, 0
	s_cmp_eq_u32 s5, s21
	s_cselect_b32 s5, s24, s26
	s_delay_alu instid0(SALU_CYCLE_1)
	s_cmp_lg_u32 s5, 0
	s_mov_b32 s5, 0
	s_cselect_b32 s47, s25, s22
	s_cselect_b32 s46, s23, s17
.LBB141_21:                             ;   in Loop: Header=BB141_19 Depth=1
	s_and_not1_b32 vcc_lo, exec_lo, s5
	s_cbranch_vccnz .LBB141_23
; %bb.22:                               ;   in Loop: Header=BB141_19 Depth=1
	v_cvt_f32_u32_e32 v1, s20
	s_sub_i32 s17, 0, s20
	s_mov_b32 s47, s4
	s_waitcnt_depctr 0xfff
	v_rcp_iflag_f32_e32 v1, v1
	s_waitcnt_depctr 0xfff
	v_mul_f32_e32 v1, 0x4f7ffffe, v1
	s_delay_alu instid0(VALU_DEP_1) | instskip(NEXT) | instid1(VALU_DEP_1)
	v_cvt_u32_f32_e32 v1, v1
	v_readfirstlane_b32 s5, v1
	s_delay_alu instid0(VALU_DEP_1) | instskip(NEXT) | instid1(SALU_CYCLE_1)
	s_mul_i32 s17, s17, s5
	s_mul_hi_u32 s17, s5, s17
	s_delay_alu instid0(SALU_CYCLE_1) | instskip(NEXT) | instid1(SALU_CYCLE_1)
	s_add_i32 s5, s5, s17
	s_mul_hi_u32 s5, s2, s5
	s_delay_alu instid0(SALU_CYCLE_1) | instskip(SKIP_2) | instid1(SALU_CYCLE_1)
	s_mul_i32 s17, s5, s20
	s_add_i32 s22, s5, 1
	s_sub_i32 s17, s2, s17
	s_sub_i32 s23, s17, s20
	s_cmp_ge_u32 s17, s20
	s_cselect_b32 s5, s22, s5
	s_cselect_b32 s17, s23, s17
	s_add_i32 s22, s5, 1
	s_cmp_ge_u32 s17, s20
	s_cselect_b32 s46, s22, s5
.LBB141_23:                             ;   in Loop: Header=BB141_19 Depth=1
	s_load_b64 s[22:23], s[18:19], 0xc8
	s_mul_i32 s5, s46, s21
	s_mul_hi_u32 s17, s46, s20
	s_mul_i32 s21, s47, s20
	s_add_i32 s5, s17, s5
	s_mul_i32 s17, s46, s20
	s_add_i32 s5, s5, s21
	s_sub_u32 s2, s2, s17
	s_subb_u32 s3, s3, s5
	s_waitcnt lgkmcnt(0)
	s_mul_i32 s3, s22, s3
	s_mul_hi_u32 s5, s22, s2
	s_mul_i32 s17, s23, s2
	s_add_i32 s3, s5, s3
	s_mul_i32 s2, s22, s2
	s_add_i32 s3, s3, s17
	s_add_u32 s40, s2, s40
	s_addc_u32 s41, s3, s41
	s_add_i32 s12, s12, -1
	s_add_u32 s18, s18, -8
	s_addc_u32 s19, s19, -1
	s_cmp_gt_u32 s12, 2
	s_cbranch_scc0 .LBB141_26
; %bb.24:                               ;   in Loop: Header=BB141_19 Depth=1
	s_mov_b64 s[2:3], s[46:47]
	s_branch .LBB141_19
.LBB141_25:
	s_mov_b64 s[46:47], s[2:3]
.LBB141_26:
	s_clause 0x2
	s_load_b128 s[36:39], s[0:1], 0x1a0
	s_load_b64 s[44:45], s[0:1], 0x0
	s_load_b64 s[2:3], s[0:1], 0x1c8
	v_cmp_eq_u32_e64 s5, 0, v0
	s_mov_b32 s55, 0
	s_waitcnt lgkmcnt(0)
	v_writelane_b32 v45, s2, 2
	v_writelane_b32 v45, s3, 3
	s_load_b64 s[2:3], s[0:1], 0x370
	s_waitcnt lgkmcnt(0)
	v_writelane_b32 v45, s2, 4
	v_writelane_b32 v45, s3, 5
	s_and_saveexec_b32 s2, s5
	s_cbranch_execz .LBB141_28
; %bb.27:
	v_dual_mov_b32 v1, 0 :: v_dual_mov_b32 v4, s37
	s_delay_alu instid0(VALU_DEP_1)
	v_dual_mov_b32 v3, s36 :: v_dual_mov_b32 v2, v1
	ds_store_b32 v1, v1 offset:5144
	ds_store_b128 v1, v[1:4] offset:5120
.LBB141_28:
	s_or_b32 exec_lo, exec_lo, s2
	v_mad_u64_u32 v[2:3], null, v0, s30, 0
	s_load_b32 s2, s[0:1], 0x1b0
	s_mul_i32 s3, s14, s7
	s_mul_hi_u32 s4, s14, s6
	s_mul_i32 s12, s14, s6
	s_waitcnt lgkmcnt(0)
	s_barrier
	buffer_gl0_inv
	s_load_b32 s14, s[10:11], 0xc
	v_dual_mov_b32 v1, v3 :: v_dual_lshlrev_b32 v14, 2, v0
	s_mul_i32 s7, s15, s6
	s_add_i32 s3, s4, s3
	v_mbcnt_lo_u32_b32 v34, -1, 0
	s_delay_alu instid0(VALU_DEP_2)
	v_mad_u64_u32 v[3:4], null, v0, s31, v[1:2]
	v_or_b32_e32 v9, 3, v14
	v_or_b32_e32 v12, 2, v14
	v_lshrrev_b32_e32 v4, 3, v0
	s_add_i32 s7, s3, s7
	s_add_u32 s4, s44, s12
	s_addc_u32 s6, s45, s7
	v_mad_u64_u32 v[16:17], null, s30, v9, 0
	v_mad_u64_u32 v[18:19], null, s30, v12, 0
	s_add_u32 s56, s4, s8
	v_cmp_gt_u32_e32 vcc_lo, 32, v0
	v_cmp_gt_i32_e64 s3, 4, v34
	s_addc_u32 s57, s6, s9
	v_mad_u64_u32 v[20:21], null, s30, v14, s[30:31]
	v_and_b32_e32 v35, 0x7c, v4
	v_lshlrev_b64 v[4:5], v34, -1
	s_bitcmp1_b32 s2, 0
	v_mov_b32_e32 v13, 0
	s_cselect_b32 s4, -1, 0
	s_waitcnt lgkmcnt(0)
	s_and_b32 s33, s14, 0xffff
	s_xor_b32 s78, s4, -1
	s_and_b32 s79, vcc_lo, s3
	s_bfe_u32 s15, s14, 0xb0005
	s_add_u32 s81, s33, -1
	v_not_b32_e32 v33, v4
	v_dual_mov_b32 v4, v17 :: v_dual_mov_b32 v5, v19
	v_mov_b32_e32 v40, 0
	s_addc_u32 s82, 0, -1
	s_add_u32 s83, s81, s36
	s_addc_u32 s27, s82, s37
	s_cmp_lt_u32 s13, s16
	v_mad_u64_u32 v[7:8], null, s31, v9, v[4:5]
	s_cselect_b32 s13, 12, 18
	v_mov_b32_e32 v6, v21
	s_add_u32 s58, s10, s13
	s_addc_u32 s59, s11, 0
	s_add_i32 s10, s15, -1
	s_bfe_u32 s85, s33, 0x30005
	s_cmp_gt_u32 s10, 6
	v_mad_u64_u32 v[8:9], null, s31, v12, v[5:6]
	s_cselect_b32 s86, -1, 0
	s_and_b32 s87, s15, 0x7f8
	v_mad_u64_u32 v[4:5], null, s31, v14, v[6:7]
	s_cmp_lg_u32 s85, 0
	v_mov_b32_e32 v1, v13
	s_cselect_b32 s88, -1, 0
	s_add_u32 s76, s8, s12
	v_add_co_u32 v10, vcc_lo, s56, v2
	s_delay_alu instid0(VALU_DEP_3)
	v_mov_b32_e32 v36, v4
	s_addc_u32 s77, s9, s7
	s_add_u32 s60, s44, s76
	v_add_co_ci_u32_e32 v11, vcc_lo, s57, v3, vcc_lo
	s_addc_u32 s61, s45, s77
	v_add_co_u32 v23, vcc_lo, s60, v2
	v_cmp_lt_u64_e64 s80, 0xc00, s[36:37]
	v_cmp_gt_u64_e64 s3, s[36:37], v[0:1]
	v_lshlrev_b64 v[21:22], 2, v[2:3]
	v_mov_b32_e32 v25, s38
	v_cmp_eq_u32_e64 s2, 0, v34
	v_dual_mov_b32 v15, v13 :: v_dual_mov_b32 v26, s39
	v_cmp_gt_u32_e64 s6, 2, v0
	v_cmp_gt_u16_e64 s84, s14, 31
	v_dual_mov_b32 v17, v7 :: v_dual_mov_b32 v38, 0
	v_mov_b32_e32 v19, v8
	v_lshl_or_b32 v37, v34, 3, 0xc00
	v_add_co_ci_u32_e32 v24, vcc_lo, s61, v3, vcc_lo
	v_mov_b32_e32 v39, 0
	s_mul_i32 s7, s31, s33
	s_mul_hi_u32 s8, s30, s33
	s_mov_b32 s89, 6
	s_lshl_b64 s[62:63], s[30:31], 2
	s_add_i32 s74, s8, s7
	s_mul_i32 s75, s30, s33
	s_mov_b32 s90, 0
	s_mov_b32 s92, 0
                                        ; implicit-def: $sgpr91
                                        ; implicit-def: $sgpr95
                                        ; implicit-def: $sgpr94
                                        ; implicit-def: $sgpr96
                                        ; implicit-def: $sgpr93
                                        ; implicit-def: $sgpr97
                                        ; implicit-def: $sgpr99
                                        ; implicit-def: $sgpr98
                                        ; implicit-def: $sgpr100
                                        ; implicit-def: $sgpr101
	s_branch .LBB141_31
.LBB141_29:                             ;   in Loop: Header=BB141_31 Depth=1
	s_or_b32 exec_lo, exec_lo, s10
	v_dual_mov_b32 v38, v28 :: v_dual_mov_b32 v39, v27
	v_dual_mov_b32 v26, v3 :: v_dual_mov_b32 v25, v2
	v_mov_b32_e32 v40, v29
	s_and_not1_b32 s10, s101, exec_lo
	s_and_b32 s9, s9, exec_lo
	s_and_not1_b32 s100, s100, exec_lo
	s_or_b32 s101, s10, s9
	s_and_not1_b32 s98, s98, exec_lo
	s_and_not1_b32 s99, s99, exec_lo
	;; [unrolled: 1-line block ×3, first 2 shown]
	s_or_not1_b32 s8, s8, exec_lo
.LBB141_30:                             ;   in Loop: Header=BB141_31 Depth=1
	s_or_b32 exec_lo, exec_lo, s7
	s_delay_alu instid0(SALU_CYCLE_1) | instskip(NEXT) | instid1(SALU_CYCLE_1)
	s_and_b32 s7, exec_lo, s8
	s_or_b32 s90, s7, s90
	s_and_not1_b32 s7, s93, exec_lo
	s_and_b32 s8, s101, exec_lo
	s_and_not1_b32 s9, s96, exec_lo
	s_or_b32 s93, s7, s8
	s_and_b32 s7, s100, exec_lo
	s_and_not1_b32 s8, s94, exec_lo
	s_and_b32 s10, s98, exec_lo
	s_or_b32 s96, s9, s7
	s_or_b32 s94, s8, s10
	s_and_not1_b32 s7, s95, exec_lo
	s_and_b32 s8, s99, exec_lo
	s_and_not1_b32 s9, s91, exec_lo
	s_and_b32 s10, s97, exec_lo
	s_or_b32 s95, s7, s8
	s_or_b32 s91, s9, s10
	s_and_not1_b32 exec_lo, exec_lo, s90
	s_cbranch_execz .LBB141_500
.LBB141_31:                             ; =>This Loop Header: Depth=1
                                        ;     Child Loop BB141_36 Depth 2
                                        ;     Child Loop BB141_54 Depth 2
	;; [unrolled: 1-line block ×24, first 2 shown]
	ds_load_b128 v[2:5], v13 offset:5120
	s_waitcnt lgkmcnt(0)
	v_readfirstlane_b32 s65, v3
	v_readfirstlane_b32 s64, v2
	s_delay_alu instid0(VALU_DEP_1)
	s_cmp_lg_u64 s[64:65], 0
	s_cbranch_scc1 .LBB141_61
; %bb.32:                               ;   in Loop: Header=BB141_31 Depth=1
	s_and_b32 vcc_lo, exec_lo, s80
	s_cbranch_vccz .LBB141_44
; %bb.33:                               ;   in Loop: Header=BB141_31 Depth=1
	v_cmp_gt_u64_e32 vcc_lo, 0xc01, v[4:5]
	s_mov_b32 s9, 0
	s_mov_b32 s7, 0
	s_cbranch_vccz .LBB141_45
; %bb.34:                               ;   in Loop: Header=BB141_31 Depth=1
	global_load_u16 v6, v13, s[58:59]
	global_load_u8 v7, v[10:11], off
	s_mov_b32 s11, 0
	s_waitcnt vmcnt(1)
	v_readfirstlane_b32 s7, v6
	v_and_b32_e32 v6, 0xffff, v6
	s_delay_alu instid0(VALU_DEP_2) | instskip(NEXT) | instid1(SALU_CYCLE_1)
	s_and_b32 s7, 0xffff, s7
	v_add_nc_u32_e32 v8, s7, v0
	s_mul_i32 s8, s31, s7
	s_mul_hi_u32 s10, s30, s7
	s_mul_i32 s12, s30, s7
	s_add_i32 s10, s10, s8
	v_mad_u64_u32 v[2:3], null, s30, v8, s[60:61]
	s_delay_alu instid0(VALU_DEP_1) | instskip(NEXT) | instid1(VALU_DEP_1)
	v_mad_u64_u32 v[4:5], null, s31, v8, v[3:4]
	v_mov_b32_e32 v3, v4
	v_dual_mov_b32 v5, v1 :: v_dual_mov_b32 v4, v0
	s_branch .LBB141_36
.LBB141_35:                             ;   in Loop: Header=BB141_36 Depth=2
	s_or_b32 exec_lo, exec_lo, s8
	v_add_co_u32 v2, vcc_lo, v2, s12
	v_add_co_ci_u32_e32 v3, vcc_lo, s10, v3, vcc_lo
	v_mov_b32_e32 v7, v8
	s_and_not1_b32 exec_lo, exec_lo, s11
	s_cbranch_execz .LBB141_46
.LBB141_36:                             ;   Parent Loop BB141_31 Depth=1
                                        ; =>  This Inner Loop Header: Depth=2
	s_delay_alu instid0(VALU_DEP_1) | instskip(NEXT) | instid1(VALU_DEP_2)
	v_add_co_u32 v4, vcc_lo, v4, v6
	v_add_co_ci_u32_e32 v5, vcc_lo, 0, v5, vcc_lo
	s_waitcnt lgkmcnt(0)
	v_dual_mov_b32 v9, 0 :: v_dual_mov_b32 v8, 0
	s_mov_b32 s8, exec_lo
	s_delay_alu instid0(VALU_DEP_2)
	v_cmp_le_u64_e32 vcc_lo, s[36:37], v[4:5]
	v_cmpx_gt_u64_e64 s[36:37], v[4:5]
	s_cbranch_execz .LBB141_38
; %bb.37:                               ;   in Loop: Header=BB141_36 Depth=2
	global_load_u8 v8, v[2:3], off
.LBB141_38:                             ;   in Loop: Header=BB141_36 Depth=2
	s_or_b32 exec_lo, exec_lo, s8
	s_waitcnt vmcnt(0)
	v_bfe_i32 v12, v7, 0, 8
	s_delay_alu instid0(VALU_DEP_1) | instskip(NEXT) | instid1(VALU_DEP_1)
	v_add_nc_u32_e32 v12, 0x80, v12
	v_and_b32_e32 v12, v12, v38
	s_delay_alu instid0(VALU_DEP_1) | instskip(NEXT) | instid1(VALU_DEP_1)
	v_cmp_eq_u32_e64 s7, v12, v39
	s_cmp_lg_u32 s7, 0
	s_cselect_b32 s8, -1, 0
	s_delay_alu instid0(SALU_CYCLE_1) | instskip(NEXT) | instid1(SALU_CYCLE_1)
	s_and_b32 s8, s2, s8
	s_and_saveexec_b32 s13, s8
	s_cbranch_execz .LBB141_42
; %bb.39:                               ;   in Loop: Header=BB141_36 Depth=2
	s_mov_b32 s16, exec_lo
	s_bcnt1_i32_b32 s14, s7
	v_mbcnt_lo_u32_b32 v9, s16, 0
	s_mov_b32 s15, exec_lo
                                        ; implicit-def: $vgpr12
	s_delay_alu instid0(VALU_DEP_1)
	v_cmpx_eq_u32_e32 0, v9
	s_cbranch_execz .LBB141_41
; %bb.40:                               ;   in Loop: Header=BB141_36 Depth=2
	s_bcnt1_i32_b32 s8, s16
	s_delay_alu instid0(SALU_CYCLE_1) | instskip(NEXT) | instid1(SALU_CYCLE_1)
	s_mul_i32 s8, s14, s8
	v_mov_b32_e32 v12, s8
	ds_add_rtn_u32 v12, v13, v12 offset:5144
.LBB141_41:                             ;   in Loop: Header=BB141_36 Depth=2
	s_or_b32 exec_lo, exec_lo, s15
	s_waitcnt lgkmcnt(0)
	v_readfirstlane_b32 s8, v12
	s_delay_alu instid0(VALU_DEP_1)
	v_mad_u32_u24 v9, s14, v9, s8
.LBB141_42:                             ;   in Loop: Header=BB141_36 Depth=2
	s_or_b32 exec_lo, exec_lo, s13
	ds_bpermute_b32 v9, v13, v9
	s_and_b32 s8, exec_lo, vcc_lo
	s_delay_alu instid0(SALU_CYCLE_1)
	s_or_b32 s11, s8, s11
	s_and_saveexec_b32 s8, s7
	s_cbranch_execz .LBB141_35
; %bb.43:                               ;   in Loop: Header=BB141_36 Depth=2
	v_and_b32_e32 v12, s7, v33
	s_waitcnt lgkmcnt(0)
	s_delay_alu instid0(VALU_DEP_1)
	v_bcnt_u32_b32 v9, v12, v9
	ds_store_b8 v9, v7
	s_branch .LBB141_35
.LBB141_44:                             ;   in Loop: Header=BB141_31 Depth=1
	s_mov_b32 s7, 0
                                        ; implicit-def: $sgpr64_sgpr65
	s_cbranch_execnz .LBB141_49
	s_branch .LBB141_59
.LBB141_45:                             ;   in Loop: Header=BB141_31 Depth=1
	s_mov_b64 s[64:65], 0
	s_and_b32 vcc_lo, exec_lo, s9
	s_cbranch_vccnz .LBB141_49
	s_branch .LBB141_59
.LBB141_46:                             ;   in Loop: Header=BB141_31 Depth=1
	s_or_b32 exec_lo, exec_lo, s11
	s_waitcnt lgkmcnt(0)
	s_barrier
	buffer_gl0_inv
	s_and_saveexec_b32 s7, s5
	s_cbranch_execz .LBB141_48
; %bb.47:                               ;   in Loop: Header=BB141_31 Depth=1
	ds_load_b32 v2, v13 offset:5144
	s_waitcnt lgkmcnt(0)
	v_ashrrev_i32_e32 v3, 31, v2
	ds_store_b64 v13, v[2:3] offset:5120
.LBB141_48:                             ;   in Loop: Header=BB141_31 Depth=1
	s_or_b32 exec_lo, exec_lo, s7
	s_waitcnt lgkmcnt(0)
	s_mov_b32 s7, -1
	s_barrier
	s_mov_b64 s[64:65], 0
	s_and_b32 vcc_lo, exec_lo, s9
	s_cbranch_vccz .LBB141_59
.LBB141_49:                             ;   in Loop: Header=BB141_31 Depth=1
	v_mov_b32_e32 v6, 0
	s_and_saveexec_b32 s7, s3
	s_cbranch_execz .LBB141_51
; %bb.50:                               ;   in Loop: Header=BB141_31 Depth=1
	global_load_u8 v6, v[10:11], off
.LBB141_51:                             ;   in Loop: Header=BB141_31 Depth=1
	s_or_b32 exec_lo, exec_lo, s7
	s_and_saveexec_b32 s8, s3
	s_cbranch_execz .LBB141_56
; %bb.52:                               ;   in Loop: Header=BB141_31 Depth=1
	global_load_u16 v8, v13, s[58:59]
	s_mov_b32 s12, 0
	s_waitcnt vmcnt(0)
	v_readfirstlane_b32 s7, v8
	v_and_b32_e32 v8, 0xffff, v8
	s_delay_alu instid0(VALU_DEP_2) | instskip(NEXT) | instid1(SALU_CYCLE_1)
	s_and_b32 s9, 0xffff, s7
	v_add_nc_u32_e32 v7, s9, v0
	s_mul_i32 s7, s31, s9
	s_mul_hi_u32 s10, s30, s9
	s_mul_i32 s11, s30, s9
	s_add_i32 s10, s10, s7
	v_mad_u64_u32 v[2:3], null, s30, v7, s[60:61]
	s_delay_alu instid0(VALU_DEP_1) | instskip(SKIP_1) | instid1(VALU_DEP_2)
	v_mad_u64_u32 v[4:5], null, s31, v7, v[3:4]
	v_mov_b32_e32 v7, v0
	v_mov_b32_e32 v3, v4
	v_dual_mov_b32 v5, v1 :: v_dual_mov_b32 v4, v0
	s_branch .LBB141_54
	.p2align	6
.LBB141_53:                             ;   in Loop: Header=BB141_54 Depth=2
	s_or_b32 exec_lo, exec_lo, s13
	s_delay_alu instid0(SALU_CYCLE_1)
	s_and_b32 s7, exec_lo, vcc_lo
	v_add_co_u32 v2, vcc_lo, v2, s11
	ds_store_b8 v7, v6
	s_waitcnt vmcnt(0)
	v_dual_mov_b32 v6, v9 :: v_dual_add_nc_u32 v7, s9, v7
	v_add_co_ci_u32_e32 v3, vcc_lo, s10, v3, vcc_lo
	s_or_b32 s12, s7, s12
	s_delay_alu instid0(SALU_CYCLE_1)
	s_and_not1_b32 exec_lo, exec_lo, s12
	s_cbranch_execz .LBB141_56
.LBB141_54:                             ;   Parent Loop BB141_31 Depth=1
                                        ; =>  This Inner Loop Header: Depth=2
	s_delay_alu instid0(VALU_DEP_1) | instskip(NEXT) | instid1(VALU_DEP_2)
	v_add_co_u32 v4, vcc_lo, v4, v8
	v_add_co_ci_u32_e32 v5, vcc_lo, 0, v5, vcc_lo
	v_mov_b32_e32 v9, 0
	s_mov_b32 s13, exec_lo
	s_delay_alu instid0(VALU_DEP_2)
	v_cmp_le_u64_e32 vcc_lo, s[36:37], v[4:5]
	v_cmpx_gt_u64_e64 s[36:37], v[4:5]
	s_cbranch_execz .LBB141_53
; %bb.55:                               ;   in Loop: Header=BB141_54 Depth=2
	global_load_u8 v9, v[2:3], off
	s_branch .LBB141_53
.LBB141_56:                             ;   in Loop: Header=BB141_31 Depth=1
	s_or_b32 exec_lo, exec_lo, s8
	s_waitcnt vmcnt(0) lgkmcnt(0)
	s_barrier
	buffer_gl0_inv
	s_and_saveexec_b32 s7, s5
	s_cbranch_execz .LBB141_58
; %bb.57:                               ;   in Loop: Header=BB141_31 Depth=1
	v_dual_mov_b32 v2, s36 :: v_dual_mov_b32 v3, s37
	ds_store_b64 v13, v[2:3] offset:5120
.LBB141_58:                             ;   in Loop: Header=BB141_31 Depth=1
	s_or_b32 exec_lo, exec_lo, s7
	s_mov_b32 s7, -1
	s_waitcnt lgkmcnt(0)
	s_barrier
                                        ; implicit-def: $sgpr64_sgpr65
.LBB141_59:                             ;   in Loop: Header=BB141_31 Depth=1
	s_and_b32 vcc_lo, exec_lo, s7
	s_cbranch_vccz .LBB141_61
; %bb.60:                               ;   in Loop: Header=BB141_31 Depth=1
	buffer_gl0_inv
	ds_load_b64 v[2:3], v13 offset:5120
	s_waitcnt lgkmcnt(0)
	v_readfirstlane_b32 s64, v2
.LBB141_61:                             ;   in Loop: Header=BB141_31 Depth=1
	s_delay_alu instid0(VALU_DEP_1)
	s_cmp_lt_i32 s64, 1
	s_cbranch_scc0 .LBB141_76
; %bb.62:                               ;   in Loop: Header=BB141_31 Depth=1
	global_load_u16 v4, v13, s[58:59]
	s_mov_b32 s8, s55
	s_mov_b32 s9, s37
	s_waitcnt vmcnt(0)
	v_readfirstlane_b32 s7, v4
	s_delay_alu instid0(VALU_DEP_1) | instskip(NEXT) | instid1(SALU_CYCLE_1)
	s_and_b32 s7, 0xffff, s7
	s_lshl_b32 s54, s7, 2
	s_cmp_lg_u64 s[8:9], 0
	s_cbranch_scc0 .LBB141_96
; %bb.63:                               ;   in Loop: Header=BB141_31 Depth=1
	v_cvt_f32_u32_e32 v2, s54
	s_sub_u32 s9, 0, s54
	s_subb_u32 s10, 0, 0
	s_delay_alu instid0(VALU_DEP_1) | instskip(NEXT) | instid1(VALU_DEP_1)
	v_fmac_f32_e64 v2, 0, 0x4f800000
	v_rcp_f32_e32 v2, v2
	s_waitcnt_depctr 0xfff
	v_mul_f32_e32 v2, 0x5f7ffffc, v2
	s_delay_alu instid0(VALU_DEP_1) | instskip(NEXT) | instid1(VALU_DEP_1)
	v_mul_f32_e32 v3, 0x2f800000, v2
	v_trunc_f32_e32 v3, v3
	s_delay_alu instid0(VALU_DEP_1) | instskip(SKIP_1) | instid1(VALU_DEP_2)
	v_fmac_f32_e32 v2, 0xcf800000, v3
	v_cvt_u32_f32_e32 v3, v3
	v_cvt_u32_f32_e32 v2, v2
	s_delay_alu instid0(VALU_DEP_2) | instskip(NEXT) | instid1(VALU_DEP_2)
	v_readfirstlane_b32 s7, v3
	v_readfirstlane_b32 s8, v2
	s_delay_alu instid0(VALU_DEP_2) | instskip(NEXT) | instid1(VALU_DEP_1)
	s_mul_i32 s11, s9, s7
	s_mul_hi_u32 s13, s9, s8
	s_mul_i32 s12, s10, s8
	s_add_i32 s11, s13, s11
	s_mul_i32 s14, s9, s8
	s_add_i32 s11, s11, s12
	s_mul_hi_u32 s13, s8, s14
	s_mul_hi_u32 s15, s7, s14
	s_mul_i32 s12, s7, s14
	s_mul_hi_u32 s14, s8, s11
	s_mul_i32 s8, s8, s11
	s_mul_hi_u32 s16, s7, s11
	s_add_u32 s8, s13, s8
	s_addc_u32 s13, 0, s14
	s_add_u32 s8, s8, s12
	s_mul_i32 s11, s7, s11
	s_addc_u32 s8, s13, s15
	s_addc_u32 s12, s16, 0
	s_add_u32 s8, s8, s11
	s_addc_u32 s11, 0, s12
	v_add_co_u32 v2, s8, v2, s8
	s_delay_alu instid0(VALU_DEP_1) | instskip(SKIP_1) | instid1(VALU_DEP_1)
	s_cmp_lg_u32 s8, 0
	s_addc_u32 s7, s7, s11
	v_readfirstlane_b32 s8, v2
	s_mul_i32 s11, s9, s7
	s_delay_alu instid0(VALU_DEP_1)
	s_mul_hi_u32 s12, s9, s8
	s_mul_i32 s10, s10, s8
	s_add_i32 s11, s12, s11
	s_mul_i32 s9, s9, s8
	s_add_i32 s11, s11, s10
	s_mul_hi_u32 s12, s7, s9
	s_mul_i32 s13, s7, s9
	s_mul_hi_u32 s9, s8, s9
	s_mul_hi_u32 s14, s8, s11
	s_mul_i32 s8, s8, s11
	s_mul_hi_u32 s10, s7, s11
	s_add_u32 s8, s9, s8
	s_addc_u32 s9, 0, s14
	s_add_u32 s8, s8, s13
	s_mul_i32 s11, s7, s11
	s_addc_u32 s8, s9, s12
	s_addc_u32 s9, s10, 0
	s_add_u32 s8, s8, s11
	s_addc_u32 s9, 0, s9
	v_add_co_u32 v2, s8, v2, s8
	s_delay_alu instid0(VALU_DEP_1) | instskip(SKIP_1) | instid1(VALU_DEP_1)
	s_cmp_lg_u32 s8, 0
	s_addc_u32 s7, s7, s9
	v_readfirstlane_b32 s8, v2
	s_mul_i32 s10, s36, s7
	s_mul_hi_u32 s9, s36, s7
	s_mul_hi_u32 s11, s37, s7
	s_mul_i32 s7, s37, s7
	s_mul_hi_u32 s12, s36, s8
	s_mul_hi_u32 s13, s37, s8
	s_mul_i32 s8, s37, s8
	s_add_u32 s10, s12, s10
	s_addc_u32 s9, 0, s9
	s_add_u32 s8, s10, s8
	s_addc_u32 s8, s9, s13
	s_addc_u32 s9, s11, 0
	s_add_u32 s7, s8, s7
	s_addc_u32 s8, 0, s9
	s_mul_hi_u32 s9, s54, s7
	s_mul_i32 s7, s54, s7
	s_mul_i32 s8, s54, s8
	v_sub_co_u32 v2, s7, s36, s7
	s_add_i32 s9, s9, s8
	s_cmp_lg_u32 s7, 0
	s_delay_alu instid0(VALU_DEP_1) | instskip(SKIP_2) | instid1(VALU_DEP_1)
	v_sub_co_u32 v3, s7, v2, s54
	s_subb_u32 s8, s37, s9
	s_cmp_lg_u32 s7, 0
	v_cmp_le_u32_e32 vcc_lo, s54, v3
	v_sub_co_u32 v5, s7, v3, s54
	s_subb_u32 s9, s8, 0
	s_cmp_lg_u32 s7, 0
	v_cndmask_b32_e64 v6, 0, -1, vcc_lo
	s_subb_u32 s7, s9, 0
	s_cmp_eq_u32 s9, 0
	v_mov_b32_e32 v8, s7
	s_cselect_b32 vcc_lo, -1, 0
	s_cmp_eq_u32 s8, 0
	v_cndmask_b32_e32 v6, -1, v6, vcc_lo
	v_cmp_le_u32_e32 vcc_lo, s54, v2
	s_cselect_b32 s7, -1, 0
	v_cndmask_b32_e64 v7, 0, -1, vcc_lo
	s_delay_alu instid0(VALU_DEP_3) | instskip(NEXT) | instid1(VALU_DEP_2)
	v_cmp_ne_u32_e32 vcc_lo, 0, v6
	v_cndmask_b32_e64 v6, -1, v7, s7
	v_cndmask_b32_e32 v7, s9, v8, vcc_lo
	v_cndmask_b32_e32 v5, v3, v5, vcc_lo
	s_delay_alu instid0(VALU_DEP_3) | instskip(NEXT) | instid1(VALU_DEP_3)
	v_cmp_ne_u32_e32 vcc_lo, 0, v6
	v_cndmask_b32_e32 v3, s8, v7, vcc_lo
	s_delay_alu instid0(VALU_DEP_3)
	v_cndmask_b32_e32 v2, v2, v5, vcc_lo
	s_cbranch_execnz .LBB141_65
.LBB141_64:                             ;   in Loop: Header=BB141_31 Depth=1
	v_cvt_f32_u32_e32 v2, s54
	s_sub_i32 s7, 0, s54
	s_delay_alu instid0(VALU_DEP_1) | instskip(SKIP_2) | instid1(VALU_DEP_1)
	v_rcp_iflag_f32_e32 v2, v2
	s_waitcnt_depctr 0xfff
	v_mul_f32_e32 v2, 0x4f7ffffe, v2
	v_cvt_u32_f32_e32 v2, v2
	s_delay_alu instid0(VALU_DEP_1) | instskip(NEXT) | instid1(VALU_DEP_1)
	v_mul_lo_u32 v3, s7, v2
	v_mul_hi_u32 v3, v2, v3
	s_delay_alu instid0(VALU_DEP_1) | instskip(NEXT) | instid1(VALU_DEP_1)
	v_add_nc_u32_e32 v2, v2, v3
	v_mul_hi_u32 v2, s36, v2
	s_delay_alu instid0(VALU_DEP_1) | instskip(NEXT) | instid1(VALU_DEP_1)
	v_mul_lo_u32 v2, v2, s54
	v_sub_nc_u32_e32 v2, s36, v2
	s_delay_alu instid0(VALU_DEP_1) | instskip(SKIP_1) | instid1(VALU_DEP_2)
	v_subrev_nc_u32_e32 v3, s54, v2
	v_cmp_le_u32_e32 vcc_lo, s54, v2
	v_cndmask_b32_e32 v2, v2, v3, vcc_lo
	s_delay_alu instid0(VALU_DEP_1) | instskip(SKIP_1) | instid1(VALU_DEP_2)
	v_subrev_nc_u32_e32 v3, s54, v2
	v_cmp_le_u32_e32 vcc_lo, s54, v2
	v_cndmask_b32_e32 v12, v2, v3, vcc_lo
	s_delay_alu instid0(VALU_DEP_1)
	v_dual_mov_b32 v2, v12 :: v_dual_mov_b32 v3, v13
.LBB141_65:                             ;   in Loop: Header=BB141_31 Depth=1
	s_delay_alu instid0(VALU_DEP_1) | instskip(NEXT) | instid1(VALU_DEP_2)
	v_sub_co_u32 v27, vcc_lo, s36, v2
	v_sub_co_ci_u32_e32 v28, vcc_lo, s37, v3, vcc_lo
	v_mov_b32_e32 v2, 0
	v_dual_mov_b32 v3, 0 :: v_dual_and_b32 v12, 0xffff, v4
	s_mov_b64 s[66:67], 0
	s_mov_b32 s65, exec_lo
	s_delay_alu instid0(VALU_DEP_1)
	v_dual_mov_b32 v5, v3 :: v_dual_mov_b32 v4, v2
	v_dual_mov_b32 v7, v3 :: v_dual_mov_b32 v6, v2
	;; [unrolled: 1-line block ×3, first 2 shown]
	v_cmpx_gt_u64_e64 v[27:28], v[14:15]
	s_cbranch_execz .LBB141_69
; %bb.66:                               ;   in Loop: Header=BB141_31 Depth=1
	v_mul_lo_u32 v2, s63, v12
	v_mul_hi_u32 v3, s62, v12
	v_mul_lo_u32 v41, s62, v12
	v_dual_mov_b32 v32, v15 :: v_dual_mov_b32 v29, s56
	v_mov_b32_e32 v30, s57
	s_and_b32 s102, s89, 0xfe
	s_mov_b32 s103, 0
	s_delay_alu instid0(VALU_DEP_4)
	v_dual_mov_b32 v31, v14 :: v_dual_add_nc_u32 v42, v3, v2
	s_mov_b64 s[68:69], 0
	s_mov_b64 s[70:71], 0
	;; [unrolled: 1-line block ×3, first 2 shown]
.LBB141_67:                             ;   Parent Loop BB141_31 Depth=1
                                        ; =>  This Inner Loop Header: Depth=2
	v_add_co_u32 v2, vcc_lo, v29, v21
	v_add_co_ci_u32_e32 v3, vcc_lo, v30, v22, vcc_lo
	v_add_co_u32 v4, vcc_lo, v29, v20
	v_add_co_ci_u32_e32 v5, vcc_lo, v30, v36, vcc_lo
	;; [unrolled: 2-line block ×4, first 2 shown]
	s_clause 0x3
	global_load_i8 v2, v[2:3], off
	global_load_i8 v3, v[4:5], off
	;; [unrolled: 1-line block ×4, first 2 shown]
	v_add_co_u32 v31, vcc_lo, v31, s54
	v_add_co_ci_u32_e32 v32, vcc_lo, 0, v32, vcc_lo
	v_add_co_u32 v29, vcc_lo, v29, v41
	v_add_co_ci_u32_e32 v30, vcc_lo, v30, v42, vcc_lo
	s_delay_alu instid0(VALU_DEP_3)
	v_cmp_ge_u64_e32 vcc_lo, v[31:32], v[27:28]
	s_waitcnt vmcnt(3)
	v_add_nc_u32_e32 v2, 0x80, v2
	s_waitcnt vmcnt(2)
	v_add_nc_u32_e32 v3, 0x80, v3
	;; [unrolled: 2-line block ×4, first 2 shown]
	v_and_b32_e32 v6, v2, v38
	v_bfe_u32 v2, v2, s102, 2
	v_and_b32_e32 v7, v3, v38
	v_bfe_u32 v3, v3, s102, 2
	;; [unrolled: 2-line block ×3, first 2 shown]
	v_cmp_eq_u32_e64 s7, v6, v39
	v_cmp_eq_u32_e64 s11, 0, v2
	v_and_b32_e32 v9, v5, v38
	v_bfe_u32 v5, v5, s102, 2
	v_cmp_eq_u32_e64 s8, v7, v39
	v_cmp_eq_u32_e64 s12, 0, v3
	;; [unrolled: 1-line block ×4, first 2 shown]
	s_and_b32 s11, s7, s11
	v_cmp_eq_u32_e64 s10, v9, v39
	v_cmp_eq_u32_e64 s14, 0, v5
	;; [unrolled: 1-line block ×5, first 2 shown]
	v_cndmask_b32_e64 v2, 0, 1, s11
	s_and_b32 s11, s8, s12
	v_cmp_eq_u32_e64 s16, 1, v3
	v_cmp_eq_u32_e64 s20, 2, v3
	v_cmp_eq_u32_e64 s24, 3, v3
	v_cndmask_b32_e64 v3, 0, 1, s11
	s_and_b32 s11, s9, s13
	v_cmp_eq_u32_e64 s17, 1, v4
	v_cmp_eq_u32_e64 s21, 2, v4
	v_cmp_eq_u32_e64 s25, 3, v4
	;; [unrolled: 5-line block ×3, first 2 shown]
	v_cndmask_b32_e64 v5, 0, 1, s11
	v_cmp_ne_u32_e64 s11, 0, v2
	v_cmp_ne_u32_e64 s12, 0, v3
	;; [unrolled: 1-line block ×3, first 2 shown]
	s_delay_alu instid0(VALU_DEP_4) | instskip(NEXT) | instid1(VALU_DEP_4)
	v_cmp_ne_u32_e64 s14, 0, v5
	s_bcnt1_i32_b32 s11, s11
	s_delay_alu instid0(VALU_DEP_3) | instskip(NEXT) | instid1(VALU_DEP_2)
	s_bcnt1_i32_b32 s12, s12
	s_bcnt1_i32_b32 s13, s13
	s_add_i32 s11, s12, s11
	s_bcnt1_i32_b32 s14, s14
	s_add_i32 s11, s11, s13
	s_delay_alu instid0(SALU_CYCLE_1) | instskip(NEXT) | instid1(SALU_CYCLE_1)
	s_add_i32 s11, s11, s14
	s_add_u32 s72, s72, s11
	s_addc_u32 s73, s73, 0
	s_and_b32 s11, s7, s15
	s_delay_alu instid0(SALU_CYCLE_1) | instskip(SKIP_1) | instid1(SALU_CYCLE_1)
	v_cndmask_b32_e64 v2, 0, 1, s11
	s_and_b32 s11, s8, s16
	v_cndmask_b32_e64 v3, 0, 1, s11
	s_and_b32 s11, s9, s17
	s_delay_alu instid0(SALU_CYCLE_1) | instskip(SKIP_1) | instid1(VALU_DEP_2)
	v_cndmask_b32_e64 v4, 0, 1, s11
	s_and_b32 s11, s10, s18
	v_cmp_ne_u32_e64 s12, 0, v3
	v_cndmask_b32_e64 v5, 0, 1, s11
	v_cmp_ne_u32_e64 s11, 0, v2
	v_cmp_ne_u32_e64 s13, 0, v4
	s_delay_alu instid0(VALU_DEP_4) | instskip(NEXT) | instid1(VALU_DEP_3)
	s_bcnt1_i32_b32 s12, s12
	v_cmp_ne_u32_e64 s14, 0, v5
	s_delay_alu instid0(VALU_DEP_3) | instskip(NEXT) | instid1(VALU_DEP_2)
	s_bcnt1_i32_b32 s11, s11
	s_bcnt1_i32_b32 s13, s13
	s_add_i32 s11, s12, s11
	s_delay_alu instid0(VALU_DEP_1) | instskip(SKIP_1) | instid1(SALU_CYCLE_1)
	s_bcnt1_i32_b32 s14, s14
	s_add_i32 s11, s11, s13
	s_add_i32 s11, s11, s14
	s_delay_alu instid0(SALU_CYCLE_1) | instskip(SKIP_2) | instid1(SALU_CYCLE_1)
	s_add_u32 s70, s70, s11
	s_addc_u32 s71, s71, 0
	s_and_b32 s11, s7, s19
	v_cndmask_b32_e64 v2, 0, 1, s11
	s_and_b32 s11, s8, s20
	s_delay_alu instid0(SALU_CYCLE_1) | instskip(SKIP_1) | instid1(SALU_CYCLE_1)
	v_cndmask_b32_e64 v3, 0, 1, s11
	s_and_b32 s11, s9, s21
	v_cndmask_b32_e64 v4, 0, 1, s11
	s_and_b32 s11, s10, s22
	s_delay_alu instid0(VALU_DEP_2) | instskip(SKIP_3) | instid1(VALU_DEP_4)
	v_cmp_ne_u32_e64 s12, 0, v3
	v_cndmask_b32_e64 v5, 0, 1, s11
	v_cmp_ne_u32_e64 s11, 0, v2
	v_cmp_ne_u32_e64 s13, 0, v4
	s_bcnt1_i32_b32 s12, s12
	s_delay_alu instid0(VALU_DEP_3) | instskip(NEXT) | instid1(VALU_DEP_3)
	v_cmp_ne_u32_e64 s14, 0, v5
	s_bcnt1_i32_b32 s11, s11
	s_delay_alu instid0(VALU_DEP_2) | instskip(SKIP_1) | instid1(VALU_DEP_1)
	s_bcnt1_i32_b32 s13, s13
	s_add_i32 s11, s12, s11
	s_bcnt1_i32_b32 s14, s14
	s_add_i32 s11, s11, s13
	s_delay_alu instid0(SALU_CYCLE_1) | instskip(NEXT) | instid1(SALU_CYCLE_1)
	s_add_i32 s11, s11, s14
	s_add_u32 s68, s68, s11
	s_addc_u32 s69, s69, 0
	v_mov_b32_e32 v6, s68
	s_and_b32 s7, s7, s23
	v_mov_b32_e32 v7, s69
	v_cndmask_b32_e64 v2, 0, 1, s7
	s_and_b32 s7, s8, s24
	s_delay_alu instid0(SALU_CYCLE_1) | instskip(SKIP_1) | instid1(SALU_CYCLE_1)
	v_cndmask_b32_e64 v3, 0, 1, s7
	s_and_b32 s7, s9, s25
	v_cndmask_b32_e64 v4, 0, 1, s7
	s_and_b32 s7, s10, s26
	s_delay_alu instid0(VALU_DEP_2)
	v_cmp_ne_u32_e64 s8, 0, v3
	v_cndmask_b32_e64 v5, 0, 1, s7
	v_cmp_ne_u32_e64 s7, 0, v2
	v_cmp_ne_u32_e64 s9, 0, v4
	v_mov_b32_e32 v2, s72
	s_bcnt1_i32_b32 s8, s8
	v_cmp_ne_u32_e64 s10, 0, v5
	s_bcnt1_i32_b32 s7, s7
	s_bcnt1_i32_b32 s9, s9
	s_add_i32 s7, s8, s7
	v_mov_b32_e32 v4, s70
	s_bcnt1_i32_b32 s8, s10
	s_add_i32 s7, s7, s9
	v_mov_b32_e32 v3, s73
	s_add_i32 s7, s7, s8
	v_mov_b32_e32 v5, s71
	s_add_u32 s66, s66, s7
	s_addc_u32 s67, s67, 0
	s_delay_alu instid0(SALU_CYCLE_1) | instskip(SKIP_1) | instid1(SALU_CYCLE_1)
	v_dual_mov_b32 v8, s66 :: v_dual_mov_b32 v9, s67
	s_or_b32 s103, vcc_lo, s103
	s_and_not1_b32 exec_lo, exec_lo, s103
	s_cbranch_execnz .LBB141_67
; %bb.68:                               ;   in Loop: Header=BB141_31 Depth=1
	s_or_b32 exec_lo, exec_lo, s103
.LBB141_69:                             ;   in Loop: Header=BB141_31 Depth=1
	s_delay_alu instid0(SALU_CYCLE_1) | instskip(SKIP_3) | instid1(VALU_DEP_2)
	s_or_b32 exec_lo, exec_lo, s65
	v_add_co_u32 v27, vcc_lo, v27, v0
	v_add_co_ci_u32_e32 v28, vcc_lo, 0, v28, vcc_lo
	v_mov_b32_e32 v30, 0
	v_cmp_gt_u64_e32 vcc_lo, s[36:37], v[27:28]
	s_and_saveexec_b32 s7, vcc_lo
	s_cbranch_execz .LBB141_71
; %bb.70:                               ;   in Loop: Header=BB141_31 Depth=1
	v_mad_u64_u32 v[29:30], null, v27, s30, s[56:57]
	v_mul_lo_u32 v31, v27, s31
	v_mul_lo_u32 v32, v28, s30
	s_delay_alu instid0(VALU_DEP_1)
	v_add3_u32 v30, v32, v30, v31
	global_load_u8 v30, v[29:30], off
.LBB141_71:                             ;   in Loop: Header=BB141_31 Depth=1
	s_or_b32 exec_lo, exec_lo, s7
	s_and_saveexec_b32 s11, vcc_lo
	s_cbranch_execz .LBB141_78
; %bb.72:                               ;   in Loop: Header=BB141_31 Depth=1
	s_and_b32 s13, s89, 0xfe
	s_mov_b32 s12, 0
	s_branch .LBB141_74
.LBB141_73:                             ;   in Loop: Header=BB141_74 Depth=2
	s_or_b32 exec_lo, exec_lo, s8
	s_waitcnt vmcnt(0)
	v_bfe_i32 v30, v30, 0, 8
	s_and_b32 s9, exec_lo, vcc_lo
	s_delay_alu instid0(SALU_CYCLE_1) | instskip(NEXT) | instid1(VALU_DEP_1)
	s_or_b32 s12, s9, s12
	v_add_nc_u32_e32 v30, 0x80, v30
	s_delay_alu instid0(VALU_DEP_1) | instskip(SKIP_1) | instid1(VALU_DEP_2)
	v_and_b32_e32 v31, v30, v38
	v_bfe_u32 v30, v30, s13, 2
	v_cmp_eq_u32_e64 s7, v31, v39
	s_delay_alu instid0(VALU_DEP_2) | instskip(SKIP_2) | instid1(VALU_DEP_3)
	v_cmp_eq_u32_e64 s8, 0, v30
	v_cmp_eq_u32_e32 vcc_lo, 1, v30
	v_cmp_eq_u32_e64 s9, 2, v30
	s_and_b32 s8, s7, s8
	s_delay_alu instid0(SALU_CYCLE_1) | instskip(SKIP_4) | instid1(SALU_CYCLE_1)
	v_cndmask_b32_e64 v31, 0, 1, s8
	s_and_b32 s8, s7, vcc_lo
	v_cmp_eq_u32_e32 vcc_lo, 3, v30
	v_cndmask_b32_e64 v32, 0, 1, s8
	s_and_b32 s8, s7, s9
	v_cndmask_b32_e64 v41, 0, 1, s8
	v_cmp_ne_u32_e64 s8, 0, v31
	s_delay_alu instid0(VALU_DEP_3) | instskip(SKIP_1) | instid1(SALU_CYCLE_1)
	v_cmp_ne_u32_e64 s9, 0, v32
	s_and_b32 s7, s7, vcc_lo
	v_cndmask_b32_e64 v30, 0, 1, s7
	s_delay_alu instid0(VALU_DEP_3)
	s_bcnt1_i32_b32 s7, s8
	v_cmp_ne_u32_e64 s10, 0, v41
	v_add_co_u32 v2, vcc_lo, v2, s7
	s_bcnt1_i32_b32 s8, s9
	v_add_co_ci_u32_e32 v3, vcc_lo, 0, v3, vcc_lo
	v_add_co_u32 v4, vcc_lo, v4, s8
	v_add_co_ci_u32_e32 v5, vcc_lo, 0, v5, vcc_lo
	s_bcnt1_i32_b32 s9, s10
	v_cmp_ne_u32_e32 vcc_lo, 0, v30
	v_mov_b32_e32 v30, v29
	v_add_co_u32 v6, s7, v6, s9
	s_delay_alu instid0(VALU_DEP_1) | instskip(SKIP_1) | instid1(SALU_CYCLE_1)
	v_add_co_ci_u32_e64 v7, s7, 0, v7, s7
	s_bcnt1_i32_b32 s7, vcc_lo
	v_add_co_u32 v8, vcc_lo, v8, s7
	v_add_co_ci_u32_e32 v9, vcc_lo, 0, v9, vcc_lo
	s_and_not1_b32 exec_lo, exec_lo, s12
	s_cbranch_execz .LBB141_77
.LBB141_74:                             ;   Parent Loop BB141_31 Depth=1
                                        ; =>  This Inner Loop Header: Depth=2
	v_add_co_u32 v27, vcc_lo, v27, v12
	v_add_co_ci_u32_e32 v28, vcc_lo, 0, v28, vcc_lo
	v_mov_b32_e32 v29, 0
	s_mov_b32 s8, exec_lo
	s_delay_alu instid0(VALU_DEP_2)
	v_cmp_le_u64_e32 vcc_lo, s[36:37], v[27:28]
	v_cmpx_gt_u64_e64 s[36:37], v[27:28]
	s_cbranch_execz .LBB141_73
; %bb.75:                               ;   in Loop: Header=BB141_74 Depth=2
	v_mad_u64_u32 v[31:32], null, v27, s30, s[56:57]
	v_mul_lo_u32 v29, v27, s31
	v_mul_lo_u32 v41, v28, s30
	s_delay_alu instid0(VALU_DEP_1)
	v_add3_u32 v32, v41, v32, v29
	global_load_u8 v29, v[31:32], off
	s_branch .LBB141_73
.LBB141_76:                             ;   in Loop: Header=BB141_31 Depth=1
                                        ; implicit-def: $vgpr8_vgpr9
                                        ; implicit-def: $vgpr4_vgpr5
	s_cbranch_execnz .LBB141_79
	s_branch .LBB141_88
.LBB141_77:                             ;   in Loop: Header=BB141_31 Depth=1
	s_or_b32 exec_lo, exec_lo, s12
.LBB141_78:                             ;   in Loop: Header=BB141_31 Depth=1
	s_delay_alu instid0(SALU_CYCLE_1)
	s_or_b32 exec_lo, exec_lo, s11
	s_branch .LBB141_88
.LBB141_79:                             ;   in Loop: Header=BB141_31 Depth=1
	global_load_u16 v12, v13, s[58:59]
	s_mov_b64 s[66:67], 0
	s_mov_b32 s102, exec_lo
	s_waitcnt vmcnt(0)
	v_readfirstlane_b32 s7, v12
	s_delay_alu instid0(VALU_DEP_1) | instskip(NEXT) | instid1(SALU_CYCLE_1)
	s_and_b32 s7, 0xffff, s7
	s_lshl_b32 s65, s7, 2
	s_delay_alu instid0(SALU_CYCLE_1) | instskip(SKIP_1) | instid1(VALU_DEP_1)
	v_cvt_f32_u32_e32 v2, s65
	s_sub_i32 s8, 0, s65
	v_rcp_iflag_f32_e32 v2, v2
	s_waitcnt_depctr 0xfff
	v_mul_f32_e32 v2, 0x4f7ffffe, v2
	s_delay_alu instid0(VALU_DEP_1) | instskip(NEXT) | instid1(VALU_DEP_1)
	v_cvt_u32_f32_e32 v2, v2
	v_readfirstlane_b32 s7, v2
	v_mov_b32_e32 v2, 0
	v_mov_b32_e32 v3, 0
	s_delay_alu instid0(VALU_DEP_3) | instskip(NEXT) | instid1(VALU_DEP_1)
	s_mul_i32 s8, s8, s7
	v_dual_mov_b32 v5, v3 :: v_dual_mov_b32 v4, v2
	s_mul_hi_u32 s8, s7, s8
	v_dual_mov_b32 v7, v3 :: v_dual_mov_b32 v6, v2
	s_add_i32 s7, s7, s8
	v_dual_mov_b32 v9, v3 :: v_dual_mov_b32 v8, v2
	s_mul_hi_u32 s7, s64, s7
	s_delay_alu instid0(SALU_CYCLE_1) | instskip(NEXT) | instid1(SALU_CYCLE_1)
	s_mul_i32 s7, s7, s65
	s_sub_i32 s7, s64, s7
	s_delay_alu instid0(SALU_CYCLE_1) | instskip(SKIP_2) | instid1(SALU_CYCLE_1)
	s_sub_i32 s8, s7, s65
	s_cmp_ge_u32 s7, s65
	s_cselect_b32 s7, s8, s7
	s_sub_i32 s8, s7, s65
	s_cmp_ge_u32 s7, s65
	s_cselect_b32 s7, s8, s7
	s_delay_alu instid0(SALU_CYCLE_1) | instskip(NEXT) | instid1(SALU_CYCLE_1)
	s_sub_i32 s54, s64, s7
	v_cmpx_gt_u32_e64 s54, v14
	s_cbranch_execz .LBB141_83
; %bb.80:                               ;   in Loop: Header=BB141_31 Depth=1
	v_dual_mov_b32 v29, v14 :: v_dual_mov_b32 v28, v15
	v_mov_b32_e32 v27, v14
	s_and_b32 s104, s89, 0xfe
	s_mov_b32 s103, 0
	s_mov_b64 s[68:69], 0
	s_mov_b64 s[70:71], 0
	;; [unrolled: 1-line block ×3, first 2 shown]
.LBB141_81:                             ;   Parent Loop BB141_31 Depth=1
                                        ; =>  This Inner Loop Header: Depth=2
	ds_load_b32 v2, v29
	v_add_co_u32 v27, vcc_lo, v27, s65
	v_add_co_ci_u32_e32 v28, vcc_lo, 0, v28, vcc_lo
	s_delay_alu instid0(VALU_DEP_1)
	v_cmp_le_u64_e32 vcc_lo, s[54:55], v[27:28]
	s_waitcnt lgkmcnt(0)
	v_bfe_i32 v3, v2, 0, 8
	v_bfe_i32 v4, v2, 8, 8
	;; [unrolled: 1-line block ×3, first 2 shown]
	v_ashrrev_i32_e32 v2, 24, v2
	s_delay_alu instid0(VALU_DEP_4) | instskip(NEXT) | instid1(VALU_DEP_4)
	v_add_nc_u32_e32 v3, 0x80, v3
	v_add_nc_u32_e32 v4, 0x80, v4
	s_delay_alu instid0(VALU_DEP_4) | instskip(NEXT) | instid1(VALU_DEP_4)
	v_add_nc_u32_e32 v5, 0x80, v5
	v_add_nc_u32_e32 v2, 0x80, v2
	s_delay_alu instid0(VALU_DEP_4)
	v_and_b32_e32 v6, v3, v38
	v_bfe_u32 v3, v3, s104, 2
	v_and_b32_e32 v7, v4, v38
	v_bfe_u32 v4, v4, s104, 2
	;; [unrolled: 2-line block ×3, first 2 shown]
	v_cmp_eq_u32_e64 s7, v6, v39
	v_cmp_eq_u32_e64 s11, 0, v3
	v_and_b32_e32 v9, v2, v38
	v_bfe_u32 v2, v2, s104, 2
	v_cmp_eq_u32_e64 s8, v7, v39
	v_cmp_eq_u32_e64 s12, 0, v4
	;; [unrolled: 1-line block ×4, first 2 shown]
	s_and_b32 s11, s7, s11
	v_cmp_eq_u32_e64 s10, v9, v39
	v_cmp_eq_u32_e64 s14, 0, v2
	;; [unrolled: 1-line block ×5, first 2 shown]
	v_cndmask_b32_e64 v2, 0, 1, s11
	s_and_b32 s11, s8, s12
	v_cmp_eq_u32_e64 s15, 1, v3
	v_cmp_eq_u32_e64 s19, 2, v3
	v_cmp_eq_u32_e64 s23, 3, v3
	v_cndmask_b32_e64 v3, 0, 1, s11
	s_and_b32 s11, s9, s13
	v_cmp_eq_u32_e64 s16, 1, v4
	v_cmp_eq_u32_e64 s20, 2, v4
	v_cmp_eq_u32_e64 s24, 3, v4
	;; [unrolled: 5-line block ×3, first 2 shown]
	v_cndmask_b32_e64 v5, 0, 1, s11
	v_cmp_ne_u32_e64 s11, 0, v2
	v_cmp_ne_u32_e64 s12, 0, v3
	;; [unrolled: 1-line block ×3, first 2 shown]
	s_delay_alu instid0(VALU_DEP_4) | instskip(NEXT) | instid1(VALU_DEP_4)
	v_cmp_ne_u32_e64 s14, 0, v5
	s_bcnt1_i32_b32 s11, s11
	s_delay_alu instid0(VALU_DEP_3) | instskip(NEXT) | instid1(VALU_DEP_2)
	s_bcnt1_i32_b32 s12, s12
	s_bcnt1_i32_b32 s13, s13
	s_add_i32 s11, s12, s11
	s_bcnt1_i32_b32 s14, s14
	s_add_i32 s11, s11, s13
	s_delay_alu instid0(SALU_CYCLE_1) | instskip(NEXT) | instid1(SALU_CYCLE_1)
	s_add_i32 s11, s11, s14
	s_add_u32 s72, s72, s11
	s_addc_u32 s73, s73, 0
	s_and_b32 s11, s7, s15
	v_add_nc_u32_e32 v29, s65, v29
	v_cndmask_b32_e64 v2, 0, 1, s11
	s_and_b32 s11, s8, s16
	s_delay_alu instid0(SALU_CYCLE_1) | instskip(SKIP_1) | instid1(SALU_CYCLE_1)
	v_cndmask_b32_e64 v3, 0, 1, s11
	s_and_b32 s11, s9, s17
	v_cndmask_b32_e64 v4, 0, 1, s11
	s_and_b32 s11, s10, s18
	s_delay_alu instid0(VALU_DEP_2) | instskip(SKIP_3) | instid1(VALU_DEP_4)
	v_cmp_ne_u32_e64 s12, 0, v3
	v_cndmask_b32_e64 v5, 0, 1, s11
	v_cmp_ne_u32_e64 s11, 0, v2
	v_cmp_ne_u32_e64 s13, 0, v4
	s_bcnt1_i32_b32 s12, s12
	s_delay_alu instid0(VALU_DEP_3) | instskip(NEXT) | instid1(VALU_DEP_3)
	v_cmp_ne_u32_e64 s14, 0, v5
	s_bcnt1_i32_b32 s11, s11
	s_delay_alu instid0(VALU_DEP_2) | instskip(SKIP_1) | instid1(VALU_DEP_1)
	s_bcnt1_i32_b32 s13, s13
	s_add_i32 s11, s12, s11
	s_bcnt1_i32_b32 s14, s14
	s_add_i32 s11, s11, s13
	s_delay_alu instid0(SALU_CYCLE_1) | instskip(NEXT) | instid1(SALU_CYCLE_1)
	s_add_i32 s11, s11, s14
	s_add_u32 s70, s70, s11
	s_addc_u32 s71, s71, 0
	s_and_b32 s11, s7, s19
	s_delay_alu instid0(SALU_CYCLE_1) | instskip(SKIP_1) | instid1(SALU_CYCLE_1)
	v_cndmask_b32_e64 v2, 0, 1, s11
	s_and_b32 s11, s8, s20
	v_cndmask_b32_e64 v3, 0, 1, s11
	s_and_b32 s11, s9, s21
	s_delay_alu instid0(SALU_CYCLE_1) | instskip(SKIP_1) | instid1(VALU_DEP_2)
	v_cndmask_b32_e64 v4, 0, 1, s11
	s_and_b32 s11, s10, s22
	v_cmp_ne_u32_e64 s12, 0, v3
	v_cndmask_b32_e64 v5, 0, 1, s11
	v_cmp_ne_u32_e64 s11, 0, v2
	v_cmp_ne_u32_e64 s13, 0, v4
	s_delay_alu instid0(VALU_DEP_4) | instskip(NEXT) | instid1(VALU_DEP_3)
	s_bcnt1_i32_b32 s12, s12
	v_cmp_ne_u32_e64 s14, 0, v5
	s_delay_alu instid0(VALU_DEP_3) | instskip(NEXT) | instid1(VALU_DEP_2)
	s_bcnt1_i32_b32 s11, s11
	s_bcnt1_i32_b32 s13, s13
	s_add_i32 s11, s12, s11
	s_delay_alu instid0(VALU_DEP_1) | instskip(SKIP_1) | instid1(SALU_CYCLE_1)
	s_bcnt1_i32_b32 s14, s14
	s_add_i32 s11, s11, s13
	s_add_i32 s11, s11, s14
	s_delay_alu instid0(SALU_CYCLE_1)
	s_add_u32 s68, s68, s11
	s_addc_u32 s69, s69, 0
	s_and_b32 s7, s7, s23
	v_mov_b32_e32 v6, s68
	v_cndmask_b32_e64 v2, 0, 1, s7
	s_and_b32 s7, s8, s24
	v_mov_b32_e32 v7, s69
	v_cndmask_b32_e64 v3, 0, 1, s7
	s_and_b32 s7, s9, s25
	s_delay_alu instid0(SALU_CYCLE_1) | instskip(SKIP_1) | instid1(VALU_DEP_2)
	v_cndmask_b32_e64 v4, 0, 1, s7
	s_and_b32 s7, s10, s26
	v_cmp_ne_u32_e64 s8, 0, v3
	v_cndmask_b32_e64 v5, 0, 1, s7
	v_cmp_ne_u32_e64 s7, 0, v2
	v_mov_b32_e32 v2, s72
	v_cmp_ne_u32_e64 s9, 0, v4
	s_bcnt1_i32_b32 s8, s8
	v_cmp_ne_u32_e64 s10, 0, v5
	s_bcnt1_i32_b32 s7, s7
	v_mov_b32_e32 v4, s70
	s_bcnt1_i32_b32 s9, s9
	s_add_i32 s7, s8, s7
	s_bcnt1_i32_b32 s8, s10
	s_add_i32 s7, s7, s9
	v_mov_b32_e32 v3, s73
	s_add_i32 s7, s7, s8
	v_mov_b32_e32 v5, s71
	s_add_u32 s66, s66, s7
	s_addc_u32 s67, s67, 0
	s_delay_alu instid0(SALU_CYCLE_1) | instskip(SKIP_1) | instid1(SALU_CYCLE_1)
	v_dual_mov_b32 v8, s66 :: v_dual_mov_b32 v9, s67
	s_or_b32 s103, vcc_lo, s103
	s_and_not1_b32 exec_lo, exec_lo, s103
	s_cbranch_execnz .LBB141_81
; %bb.82:                               ;   in Loop: Header=BB141_31 Depth=1
	s_or_b32 exec_lo, exec_lo, s103
.LBB141_83:                             ;   in Loop: Header=BB141_31 Depth=1
	s_delay_alu instid0(SALU_CYCLE_1) | instskip(SKIP_3) | instid1(VALU_DEP_1)
	s_or_b32 exec_lo, exec_lo, s102
	v_and_b32_e32 v29, 0xffff, v12
	v_add_nc_u32_e32 v12, s54, v0
	s_mov_b32 s14, exec_lo
	v_cmpx_gt_u32_e64 s64, v12
	s_cbranch_execz .LBB141_87
; %bb.84:                               ;   in Loop: Header=BB141_31 Depth=1
	v_dual_mov_b32 v28, v13 :: v_dual_mov_b32 v27, v12
	s_mov_b32 s13, 0
	s_and_b32 s12, s64, 0x7fffffff
	s_and_b32 s16, s89, 0xfe
	s_mov_b32 s15, s13
.LBB141_85:                             ;   Parent Loop BB141_31 Depth=1
                                        ; =>  This Inner Loop Header: Depth=2
	ds_load_i8 v30, v12
	v_add_co_u32 v27, vcc_lo, v27, v29
	v_add_co_ci_u32_e32 v28, vcc_lo, 0, v28, vcc_lo
	v_add_nc_u32_e32 v12, v12, v29
	s_delay_alu instid0(VALU_DEP_2) | instskip(SKIP_2) | instid1(VALU_DEP_1)
	v_cmp_le_u64_e32 vcc_lo, s[12:13], v[27:28]
	s_waitcnt lgkmcnt(0)
	v_add_nc_u32_e32 v30, 0x80, v30
	v_and_b32_e32 v31, v30, v38
	v_bfe_u32 v30, v30, s16, 2
	s_delay_alu instid0(VALU_DEP_2) | instskip(NEXT) | instid1(VALU_DEP_2)
	v_cmp_eq_u32_e64 s7, v31, v39
	v_cmp_eq_u32_e64 s8, 0, v30
	;; [unrolled: 1-line block ×5, first 2 shown]
	s_delay_alu instid0(VALU_DEP_4) | instskip(NEXT) | instid1(SALU_CYCLE_1)
	s_and_b32 s8, s7, s8
	v_cndmask_b32_e64 v30, 0, 1, s8
	s_and_b32 s8, s7, s9
	s_delay_alu instid0(SALU_CYCLE_1)
	v_cndmask_b32_e64 v31, 0, 1, s8
	s_and_b32 s8, s7, s10
	s_and_b32 s7, s7, s11
	v_cndmask_b32_e64 v32, 0, 1, s8
	v_cndmask_b32_e64 v41, 0, 1, s7
	v_cmp_ne_u32_e64 s7, 0, v30
	v_cmp_ne_u32_e64 s8, 0, v31
	s_delay_alu instid0(VALU_DEP_4) | instskip(NEXT) | instid1(VALU_DEP_4)
	v_cmp_ne_u32_e64 s9, 0, v32
	v_cmp_ne_u32_e64 s10, 0, v41
	s_delay_alu instid0(VALU_DEP_4) | instskip(NEXT) | instid1(VALU_DEP_3)
	s_bcnt1_i32_b32 s7, s7
	s_bcnt1_i32_b32 s8, s8
	v_add_co_u32 v2, s7, v2, s7
	s_delay_alu instid0(VALU_DEP_1)
	v_add_co_ci_u32_e64 v3, s7, 0, v3, s7
	v_add_co_u32 v4, s7, v4, s8
	s_bcnt1_i32_b32 s9, s9
	v_add_co_ci_u32_e64 v5, s7, 0, v5, s7
	v_add_co_u32 v6, s7, v6, s9
	s_bcnt1_i32_b32 s10, s10
	v_add_co_ci_u32_e64 v7, s7, 0, v7, s7
	v_add_co_u32 v8, s7, v8, s10
	s_delay_alu instid0(VALU_DEP_1) | instskip(SKIP_1) | instid1(SALU_CYCLE_1)
	v_add_co_ci_u32_e64 v9, s7, 0, v9, s7
	s_or_b32 s15, vcc_lo, s15
	s_and_not1_b32 exec_lo, exec_lo, s15
	s_cbranch_execnz .LBB141_85
; %bb.86:                               ;   in Loop: Header=BB141_31 Depth=1
	s_or_b32 exec_lo, exec_lo, s15
.LBB141_87:                             ;   in Loop: Header=BB141_31 Depth=1
	s_delay_alu instid0(SALU_CYCLE_1)
	s_or_b32 exec_lo, exec_lo, s14
.LBB141_88:                             ;   in Loop: Header=BB141_31 Depth=1
	s_lshl_b32 s7, s92, 7
	s_and_saveexec_b32 s8, s2
	s_cbranch_execz .LBB141_90
; %bb.89:                               ;   in Loop: Header=BB141_31 Depth=1
	v_or_b32_e32 v12, s7, v35
	s_delay_alu instid0(VALU_DEP_1)
	v_lshlrev_b32_e32 v12, 3, v12
	ds_store_b128 v12, v[2:5] offset:3072
	ds_store_b128 v12, v[6:9] offset:3088
.LBB141_90:                             ;   in Loop: Header=BB141_31 Depth=1
	s_or_b32 exec_lo, exec_lo, s8
	s_waitcnt vmcnt(0) lgkmcnt(0)
	s_barrier
	buffer_gl0_inv
	s_and_saveexec_b32 s8, s79
	s_cbranch_execz .LBB141_101
; %bb.91:                               ;   in Loop: Header=BB141_31 Depth=1
	v_mov_b32_e32 v2, 0
	v_mov_b32_e32 v3, 0
	s_and_not1_b32 vcc_lo, exec_lo, s84
	s_cbranch_vccnz .LBB141_100
; %bb.92:                               ;   in Loop: Header=BB141_31 Depth=1
	v_mov_b32_e32 v2, 0
	v_mov_b32_e32 v3, 0
	s_and_not1_b32 vcc_lo, exec_lo, s86
	s_cbranch_vccnz .LBB141_97
; %bb.93:                               ;   in Loop: Header=BB141_31 Depth=1
	v_lshl_add_u32 v4, s92, 10, v37
	s_mov_b32 s9, 0
	s_set_inst_prefetch_distance 0x1
	.p2align	6
.LBB141_94:                             ;   Parent Loop BB141_31 Depth=1
                                        ; =>  This Inner Loop Header: Depth=2
	ds_load_2addr_b64 v[5:8], v4 offset1:4
	ds_load_2addr_b64 v[27:30], v4 offset0:8 offset1:12
	ds_load_2addr_b64 v[41:44], v4 offset0:16 offset1:20
	s_add_i32 s9, s9, 8
	s_delay_alu instid0(SALU_CYCLE_1) | instskip(SKIP_3) | instid1(VALU_DEP_2)
	s_cmp_eq_u32 s87, s9
	s_waitcnt lgkmcnt(2)
	v_add_co_u32 v2, vcc_lo, v5, v2
	v_add_co_ci_u32_e32 v3, vcc_lo, v6, v3, vcc_lo
	v_add_co_u32 v2, vcc_lo, v7, v2
	s_delay_alu instid0(VALU_DEP_2)
	v_add_co_ci_u32_e32 v3, vcc_lo, v8, v3, vcc_lo
	ds_load_2addr_b64 v[5:8], v4 offset0:24 offset1:28
	s_waitcnt lgkmcnt(2)
	v_add_co_u32 v2, vcc_lo, v27, v2
	v_add_co_ci_u32_e32 v3, vcc_lo, v28, v3, vcc_lo
	v_add_nc_u32_e32 v4, 0x100, v4
	s_delay_alu instid0(VALU_DEP_3) | instskip(NEXT) | instid1(VALU_DEP_3)
	v_add_co_u32 v2, vcc_lo, v29, v2
	v_add_co_ci_u32_e32 v3, vcc_lo, v30, v3, vcc_lo
	s_waitcnt lgkmcnt(1)
	s_delay_alu instid0(VALU_DEP_2) | instskip(NEXT) | instid1(VALU_DEP_2)
	v_add_co_u32 v2, vcc_lo, v41, v2
	v_add_co_ci_u32_e32 v3, vcc_lo, v42, v3, vcc_lo
	s_delay_alu instid0(VALU_DEP_2) | instskip(NEXT) | instid1(VALU_DEP_2)
	v_add_co_u32 v2, vcc_lo, v43, v2
	v_add_co_ci_u32_e32 v3, vcc_lo, v44, v3, vcc_lo
	s_waitcnt lgkmcnt(0)
	s_delay_alu instid0(VALU_DEP_2) | instskip(NEXT) | instid1(VALU_DEP_2)
	v_add_co_u32 v2, vcc_lo, v5, v2
	v_add_co_ci_u32_e32 v3, vcc_lo, v6, v3, vcc_lo
	s_delay_alu instid0(VALU_DEP_2) | instskip(NEXT) | instid1(VALU_DEP_2)
	v_add_co_u32 v2, vcc_lo, v7, v2
	v_add_co_ci_u32_e32 v3, vcc_lo, v8, v3, vcc_lo
	s_cbranch_scc0 .LBB141_94
; %bb.95:                               ;   in Loop: Header=BB141_31 Depth=1
	s_set_inst_prefetch_distance 0x2
	s_mov_b32 s9, s87
	s_and_not1_b32 vcc_lo, exec_lo, s88
	s_cbranch_vccz .LBB141_98
	s_branch .LBB141_100
.LBB141_96:                             ;   in Loop: Header=BB141_31 Depth=1
                                        ; implicit-def: $vgpr2_vgpr3
	s_branch .LBB141_64
.LBB141_97:                             ;   in Loop: Header=BB141_31 Depth=1
	s_mov_b32 s9, 0
	s_and_not1_b32 vcc_lo, exec_lo, s88
	s_cbranch_vccnz .LBB141_100
.LBB141_98:                             ;   in Loop: Header=BB141_31 Depth=1
	s_lshl_b32 s10, s92, 10
	s_lshl_b32 s9, s9, 5
	s_delay_alu instid0(SALU_CYCLE_1)
	v_add3_u32 v4, s10, s9, v37
	s_mov_b32 s9, s85
.LBB141_99:                             ;   Parent Loop BB141_31 Depth=1
                                        ; =>  This Inner Loop Header: Depth=2
	ds_load_b64 v[5:6], v4
	v_add_nc_u32_e32 v4, 32, v4
	s_add_i32 s9, s9, -1
	s_delay_alu instid0(SALU_CYCLE_1)
	s_cmp_lg_u32 s9, 0
	s_waitcnt lgkmcnt(0)
	v_add_co_u32 v2, vcc_lo, v5, v2
	v_add_co_ci_u32_e32 v3, vcc_lo, v6, v3, vcc_lo
	s_cbranch_scc1 .LBB141_99
.LBB141_100:                            ;   in Loop: Header=BB141_31 Depth=1
	v_add_lshl_u32 v4, s7, v34, 3
	ds_store_b64 v4, v[2:3] offset:3072
.LBB141_101:                            ;   in Loop: Header=BB141_31 Depth=1
	s_or_b32 exec_lo, exec_lo, s8
	s_lshl_b32 s7, s7, 3
	s_waitcnt lgkmcnt(0)
	v_mov_b32_e32 v6, s7
	s_barrier
	buffer_gl0_inv
	s_and_b32 s22, s89, 0xfe
	v_cmp_eq_u64_e64 s7, 1, v[25:26]
	ds_load_b128 v[2:5], v6 offset:3072
	ds_load_b128 v[6:9], v6 offset:3088
	s_lshl_b32 s20, 3, s22
	s_and_not1_b32 vcc_lo, exec_lo, s78
	s_not_b32 s21, s20
	s_waitcnt lgkmcnt(1)
	v_readfirstlane_b32 s11, v3
	v_readfirstlane_b32 s10, v2
	;; [unrolled: 1-line block ×4, first 2 shown]
	s_waitcnt lgkmcnt(0)
	v_readfirstlane_b32 s15, v7
	v_readfirstlane_b32 s14, v6
	;; [unrolled: 1-line block ×4, first 2 shown]
	s_cbranch_vccnz .LBB141_117
; %bb.102:                              ;   in Loop: Header=BB141_31 Depth=1
	s_cmp_eq_u64 s[10:11], 1
	v_dual_mov_b32 v27, v39 :: v_dual_mov_b32 v28, v38
	v_mov_b32_e32 v29, v40
	s_cselect_b32 s8, -1, 0
                                        ; implicit-def: $sgpr23
                                        ; implicit-def: $sgpr64
                                        ; implicit-def: $sgpr54
	s_delay_alu instid0(SALU_CYCLE_1)
	s_and_b32 s67, s8, s7
	s_mov_b32 s8, -1
	s_and_saveexec_b32 s24, s67
	s_cbranch_execz .LBB141_136
; %bb.103:                              ;   in Loop: Header=BB141_31 Depth=1
	ds_load_b64 v[2:3], v13 offset:5120
	s_waitcnt lgkmcnt(0)
	s_barrier
	buffer_gl0_inv
	v_readfirstlane_b32 s18, v2
	v_readfirstlane_b32 s19, v3
	s_and_saveexec_b32 s8, s6
	s_cbranch_execz .LBB141_105
; %bb.104:                              ;   in Loop: Header=BB141_31 Depth=1
	ds_store_b8 v0, v13 offset:3072
.LBB141_105:                            ;   in Loop: Header=BB141_31 Depth=1
	s_or_b32 exec_lo, exec_lo, s8
	v_and_b32_e32 v27, s21, v39
	v_or_b32_e32 v28, s20, v38
	s_cmp_eq_u64 s[18:19], 0
	s_waitcnt lgkmcnt(0)
	s_barrier
	buffer_gl0_inv
	s_cbranch_scc1 .LBB141_119
; %bb.106:                              ;   in Loop: Header=BB141_31 Depth=1
	s_add_u32 s23, s81, s18
	s_addc_u32 s9, s82, s19
	s_mov_b32 s8, s55
	s_delay_alu instid0(SALU_CYCLE_1)
	s_cmp_lg_u64 s[8:9], 0
	s_cbranch_scc0 .LBB141_163
; %bb.107:                              ;   in Loop: Header=BB141_31 Depth=1
	v_cvt_f32_u32_e32 v2, s33
	s_sub_u32 s26, 0, s33
	s_subb_u32 s42, 0, 0
	s_delay_alu instid0(VALU_DEP_1) | instskip(NEXT) | instid1(VALU_DEP_1)
	v_fmac_f32_e64 v2, 0, 0x4f800000
	v_rcp_f32_e32 v2, v2
	s_waitcnt_depctr 0xfff
	v_mul_f32_e32 v2, 0x5f7ffffc, v2
	s_delay_alu instid0(VALU_DEP_1) | instskip(NEXT) | instid1(VALU_DEP_1)
	v_mul_f32_e32 v3, 0x2f800000, v2
	v_trunc_f32_e32 v3, v3
	s_delay_alu instid0(VALU_DEP_1) | instskip(SKIP_1) | instid1(VALU_DEP_2)
	v_fmac_f32_e32 v2, 0xcf800000, v3
	v_cvt_u32_f32_e32 v3, v3
	v_cvt_u32_f32_e32 v2, v2
	s_delay_alu instid0(VALU_DEP_2) | instskip(NEXT) | instid1(VALU_DEP_2)
	v_readfirstlane_b32 s8, v3
	v_readfirstlane_b32 s25, v2
	s_delay_alu instid0(VALU_DEP_2) | instskip(NEXT) | instid1(VALU_DEP_1)
	s_mul_i32 s43, s26, s8
	s_mul_hi_u32 s49, s26, s25
	s_mul_i32 s48, s42, s25
	s_add_i32 s43, s49, s43
	s_mul_i32 s50, s26, s25
	s_add_i32 s43, s43, s48
	s_mul_hi_u32 s49, s25, s50
	s_mul_hi_u32 s51, s8, s50
	s_mul_i32 s48, s8, s50
	s_mul_hi_u32 s50, s25, s43
	s_mul_i32 s25, s25, s43
	s_mul_hi_u32 s52, s8, s43
	s_add_u32 s25, s49, s25
	s_addc_u32 s49, 0, s50
	s_add_u32 s25, s25, s48
	s_mul_i32 s43, s8, s43
	s_addc_u32 s25, s49, s51
	s_addc_u32 s48, s52, 0
	s_add_u32 s25, s25, s43
	s_addc_u32 s43, 0, s48
	v_add_co_u32 v2, s25, v2, s25
	s_delay_alu instid0(VALU_DEP_1) | instskip(SKIP_1) | instid1(VALU_DEP_1)
	s_cmp_lg_u32 s25, 0
	s_addc_u32 s8, s8, s43
	v_readfirstlane_b32 s25, v2
	s_mul_i32 s43, s26, s8
	s_delay_alu instid0(VALU_DEP_1)
	s_mul_hi_u32 s48, s26, s25
	s_mul_i32 s42, s42, s25
	s_add_i32 s43, s48, s43
	s_mul_i32 s26, s26, s25
	s_add_i32 s43, s43, s42
	s_mul_hi_u32 s48, s8, s26
	s_mul_i32 s49, s8, s26
	s_mul_hi_u32 s26, s25, s26
	s_mul_hi_u32 s50, s25, s43
	s_mul_i32 s25, s25, s43
	s_mul_hi_u32 s42, s8, s43
	s_add_u32 s25, s26, s25
	s_addc_u32 s26, 0, s50
	s_add_u32 s25, s25, s49
	s_mul_i32 s43, s8, s43
	s_addc_u32 s25, s26, s48
	s_addc_u32 s26, s42, 0
	s_add_u32 s25, s25, s43
	s_addc_u32 s26, 0, s26
	v_add_co_u32 v2, s25, v2, s25
	s_delay_alu instid0(VALU_DEP_1) | instskip(SKIP_1) | instid1(VALU_DEP_1)
	s_cmp_lg_u32 s25, 0
	s_addc_u32 s8, s8, s26
	v_readfirstlane_b32 s25, v2
	s_mul_i32 s42, s23, s8
	s_mul_hi_u32 s26, s23, s8
	s_mul_hi_u32 s43, s9, s8
	s_mul_i32 s8, s9, s8
	s_mul_hi_u32 s48, s23, s25
	s_mul_hi_u32 s49, s9, s25
	s_mul_i32 s25, s9, s25
	s_add_u32 s42, s48, s42
	s_addc_u32 s26, 0, s26
	s_add_u32 s25, s42, s25
	s_addc_u32 s25, s26, s49
	s_addc_u32 s26, s43, 0
	s_add_u32 s8, s25, s8
	s_addc_u32 s25, 0, s26
	s_mul_hi_u32 s26, s33, s8
	s_mul_i32 s8, s33, s8
	s_mul_i32 s25, s33, s25
	v_sub_co_u32 v2, s8, s23, s8
	s_add_i32 s26, s26, s25
	s_cmp_lg_u32 s8, 0
	s_delay_alu instid0(VALU_DEP_1) | instskip(SKIP_2) | instid1(VALU_DEP_1)
	v_sub_co_u32 v3, s8, v2, s33
	s_subb_u32 s25, s9, s26
	s_cmp_lg_u32 s8, 0
	v_cmp_le_u32_e32 vcc_lo, s33, v3
	v_sub_co_u32 v4, s8, v3, s33
	s_subb_u32 s26, s25, 0
	s_cmp_lg_u32 s8, 0
	v_cndmask_b32_e64 v5, 0, -1, vcc_lo
	s_subb_u32 s8, s26, 0
	s_cmp_eq_u32 s26, 0
	v_mov_b32_e32 v7, s8
	s_cselect_b32 vcc_lo, -1, 0
	s_cmp_eq_u32 s25, 0
	v_cndmask_b32_e32 v5, -1, v5, vcc_lo
	v_cmp_le_u32_e32 vcc_lo, s33, v2
	s_cselect_b32 s8, -1, 0
	v_cndmask_b32_e64 v6, 0, -1, vcc_lo
	s_delay_alu instid0(VALU_DEP_3) | instskip(NEXT) | instid1(VALU_DEP_2)
	v_cmp_ne_u32_e32 vcc_lo, 0, v5
	v_cndmask_b32_e64 v5, -1, v6, s8
	v_cndmask_b32_e32 v6, s26, v7, vcc_lo
	v_cndmask_b32_e32 v4, v3, v4, vcc_lo
	s_delay_alu instid0(VALU_DEP_3) | instskip(NEXT) | instid1(VALU_DEP_3)
	v_cmp_ne_u32_e32 vcc_lo, 0, v5
	v_cndmask_b32_e32 v3, s25, v6, vcc_lo
	s_delay_alu instid0(VALU_DEP_3)
	v_cndmask_b32_e32 v2, v2, v4, vcc_lo
	s_cbranch_execnz .LBB141_109
.LBB141_108:                            ;   in Loop: Header=BB141_31 Depth=1
	v_cvt_f32_u32_e32 v2, s33
	s_sub_i32 s8, 0, s33
	s_delay_alu instid0(VALU_DEP_1) | instskip(SKIP_2) | instid1(VALU_DEP_1)
	v_rcp_iflag_f32_e32 v2, v2
	s_waitcnt_depctr 0xfff
	v_mul_f32_e32 v2, 0x4f7ffffe, v2
	v_cvt_u32_f32_e32 v2, v2
	s_delay_alu instid0(VALU_DEP_1) | instskip(NEXT) | instid1(VALU_DEP_1)
	v_mul_lo_u32 v3, s8, v2
	v_mul_hi_u32 v3, v2, v3
	s_delay_alu instid0(VALU_DEP_1) | instskip(NEXT) | instid1(VALU_DEP_1)
	v_add_nc_u32_e32 v2, v2, v3
	v_mul_hi_u32 v2, s23, v2
	s_delay_alu instid0(VALU_DEP_1) | instskip(NEXT) | instid1(VALU_DEP_1)
	v_mul_lo_u32 v2, v2, s33
	v_sub_nc_u32_e32 v2, s23, v2
	s_delay_alu instid0(VALU_DEP_1) | instskip(SKIP_1) | instid1(VALU_DEP_2)
	v_subrev_nc_u32_e32 v3, s33, v2
	v_cmp_le_u32_e32 vcc_lo, s33, v2
	v_cndmask_b32_e32 v2, v2, v3, vcc_lo
	s_delay_alu instid0(VALU_DEP_1) | instskip(SKIP_1) | instid1(VALU_DEP_2)
	v_subrev_nc_u32_e32 v3, s33, v2
	v_cmp_le_u32_e32 vcc_lo, s33, v2
	v_cndmask_b32_e32 v12, v2, v3, vcc_lo
	s_delay_alu instid0(VALU_DEP_1)
	v_dual_mov_b32 v2, v12 :: v_dual_mov_b32 v3, v13
.LBB141_109:                            ;   in Loop: Header=BB141_31 Depth=1
	s_delay_alu instid0(VALU_DEP_1) | instskip(NEXT) | instid1(VALU_DEP_2)
	v_sub_co_u32 v2, vcc_lo, s23, v2
	v_sub_co_ci_u32_e32 v3, vcc_lo, s9, v3, vcc_lo
	s_mov_b32 s8, 0
	s_mov_b32 s9, exec_lo
                                        ; implicit-def: $vgpr29
	s_delay_alu instid0(VALU_DEP_1)
	v_cmpx_gt_u64_e64 v[2:3], v[0:1]
	s_cbranch_execz .LBB141_121
; %bb.110:                              ;   in Loop: Header=BB141_31 Depth=1
	v_dual_mov_b32 v6, v0 :: v_dual_mov_b32 v5, v1
	v_mov_b32_e32 v4, v0
	s_mov_b32 s23, 0
                                        ; implicit-def: $sgpr25
	s_set_inst_prefetch_distance 0x1
	s_branch .LBB141_112
	.p2align	6
.LBB141_111:                            ;   in Loop: Header=BB141_112 Depth=2
	s_or_b32 exec_lo, exec_lo, s8
	s_waitcnt lgkmcnt(0)
	s_barrier
	buffer_gl0_inv
	ds_load_u16 v7, v13 offset:3072
	v_add_co_u32 v4, vcc_lo, v4, s33
	v_add_co_ci_u32_e32 v5, vcc_lo, 0, v5, vcc_lo
	v_add_nc_u32_e32 v6, s33, v6
	s_waitcnt lgkmcnt(0)
	s_barrier
	s_delay_alu instid0(VALU_DEP_2) | instskip(SKIP_2) | instid1(VALU_DEP_1)
	v_cmp_ge_u64_e32 vcc_lo, v[4:5], v[2:3]
	buffer_gl0_inv
	v_and_b32_e32 v8, 0xff, v7
	v_cmp_ne_u16_e64 s8, 0, v8
	s_delay_alu instid0(VALU_DEP_1) | instskip(NEXT) | instid1(SALU_CYCLE_1)
	s_or_b32 s26, vcc_lo, s8
	s_and_b32 s26, exec_lo, s26
	s_delay_alu instid0(SALU_CYCLE_1) | instskip(SKIP_2) | instid1(SALU_CYCLE_1)
	s_or_b32 s23, s26, s23
	s_and_not1_b32 s25, s25, exec_lo
	s_and_b32 s8, s8, exec_lo
	s_or_b32 s25, s25, s8
	s_and_not1_b32 exec_lo, exec_lo, s23
	s_cbranch_execz .LBB141_120
.LBB141_112:                            ;   Parent Loop BB141_31 Depth=1
                                        ; =>  This Inner Loop Header: Depth=2
	s_delay_alu instid0(VALU_DEP_1)
	v_cmp_gt_u64_e32 vcc_lo, s[18:19], v[4:5]
	v_mov_b32_e32 v7, 0
	s_and_saveexec_b32 s8, vcc_lo
	s_cbranch_execz .LBB141_114
; %bb.113:                              ;   in Loop: Header=BB141_112 Depth=2
	ds_load_u8 v7, v6
.LBB141_114:                            ;   in Loop: Header=BB141_112 Depth=2
	s_or_b32 exec_lo, exec_lo, s8
	s_and_saveexec_b32 s8, vcc_lo
	s_cbranch_execz .LBB141_111
; %bb.115:                              ;   in Loop: Header=BB141_112 Depth=2
	s_waitcnt lgkmcnt(0)
	v_bfe_i32 v8, v7, 0, 8
	s_delay_alu instid0(VALU_DEP_1) | instskip(NEXT) | instid1(VALU_DEP_1)
	v_add_nc_u32_e32 v8, 0x80, v8
	v_and_b32_e32 v8, v8, v28
	s_delay_alu instid0(VALU_DEP_1)
	v_cmp_eq_u32_e32 vcc_lo, v8, v27
	s_and_b32 exec_lo, exec_lo, vcc_lo
	s_cbranch_execz .LBB141_111
; %bb.116:                              ;   in Loop: Header=BB141_112 Depth=2
	v_lshlrev_b16 v7, 8, v7
	s_delay_alu instid0(VALU_DEP_1)
	v_or_b32_e32 v7, 1, v7
	ds_store_b16 v13, v7 offset:3072
	s_branch .LBB141_111
.LBB141_117:                            ;   in Loop: Header=BB141_31 Depth=1
	s_mov_b32 s25, 0
	s_mov_b32 s24, 0
                                        ; implicit-def: $sgpr54
                                        ; implicit-def: $sgpr64
                                        ; implicit-def: $sgpr23
                                        ; implicit-def: $vgpr6
                                        ; implicit-def: $vgpr2_vgpr3
                                        ; implicit-def: $vgpr27
                                        ; implicit-def: $vgpr28
                                        ; implicit-def: $vgpr29
	s_cbranch_execnz .LBB141_300
.LBB141_118:                            ;   in Loop: Header=BB141_31 Depth=1
	s_mov_b32 s18, s23
	s_mov_b32 s19, s23
	s_and_saveexec_b32 s7, s25
	s_cbranch_execnz .LBB141_496
	s_branch .LBB141_497
.LBB141_119:                            ;   in Loop: Header=BB141_31 Depth=1
	s_mov_b32 s23, -1
	s_mov_b32 s8, 0
                                        ; implicit-def: $sgpr54
                                        ; implicit-def: $vgpr29
	s_mov_b32 s64, s23
	s_cbranch_execnz .LBB141_122
	s_branch .LBB141_135
.LBB141_120:                            ;   in Loop: Header=BB141_31 Depth=1
	s_set_inst_prefetch_distance 0x2
	s_or_b32 exec_lo, exec_lo, s23
	v_lshrrev_b16 v29, 8, v7
	s_and_b32 s8, s25, exec_lo
.LBB141_121:                            ;   in Loop: Header=BB141_31 Depth=1
	s_or_b32 exec_lo, exec_lo, s9
	s_mov_b32 s54, -1
	s_mov_b32 s23, 0
	s_delay_alu instid0(SALU_CYCLE_1)
	s_mov_b32 s64, s23
	s_branch .LBB141_135
.LBB141_122:                            ;   in Loop: Header=BB141_31 Depth=1
	s_mov_b32 s26, s55
	s_delay_alu instid0(SALU_CYCLE_1)
	s_cmp_lg_u64 s[26:27], 0
	s_cbranch_scc0 .LBB141_164
; %bb.123:                              ;   in Loop: Header=BB141_31 Depth=1
	v_cvt_f32_u32_e32 v2, s33
	s_sub_u32 s18, 0, s33
	s_subb_u32 s19, 0, 0
	s_delay_alu instid0(VALU_DEP_1) | instskip(NEXT) | instid1(VALU_DEP_1)
	v_fmac_f32_e64 v2, 0, 0x4f800000
	v_rcp_f32_e32 v2, v2
	s_waitcnt_depctr 0xfff
	v_mul_f32_e32 v2, 0x5f7ffffc, v2
	s_delay_alu instid0(VALU_DEP_1) | instskip(NEXT) | instid1(VALU_DEP_1)
	v_mul_f32_e32 v3, 0x2f800000, v2
	v_trunc_f32_e32 v3, v3
	s_delay_alu instid0(VALU_DEP_1) | instskip(SKIP_1) | instid1(VALU_DEP_2)
	v_fmac_f32_e32 v2, 0xcf800000, v3
	v_cvt_u32_f32_e32 v3, v3
	v_cvt_u32_f32_e32 v2, v2
	s_delay_alu instid0(VALU_DEP_2) | instskip(NEXT) | instid1(VALU_DEP_2)
	v_readfirstlane_b32 s8, v3
	v_readfirstlane_b32 s9, v2
	s_delay_alu instid0(VALU_DEP_2) | instskip(NEXT) | instid1(VALU_DEP_1)
	s_mul_i32 s23, s18, s8
	s_mul_hi_u32 s26, s18, s9
	s_mul_i32 s25, s19, s9
	s_add_i32 s23, s26, s23
	s_mul_i32 s42, s18, s9
	s_add_i32 s23, s23, s25
	s_mul_hi_u32 s26, s9, s42
	s_mul_hi_u32 s43, s8, s42
	s_mul_i32 s25, s8, s42
	s_mul_hi_u32 s42, s9, s23
	s_mul_i32 s9, s9, s23
	s_mul_hi_u32 s48, s8, s23
	s_add_u32 s9, s26, s9
	s_addc_u32 s26, 0, s42
	s_add_u32 s9, s9, s25
	s_mul_i32 s23, s8, s23
	s_addc_u32 s9, s26, s43
	s_addc_u32 s25, s48, 0
	s_add_u32 s9, s9, s23
	s_addc_u32 s23, 0, s25
	v_add_co_u32 v2, s9, v2, s9
	s_delay_alu instid0(VALU_DEP_1) | instskip(SKIP_1) | instid1(VALU_DEP_1)
	s_cmp_lg_u32 s9, 0
	s_addc_u32 s8, s8, s23
	v_readfirstlane_b32 s9, v2
	s_mul_i32 s23, s18, s8
	s_delay_alu instid0(VALU_DEP_1)
	s_mul_hi_u32 s25, s18, s9
	s_mul_i32 s19, s19, s9
	s_add_i32 s23, s25, s23
	s_mul_i32 s18, s18, s9
	s_add_i32 s23, s23, s19
	s_mul_hi_u32 s25, s8, s18
	s_mul_i32 s26, s8, s18
	s_mul_hi_u32 s18, s9, s18
	s_mul_hi_u32 s42, s9, s23
	s_mul_i32 s9, s9, s23
	s_mul_hi_u32 s19, s8, s23
	s_add_u32 s9, s18, s9
	s_addc_u32 s18, 0, s42
	s_add_u32 s9, s9, s26
	s_mul_i32 s23, s8, s23
	s_addc_u32 s9, s18, s25
	s_addc_u32 s18, s19, 0
	s_add_u32 s9, s9, s23
	s_addc_u32 s18, 0, s18
	v_add_co_u32 v2, s9, v2, s9
	s_delay_alu instid0(VALU_DEP_1) | instskip(SKIP_1) | instid1(VALU_DEP_1)
	s_cmp_lg_u32 s9, 0
	s_addc_u32 s8, s8, s18
	v_readfirstlane_b32 s9, v2
	s_mul_i32 s19, s83, s8
	s_mul_hi_u32 s18, s83, s8
	s_mul_hi_u32 s23, s27, s8
	s_mul_i32 s8, s27, s8
	s_mul_hi_u32 s25, s83, s9
	s_mul_hi_u32 s26, s27, s9
	s_mul_i32 s9, s27, s9
	s_add_u32 s19, s25, s19
	s_addc_u32 s18, 0, s18
	s_add_u32 s9, s19, s9
	s_addc_u32 s9, s18, s26
	s_addc_u32 s18, s23, 0
	s_add_u32 s8, s9, s8
	s_addc_u32 s9, 0, s18
	s_mul_hi_u32 s18, s33, s8
	s_mul_i32 s8, s33, s8
	s_mul_i32 s9, s33, s9
	v_sub_co_u32 v2, s8, s83, s8
	s_add_i32 s18, s18, s9
	s_cmp_lg_u32 s8, 0
	s_delay_alu instid0(VALU_DEP_1) | instskip(SKIP_2) | instid1(VALU_DEP_1)
	v_sub_co_u32 v3, s8, v2, s33
	s_subb_u32 s9, s27, s18
	s_cmp_lg_u32 s8, 0
	v_cmp_le_u32_e32 vcc_lo, s33, v3
	v_sub_co_u32 v4, s8, v3, s33
	s_subb_u32 s18, s9, 0
	s_cmp_lg_u32 s8, 0
	v_cndmask_b32_e64 v5, 0, -1, vcc_lo
	s_subb_u32 s8, s18, 0
	s_cmp_eq_u32 s18, 0
	v_mov_b32_e32 v7, s8
	s_cselect_b32 vcc_lo, -1, 0
	s_cmp_eq_u32 s9, 0
	v_cndmask_b32_e32 v5, -1, v5, vcc_lo
	v_cmp_le_u32_e32 vcc_lo, s33, v2
	s_cselect_b32 s8, -1, 0
	v_cndmask_b32_e64 v6, 0, -1, vcc_lo
	s_delay_alu instid0(VALU_DEP_3) | instskip(NEXT) | instid1(VALU_DEP_2)
	v_cmp_ne_u32_e32 vcc_lo, 0, v5
	v_cndmask_b32_e64 v5, -1, v6, s8
	v_cndmask_b32_e32 v6, s18, v7, vcc_lo
	v_cndmask_b32_e32 v4, v3, v4, vcc_lo
	s_delay_alu instid0(VALU_DEP_3) | instskip(NEXT) | instid1(VALU_DEP_3)
	v_cmp_ne_u32_e32 vcc_lo, 0, v5
	v_cndmask_b32_e32 v3, s9, v6, vcc_lo
	s_delay_alu instid0(VALU_DEP_3)
	v_cndmask_b32_e32 v2, v2, v4, vcc_lo
	s_cbranch_execnz .LBB141_125
.LBB141_124:                            ;   in Loop: Header=BB141_31 Depth=1
	v_cvt_f32_u32_e32 v2, s33
	s_sub_i32 s8, 0, s33
	s_delay_alu instid0(VALU_DEP_1) | instskip(SKIP_2) | instid1(VALU_DEP_1)
	v_rcp_iflag_f32_e32 v2, v2
	s_waitcnt_depctr 0xfff
	v_mul_f32_e32 v2, 0x4f7ffffe, v2
	v_cvt_u32_f32_e32 v2, v2
	s_delay_alu instid0(VALU_DEP_1) | instskip(NEXT) | instid1(VALU_DEP_1)
	v_mul_lo_u32 v3, s8, v2
	v_mul_hi_u32 v3, v2, v3
	s_delay_alu instid0(VALU_DEP_1) | instskip(NEXT) | instid1(VALU_DEP_1)
	v_add_nc_u32_e32 v2, v2, v3
	v_mul_hi_u32 v2, s83, v2
	s_delay_alu instid0(VALU_DEP_1) | instskip(NEXT) | instid1(VALU_DEP_1)
	v_mul_lo_u32 v2, v2, s33
	v_sub_nc_u32_e32 v2, s83, v2
	s_delay_alu instid0(VALU_DEP_1) | instskip(SKIP_1) | instid1(VALU_DEP_2)
	v_subrev_nc_u32_e32 v3, s33, v2
	v_cmp_le_u32_e32 vcc_lo, s33, v2
	v_cndmask_b32_e32 v2, v2, v3, vcc_lo
	s_delay_alu instid0(VALU_DEP_1) | instskip(SKIP_1) | instid1(VALU_DEP_2)
	v_subrev_nc_u32_e32 v3, s33, v2
	v_cmp_le_u32_e32 vcc_lo, s33, v2
	v_cndmask_b32_e32 v12, v2, v3, vcc_lo
	s_delay_alu instid0(VALU_DEP_1)
	v_dual_mov_b32 v2, v12 :: v_dual_mov_b32 v3, v13
.LBB141_125:                            ;   in Loop: Header=BB141_31 Depth=1
	s_delay_alu instid0(VALU_DEP_1) | instskip(NEXT) | instid1(VALU_DEP_2)
	v_sub_co_u32 v2, vcc_lo, s83, v2
	v_sub_co_ci_u32_e32 v3, vcc_lo, s27, v3, vcc_lo
	s_mov_b32 s8, 0
	s_mov_b32 s9, exec_lo
                                        ; implicit-def: $vgpr29
	s_delay_alu instid0(VALU_DEP_1)
	v_cmpx_gt_u64_e64 v[2:3], v[0:1]
	s_cbranch_execz .LBB141_134
; %bb.126:                              ;   in Loop: Header=BB141_31 Depth=1
	v_dual_mov_b32 v4, v23 :: v_dual_mov_b32 v5, v24
	v_dual_mov_b32 v7, v1 :: v_dual_mov_b32 v6, v0
	s_mov_b32 s18, 0
                                        ; implicit-def: $sgpr19
	s_set_inst_prefetch_distance 0x1
	s_branch .LBB141_128
	.p2align	6
.LBB141_127:                            ;   in Loop: Header=BB141_128 Depth=2
	s_or_b32 exec_lo, exec_lo, s8
	s_waitcnt vmcnt(0) lgkmcnt(0)
	s_barrier
	buffer_gl0_inv
	ds_load_u16 v8, v13 offset:3072
	v_add_co_u32 v6, vcc_lo, v6, s33
	v_add_co_ci_u32_e32 v7, vcc_lo, 0, v7, vcc_lo
	s_waitcnt lgkmcnt(0)
	s_barrier
	buffer_gl0_inv
	v_cmp_ge_u64_e32 vcc_lo, v[6:7], v[2:3]
	v_and_b32_e32 v9, 0xff, v8
	s_delay_alu instid0(VALU_DEP_1) | instskip(NEXT) | instid1(VALU_DEP_1)
	v_cmp_ne_u16_e64 s8, 0, v9
	s_or_b32 s23, vcc_lo, s8
	v_add_co_u32 v4, vcc_lo, v4, s75
	s_and_b32 s23, exec_lo, s23
	v_add_co_ci_u32_e32 v5, vcc_lo, s74, v5, vcc_lo
	s_or_b32 s18, s23, s18
	s_and_not1_b32 s19, s19, exec_lo
	s_and_b32 s8, s8, exec_lo
	s_delay_alu instid0(SALU_CYCLE_1)
	s_or_b32 s19, s19, s8
	s_and_not1_b32 exec_lo, exec_lo, s18
	s_cbranch_execz .LBB141_133
.LBB141_128:                            ;   Parent Loop BB141_31 Depth=1
                                        ; =>  This Inner Loop Header: Depth=2
	s_delay_alu instid0(VALU_DEP_1)
	v_cmp_gt_u64_e32 vcc_lo, s[36:37], v[6:7]
	v_mov_b32_e32 v8, 0
	s_and_saveexec_b32 s8, vcc_lo
	s_cbranch_execz .LBB141_130
; %bb.129:                              ;   in Loop: Header=BB141_128 Depth=2
	global_load_u8 v8, v[4:5], off
.LBB141_130:                            ;   in Loop: Header=BB141_128 Depth=2
	s_or_b32 exec_lo, exec_lo, s8
	s_and_saveexec_b32 s8, vcc_lo
	s_cbranch_execz .LBB141_127
; %bb.131:                              ;   in Loop: Header=BB141_128 Depth=2
	s_waitcnt vmcnt(0)
	v_bfe_i32 v9, v8, 0, 8
	s_delay_alu instid0(VALU_DEP_1) | instskip(NEXT) | instid1(VALU_DEP_1)
	v_add_nc_u32_e32 v9, 0x80, v9
	v_and_b32_e32 v9, v9, v28
	s_delay_alu instid0(VALU_DEP_1)
	v_cmp_eq_u32_e32 vcc_lo, v9, v27
	s_and_b32 exec_lo, exec_lo, vcc_lo
	s_cbranch_execz .LBB141_127
; %bb.132:                              ;   in Loop: Header=BB141_128 Depth=2
	v_lshlrev_b16 v8, 8, v8
	s_delay_alu instid0(VALU_DEP_1)
	v_or_b32_e32 v8, 1, v8
	ds_store_b16 v13, v8 offset:3072
	s_branch .LBB141_127
.LBB141_133:                            ;   in Loop: Header=BB141_31 Depth=1
	s_set_inst_prefetch_distance 0x2
	s_or_b32 exec_lo, exec_lo, s18
	v_lshrrev_b16 v29, 8, v8
	s_and_b32 s8, s19, exec_lo
.LBB141_134:                            ;   in Loop: Header=BB141_31 Depth=1
	s_or_b32 exec_lo, exec_lo, s9
	s_mov_b32 s64, -1
	s_mov_b32 s23, 0
	s_mov_b32 s54, 0
.LBB141_135:                            ;   in Loop: Header=BB141_31 Depth=1
	s_or_not1_b32 s8, s8, exec_lo
.LBB141_136:                            ;   in Loop: Header=BB141_31 Depth=1
	s_or_b32 exec_lo, exec_lo, s24
	s_mov_b32 s65, 0
	s_mov_b32 s25, 0
	;; [unrolled: 1-line block ×3, first 2 shown]
                                        ; implicit-def: $vgpr6
                                        ; implicit-def: $vgpr2_vgpr3
	s_and_saveexec_b32 s66, s8
	s_cbranch_execz .LBB141_299
; %bb.137:                              ;   in Loop: Header=BB141_31 Depth=1
	v_mov_b32_e32 v2, 1
	v_dual_mov_b32 v3, 0 :: v_dual_mov_b32 v6, 1
	s_xor_b32 s9, s67, -1
	s_delay_alu instid0(SALU_CYCLE_1)
	s_and_saveexec_b32 s8, s9
	s_cbranch_execz .LBB141_147
; %bb.138:                              ;   in Loop: Header=BB141_31 Depth=1
	s_mov_b32 s18, exec_lo
                                        ; implicit-def: $sgpr19
                                        ; implicit-def: $sgpr9
	v_cmpx_ge_u64_e64 s[10:11], v[25:26]
	s_xor_b32 s18, exec_lo, s18
	s_cbranch_execz .LBB141_144
; %bb.139:                              ;   in Loop: Header=BB141_31 Depth=1
	ds_load_b64 v[2:3], v13 offset:5120
	s_waitcnt lgkmcnt(0)
	v_cmp_ne_u64_e32 vcc_lo, 0, v[2:3]
	s_cbranch_vccnz .LBB141_143
; %bb.140:                              ;   in Loop: Header=BB141_31 Depth=1
	s_and_saveexec_b32 s9, s5
	s_cbranch_execz .LBB141_142
; %bb.141:                              ;   in Loop: Header=BB141_31 Depth=1
	v_dual_mov_b32 v2, s10 :: v_dual_mov_b32 v3, s11
	ds_store_b64 v13, v[2:3] offset:5128
.LBB141_142:                            ;   in Loop: Header=BB141_31 Depth=1
	s_or_b32 exec_lo, exec_lo, s9
	s_waitcnt lgkmcnt(0)
	s_barrier
	buffer_gl0_inv
.LBB141_143:                            ;   in Loop: Header=BB141_31 Depth=1
	v_and_b32_e32 v27, s21, v27
	v_or_b32_e32 v28, s20, v28
	s_mov_b32 s9, 0
	s_mov_b32 s19, 8
.LBB141_144:                            ;   in Loop: Header=BB141_31 Depth=1
	s_or_saveexec_b32 s18, s18
	v_mov_b32_e32 v2, v25
	v_dual_mov_b32 v6, s19 :: v_dual_mov_b32 v3, v26
	s_xor_b32 exec_lo, exec_lo, s18
; %bb.145:                              ;   in Loop: Header=BB141_31 Depth=1
	v_sub_co_u32 v2, vcc_lo, v25, s10
	v_subrev_co_ci_u32_e32 v3, vcc_lo, s11, v26, vcc_lo
	v_mov_b32_e32 v6, 0
	s_or_b32 s9, s9, exec_lo
; %bb.146:                              ;   in Loop: Header=BB141_31 Depth=1
	s_or_b32 exec_lo, exec_lo, s18
	s_delay_alu instid0(SALU_CYCLE_1)
	s_and_b32 s24, s9, exec_lo
.LBB141_147:                            ;   in Loop: Header=BB141_31 Depth=1
	s_or_b32 exec_lo, exec_lo, s8
	s_mov_b32 s25, -1
                                        ; implicit-def: $sgpr9
                                        ; implicit-def: $sgpr18
                                        ; implicit-def: $sgpr19
	s_and_saveexec_b32 s8, s24
	s_delay_alu instid0(SALU_CYCLE_1)
	s_xor_b32 s24, exec_lo, s8
	s_cbranch_execz .LBB141_296
; %bb.148:                              ;   in Loop: Header=BB141_31 Depth=1
	v_cmp_eq_u64_e32 vcc_lo, 1, v[2:3]
	s_cmp_eq_u64 s[12:13], 1
                                        ; implicit-def: $sgpr25
                                        ; implicit-def: $sgpr68
                                        ; implicit-def: $sgpr67
	s_cselect_b32 s8, -1, 0
	s_delay_alu instid0(SALU_CYCLE_1)
	s_and_b32 s70, s8, vcc_lo
	s_mov_b32 s8, -1
	s_and_saveexec_b32 s69, s70
	s_cbranch_execz .LBB141_182
; %bb.149:                              ;   in Loop: Header=BB141_31 Depth=1
	ds_load_b64 v[4:5], v13 offset:5120
	s_waitcnt lgkmcnt(0)
	s_barrier
	buffer_gl0_inv
	v_readfirstlane_b32 s18, v4
	v_readfirstlane_b32 s19, v5
	s_and_saveexec_b32 s8, s6
	s_cbranch_execz .LBB141_151
; %bb.150:                              ;   in Loop: Header=BB141_31 Depth=1
	ds_store_b8 v0, v13 offset:3072
.LBB141_151:                            ;   in Loop: Header=BB141_31 Depth=1
	s_or_b32 exec_lo, exec_lo, s8
	s_lshl_b32 s8, 1, s22
	v_or_b32_e32 v28, s20, v28
	v_and_or_b32 v27, v27, s21, s8
	s_cmp_eq_u64 s[18:19], 0
	s_waitcnt lgkmcnt(0)
	s_barrier
	buffer_gl0_inv
	s_cbranch_scc1 .LBB141_165
; %bb.152:                              ;   in Loop: Header=BB141_31 Depth=1
	s_add_u32 s25, s81, s18
	s_addc_u32 s9, s82, s19
	s_mov_b32 s8, s55
	s_delay_alu instid0(SALU_CYCLE_1)
	s_cmp_lg_u64 s[8:9], 0
	s_cbranch_scc0 .LBB141_209
; %bb.153:                              ;   in Loop: Header=BB141_31 Depth=1
	v_cvt_f32_u32_e32 v4, s33
	s_sub_u32 s48, 0, s33
	s_subb_u32 s49, 0, 0
	s_delay_alu instid0(VALU_DEP_1) | instskip(NEXT) | instid1(VALU_DEP_1)
	v_fmac_f32_e64 v4, 0, 0x4f800000
	v_rcp_f32_e32 v4, v4
	s_waitcnt_depctr 0xfff
	v_mul_f32_e32 v4, 0x5f7ffffc, v4
	s_delay_alu instid0(VALU_DEP_1) | instskip(NEXT) | instid1(VALU_DEP_1)
	v_mul_f32_e32 v5, 0x2f800000, v4
	v_trunc_f32_e32 v5, v5
	s_delay_alu instid0(VALU_DEP_1) | instskip(SKIP_1) | instid1(VALU_DEP_2)
	v_fmac_f32_e32 v4, 0xcf800000, v5
	v_cvt_u32_f32_e32 v5, v5
	v_cvt_u32_f32_e32 v4, v4
	s_delay_alu instid0(VALU_DEP_2) | instskip(NEXT) | instid1(VALU_DEP_2)
	v_readfirstlane_b32 s8, v5
	v_readfirstlane_b32 s26, v4
	s_delay_alu instid0(VALU_DEP_2) | instskip(NEXT) | instid1(VALU_DEP_1)
	s_mul_i32 s67, s48, s8
	s_mul_hi_u32 s71, s48, s26
	s_mul_i32 s68, s49, s26
	s_add_i32 s67, s71, s67
	s_mul_i32 s72, s48, s26
	s_add_i32 s67, s67, s68
	s_mul_hi_u32 s71, s26, s72
	s_mul_hi_u32 s73, s8, s72
	s_mul_i32 s68, s8, s72
	s_mul_hi_u32 s72, s26, s67
	s_mul_i32 s26, s26, s67
	s_mul_hi_u32 s102, s8, s67
	s_add_u32 s26, s71, s26
	s_addc_u32 s71, 0, s72
	s_add_u32 s26, s26, s68
	s_mul_i32 s67, s8, s67
	s_addc_u32 s26, s71, s73
	s_addc_u32 s68, s102, 0
	s_add_u32 s26, s26, s67
	s_addc_u32 s67, 0, s68
	v_add_co_u32 v4, s26, v4, s26
	s_delay_alu instid0(VALU_DEP_1) | instskip(SKIP_1) | instid1(VALU_DEP_1)
	s_cmp_lg_u32 s26, 0
	s_addc_u32 s8, s8, s67
	v_readfirstlane_b32 s26, v4
	s_mul_i32 s67, s48, s8
	s_delay_alu instid0(VALU_DEP_1)
	s_mul_hi_u32 s68, s48, s26
	s_mul_i32 s49, s49, s26
	s_add_i32 s67, s68, s67
	s_mul_i32 s48, s48, s26
	s_add_i32 s67, s67, s49
	s_mul_hi_u32 s68, s8, s48
	s_mul_i32 s71, s8, s48
	s_mul_hi_u32 s48, s26, s48
	s_mul_hi_u32 s72, s26, s67
	s_mul_i32 s26, s26, s67
	s_mul_hi_u32 s49, s8, s67
	s_add_u32 s26, s48, s26
	s_addc_u32 s48, 0, s72
	s_add_u32 s26, s26, s71
	s_mul_i32 s67, s8, s67
	s_addc_u32 s26, s48, s68
	s_addc_u32 s48, s49, 0
	s_add_u32 s26, s26, s67
	s_addc_u32 s48, 0, s48
	v_add_co_u32 v4, s26, v4, s26
	s_delay_alu instid0(VALU_DEP_1) | instskip(SKIP_1) | instid1(VALU_DEP_1)
	s_cmp_lg_u32 s26, 0
	s_addc_u32 s8, s8, s48
	v_readfirstlane_b32 s26, v4
	s_mul_i32 s49, s25, s8
	s_mul_hi_u32 s48, s25, s8
	s_mul_hi_u32 s67, s9, s8
	s_mul_i32 s8, s9, s8
	s_mul_hi_u32 s68, s25, s26
	s_mul_hi_u32 s71, s9, s26
	s_mul_i32 s26, s9, s26
	s_add_u32 s49, s68, s49
	s_addc_u32 s48, 0, s48
	s_add_u32 s26, s49, s26
	s_addc_u32 s26, s48, s71
	s_addc_u32 s48, s67, 0
	s_add_u32 s8, s26, s8
	s_addc_u32 s26, 0, s48
	s_mul_hi_u32 s48, s33, s8
	s_mul_i32 s8, s33, s8
	s_mul_i32 s26, s33, s26
	v_sub_co_u32 v4, s8, s25, s8
	s_add_i32 s48, s48, s26
	s_cmp_lg_u32 s8, 0
	s_delay_alu instid0(VALU_DEP_1) | instskip(SKIP_2) | instid1(VALU_DEP_1)
	v_sub_co_u32 v5, s8, v4, s33
	s_subb_u32 s26, s9, s48
	s_cmp_lg_u32 s8, 0
	v_cmp_le_u32_e32 vcc_lo, s33, v5
	v_sub_co_u32 v6, s8, v5, s33
	s_subb_u32 s48, s26, 0
	s_cmp_lg_u32 s8, 0
	v_cndmask_b32_e64 v7, 0, -1, vcc_lo
	s_subb_u32 s8, s48, 0
	s_cmp_eq_u32 s48, 0
	v_mov_b32_e32 v9, s8
	s_cselect_b32 vcc_lo, -1, 0
	s_cmp_eq_u32 s26, 0
	v_cndmask_b32_e32 v7, -1, v7, vcc_lo
	v_cmp_le_u32_e32 vcc_lo, s33, v4
	s_cselect_b32 s8, -1, 0
	v_cndmask_b32_e64 v8, 0, -1, vcc_lo
	s_delay_alu instid0(VALU_DEP_3) | instskip(NEXT) | instid1(VALU_DEP_2)
	v_cmp_ne_u32_e32 vcc_lo, 0, v7
	v_cndmask_b32_e64 v7, -1, v8, s8
	v_cndmask_b32_e32 v8, s48, v9, vcc_lo
	v_cndmask_b32_e32 v6, v5, v6, vcc_lo
	s_delay_alu instid0(VALU_DEP_3) | instskip(NEXT) | instid1(VALU_DEP_3)
	v_cmp_ne_u32_e32 vcc_lo, 0, v7
	v_cndmask_b32_e32 v5, s26, v8, vcc_lo
	s_delay_alu instid0(VALU_DEP_3)
	v_cndmask_b32_e32 v4, v4, v6, vcc_lo
	s_cbranch_execnz .LBB141_155
.LBB141_154:                            ;   in Loop: Header=BB141_31 Depth=1
	v_cvt_f32_u32_e32 v4, s33
	s_sub_i32 s8, 0, s33
	s_delay_alu instid0(VALU_DEP_1) | instskip(SKIP_2) | instid1(VALU_DEP_1)
	v_rcp_iflag_f32_e32 v4, v4
	s_waitcnt_depctr 0xfff
	v_mul_f32_e32 v4, 0x4f7ffffe, v4
	v_cvt_u32_f32_e32 v4, v4
	s_delay_alu instid0(VALU_DEP_1) | instskip(NEXT) | instid1(VALU_DEP_1)
	v_mul_lo_u32 v5, s8, v4
	v_mul_hi_u32 v5, v4, v5
	s_delay_alu instid0(VALU_DEP_1) | instskip(NEXT) | instid1(VALU_DEP_1)
	v_add_nc_u32_e32 v4, v4, v5
	v_mul_hi_u32 v4, s25, v4
	s_delay_alu instid0(VALU_DEP_1) | instskip(NEXT) | instid1(VALU_DEP_1)
	v_mul_lo_u32 v4, v4, s33
	v_sub_nc_u32_e32 v4, s25, v4
	s_delay_alu instid0(VALU_DEP_1) | instskip(SKIP_1) | instid1(VALU_DEP_2)
	v_subrev_nc_u32_e32 v5, s33, v4
	v_cmp_le_u32_e32 vcc_lo, s33, v4
	v_cndmask_b32_e32 v4, v4, v5, vcc_lo
	s_delay_alu instid0(VALU_DEP_1) | instskip(SKIP_1) | instid1(VALU_DEP_2)
	v_subrev_nc_u32_e32 v5, s33, v4
	v_cmp_le_u32_e32 vcc_lo, s33, v4
	v_cndmask_b32_e32 v12, v4, v5, vcc_lo
	s_delay_alu instid0(VALU_DEP_1)
	v_dual_mov_b32 v4, v12 :: v_dual_mov_b32 v5, v13
.LBB141_155:                            ;   in Loop: Header=BB141_31 Depth=1
	s_delay_alu instid0(VALU_DEP_1) | instskip(NEXT) | instid1(VALU_DEP_2)
	v_sub_co_u32 v4, vcc_lo, s25, v4
	v_sub_co_ci_u32_e32 v5, vcc_lo, s9, v5, vcc_lo
	s_mov_b32 s8, 0
	s_mov_b32 s9, exec_lo
                                        ; implicit-def: $vgpr29
	s_delay_alu instid0(VALU_DEP_1)
	v_cmpx_gt_u64_e64 v[4:5], v[0:1]
	s_cbranch_execz .LBB141_167
; %bb.156:                              ;   in Loop: Header=BB141_31 Depth=1
	v_dual_mov_b32 v8, v0 :: v_dual_mov_b32 v7, v1
	v_mov_b32_e32 v6, v0
	s_mov_b32 s25, 0
                                        ; implicit-def: $sgpr26
	s_set_inst_prefetch_distance 0x1
	s_branch .LBB141_158
	.p2align	6
.LBB141_157:                            ;   in Loop: Header=BB141_158 Depth=2
	s_or_b32 exec_lo, exec_lo, s8
	s_waitcnt lgkmcnt(0)
	s_barrier
	buffer_gl0_inv
	ds_load_u16 v9, v13 offset:3072
	v_add_co_u32 v6, vcc_lo, v6, s33
	v_add_co_ci_u32_e32 v7, vcc_lo, 0, v7, vcc_lo
	v_add_nc_u32_e32 v8, s33, v8
	s_waitcnt lgkmcnt(0)
	s_barrier
	s_delay_alu instid0(VALU_DEP_2) | instskip(SKIP_2) | instid1(VALU_DEP_1)
	v_cmp_ge_u64_e32 vcc_lo, v[6:7], v[4:5]
	buffer_gl0_inv
	v_and_b32_e32 v12, 0xff, v9
	v_cmp_ne_u16_e64 s8, 0, v12
	s_delay_alu instid0(VALU_DEP_1) | instskip(NEXT) | instid1(SALU_CYCLE_1)
	s_or_b32 s48, vcc_lo, s8
	s_and_b32 s48, exec_lo, s48
	s_delay_alu instid0(SALU_CYCLE_1) | instskip(SKIP_2) | instid1(SALU_CYCLE_1)
	s_or_b32 s25, s48, s25
	s_and_not1_b32 s26, s26, exec_lo
	s_and_b32 s8, s8, exec_lo
	s_or_b32 s26, s26, s8
	s_and_not1_b32 exec_lo, exec_lo, s25
	s_cbranch_execz .LBB141_166
.LBB141_158:                            ;   Parent Loop BB141_31 Depth=1
                                        ; =>  This Inner Loop Header: Depth=2
	s_delay_alu instid0(VALU_DEP_1)
	v_cmp_gt_u64_e32 vcc_lo, s[18:19], v[6:7]
	v_mov_b32_e32 v9, 0
	s_and_saveexec_b32 s8, vcc_lo
	s_cbranch_execz .LBB141_160
; %bb.159:                              ;   in Loop: Header=BB141_158 Depth=2
	ds_load_u8 v9, v8
.LBB141_160:                            ;   in Loop: Header=BB141_158 Depth=2
	s_or_b32 exec_lo, exec_lo, s8
	s_and_saveexec_b32 s8, vcc_lo
	s_cbranch_execz .LBB141_157
; %bb.161:                              ;   in Loop: Header=BB141_158 Depth=2
	s_waitcnt lgkmcnt(0)
	v_bfe_i32 v12, v9, 0, 8
	s_delay_alu instid0(VALU_DEP_1) | instskip(NEXT) | instid1(VALU_DEP_1)
	v_add_nc_u32_e32 v12, 0x80, v12
	v_and_b32_e32 v12, v12, v28
	s_delay_alu instid0(VALU_DEP_1)
	v_cmp_eq_u32_e32 vcc_lo, v12, v27
	s_and_b32 exec_lo, exec_lo, vcc_lo
	s_cbranch_execz .LBB141_157
; %bb.162:                              ;   in Loop: Header=BB141_158 Depth=2
	v_lshlrev_b16 v9, 8, v9
	s_delay_alu instid0(VALU_DEP_1)
	v_or_b32_e32 v9, 1, v9
	ds_store_b16 v13, v9 offset:3072
	s_branch .LBB141_157
.LBB141_163:                            ;   in Loop: Header=BB141_31 Depth=1
                                        ; implicit-def: $vgpr2_vgpr3
	s_branch .LBB141_108
.LBB141_164:                            ;   in Loop: Header=BB141_31 Depth=1
                                        ; implicit-def: $vgpr2_vgpr3
	s_branch .LBB141_124
.LBB141_165:                            ;   in Loop: Header=BB141_31 Depth=1
	s_mov_b32 s25, -1
	s_mov_b32 s8, 0
                                        ; implicit-def: $sgpr67
                                        ; implicit-def: $vgpr29
	s_mov_b32 s68, s25
	s_cbranch_execnz .LBB141_168
	s_branch .LBB141_181
.LBB141_166:                            ;   in Loop: Header=BB141_31 Depth=1
	s_set_inst_prefetch_distance 0x2
	s_or_b32 exec_lo, exec_lo, s25
	v_lshrrev_b16 v29, 8, v9
	s_and_b32 s8, s26, exec_lo
.LBB141_167:                            ;   in Loop: Header=BB141_31 Depth=1
	s_or_b32 exec_lo, exec_lo, s9
	s_mov_b32 s67, -1
	s_mov_b32 s25, 0
	s_delay_alu instid0(SALU_CYCLE_1)
	s_mov_b32 s68, s25
	s_branch .LBB141_181
.LBB141_168:                            ;   in Loop: Header=BB141_31 Depth=1
	s_mov_b32 s26, s55
	s_delay_alu instid0(SALU_CYCLE_1)
	s_cmp_lg_u64 s[26:27], 0
	s_cbranch_scc0 .LBB141_210
; %bb.169:                              ;   in Loop: Header=BB141_31 Depth=1
	v_cvt_f32_u32_e32 v4, s33
	s_sub_u32 s18, 0, s33
	s_subb_u32 s19, 0, 0
	s_delay_alu instid0(VALU_DEP_1) | instskip(NEXT) | instid1(VALU_DEP_1)
	v_fmac_f32_e64 v4, 0, 0x4f800000
	v_rcp_f32_e32 v4, v4
	s_waitcnt_depctr 0xfff
	v_mul_f32_e32 v4, 0x5f7ffffc, v4
	s_delay_alu instid0(VALU_DEP_1) | instskip(NEXT) | instid1(VALU_DEP_1)
	v_mul_f32_e32 v5, 0x2f800000, v4
	v_trunc_f32_e32 v5, v5
	s_delay_alu instid0(VALU_DEP_1) | instskip(SKIP_1) | instid1(VALU_DEP_2)
	v_fmac_f32_e32 v4, 0xcf800000, v5
	v_cvt_u32_f32_e32 v5, v5
	v_cvt_u32_f32_e32 v4, v4
	s_delay_alu instid0(VALU_DEP_2) | instskip(NEXT) | instid1(VALU_DEP_2)
	v_readfirstlane_b32 s8, v5
	v_readfirstlane_b32 s9, v4
	s_delay_alu instid0(VALU_DEP_2) | instskip(NEXT) | instid1(VALU_DEP_1)
	s_mul_i32 s25, s18, s8
	s_mul_hi_u32 s48, s18, s9
	s_mul_i32 s26, s19, s9
	s_add_i32 s25, s48, s25
	s_mul_i32 s49, s18, s9
	s_add_i32 s25, s25, s26
	s_mul_hi_u32 s48, s9, s49
	s_mul_hi_u32 s67, s8, s49
	s_mul_i32 s26, s8, s49
	s_mul_hi_u32 s49, s9, s25
	s_mul_i32 s9, s9, s25
	s_mul_hi_u32 s68, s8, s25
	s_add_u32 s9, s48, s9
	s_addc_u32 s48, 0, s49
	s_add_u32 s9, s9, s26
	s_mul_i32 s25, s8, s25
	s_addc_u32 s9, s48, s67
	s_addc_u32 s26, s68, 0
	s_add_u32 s9, s9, s25
	s_addc_u32 s25, 0, s26
	v_add_co_u32 v4, s9, v4, s9
	s_delay_alu instid0(VALU_DEP_1) | instskip(SKIP_1) | instid1(VALU_DEP_1)
	s_cmp_lg_u32 s9, 0
	s_addc_u32 s8, s8, s25
	v_readfirstlane_b32 s9, v4
	s_mul_i32 s25, s18, s8
	s_delay_alu instid0(VALU_DEP_1)
	s_mul_hi_u32 s26, s18, s9
	s_mul_i32 s19, s19, s9
	s_add_i32 s25, s26, s25
	s_mul_i32 s18, s18, s9
	s_add_i32 s25, s25, s19
	s_mul_hi_u32 s26, s8, s18
	s_mul_i32 s48, s8, s18
	s_mul_hi_u32 s18, s9, s18
	s_mul_hi_u32 s49, s9, s25
	s_mul_i32 s9, s9, s25
	s_mul_hi_u32 s19, s8, s25
	s_add_u32 s9, s18, s9
	s_addc_u32 s18, 0, s49
	s_add_u32 s9, s9, s48
	s_mul_i32 s25, s8, s25
	s_addc_u32 s9, s18, s26
	s_addc_u32 s18, s19, 0
	s_add_u32 s9, s9, s25
	s_addc_u32 s18, 0, s18
	v_add_co_u32 v4, s9, v4, s9
	s_delay_alu instid0(VALU_DEP_1) | instskip(SKIP_1) | instid1(VALU_DEP_1)
	s_cmp_lg_u32 s9, 0
	s_addc_u32 s8, s8, s18
	v_readfirstlane_b32 s9, v4
	s_mul_i32 s19, s83, s8
	s_mul_hi_u32 s18, s83, s8
	s_mul_hi_u32 s25, s27, s8
	s_mul_i32 s8, s27, s8
	s_mul_hi_u32 s26, s83, s9
	s_mul_hi_u32 s48, s27, s9
	s_mul_i32 s9, s27, s9
	s_add_u32 s19, s26, s19
	s_addc_u32 s18, 0, s18
	s_add_u32 s9, s19, s9
	s_addc_u32 s9, s18, s48
	s_addc_u32 s18, s25, 0
	s_add_u32 s8, s9, s8
	s_addc_u32 s9, 0, s18
	s_mul_hi_u32 s18, s33, s8
	s_mul_i32 s8, s33, s8
	s_mul_i32 s9, s33, s9
	v_sub_co_u32 v4, s8, s83, s8
	s_add_i32 s18, s18, s9
	s_cmp_lg_u32 s8, 0
	s_delay_alu instid0(VALU_DEP_1) | instskip(SKIP_2) | instid1(VALU_DEP_1)
	v_sub_co_u32 v5, s8, v4, s33
	s_subb_u32 s9, s27, s18
	s_cmp_lg_u32 s8, 0
	v_cmp_le_u32_e32 vcc_lo, s33, v5
	v_sub_co_u32 v6, s8, v5, s33
	s_subb_u32 s18, s9, 0
	s_cmp_lg_u32 s8, 0
	v_cndmask_b32_e64 v7, 0, -1, vcc_lo
	s_subb_u32 s8, s18, 0
	s_cmp_eq_u32 s18, 0
	v_mov_b32_e32 v9, s8
	s_cselect_b32 vcc_lo, -1, 0
	s_cmp_eq_u32 s9, 0
	v_cndmask_b32_e32 v7, -1, v7, vcc_lo
	v_cmp_le_u32_e32 vcc_lo, s33, v4
	s_cselect_b32 s8, -1, 0
	v_cndmask_b32_e64 v8, 0, -1, vcc_lo
	s_delay_alu instid0(VALU_DEP_3) | instskip(NEXT) | instid1(VALU_DEP_2)
	v_cmp_ne_u32_e32 vcc_lo, 0, v7
	v_cndmask_b32_e64 v7, -1, v8, s8
	v_cndmask_b32_e32 v8, s18, v9, vcc_lo
	v_cndmask_b32_e32 v6, v5, v6, vcc_lo
	s_delay_alu instid0(VALU_DEP_3) | instskip(NEXT) | instid1(VALU_DEP_3)
	v_cmp_ne_u32_e32 vcc_lo, 0, v7
	v_cndmask_b32_e32 v5, s9, v8, vcc_lo
	s_delay_alu instid0(VALU_DEP_3)
	v_cndmask_b32_e32 v4, v4, v6, vcc_lo
	s_cbranch_execnz .LBB141_171
.LBB141_170:                            ;   in Loop: Header=BB141_31 Depth=1
	v_cvt_f32_u32_e32 v4, s33
	s_sub_i32 s8, 0, s33
	s_delay_alu instid0(VALU_DEP_1) | instskip(SKIP_2) | instid1(VALU_DEP_1)
	v_rcp_iflag_f32_e32 v4, v4
	s_waitcnt_depctr 0xfff
	v_mul_f32_e32 v4, 0x4f7ffffe, v4
	v_cvt_u32_f32_e32 v4, v4
	s_delay_alu instid0(VALU_DEP_1) | instskip(NEXT) | instid1(VALU_DEP_1)
	v_mul_lo_u32 v5, s8, v4
	v_mul_hi_u32 v5, v4, v5
	s_delay_alu instid0(VALU_DEP_1) | instskip(NEXT) | instid1(VALU_DEP_1)
	v_add_nc_u32_e32 v4, v4, v5
	v_mul_hi_u32 v4, s83, v4
	s_delay_alu instid0(VALU_DEP_1) | instskip(NEXT) | instid1(VALU_DEP_1)
	v_mul_lo_u32 v4, v4, s33
	v_sub_nc_u32_e32 v4, s83, v4
	s_delay_alu instid0(VALU_DEP_1) | instskip(SKIP_1) | instid1(VALU_DEP_2)
	v_subrev_nc_u32_e32 v5, s33, v4
	v_cmp_le_u32_e32 vcc_lo, s33, v4
	v_cndmask_b32_e32 v4, v4, v5, vcc_lo
	s_delay_alu instid0(VALU_DEP_1) | instskip(SKIP_1) | instid1(VALU_DEP_2)
	v_subrev_nc_u32_e32 v5, s33, v4
	v_cmp_le_u32_e32 vcc_lo, s33, v4
	v_cndmask_b32_e32 v12, v4, v5, vcc_lo
	s_delay_alu instid0(VALU_DEP_1)
	v_dual_mov_b32 v4, v12 :: v_dual_mov_b32 v5, v13
.LBB141_171:                            ;   in Loop: Header=BB141_31 Depth=1
	s_delay_alu instid0(VALU_DEP_1) | instskip(NEXT) | instid1(VALU_DEP_2)
	v_sub_co_u32 v4, vcc_lo, s83, v4
	v_sub_co_ci_u32_e32 v5, vcc_lo, s27, v5, vcc_lo
	s_mov_b32 s8, 0
	s_mov_b32 s9, exec_lo
                                        ; implicit-def: $vgpr29
	s_delay_alu instid0(VALU_DEP_1)
	v_cmpx_gt_u64_e64 v[4:5], v[0:1]
	s_cbranch_execz .LBB141_180
; %bb.172:                              ;   in Loop: Header=BB141_31 Depth=1
	v_dual_mov_b32 v6, v23 :: v_dual_mov_b32 v7, v24
	v_dual_mov_b32 v9, v1 :: v_dual_mov_b32 v8, v0
	s_mov_b32 s18, 0
                                        ; implicit-def: $sgpr19
	s_set_inst_prefetch_distance 0x1
	s_branch .LBB141_174
	.p2align	6
.LBB141_173:                            ;   in Loop: Header=BB141_174 Depth=2
	s_or_b32 exec_lo, exec_lo, s8
	s_waitcnt vmcnt(0) lgkmcnt(0)
	s_barrier
	buffer_gl0_inv
	ds_load_u16 v12, v13 offset:3072
	v_add_co_u32 v8, vcc_lo, v8, s33
	v_add_co_ci_u32_e32 v9, vcc_lo, 0, v9, vcc_lo
	s_waitcnt lgkmcnt(0)
	s_barrier
	buffer_gl0_inv
	v_cmp_ge_u64_e32 vcc_lo, v[8:9], v[4:5]
	v_and_b32_e32 v29, 0xff, v12
	s_delay_alu instid0(VALU_DEP_1) | instskip(NEXT) | instid1(VALU_DEP_1)
	v_cmp_ne_u16_e64 s8, 0, v29
	s_or_b32 s25, vcc_lo, s8
	v_add_co_u32 v6, vcc_lo, v6, s75
	s_and_b32 s25, exec_lo, s25
	v_add_co_ci_u32_e32 v7, vcc_lo, s74, v7, vcc_lo
	s_or_b32 s18, s25, s18
	s_and_not1_b32 s19, s19, exec_lo
	s_and_b32 s8, s8, exec_lo
	s_delay_alu instid0(SALU_CYCLE_1)
	s_or_b32 s19, s19, s8
	s_and_not1_b32 exec_lo, exec_lo, s18
	s_cbranch_execz .LBB141_179
.LBB141_174:                            ;   Parent Loop BB141_31 Depth=1
                                        ; =>  This Inner Loop Header: Depth=2
	s_delay_alu instid0(VALU_DEP_1)
	v_cmp_gt_u64_e32 vcc_lo, s[36:37], v[8:9]
	v_mov_b32_e32 v12, 0
	s_and_saveexec_b32 s8, vcc_lo
	s_cbranch_execz .LBB141_176
; %bb.175:                              ;   in Loop: Header=BB141_174 Depth=2
	global_load_u8 v12, v[6:7], off
.LBB141_176:                            ;   in Loop: Header=BB141_174 Depth=2
	s_or_b32 exec_lo, exec_lo, s8
	s_and_saveexec_b32 s8, vcc_lo
	s_cbranch_execz .LBB141_173
; %bb.177:                              ;   in Loop: Header=BB141_174 Depth=2
	s_waitcnt vmcnt(0)
	v_bfe_i32 v29, v12, 0, 8
	s_delay_alu instid0(VALU_DEP_1) | instskip(NEXT) | instid1(VALU_DEP_1)
	v_add_nc_u32_e32 v29, 0x80, v29
	v_and_b32_e32 v29, v29, v28
	s_delay_alu instid0(VALU_DEP_1)
	v_cmp_eq_u32_e32 vcc_lo, v29, v27
	s_and_b32 exec_lo, exec_lo, vcc_lo
	s_cbranch_execz .LBB141_173
; %bb.178:                              ;   in Loop: Header=BB141_174 Depth=2
	v_lshlrev_b16 v12, 8, v12
	s_delay_alu instid0(VALU_DEP_1)
	v_or_b32_e32 v12, 1, v12
	ds_store_b16 v13, v12 offset:3072
	s_branch .LBB141_173
.LBB141_179:                            ;   in Loop: Header=BB141_31 Depth=1
	s_set_inst_prefetch_distance 0x2
	s_or_b32 exec_lo, exec_lo, s18
	v_lshrrev_b16 v29, 8, v12
	s_and_b32 s8, s19, exec_lo
.LBB141_180:                            ;   in Loop: Header=BB141_31 Depth=1
	s_or_b32 exec_lo, exec_lo, s9
	s_mov_b32 s68, -1
	s_mov_b32 s25, 0
	s_mov_b32 s67, 0
.LBB141_181:                            ;   in Loop: Header=BB141_31 Depth=1
	s_or_not1_b32 s8, s8, exec_lo
.LBB141_182:                            ;   in Loop: Header=BB141_31 Depth=1
	s_or_b32 exec_lo, exec_lo, s69
	s_mov_b32 s26, 0
                                        ; implicit-def: $vgpr6
	s_and_saveexec_b32 s69, s8
	s_cbranch_execz .LBB141_295
; %bb.183:                              ;   in Loop: Header=BB141_31 Depth=1
	v_mov_b32_e32 v4, 1
	v_dual_mov_b32 v5, 0 :: v_dual_mov_b32 v6, 1
	s_xor_b32 s9, s70, -1
	s_delay_alu instid0(SALU_CYCLE_1)
	s_and_saveexec_b32 s8, s9
	s_cbranch_execz .LBB141_193
; %bb.184:                              ;   in Loop: Header=BB141_31 Depth=1
	s_mov_b32 s18, exec_lo
                                        ; implicit-def: $sgpr19
                                        ; implicit-def: $sgpr9
	v_cmpx_ge_u64_e64 s[12:13], v[2:3]
	s_xor_b32 s18, exec_lo, s18
	s_cbranch_execz .LBB141_190
; %bb.185:                              ;   in Loop: Header=BB141_31 Depth=1
	ds_load_b64 v[4:5], v13 offset:5120
	s_waitcnt lgkmcnt(0)
	v_cmp_ne_u64_e32 vcc_lo, 0, v[4:5]
	s_cbranch_vccnz .LBB141_189
; %bb.186:                              ;   in Loop: Header=BB141_31 Depth=1
	s_and_saveexec_b32 s9, s5
	s_cbranch_execz .LBB141_188
; %bb.187:                              ;   in Loop: Header=BB141_31 Depth=1
	v_dual_mov_b32 v4, s12 :: v_dual_mov_b32 v5, s13
	ds_store_b64 v13, v[4:5] offset:5128
.LBB141_188:                            ;   in Loop: Header=BB141_31 Depth=1
	s_or_b32 exec_lo, exec_lo, s9
	s_waitcnt lgkmcnt(0)
	s_barrier
	buffer_gl0_inv
.LBB141_189:                            ;   in Loop: Header=BB141_31 Depth=1
	s_lshl_b32 s9, 1, s22
	v_or_b32_e32 v28, s20, v28
	v_and_or_b32 v27, v27, s21, s9
	s_mov_b32 s9, 0
	s_mov_b32 s19, 8
.LBB141_190:                            ;   in Loop: Header=BB141_31 Depth=1
	s_or_saveexec_b32 s18, s18
	v_mov_b32_e32 v6, s19
	s_xor_b32 exec_lo, exec_lo, s18
; %bb.191:                              ;   in Loop: Header=BB141_31 Depth=1
	v_sub_co_u32 v2, vcc_lo, v2, s12
	v_subrev_co_ci_u32_e32 v3, vcc_lo, s13, v3, vcc_lo
	v_mov_b32_e32 v6, 0
	s_or_b32 s9, s9, exec_lo
; %bb.192:                              ;   in Loop: Header=BB141_31 Depth=1
	s_or_b32 exec_lo, exec_lo, s18
	s_delay_alu instid0(VALU_DEP_2)
	v_dual_mov_b32 v5, v3 :: v_dual_mov_b32 v4, v2
	s_and_b32 s26, s9, exec_lo
.LBB141_193:                            ;   in Loop: Header=BB141_31 Depth=1
	s_or_b32 exec_lo, exec_lo, s8
	s_mov_b32 s8, -1
                                        ; implicit-def: $sgpr9
                                        ; implicit-def: $sgpr18
                                        ; implicit-def: $sgpr19
	s_and_saveexec_b32 s70, s26
	s_cbranch_execz .LBB141_294
; %bb.194:                              ;   in Loop: Header=BB141_31 Depth=1
	v_cmp_eq_u64_e32 vcc_lo, 1, v[4:5]
	s_cmp_eq_u64 s[14:15], 1
                                        ; implicit-def: $sgpr71
                                        ; implicit-def: $sgpr73
                                        ; implicit-def: $sgpr72
	s_cselect_b32 s8, -1, 0
	s_delay_alu instid0(SALU_CYCLE_1)
	s_and_b32 s103, s8, vcc_lo
	s_mov_b32 s8, -1
	s_and_saveexec_b32 s102, s103
	s_cbranch_execz .LBB141_228
; %bb.195:                              ;   in Loop: Header=BB141_31 Depth=1
	ds_load_b64 v[2:3], v13 offset:5120
	s_waitcnt lgkmcnt(0)
	s_barrier
	buffer_gl0_inv
	v_readfirstlane_b32 s18, v2
	v_readfirstlane_b32 s19, v3
	s_and_saveexec_b32 s8, s6
	s_cbranch_execz .LBB141_197
; %bb.196:                              ;   in Loop: Header=BB141_31 Depth=1
	ds_store_b8 v0, v13 offset:3072
.LBB141_197:                            ;   in Loop: Header=BB141_31 Depth=1
	s_or_b32 exec_lo, exec_lo, s8
	s_lshl_b32 s8, 2, s22
	v_or_b32_e32 v28, s20, v28
	v_and_or_b32 v27, v27, s21, s8
	s_cmp_eq_u64 s[18:19], 0
	s_waitcnt lgkmcnt(0)
	s_barrier
	buffer_gl0_inv
	s_cbranch_scc1 .LBB141_211
; %bb.198:                              ;   in Loop: Header=BB141_31 Depth=1
	s_add_u32 s26, s81, s18
	s_addc_u32 s9, s82, s19
	s_mov_b32 s8, s55
	s_delay_alu instid0(SALU_CYCLE_1)
	s_cmp_lg_u64 s[8:9], 0
	s_cbranch_scc0 .LBB141_246
; %bb.199:                              ;   in Loop: Header=BB141_31 Depth=1
	v_cvt_f32_u32_e32 v2, s33
	s_sub_u32 s49, 0, s33
	s_subb_u32 s71, 0, 0
	s_delay_alu instid0(VALU_DEP_1) | instskip(NEXT) | instid1(VALU_DEP_1)
	v_fmac_f32_e64 v2, 0, 0x4f800000
	v_rcp_f32_e32 v2, v2
	s_waitcnt_depctr 0xfff
	v_mul_f32_e32 v2, 0x5f7ffffc, v2
	s_delay_alu instid0(VALU_DEP_1) | instskip(NEXT) | instid1(VALU_DEP_1)
	v_mul_f32_e32 v3, 0x2f800000, v2
	v_trunc_f32_e32 v3, v3
	s_delay_alu instid0(VALU_DEP_1) | instskip(SKIP_1) | instid1(VALU_DEP_2)
	v_fmac_f32_e32 v2, 0xcf800000, v3
	v_cvt_u32_f32_e32 v3, v3
	v_cvt_u32_f32_e32 v2, v2
	s_delay_alu instid0(VALU_DEP_2) | instskip(NEXT) | instid1(VALU_DEP_2)
	v_readfirstlane_b32 s8, v3
	v_readfirstlane_b32 s48, v2
	s_delay_alu instid0(VALU_DEP_2) | instskip(NEXT) | instid1(VALU_DEP_1)
	s_mul_i32 s72, s49, s8
	s_mul_hi_u32 s104, s49, s48
	s_mul_i32 s73, s71, s48
	s_add_i32 s72, s104, s72
	s_mul_i32 vcc_lo, s49, s48
	s_add_i32 s72, s72, s73
	s_mul_hi_u32 s104, s48, vcc_lo
	s_mul_hi_u32 vcc_hi, s8, vcc_lo
	s_mul_i32 s73, s8, vcc_lo
	s_mul_hi_u32 vcc_lo, s48, s72
	s_mul_i32 s48, s48, s72
	s_mul_hi_u32 s50, s8, s72
	s_add_u32 s48, s104, s48
	s_mul_i32 s51, s8, s72
	s_addc_u32 s72, 0, vcc_lo
	s_add_u32 s48, s48, s73
	s_addc_u32 s48, s72, vcc_hi
	s_addc_u32 s50, s50, 0
	s_add_u32 s48, s48, s51
	s_addc_u32 s50, 0, s50
	v_add_co_u32 v2, s48, v2, s48
	s_delay_alu instid0(VALU_DEP_1) | instskip(SKIP_1) | instid1(VALU_DEP_1)
	s_cmp_lg_u32 s48, 0
	s_addc_u32 s8, s8, s50
	v_readfirstlane_b32 s48, v2
	s_mul_i32 s50, s49, s8
	s_delay_alu instid0(VALU_DEP_1)
	s_mul_hi_u32 s51, s49, s48
	s_mul_i32 s71, s71, s48
	s_add_i32 s50, s51, s50
	s_mul_i32 s49, s49, s48
	s_add_i32 s50, s50, s71
	s_mul_hi_u32 s51, s8, s49
	s_mul_i32 s72, s8, s49
	s_mul_hi_u32 s49, s48, s49
	s_mul_hi_u32 s73, s48, s50
	s_mul_i32 s48, s48, s50
	s_mul_hi_u32 s71, s8, s50
	s_add_u32 s48, s49, s48
	s_addc_u32 s49, 0, s73
	s_add_u32 s48, s48, s72
	s_mul_i32 s50, s8, s50
	s_addc_u32 s48, s49, s51
	s_addc_u32 s49, s71, 0
	s_add_u32 s48, s48, s50
	s_addc_u32 s49, 0, s49
	v_add_co_u32 v2, s48, v2, s48
	s_delay_alu instid0(VALU_DEP_1) | instskip(SKIP_1) | instid1(VALU_DEP_1)
	s_cmp_lg_u32 s48, 0
	s_addc_u32 s8, s8, s49
	v_readfirstlane_b32 s48, v2
	s_mul_i32 s50, s26, s8
	s_mul_hi_u32 s49, s26, s8
	s_mul_hi_u32 s51, s9, s8
	s_mul_i32 s8, s9, s8
	s_mul_hi_u32 s71, s26, s48
	s_mul_hi_u32 s72, s9, s48
	s_mul_i32 s48, s9, s48
	s_add_u32 s50, s71, s50
	s_addc_u32 s49, 0, s49
	s_add_u32 s48, s50, s48
	s_addc_u32 s48, s49, s72
	s_addc_u32 s49, s51, 0
	s_add_u32 s8, s48, s8
	s_addc_u32 s48, 0, s49
	s_mul_hi_u32 s49, s33, s8
	s_mul_i32 s8, s33, s8
	s_mul_i32 s48, s33, s48
	v_sub_co_u32 v2, s8, s26, s8
	s_add_i32 s49, s49, s48
	s_cmp_lg_u32 s8, 0
	s_delay_alu instid0(VALU_DEP_1) | instskip(SKIP_3) | instid1(VALU_DEP_2)
	v_sub_co_u32 v3, s8, v2, s33
	s_subb_u32 s48, s9, s49
	s_cmp_lg_u32 s8, 0
	v_cmp_le_u32_e32 vcc_lo, s33, v2
	v_cmp_le_u32_e64 s8, s33, v3
	v_sub_co_u32 v6, s49, v3, s33
	s_subb_u32 s50, s48, 0
	s_cmp_lg_u32 s49, 0
	s_delay_alu instid0(VALU_DEP_2)
	v_cndmask_b32_e64 v7, 0, -1, s8
	s_subb_u32 s49, s50, 0
	s_cmp_eq_u32 s50, 0
	v_mov_b32_e32 v9, s49
	v_cndmask_b32_e64 v8, 0, -1, vcc_lo
	s_cselect_b32 vcc_lo, -1, 0
	s_cmp_eq_u32 s48, 0
	v_cndmask_b32_e32 v7, -1, v7, vcc_lo
	s_cselect_b32 vcc_lo, -1, 0
	v_cndmask_b32_e32 v8, -1, v8, vcc_lo
	s_delay_alu instid0(VALU_DEP_2) | instskip(NEXT) | instid1(VALU_DEP_2)
	v_cmp_ne_u32_e32 vcc_lo, 0, v7
	v_cmp_ne_u32_e64 s8, 0, v8
	v_cndmask_b32_e32 v7, s50, v9, vcc_lo
	v_cndmask_b32_e32 v6, v3, v6, vcc_lo
	s_delay_alu instid0(VALU_DEP_2) | instskip(NEXT) | instid1(VALU_DEP_2)
	v_cndmask_b32_e64 v3, s48, v7, s8
	v_cndmask_b32_e64 v2, v2, v6, s8
	s_cbranch_execnz .LBB141_201
.LBB141_200:                            ;   in Loop: Header=BB141_31 Depth=1
	v_cvt_f32_u32_e32 v2, s33
	s_sub_i32 s8, 0, s33
	s_delay_alu instid0(VALU_DEP_1) | instskip(SKIP_2) | instid1(VALU_DEP_1)
	v_rcp_iflag_f32_e32 v2, v2
	s_waitcnt_depctr 0xfff
	v_mul_f32_e32 v2, 0x4f7ffffe, v2
	v_cvt_u32_f32_e32 v2, v2
	s_delay_alu instid0(VALU_DEP_1) | instskip(NEXT) | instid1(VALU_DEP_1)
	v_mul_lo_u32 v3, s8, v2
	v_mul_hi_u32 v3, v2, v3
	s_delay_alu instid0(VALU_DEP_1) | instskip(NEXT) | instid1(VALU_DEP_1)
	v_add_nc_u32_e32 v2, v2, v3
	v_mul_hi_u32 v2, s26, v2
	s_delay_alu instid0(VALU_DEP_1) | instskip(NEXT) | instid1(VALU_DEP_1)
	v_mul_lo_u32 v2, v2, s33
	v_sub_nc_u32_e32 v2, s26, v2
	s_delay_alu instid0(VALU_DEP_1) | instskip(SKIP_1) | instid1(VALU_DEP_2)
	v_subrev_nc_u32_e32 v3, s33, v2
	v_cmp_le_u32_e32 vcc_lo, s33, v2
	v_cndmask_b32_e32 v2, v2, v3, vcc_lo
	s_delay_alu instid0(VALU_DEP_1) | instskip(SKIP_1) | instid1(VALU_DEP_2)
	v_subrev_nc_u32_e32 v3, s33, v2
	v_cmp_le_u32_e32 vcc_lo, s33, v2
	v_cndmask_b32_e32 v12, v2, v3, vcc_lo
	s_delay_alu instid0(VALU_DEP_1)
	v_dual_mov_b32 v2, v12 :: v_dual_mov_b32 v3, v13
.LBB141_201:                            ;   in Loop: Header=BB141_31 Depth=1
	s_delay_alu instid0(VALU_DEP_1) | instskip(NEXT) | instid1(VALU_DEP_2)
	v_sub_co_u32 v2, vcc_lo, s26, v2
	v_sub_co_ci_u32_e32 v3, vcc_lo, s9, v3, vcc_lo
	s_mov_b32 s8, 0
	s_mov_b32 s9, exec_lo
                                        ; implicit-def: $vgpr29
	s_delay_alu instid0(VALU_DEP_1)
	v_cmpx_gt_u64_e64 v[2:3], v[0:1]
	s_cbranch_execz .LBB141_213
; %bb.202:                              ;   in Loop: Header=BB141_31 Depth=1
	v_dual_mov_b32 v8, v0 :: v_dual_mov_b32 v7, v1
	v_mov_b32_e32 v6, v0
	s_mov_b32 s26, 0
                                        ; implicit-def: $sgpr71
	s_set_inst_prefetch_distance 0x1
	s_branch .LBB141_204
	.p2align	6
.LBB141_203:                            ;   in Loop: Header=BB141_204 Depth=2
	s_or_b32 exec_lo, exec_lo, s8
	s_waitcnt lgkmcnt(0)
	s_barrier
	buffer_gl0_inv
	ds_load_u16 v9, v13 offset:3072
	v_add_co_u32 v6, vcc_lo, v6, s33
	v_add_co_ci_u32_e32 v7, vcc_lo, 0, v7, vcc_lo
	v_add_nc_u32_e32 v8, s33, v8
	s_waitcnt lgkmcnt(0)
	s_barrier
	s_delay_alu instid0(VALU_DEP_2) | instskip(SKIP_2) | instid1(VALU_DEP_1)
	v_cmp_ge_u64_e32 vcc_lo, v[6:7], v[2:3]
	buffer_gl0_inv
	v_and_b32_e32 v12, 0xff, v9
	v_cmp_ne_u16_e64 s8, 0, v12
	s_delay_alu instid0(VALU_DEP_1) | instskip(NEXT) | instid1(SALU_CYCLE_1)
	s_or_b32 s48, vcc_lo, s8
	s_and_b32 s48, exec_lo, s48
	s_delay_alu instid0(SALU_CYCLE_1) | instskip(SKIP_2) | instid1(SALU_CYCLE_1)
	s_or_b32 s26, s48, s26
	s_and_not1_b32 s48, s71, exec_lo
	s_and_b32 s8, s8, exec_lo
	s_or_b32 s71, s48, s8
	s_and_not1_b32 exec_lo, exec_lo, s26
	s_cbranch_execz .LBB141_212
.LBB141_204:                            ;   Parent Loop BB141_31 Depth=1
                                        ; =>  This Inner Loop Header: Depth=2
	s_delay_alu instid0(VALU_DEP_1)
	v_cmp_gt_u64_e32 vcc_lo, s[18:19], v[6:7]
	v_mov_b32_e32 v9, 0
	s_and_saveexec_b32 s8, vcc_lo
	s_cbranch_execz .LBB141_206
; %bb.205:                              ;   in Loop: Header=BB141_204 Depth=2
	ds_load_u8 v9, v8
.LBB141_206:                            ;   in Loop: Header=BB141_204 Depth=2
	s_or_b32 exec_lo, exec_lo, s8
	s_and_saveexec_b32 s8, vcc_lo
	s_cbranch_execz .LBB141_203
; %bb.207:                              ;   in Loop: Header=BB141_204 Depth=2
	s_waitcnt lgkmcnt(0)
	v_bfe_i32 v12, v9, 0, 8
	s_delay_alu instid0(VALU_DEP_1) | instskip(NEXT) | instid1(VALU_DEP_1)
	v_add_nc_u32_e32 v12, 0x80, v12
	v_and_b32_e32 v12, v12, v28
	s_delay_alu instid0(VALU_DEP_1)
	v_cmp_eq_u32_e32 vcc_lo, v12, v27
	s_and_b32 exec_lo, exec_lo, vcc_lo
	s_cbranch_execz .LBB141_203
; %bb.208:                              ;   in Loop: Header=BB141_204 Depth=2
	v_lshlrev_b16 v9, 8, v9
	s_delay_alu instid0(VALU_DEP_1)
	v_or_b32_e32 v9, 1, v9
	ds_store_b16 v13, v9 offset:3072
	s_branch .LBB141_203
.LBB141_209:                            ;   in Loop: Header=BB141_31 Depth=1
                                        ; implicit-def: $vgpr4_vgpr5
	s_branch .LBB141_154
.LBB141_210:                            ;   in Loop: Header=BB141_31 Depth=1
                                        ; implicit-def: $vgpr4_vgpr5
	s_branch .LBB141_170
.LBB141_211:                            ;   in Loop: Header=BB141_31 Depth=1
	s_mov_b32 s71, -1
	s_mov_b32 s8, 0
                                        ; implicit-def: $sgpr72
                                        ; implicit-def: $vgpr29
	s_mov_b32 s73, s71
	s_cbranch_execnz .LBB141_214
	s_branch .LBB141_227
.LBB141_212:                            ;   in Loop: Header=BB141_31 Depth=1
	s_set_inst_prefetch_distance 0x2
	s_or_b32 exec_lo, exec_lo, s26
	v_lshrrev_b16 v29, 8, v9
	s_and_b32 s8, s71, exec_lo
.LBB141_213:                            ;   in Loop: Header=BB141_31 Depth=1
	s_or_b32 exec_lo, exec_lo, s9
	s_mov_b32 s72, -1
	s_mov_b32 s71, 0
	s_delay_alu instid0(SALU_CYCLE_1)
	s_mov_b32 s73, s71
	s_branch .LBB141_227
.LBB141_214:                            ;   in Loop: Header=BB141_31 Depth=1
	s_mov_b32 s26, s55
	s_delay_alu instid0(SALU_CYCLE_1)
	s_cmp_lg_u64 s[26:27], 0
	s_cbranch_scc0 .LBB141_247
; %bb.215:                              ;   in Loop: Header=BB141_31 Depth=1
	v_cvt_f32_u32_e32 v2, s33
	s_sub_u32 s18, 0, s33
	s_subb_u32 s19, 0, 0
	s_delay_alu instid0(VALU_DEP_1) | instskip(NEXT) | instid1(VALU_DEP_1)
	v_fmac_f32_e64 v2, 0, 0x4f800000
	v_rcp_f32_e32 v2, v2
	s_waitcnt_depctr 0xfff
	v_mul_f32_e32 v2, 0x5f7ffffc, v2
	s_delay_alu instid0(VALU_DEP_1) | instskip(NEXT) | instid1(VALU_DEP_1)
	v_mul_f32_e32 v3, 0x2f800000, v2
	v_trunc_f32_e32 v3, v3
	s_delay_alu instid0(VALU_DEP_1) | instskip(SKIP_1) | instid1(VALU_DEP_2)
	v_fmac_f32_e32 v2, 0xcf800000, v3
	v_cvt_u32_f32_e32 v3, v3
	v_cvt_u32_f32_e32 v2, v2
	s_delay_alu instid0(VALU_DEP_2) | instskip(NEXT) | instid1(VALU_DEP_2)
	v_readfirstlane_b32 s8, v3
	v_readfirstlane_b32 s9, v2
	s_delay_alu instid0(VALU_DEP_2) | instskip(NEXT) | instid1(VALU_DEP_1)
	s_mul_i32 s26, s18, s8
	s_mul_hi_u32 s49, s18, s9
	s_mul_i32 s48, s19, s9
	s_add_i32 s26, s49, s26
	s_mul_i32 s50, s18, s9
	s_add_i32 s26, s26, s48
	s_mul_hi_u32 s49, s9, s50
	s_mul_hi_u32 s51, s8, s50
	s_mul_i32 s48, s8, s50
	s_mul_hi_u32 s50, s9, s26
	s_mul_i32 s9, s9, s26
	s_mul_hi_u32 s71, s8, s26
	s_add_u32 s9, s49, s9
	s_addc_u32 s49, 0, s50
	s_add_u32 s9, s9, s48
	s_mul_i32 s26, s8, s26
	s_addc_u32 s9, s49, s51
	s_addc_u32 s48, s71, 0
	s_add_u32 s9, s9, s26
	s_addc_u32 s26, 0, s48
	v_add_co_u32 v2, s9, v2, s9
	s_delay_alu instid0(VALU_DEP_1) | instskip(SKIP_1) | instid1(VALU_DEP_1)
	s_cmp_lg_u32 s9, 0
	s_addc_u32 s8, s8, s26
	v_readfirstlane_b32 s9, v2
	s_mul_i32 s26, s18, s8
	s_delay_alu instid0(VALU_DEP_1)
	s_mul_hi_u32 s48, s18, s9
	s_mul_i32 s19, s19, s9
	s_add_i32 s26, s48, s26
	s_mul_i32 s18, s18, s9
	s_add_i32 s26, s26, s19
	s_mul_hi_u32 s48, s8, s18
	s_mul_i32 s49, s8, s18
	s_mul_hi_u32 s18, s9, s18
	s_mul_hi_u32 s50, s9, s26
	s_mul_i32 s9, s9, s26
	s_mul_hi_u32 s19, s8, s26
	s_add_u32 s9, s18, s9
	s_addc_u32 s18, 0, s50
	s_add_u32 s9, s9, s49
	s_mul_i32 s26, s8, s26
	s_addc_u32 s9, s18, s48
	s_addc_u32 s18, s19, 0
	s_add_u32 s9, s9, s26
	s_addc_u32 s18, 0, s18
	v_add_co_u32 v2, s9, v2, s9
	s_delay_alu instid0(VALU_DEP_1) | instskip(SKIP_1) | instid1(VALU_DEP_1)
	s_cmp_lg_u32 s9, 0
	s_addc_u32 s8, s8, s18
	v_readfirstlane_b32 s9, v2
	s_mul_i32 s19, s83, s8
	s_mul_hi_u32 s18, s83, s8
	s_mul_hi_u32 s26, s27, s8
	s_mul_i32 s8, s27, s8
	s_mul_hi_u32 s48, s83, s9
	s_mul_hi_u32 s49, s27, s9
	s_mul_i32 s9, s27, s9
	s_add_u32 s19, s48, s19
	s_addc_u32 s18, 0, s18
	s_add_u32 s9, s19, s9
	s_addc_u32 s9, s18, s49
	s_addc_u32 s18, s26, 0
	s_add_u32 s8, s9, s8
	s_addc_u32 s9, 0, s18
	s_mul_hi_u32 s18, s33, s8
	s_mul_i32 s8, s33, s8
	s_mul_i32 s9, s33, s9
	v_sub_co_u32 v2, s8, s83, s8
	s_add_i32 s18, s18, s9
	s_cmp_lg_u32 s8, 0
	s_delay_alu instid0(VALU_DEP_1) | instskip(SKIP_2) | instid1(VALU_DEP_1)
	v_sub_co_u32 v3, s8, v2, s33
	s_subb_u32 s9, s27, s18
	s_cmp_lg_u32 s8, 0
	v_cmp_le_u32_e32 vcc_lo, s33, v3
	v_sub_co_u32 v6, s8, v3, s33
	s_subb_u32 s18, s9, 0
	s_cmp_lg_u32 s8, 0
	v_cndmask_b32_e64 v7, 0, -1, vcc_lo
	s_subb_u32 s8, s18, 0
	s_cmp_eq_u32 s18, 0
	v_mov_b32_e32 v9, s8
	s_cselect_b32 vcc_lo, -1, 0
	s_cmp_eq_u32 s9, 0
	v_cndmask_b32_e32 v7, -1, v7, vcc_lo
	v_cmp_le_u32_e32 vcc_lo, s33, v2
	s_cselect_b32 s8, -1, 0
	v_cndmask_b32_e64 v8, 0, -1, vcc_lo
	s_delay_alu instid0(VALU_DEP_3) | instskip(NEXT) | instid1(VALU_DEP_2)
	v_cmp_ne_u32_e32 vcc_lo, 0, v7
	v_cndmask_b32_e64 v7, -1, v8, s8
	v_cndmask_b32_e32 v8, s18, v9, vcc_lo
	v_cndmask_b32_e32 v6, v3, v6, vcc_lo
	s_delay_alu instid0(VALU_DEP_3) | instskip(NEXT) | instid1(VALU_DEP_3)
	v_cmp_ne_u32_e32 vcc_lo, 0, v7
	v_cndmask_b32_e32 v3, s9, v8, vcc_lo
	s_delay_alu instid0(VALU_DEP_3)
	v_cndmask_b32_e32 v2, v2, v6, vcc_lo
	s_cbranch_execnz .LBB141_217
.LBB141_216:                            ;   in Loop: Header=BB141_31 Depth=1
	v_cvt_f32_u32_e32 v2, s33
	s_sub_i32 s8, 0, s33
	s_delay_alu instid0(VALU_DEP_1) | instskip(SKIP_2) | instid1(VALU_DEP_1)
	v_rcp_iflag_f32_e32 v2, v2
	s_waitcnt_depctr 0xfff
	v_mul_f32_e32 v2, 0x4f7ffffe, v2
	v_cvt_u32_f32_e32 v2, v2
	s_delay_alu instid0(VALU_DEP_1) | instskip(NEXT) | instid1(VALU_DEP_1)
	v_mul_lo_u32 v3, s8, v2
	v_mul_hi_u32 v3, v2, v3
	s_delay_alu instid0(VALU_DEP_1) | instskip(NEXT) | instid1(VALU_DEP_1)
	v_add_nc_u32_e32 v2, v2, v3
	v_mul_hi_u32 v2, s83, v2
	s_delay_alu instid0(VALU_DEP_1) | instskip(NEXT) | instid1(VALU_DEP_1)
	v_mul_lo_u32 v2, v2, s33
	v_sub_nc_u32_e32 v2, s83, v2
	s_delay_alu instid0(VALU_DEP_1) | instskip(SKIP_1) | instid1(VALU_DEP_2)
	v_subrev_nc_u32_e32 v3, s33, v2
	v_cmp_le_u32_e32 vcc_lo, s33, v2
	v_cndmask_b32_e32 v2, v2, v3, vcc_lo
	s_delay_alu instid0(VALU_DEP_1) | instskip(SKIP_1) | instid1(VALU_DEP_2)
	v_subrev_nc_u32_e32 v3, s33, v2
	v_cmp_le_u32_e32 vcc_lo, s33, v2
	v_cndmask_b32_e32 v12, v2, v3, vcc_lo
	s_delay_alu instid0(VALU_DEP_1)
	v_dual_mov_b32 v2, v12 :: v_dual_mov_b32 v3, v13
.LBB141_217:                            ;   in Loop: Header=BB141_31 Depth=1
	s_delay_alu instid0(VALU_DEP_1) | instskip(NEXT) | instid1(VALU_DEP_2)
	v_sub_co_u32 v2, vcc_lo, s83, v2
	v_sub_co_ci_u32_e32 v3, vcc_lo, s27, v3, vcc_lo
	s_mov_b32 s8, 0
	s_mov_b32 s9, exec_lo
                                        ; implicit-def: $vgpr29
	s_delay_alu instid0(VALU_DEP_1)
	v_cmpx_gt_u64_e64 v[2:3], v[0:1]
	s_cbranch_execz .LBB141_226
; %bb.218:                              ;   in Loop: Header=BB141_31 Depth=1
	v_dual_mov_b32 v6, v23 :: v_dual_mov_b32 v7, v24
	v_dual_mov_b32 v9, v1 :: v_dual_mov_b32 v8, v0
	s_mov_b32 s18, 0
                                        ; implicit-def: $sgpr19
	s_set_inst_prefetch_distance 0x1
	s_branch .LBB141_220
	.p2align	6
.LBB141_219:                            ;   in Loop: Header=BB141_220 Depth=2
	s_or_b32 exec_lo, exec_lo, s8
	s_waitcnt vmcnt(0) lgkmcnt(0)
	s_barrier
	buffer_gl0_inv
	ds_load_u16 v12, v13 offset:3072
	v_add_co_u32 v8, vcc_lo, v8, s33
	v_add_co_ci_u32_e32 v9, vcc_lo, 0, v9, vcc_lo
	s_waitcnt lgkmcnt(0)
	s_barrier
	buffer_gl0_inv
	v_cmp_ge_u64_e32 vcc_lo, v[8:9], v[2:3]
	v_and_b32_e32 v29, 0xff, v12
	s_delay_alu instid0(VALU_DEP_1) | instskip(NEXT) | instid1(VALU_DEP_1)
	v_cmp_ne_u16_e64 s8, 0, v29
	s_or_b32 s26, vcc_lo, s8
	v_add_co_u32 v6, vcc_lo, v6, s75
	s_and_b32 s26, exec_lo, s26
	v_add_co_ci_u32_e32 v7, vcc_lo, s74, v7, vcc_lo
	s_or_b32 s18, s26, s18
	s_and_not1_b32 s19, s19, exec_lo
	s_and_b32 s8, s8, exec_lo
	s_delay_alu instid0(SALU_CYCLE_1)
	s_or_b32 s19, s19, s8
	s_and_not1_b32 exec_lo, exec_lo, s18
	s_cbranch_execz .LBB141_225
.LBB141_220:                            ;   Parent Loop BB141_31 Depth=1
                                        ; =>  This Inner Loop Header: Depth=2
	s_delay_alu instid0(VALU_DEP_1)
	v_cmp_gt_u64_e32 vcc_lo, s[36:37], v[8:9]
	v_mov_b32_e32 v12, 0
	s_and_saveexec_b32 s8, vcc_lo
	s_cbranch_execz .LBB141_222
; %bb.221:                              ;   in Loop: Header=BB141_220 Depth=2
	global_load_u8 v12, v[6:7], off
.LBB141_222:                            ;   in Loop: Header=BB141_220 Depth=2
	s_or_b32 exec_lo, exec_lo, s8
	s_and_saveexec_b32 s8, vcc_lo
	s_cbranch_execz .LBB141_219
; %bb.223:                              ;   in Loop: Header=BB141_220 Depth=2
	s_waitcnt vmcnt(0)
	v_bfe_i32 v29, v12, 0, 8
	s_delay_alu instid0(VALU_DEP_1) | instskip(NEXT) | instid1(VALU_DEP_1)
	v_add_nc_u32_e32 v29, 0x80, v29
	v_and_b32_e32 v29, v29, v28
	s_delay_alu instid0(VALU_DEP_1)
	v_cmp_eq_u32_e32 vcc_lo, v29, v27
	s_and_b32 exec_lo, exec_lo, vcc_lo
	s_cbranch_execz .LBB141_219
; %bb.224:                              ;   in Loop: Header=BB141_220 Depth=2
	v_lshlrev_b16 v12, 8, v12
	s_delay_alu instid0(VALU_DEP_1)
	v_or_b32_e32 v12, 1, v12
	ds_store_b16 v13, v12 offset:3072
	s_branch .LBB141_219
.LBB141_225:                            ;   in Loop: Header=BB141_31 Depth=1
	s_set_inst_prefetch_distance 0x2
	s_or_b32 exec_lo, exec_lo, s18
	v_lshrrev_b16 v29, 8, v12
	s_and_b32 s8, s19, exec_lo
.LBB141_226:                            ;   in Loop: Header=BB141_31 Depth=1
	s_or_b32 exec_lo, exec_lo, s9
	s_mov_b32 s73, -1
	s_mov_b32 s71, 0
	s_mov_b32 s72, 0
.LBB141_227:                            ;   in Loop: Header=BB141_31 Depth=1
	s_or_not1_b32 s8, s8, exec_lo
.LBB141_228:                            ;   in Loop: Header=BB141_31 Depth=1
	s_or_b32 exec_lo, exec_lo, s102
	s_mov_b32 s26, 0
                                        ; implicit-def: $vgpr6
	s_and_saveexec_b32 s102, s8
	s_cbranch_execz .LBB141_293
; %bb.229:                              ;   in Loop: Header=BB141_31 Depth=1
	v_mov_b32_e32 v2, 1
	v_dual_mov_b32 v3, 0 :: v_dual_mov_b32 v6, 1
	s_xor_b32 s9, s103, -1
	s_delay_alu instid0(SALU_CYCLE_1)
	s_and_saveexec_b32 s8, s9
	s_cbranch_execz .LBB141_239
; %bb.230:                              ;   in Loop: Header=BB141_31 Depth=1
	s_mov_b32 s18, exec_lo
                                        ; implicit-def: $sgpr19
                                        ; implicit-def: $sgpr9
	v_cmpx_ge_u64_e64 s[14:15], v[4:5]
	s_xor_b32 s18, exec_lo, s18
	s_cbranch_execz .LBB141_236
; %bb.231:                              ;   in Loop: Header=BB141_31 Depth=1
	ds_load_b64 v[2:3], v13 offset:5120
	s_waitcnt lgkmcnt(0)
	v_cmp_ne_u64_e32 vcc_lo, 0, v[2:3]
	s_cbranch_vccnz .LBB141_235
; %bb.232:                              ;   in Loop: Header=BB141_31 Depth=1
	s_and_saveexec_b32 s9, s5
	s_cbranch_execz .LBB141_234
; %bb.233:                              ;   in Loop: Header=BB141_31 Depth=1
	v_dual_mov_b32 v2, s14 :: v_dual_mov_b32 v3, s15
	ds_store_b64 v13, v[2:3] offset:5128
.LBB141_234:                            ;   in Loop: Header=BB141_31 Depth=1
	s_or_b32 exec_lo, exec_lo, s9
	s_waitcnt lgkmcnt(0)
	s_barrier
	buffer_gl0_inv
.LBB141_235:                            ;   in Loop: Header=BB141_31 Depth=1
	s_lshl_b32 s9, 2, s22
	v_or_b32_e32 v28, s20, v28
	v_and_or_b32 v27, v27, s21, s9
	s_mov_b32 s9, 0
	s_mov_b32 s19, 8
.LBB141_236:                            ;   in Loop: Header=BB141_31 Depth=1
	s_or_saveexec_b32 s18, s18
	v_mov_b32_e32 v6, s19
	s_xor_b32 exec_lo, exec_lo, s18
; %bb.237:                              ;   in Loop: Header=BB141_31 Depth=1
	v_sub_co_u32 v4, vcc_lo, v4, s14
	v_subrev_co_ci_u32_e32 v5, vcc_lo, s15, v5, vcc_lo
	v_mov_b32_e32 v6, 0
	s_or_b32 s9, s9, exec_lo
; %bb.238:                              ;   in Loop: Header=BB141_31 Depth=1
	s_or_b32 exec_lo, exec_lo, s18
	s_delay_alu instid0(VALU_DEP_2)
	v_dual_mov_b32 v2, v4 :: v_dual_mov_b32 v3, v5
	s_and_b32 s26, s9, exec_lo
.LBB141_239:                            ;   in Loop: Header=BB141_31 Depth=1
	s_or_b32 exec_lo, exec_lo, s8
	s_mov_b32 s19, -1
                                        ; implicit-def: $sgpr8
                                        ; implicit-def: $sgpr18
                                        ; implicit-def: $sgpr9
	s_and_saveexec_b32 s103, s26
	s_cbranch_execz .LBB141_292
; %bb.240:                              ;   in Loop: Header=BB141_31 Depth=1
	v_cmp_eq_u64_e32 vcc_lo, 1, v[2:3]
	s_cmp_eq_u64 s[16:17], 1
	s_mov_b32 s26, -1
	s_cselect_b32 s8, -1, 0
                                        ; implicit-def: $sgpr18
                                        ; implicit-def: $sgpr9
	s_delay_alu instid0(SALU_CYCLE_1) | instskip(NEXT) | instid1(SALU_CYCLE_1)
	s_and_b32 s104, s8, vcc_lo
                                        ; implicit-def: $sgpr8
	s_and_saveexec_b32 vcc_hi, s104
	s_cbranch_execz .LBB141_279
; %bb.241:                              ;   in Loop: Header=BB141_31 Depth=1
	ds_load_b64 v[4:5], v13 offset:5120
	s_waitcnt lgkmcnt(0)
	s_barrier
	buffer_gl0_inv
	v_readfirstlane_b32 s18, v4
	v_readfirstlane_b32 s19, v5
	s_and_saveexec_b32 s8, s6
	s_cbranch_execz .LBB141_243
; %bb.242:                              ;   in Loop: Header=BB141_31 Depth=1
	ds_store_b8 v0, v13 offset:3072
.LBB141_243:                            ;   in Loop: Header=BB141_31 Depth=1
	s_or_b32 exec_lo, exec_lo, s8
	v_or_b32_e32 v27, s20, v27
	v_or_b32_e32 v28, s20, v28
	s_cmp_eq_u64 s[18:19], 0
	s_waitcnt lgkmcnt(0)
	s_barrier
	buffer_gl0_inv
	s_cbranch_scc1 .LBB141_248
; %bb.244:                              ;   in Loop: Header=BB141_31 Depth=1
	s_add_u32 s26, s81, s18
	s_addc_u32 s9, s82, s19
	s_mov_b32 s8, s55
	s_delay_alu instid0(SALU_CYCLE_1)
	s_cmp_lg_u64 s[8:9], 0
	s_cbranch_scc0 .LBB141_249
; %bb.245:                              ;   in Loop: Header=BB141_31 Depth=1
	v_cvt_f32_u32_e32 v4, s33
	s_sub_u32 s49, 0, s33
	s_subb_u32 s50, 0, 0
	s_delay_alu instid0(VALU_DEP_1) | instskip(NEXT) | instid1(VALU_DEP_1)
	v_fmac_f32_e64 v4, 0, 0x4f800000
	v_rcp_f32_e32 v4, v4
	s_waitcnt_depctr 0xfff
	v_mul_f32_e32 v4, 0x5f7ffffc, v4
	s_delay_alu instid0(VALU_DEP_1) | instskip(NEXT) | instid1(VALU_DEP_1)
	v_mul_f32_e32 v5, 0x2f800000, v4
	v_trunc_f32_e32 v5, v5
	s_delay_alu instid0(VALU_DEP_1) | instskip(SKIP_1) | instid1(VALU_DEP_2)
	v_fmac_f32_e32 v4, 0xcf800000, v5
	v_cvt_u32_f32_e32 v5, v5
	v_cvt_u32_f32_e32 v4, v4
	s_delay_alu instid0(VALU_DEP_2) | instskip(NEXT) | instid1(VALU_DEP_2)
	v_readfirstlane_b32 s8, v5
	v_readfirstlane_b32 s48, v4
	s_delay_alu instid0(VALU_DEP_2) | instskip(NEXT) | instid1(VALU_DEP_1)
	s_mul_i32 s51, s49, s8
	s_mul_hi_u32 s42, s49, s48
	s_mul_i32 vcc_lo, s50, s48
	s_add_i32 s42, s42, s51
	s_mul_i32 s43, s49, s48
	s_add_i32 s42, s42, vcc_lo
	s_mul_hi_u32 s51, s48, s43
	s_mul_hi_u32 s53, s48, s42
	s_mul_i32 s48, s48, s42
	s_mul_hi_u32 s52, s8, s43
	s_mul_i32 s43, s8, s43
	s_add_u32 s48, s51, s48
	s_addc_u32 s51, 0, s53
	s_mul_hi_u32 vcc_lo, s8, s42
	s_add_u32 s43, s48, s43
	s_mul_i32 s42, s8, s42
	s_addc_u32 s43, s51, s52
	s_addc_u32 s48, vcc_lo, 0
	s_add_u32 s42, s43, s42
	s_addc_u32 s43, 0, s48
	v_add_co_u32 v4, s42, v4, s42
	s_delay_alu instid0(VALU_DEP_1) | instskip(SKIP_1) | instid1(VALU_DEP_1)
	s_cmp_lg_u32 s42, 0
	s_addc_u32 s8, s8, s43
	v_readfirstlane_b32 s42, v4
	s_mul_i32 s43, s49, s8
	s_delay_alu instid0(VALU_DEP_1)
	s_mul_hi_u32 s48, s49, s42
	s_mul_i32 s50, s50, s42
	s_add_i32 s43, s48, s43
	s_mul_i32 s49, s49, s42
	s_add_i32 s43, s43, s50
	s_mul_hi_u32 s48, s8, s49
	s_mul_i32 s51, s8, s49
	s_mul_hi_u32 s49, s42, s49
	s_mul_hi_u32 s52, s42, s43
	s_mul_i32 s42, s42, s43
	s_mul_hi_u32 s50, s8, s43
	s_add_u32 s42, s49, s42
	s_addc_u32 s49, 0, s52
	s_add_u32 s42, s42, s51
	s_mul_i32 s43, s8, s43
	s_addc_u32 s42, s49, s48
	s_addc_u32 s48, s50, 0
	s_add_u32 s42, s42, s43
	s_addc_u32 s43, 0, s48
	v_add_co_u32 v4, s42, v4, s42
	s_delay_alu instid0(VALU_DEP_1) | instskip(SKIP_1) | instid1(VALU_DEP_1)
	s_cmp_lg_u32 s42, 0
	s_addc_u32 s8, s8, s43
	v_readfirstlane_b32 s42, v4
	s_mul_i32 s48, s26, s8
	s_mul_hi_u32 s43, s26, s8
	s_mul_hi_u32 s49, s9, s8
	s_mul_i32 s8, s9, s8
	s_mul_hi_u32 s50, s26, s42
	s_mul_hi_u32 s51, s9, s42
	s_mul_i32 s42, s9, s42
	s_add_u32 s48, s50, s48
	s_addc_u32 s43, 0, s43
	s_add_u32 s42, s48, s42
	s_addc_u32 s42, s43, s51
	s_addc_u32 s43, s49, 0
	s_add_u32 s8, s42, s8
	s_addc_u32 s42, 0, s43
	s_mul_hi_u32 s43, s33, s8
	s_mul_i32 s8, s33, s8
	s_mul_i32 s42, s33, s42
	v_sub_co_u32 v4, s8, s26, s8
	s_add_i32 s43, s43, s42
	s_cmp_lg_u32 s8, 0
	s_delay_alu instid0(VALU_DEP_1) | instskip(SKIP_3) | instid1(VALU_DEP_2)
	v_sub_co_u32 v5, s8, v4, s33
	s_subb_u32 s42, s9, s43
	s_cmp_lg_u32 s8, 0
	v_cmp_le_u32_e32 vcc_lo, s33, v4
	v_cmp_le_u32_e64 s8, s33, v5
	v_sub_co_u32 v6, s43, v5, s33
	s_subb_u32 s48, s42, 0
	s_cmp_lg_u32 s43, 0
	s_delay_alu instid0(VALU_DEP_2)
	v_cndmask_b32_e64 v7, 0, -1, s8
	s_subb_u32 s43, s48, 0
	s_cmp_eq_u32 s48, 0
	v_mov_b32_e32 v9, s43
	v_cndmask_b32_e64 v8, 0, -1, vcc_lo
	s_cselect_b32 vcc_lo, -1, 0
	s_cmp_eq_u32 s42, 0
	v_cndmask_b32_e32 v7, -1, v7, vcc_lo
	s_cselect_b32 vcc_lo, -1, 0
	v_cndmask_b32_e32 v8, -1, v8, vcc_lo
	s_delay_alu instid0(VALU_DEP_2) | instskip(NEXT) | instid1(VALU_DEP_2)
	v_cmp_ne_u32_e32 vcc_lo, 0, v7
	v_cmp_ne_u32_e64 s8, 0, v8
	v_cndmask_b32_e32 v7, s48, v9, vcc_lo
	v_cndmask_b32_e32 v6, v5, v6, vcc_lo
	s_delay_alu instid0(VALU_DEP_2) | instskip(NEXT) | instid1(VALU_DEP_2)
	v_cndmask_b32_e64 v5, s42, v7, s8
	v_cndmask_b32_e64 v4, v4, v6, s8
	s_mov_b32 s8, 0
	s_branch .LBB141_250
.LBB141_246:                            ;   in Loop: Header=BB141_31 Depth=1
                                        ; implicit-def: $vgpr2_vgpr3
	s_branch .LBB141_200
.LBB141_247:                            ;   in Loop: Header=BB141_31 Depth=1
                                        ; implicit-def: $vgpr2_vgpr3
	s_branch .LBB141_216
.LBB141_248:                            ;   in Loop: Header=BB141_31 Depth=1
	s_mov_b32 s8, -1
	s_mov_b32 s26, 0
                                        ; implicit-def: $sgpr9
                                        ; implicit-def: $vgpr29
	s_branch .LBB141_262
.LBB141_249:                            ;   in Loop: Header=BB141_31 Depth=1
	s_mov_b32 s8, -1
                                        ; implicit-def: $vgpr4_vgpr5
.LBB141_250:                            ;   in Loop: Header=BB141_31 Depth=1
	s_delay_alu instid0(SALU_CYCLE_1)
	s_and_not1_b32 vcc_lo, exec_lo, s8
	s_cbranch_vccnz .LBB141_252
; %bb.251:                              ;   in Loop: Header=BB141_31 Depth=1
	v_cvt_f32_u32_e32 v4, s33
	s_sub_i32 s8, 0, s33
	s_delay_alu instid0(VALU_DEP_1) | instskip(SKIP_2) | instid1(VALU_DEP_1)
	v_rcp_iflag_f32_e32 v4, v4
	s_waitcnt_depctr 0xfff
	v_mul_f32_e32 v4, 0x4f7ffffe, v4
	v_cvt_u32_f32_e32 v4, v4
	s_delay_alu instid0(VALU_DEP_1) | instskip(NEXT) | instid1(VALU_DEP_1)
	v_mul_lo_u32 v5, s8, v4
	v_mul_hi_u32 v5, v4, v5
	s_delay_alu instid0(VALU_DEP_1) | instskip(NEXT) | instid1(VALU_DEP_1)
	v_add_nc_u32_e32 v4, v4, v5
	v_mul_hi_u32 v4, s26, v4
	s_delay_alu instid0(VALU_DEP_1) | instskip(NEXT) | instid1(VALU_DEP_1)
	v_mul_lo_u32 v4, v4, s33
	v_sub_nc_u32_e32 v4, s26, v4
	s_delay_alu instid0(VALU_DEP_1) | instskip(SKIP_1) | instid1(VALU_DEP_2)
	v_subrev_nc_u32_e32 v5, s33, v4
	v_cmp_le_u32_e32 vcc_lo, s33, v4
	v_cndmask_b32_e32 v4, v4, v5, vcc_lo
	s_delay_alu instid0(VALU_DEP_1) | instskip(SKIP_1) | instid1(VALU_DEP_2)
	v_subrev_nc_u32_e32 v5, s33, v4
	v_cmp_le_u32_e32 vcc_lo, s33, v4
	v_cndmask_b32_e32 v12, v4, v5, vcc_lo
	s_delay_alu instid0(VALU_DEP_1)
	v_dual_mov_b32 v4, v12 :: v_dual_mov_b32 v5, v13
.LBB141_252:                            ;   in Loop: Header=BB141_31 Depth=1
	s_delay_alu instid0(VALU_DEP_1) | instskip(NEXT) | instid1(VALU_DEP_2)
	v_sub_co_u32 v4, vcc_lo, s26, v4
	v_sub_co_ci_u32_e32 v5, vcc_lo, s9, v5, vcc_lo
	s_mov_b32 s26, 0
	s_mov_b32 s9, exec_lo
                                        ; implicit-def: $vgpr29
	s_delay_alu instid0(VALU_DEP_1)
	v_cmpx_gt_u64_e64 v[4:5], v[0:1]
	s_cbranch_execz .LBB141_261
; %bb.253:                              ;   in Loop: Header=BB141_31 Depth=1
	v_dual_mov_b32 v8, v0 :: v_dual_mov_b32 v7, v1
	v_mov_b32_e32 v6, v0
                                        ; implicit-def: $sgpr48
	s_set_inst_prefetch_distance 0x1
	s_branch .LBB141_255
	.p2align	6
.LBB141_254:                            ;   in Loop: Header=BB141_255 Depth=2
	s_or_b32 exec_lo, exec_lo, s8
	s_waitcnt lgkmcnt(0)
	s_barrier
	buffer_gl0_inv
	ds_load_u16 v9, v13 offset:3072
	v_add_co_u32 v6, vcc_lo, v6, s33
	v_add_co_ci_u32_e32 v7, vcc_lo, 0, v7, vcc_lo
	v_add_nc_u32_e32 v8, s33, v8
	s_waitcnt lgkmcnt(0)
	s_barrier
	s_delay_alu instid0(VALU_DEP_2) | instskip(SKIP_2) | instid1(VALU_DEP_1)
	v_cmp_ge_u64_e32 vcc_lo, v[6:7], v[4:5]
	buffer_gl0_inv
	v_and_b32_e32 v12, 0xff, v9
	v_cmp_ne_u16_e64 s8, 0, v12
	s_delay_alu instid0(VALU_DEP_1) | instskip(NEXT) | instid1(SALU_CYCLE_1)
	s_or_b32 s42, vcc_lo, s8
	s_and_b32 s42, exec_lo, s42
	s_delay_alu instid0(SALU_CYCLE_1) | instskip(SKIP_2) | instid1(SALU_CYCLE_1)
	s_or_b32 s26, s42, s26
	s_and_not1_b32 s42, s48, exec_lo
	s_and_b32 s8, s8, exec_lo
	s_or_b32 s48, s42, s8
	s_and_not1_b32 exec_lo, exec_lo, s26
	s_cbranch_execz .LBB141_260
.LBB141_255:                            ;   Parent Loop BB141_31 Depth=1
                                        ; =>  This Inner Loop Header: Depth=2
	s_delay_alu instid0(VALU_DEP_1)
	v_cmp_gt_u64_e32 vcc_lo, s[18:19], v[6:7]
	v_mov_b32_e32 v9, 0
	s_and_saveexec_b32 s8, vcc_lo
	s_cbranch_execz .LBB141_257
; %bb.256:                              ;   in Loop: Header=BB141_255 Depth=2
	ds_load_u8 v9, v8
.LBB141_257:                            ;   in Loop: Header=BB141_255 Depth=2
	s_or_b32 exec_lo, exec_lo, s8
	s_and_saveexec_b32 s8, vcc_lo
	s_cbranch_execz .LBB141_254
; %bb.258:                              ;   in Loop: Header=BB141_255 Depth=2
	s_waitcnt lgkmcnt(0)
	v_bfe_i32 v12, v9, 0, 8
	s_delay_alu instid0(VALU_DEP_1) | instskip(NEXT) | instid1(VALU_DEP_1)
	v_add_nc_u32_e32 v12, 0x80, v12
	v_and_b32_e32 v12, v12, v28
	s_delay_alu instid0(VALU_DEP_1)
	v_cmp_eq_u32_e32 vcc_lo, v12, v27
	s_and_b32 exec_lo, exec_lo, vcc_lo
	s_cbranch_execz .LBB141_254
; %bb.259:                              ;   in Loop: Header=BB141_255 Depth=2
	v_lshlrev_b16 v9, 8, v9
	s_delay_alu instid0(VALU_DEP_1)
	v_or_b32_e32 v9, 1, v9
	ds_store_b16 v13, v9 offset:3072
	s_branch .LBB141_254
.LBB141_260:                            ;   in Loop: Header=BB141_31 Depth=1
	s_set_inst_prefetch_distance 0x2
	s_or_b32 exec_lo, exec_lo, s26
	v_lshrrev_b16 v29, 8, v9
	s_and_b32 s26, s48, exec_lo
.LBB141_261:                            ;   in Loop: Header=BB141_31 Depth=1
	s_or_b32 exec_lo, exec_lo, s9
	s_mov_b32 s9, -1
	s_mov_b32 s8, 0
.LBB141_262:                            ;   in Loop: Header=BB141_31 Depth=1
	s_delay_alu instid0(SALU_CYCLE_1)
	s_and_b32 vcc_lo, exec_lo, s8
	s_mov_b32 s18, s8
	s_cbranch_vccz .LBB141_278
; %bb.263:                              ;   in Loop: Header=BB141_31 Depth=1
	s_mov_b32 s26, s55
	s_delay_alu instid0(SALU_CYCLE_1)
	s_cmp_lg_u64 s[26:27], 0
	s_cbranch_scc0 .LBB141_265
; %bb.264:                              ;   in Loop: Header=BB141_31 Depth=1
	v_cvt_f32_u32_e32 v4, s33
	s_sub_u32 s18, 0, s33
	s_subb_u32 s19, 0, 0
	s_delay_alu instid0(VALU_DEP_1) | instskip(NEXT) | instid1(VALU_DEP_1)
	v_fmac_f32_e64 v4, 0, 0x4f800000
	v_rcp_f32_e32 v4, v4
	s_waitcnt_depctr 0xfff
	v_mul_f32_e32 v4, 0x5f7ffffc, v4
	s_delay_alu instid0(VALU_DEP_1) | instskip(NEXT) | instid1(VALU_DEP_1)
	v_mul_f32_e32 v5, 0x2f800000, v4
	v_trunc_f32_e32 v5, v5
	s_delay_alu instid0(VALU_DEP_1) | instskip(SKIP_1) | instid1(VALU_DEP_2)
	v_fmac_f32_e32 v4, 0xcf800000, v5
	v_cvt_u32_f32_e32 v5, v5
	v_cvt_u32_f32_e32 v4, v4
	s_delay_alu instid0(VALU_DEP_2) | instskip(NEXT) | instid1(VALU_DEP_2)
	v_readfirstlane_b32 s8, v5
	v_readfirstlane_b32 s9, v4
	s_delay_alu instid0(VALU_DEP_2) | instskip(NEXT) | instid1(VALU_DEP_1)
	s_mul_i32 s26, s18, s8
	s_mul_hi_u32 s43, s18, s9
	s_mul_i32 s42, s19, s9
	s_add_i32 s26, s43, s26
	s_mul_i32 s48, s18, s9
	s_add_i32 s26, s26, s42
	s_mul_hi_u32 s43, s9, s48
	s_mul_hi_u32 s49, s8, s48
	s_mul_i32 s42, s8, s48
	s_mul_hi_u32 s48, s9, s26
	s_mul_i32 s9, s9, s26
	s_mul_hi_u32 s50, s8, s26
	s_add_u32 s9, s43, s9
	s_addc_u32 s43, 0, s48
	s_add_u32 s9, s9, s42
	s_mul_i32 s26, s8, s26
	s_addc_u32 s9, s43, s49
	s_addc_u32 s42, s50, 0
	s_add_u32 s9, s9, s26
	s_addc_u32 s26, 0, s42
	v_add_co_u32 v4, s9, v4, s9
	s_delay_alu instid0(VALU_DEP_1) | instskip(SKIP_1) | instid1(VALU_DEP_1)
	s_cmp_lg_u32 s9, 0
	s_addc_u32 s8, s8, s26
	v_readfirstlane_b32 s9, v4
	s_mul_i32 s26, s18, s8
	s_delay_alu instid0(VALU_DEP_1)
	s_mul_hi_u32 s42, s18, s9
	s_mul_i32 s19, s19, s9
	s_add_i32 s26, s42, s26
	s_mul_i32 s18, s18, s9
	s_add_i32 s26, s26, s19
	s_mul_hi_u32 s42, s8, s18
	s_mul_i32 s43, s8, s18
	s_mul_hi_u32 s18, s9, s18
	s_mul_hi_u32 s48, s9, s26
	s_mul_i32 s9, s9, s26
	s_mul_hi_u32 s19, s8, s26
	s_add_u32 s9, s18, s9
	s_addc_u32 s18, 0, s48
	s_add_u32 s9, s9, s43
	s_mul_i32 s26, s8, s26
	s_addc_u32 s9, s18, s42
	s_addc_u32 s18, s19, 0
	s_add_u32 s9, s9, s26
	s_addc_u32 s18, 0, s18
	v_add_co_u32 v4, s9, v4, s9
	s_delay_alu instid0(VALU_DEP_1) | instskip(SKIP_1) | instid1(VALU_DEP_1)
	s_cmp_lg_u32 s9, 0
	s_addc_u32 s8, s8, s18
	v_readfirstlane_b32 s9, v4
	s_mul_i32 s19, s83, s8
	s_mul_hi_u32 s18, s83, s8
	s_mul_hi_u32 s26, s27, s8
	s_mul_i32 s8, s27, s8
	s_mul_hi_u32 s42, s83, s9
	s_mul_hi_u32 s43, s27, s9
	s_mul_i32 s9, s27, s9
	s_add_u32 s19, s42, s19
	s_addc_u32 s18, 0, s18
	s_add_u32 s9, s19, s9
	s_addc_u32 s9, s18, s43
	s_addc_u32 s18, s26, 0
	s_add_u32 s8, s9, s8
	s_addc_u32 s9, 0, s18
	s_mul_hi_u32 s18, s33, s8
	s_mul_i32 s8, s33, s8
	s_mul_i32 s9, s33, s9
	v_sub_co_u32 v4, s8, s83, s8
	s_add_i32 s18, s18, s9
	s_cmp_lg_u32 s8, 0
	s_delay_alu instid0(VALU_DEP_1) | instskip(SKIP_3) | instid1(VALU_DEP_2)
	v_sub_co_u32 v5, s8, v4, s33
	s_subb_u32 s9, s27, s18
	s_cmp_lg_u32 s8, 0
	v_cmp_le_u32_e32 vcc_lo, s33, v4
	v_cmp_le_u32_e64 s8, s33, v5
	v_sub_co_u32 v6, s18, v5, s33
	s_subb_u32 s19, s9, 0
	s_cmp_lg_u32 s18, 0
	s_delay_alu instid0(VALU_DEP_2)
	v_cndmask_b32_e64 v7, 0, -1, s8
	s_subb_u32 s18, s19, 0
	s_cmp_eq_u32 s19, 0
	v_mov_b32_e32 v9, s18
	v_cndmask_b32_e64 v8, 0, -1, vcc_lo
	s_cselect_b32 vcc_lo, -1, 0
	s_cmp_eq_u32 s9, 0
	v_cndmask_b32_e32 v7, -1, v7, vcc_lo
	s_cselect_b32 vcc_lo, -1, 0
	v_cndmask_b32_e32 v8, -1, v8, vcc_lo
	s_delay_alu instid0(VALU_DEP_2) | instskip(NEXT) | instid1(VALU_DEP_2)
	v_cmp_ne_u32_e32 vcc_lo, 0, v7
	v_cmp_ne_u32_e64 s8, 0, v8
	v_cndmask_b32_e32 v7, s19, v9, vcc_lo
	v_cndmask_b32_e32 v6, v5, v6, vcc_lo
	s_delay_alu instid0(VALU_DEP_2) | instskip(NEXT) | instid1(VALU_DEP_2)
	v_cndmask_b32_e64 v5, s9, v7, s8
	v_cndmask_b32_e64 v4, v4, v6, s8
	s_mov_b32 s8, 0
	s_branch .LBB141_266
.LBB141_265:                            ;   in Loop: Header=BB141_31 Depth=1
	s_mov_b32 s8, -1
                                        ; implicit-def: $vgpr4_vgpr5
.LBB141_266:                            ;   in Loop: Header=BB141_31 Depth=1
	s_delay_alu instid0(SALU_CYCLE_1)
	s_and_not1_b32 vcc_lo, exec_lo, s8
	s_cbranch_vccnz .LBB141_268
; %bb.267:                              ;   in Loop: Header=BB141_31 Depth=1
	v_cvt_f32_u32_e32 v4, s33
	s_sub_i32 s8, 0, s33
	s_delay_alu instid0(VALU_DEP_1) | instskip(SKIP_2) | instid1(VALU_DEP_1)
	v_rcp_iflag_f32_e32 v4, v4
	s_waitcnt_depctr 0xfff
	v_mul_f32_e32 v4, 0x4f7ffffe, v4
	v_cvt_u32_f32_e32 v4, v4
	s_delay_alu instid0(VALU_DEP_1) | instskip(NEXT) | instid1(VALU_DEP_1)
	v_mul_lo_u32 v5, s8, v4
	v_mul_hi_u32 v5, v4, v5
	s_delay_alu instid0(VALU_DEP_1) | instskip(NEXT) | instid1(VALU_DEP_1)
	v_add_nc_u32_e32 v4, v4, v5
	v_mul_hi_u32 v4, s83, v4
	s_delay_alu instid0(VALU_DEP_1) | instskip(NEXT) | instid1(VALU_DEP_1)
	v_mul_lo_u32 v4, v4, s33
	v_sub_nc_u32_e32 v4, s83, v4
	s_delay_alu instid0(VALU_DEP_1) | instskip(SKIP_1) | instid1(VALU_DEP_2)
	v_subrev_nc_u32_e32 v5, s33, v4
	v_cmp_le_u32_e32 vcc_lo, s33, v4
	v_cndmask_b32_e32 v4, v4, v5, vcc_lo
	s_delay_alu instid0(VALU_DEP_1) | instskip(SKIP_1) | instid1(VALU_DEP_2)
	v_subrev_nc_u32_e32 v5, s33, v4
	v_cmp_le_u32_e32 vcc_lo, s33, v4
	v_cndmask_b32_e32 v12, v4, v5, vcc_lo
	s_delay_alu instid0(VALU_DEP_1)
	v_dual_mov_b32 v4, v12 :: v_dual_mov_b32 v5, v13
.LBB141_268:                            ;   in Loop: Header=BB141_31 Depth=1
	s_delay_alu instid0(VALU_DEP_1) | instskip(NEXT) | instid1(VALU_DEP_2)
	v_sub_co_u32 v4, vcc_lo, s83, v4
	v_sub_co_ci_u32_e32 v5, vcc_lo, s27, v5, vcc_lo
	s_mov_b32 s26, 0
	s_mov_b32 s9, exec_lo
                                        ; implicit-def: $vgpr29
	s_delay_alu instid0(VALU_DEP_1)
	v_cmpx_gt_u64_e64 v[4:5], v[0:1]
	s_cbranch_execz .LBB141_277
; %bb.269:                              ;   in Loop: Header=BB141_31 Depth=1
	v_dual_mov_b32 v6, v23 :: v_dual_mov_b32 v7, v24
	v_dual_mov_b32 v9, v1 :: v_dual_mov_b32 v8, v0
	s_mov_b32 s18, 0
                                        ; implicit-def: $sgpr19
	s_set_inst_prefetch_distance 0x1
	s_branch .LBB141_271
	.p2align	6
.LBB141_270:                            ;   in Loop: Header=BB141_271 Depth=2
	s_or_b32 exec_lo, exec_lo, s8
	s_waitcnt vmcnt(0) lgkmcnt(0)
	s_barrier
	buffer_gl0_inv
	ds_load_u16 v12, v13 offset:3072
	v_add_co_u32 v8, vcc_lo, v8, s33
	v_add_co_ci_u32_e32 v9, vcc_lo, 0, v9, vcc_lo
	s_waitcnt lgkmcnt(0)
	s_barrier
	buffer_gl0_inv
	v_cmp_ge_u64_e32 vcc_lo, v[8:9], v[4:5]
	v_and_b32_e32 v29, 0xff, v12
	s_delay_alu instid0(VALU_DEP_1) | instskip(NEXT) | instid1(VALU_DEP_1)
	v_cmp_ne_u16_e64 s8, 0, v29
	s_or_b32 s26, vcc_lo, s8
	v_add_co_u32 v6, vcc_lo, v6, s75
	s_and_b32 s26, exec_lo, s26
	v_add_co_ci_u32_e32 v7, vcc_lo, s74, v7, vcc_lo
	s_or_b32 s18, s26, s18
	s_and_not1_b32 s19, s19, exec_lo
	s_and_b32 s8, s8, exec_lo
	s_delay_alu instid0(SALU_CYCLE_1)
	s_or_b32 s19, s19, s8
	s_and_not1_b32 exec_lo, exec_lo, s18
	s_cbranch_execz .LBB141_276
.LBB141_271:                            ;   Parent Loop BB141_31 Depth=1
                                        ; =>  This Inner Loop Header: Depth=2
	s_delay_alu instid0(VALU_DEP_1)
	v_cmp_gt_u64_e32 vcc_lo, s[36:37], v[8:9]
	v_mov_b32_e32 v12, 0
	s_and_saveexec_b32 s8, vcc_lo
	s_cbranch_execz .LBB141_273
; %bb.272:                              ;   in Loop: Header=BB141_271 Depth=2
	global_load_u8 v12, v[6:7], off
.LBB141_273:                            ;   in Loop: Header=BB141_271 Depth=2
	s_or_b32 exec_lo, exec_lo, s8
	s_and_saveexec_b32 s8, vcc_lo
	s_cbranch_execz .LBB141_270
; %bb.274:                              ;   in Loop: Header=BB141_271 Depth=2
	s_waitcnt vmcnt(0)
	v_bfe_i32 v29, v12, 0, 8
	s_delay_alu instid0(VALU_DEP_1) | instskip(NEXT) | instid1(VALU_DEP_1)
	v_add_nc_u32_e32 v29, 0x80, v29
	v_and_b32_e32 v29, v29, v28
	s_delay_alu instid0(VALU_DEP_1)
	v_cmp_eq_u32_e32 vcc_lo, v29, v27
	s_and_b32 exec_lo, exec_lo, vcc_lo
	s_cbranch_execz .LBB141_270
; %bb.275:                              ;   in Loop: Header=BB141_271 Depth=2
	v_lshlrev_b16 v12, 8, v12
	s_delay_alu instid0(VALU_DEP_1)
	v_or_b32_e32 v12, 1, v12
	ds_store_b16 v13, v12 offset:3072
	s_branch .LBB141_270
.LBB141_276:                            ;   in Loop: Header=BB141_31 Depth=1
	s_set_inst_prefetch_distance 0x2
	s_or_b32 exec_lo, exec_lo, s18
	v_lshrrev_b16 v29, 8, v12
	s_and_b32 s26, s19, exec_lo
.LBB141_277:                            ;   in Loop: Header=BB141_31 Depth=1
	s_or_b32 exec_lo, exec_lo, s9
	s_mov_b32 s18, -1
	s_mov_b32 s8, 0
	s_mov_b32 s9, 0
.LBB141_278:                            ;   in Loop: Header=BB141_31 Depth=1
	s_or_not1_b32 s26, s26, exec_lo
.LBB141_279:                            ;   in Loop: Header=BB141_31 Depth=1
	s_or_b32 exec_lo, exec_lo, vcc_hi
	s_mov_b32 s48, 0
                                        ; implicit-def: $vgpr6
                                        ; implicit-def: $vgpr4_vgpr5
	s_and_saveexec_b32 s19, s26
	s_cbranch_execz .LBB141_291
; %bb.280:                              ;   in Loop: Header=BB141_31 Depth=1
	v_mov_b32_e32 v4, 1
	v_dual_mov_b32 v5, 0 :: v_dual_mov_b32 v6, 1
	s_xor_b32 s42, s104, -1
	s_delay_alu instid0(SALU_CYCLE_1)
	s_and_saveexec_b32 s26, s42
	s_cbranch_execz .LBB141_290
; %bb.281:                              ;   in Loop: Header=BB141_31 Depth=1
                                        ; implicit-def: $sgpr49
	s_mov_b32 s42, exec_lo
	v_cmpx_ge_u64_e64 s[16:17], v[2:3]
	s_xor_b32 s48, exec_lo, s42
	s_cbranch_execz .LBB141_287
; %bb.282:                              ;   in Loop: Header=BB141_31 Depth=1
	ds_load_b64 v[4:5], v13 offset:5120
	s_waitcnt lgkmcnt(0)
	v_cmp_ne_u64_e32 vcc_lo, 0, v[4:5]
	s_cbranch_vccnz .LBB141_286
; %bb.283:                              ;   in Loop: Header=BB141_31 Depth=1
	s_and_saveexec_b32 s49, s5
	s_cbranch_execz .LBB141_285
; %bb.284:                              ;   in Loop: Header=BB141_31 Depth=1
	v_dual_mov_b32 v4, s16 :: v_dual_mov_b32 v5, s17
	ds_store_b64 v13, v[4:5] offset:5128
.LBB141_285:                            ;   in Loop: Header=BB141_31 Depth=1
	s_or_b32 exec_lo, exec_lo, s49
	s_waitcnt lgkmcnt(0)
	s_barrier
	buffer_gl0_inv
.LBB141_286:                            ;   in Loop: Header=BB141_31 Depth=1
	v_or_b32_e32 v27, s20, v27
	v_or_b32_e32 v28, s20, v28
	s_mov_b32 s49, 8
.LBB141_287:                            ;   in Loop: Header=BB141_31 Depth=1
	s_or_saveexec_b32 s48, s48
	v_mov_b32_e32 v6, s49
	s_xor_b32 exec_lo, exec_lo, s48
; %bb.288:                              ;   in Loop: Header=BB141_31 Depth=1
	v_sub_co_u32 v2, vcc_lo, v2, s16
	v_subrev_co_ci_u32_e32 v3, vcc_lo, s17, v3, vcc_lo
	v_mov_b32_e32 v6, 8
; %bb.289:                              ;   in Loop: Header=BB141_31 Depth=1
	s_or_b32 exec_lo, exec_lo, s48
	s_delay_alu instid0(VALU_DEP_2)
	v_dual_mov_b32 v5, v3 :: v_dual_mov_b32 v4, v2
.LBB141_290:                            ;   in Loop: Header=BB141_31 Depth=1
	s_or_b32 exec_lo, exec_lo, s26
	s_delay_alu instid0(SALU_CYCLE_1)
	s_mov_b32 s48, exec_lo
.LBB141_291:                            ;   in Loop: Header=BB141_31 Depth=1
	s_or_b32 exec_lo, exec_lo, s19
	s_delay_alu instid0(VALU_DEP_1)
	v_dual_mov_b32 v2, v4 :: v_dual_mov_b32 v3, v5
	s_or_not1_b32 s19, s48, exec_lo
.LBB141_292:                            ;   in Loop: Header=BB141_31 Depth=1
	s_or_b32 exec_lo, exec_lo, s103
	s_delay_alu instid0(SALU_CYCLE_1)
	s_and_not1_b32 s26, s71, exec_lo
	s_and_b32 s8, s8, exec_lo
	v_dual_mov_b32 v5, v3 :: v_dual_mov_b32 v4, v2
	s_or_b32 s71, s26, s8
	s_and_not1_b32 s8, s73, exec_lo
	s_and_b32 s18, s18, exec_lo
	s_and_not1_b32 s26, s72, exec_lo
	s_and_b32 s9, s9, exec_lo
	s_or_b32 s73, s8, s18
	s_or_b32 s72, s26, s9
	s_and_b32 s26, s19, exec_lo
.LBB141_293:                            ;   in Loop: Header=BB141_31 Depth=1
	s_or_b32 exec_lo, exec_lo, s102
	s_delay_alu instid0(SALU_CYCLE_1)
	s_and_b32 s19, s71, exec_lo
	s_and_b32 s18, s73, exec_lo
	;; [unrolled: 1-line block ×3, first 2 shown]
	s_or_not1_b32 s8, s26, exec_lo
.LBB141_294:                            ;   in Loop: Header=BB141_31 Depth=1
	s_or_b32 exec_lo, exec_lo, s70
	s_delay_alu instid0(SALU_CYCLE_1)
	s_and_not1_b32 s25, s25, exec_lo
	s_and_b32 s19, s19, exec_lo
	v_dual_mov_b32 v2, v4 :: v_dual_mov_b32 v3, v5
	s_or_b32 s25, s25, s19
	s_and_not1_b32 s19, s68, exec_lo
	s_and_b32 s18, s18, exec_lo
	s_and_not1_b32 s26, s67, exec_lo
	s_and_b32 s9, s9, exec_lo
	s_or_b32 s68, s19, s18
	s_or_b32 s67, s26, s9
	s_and_b32 s26, s8, exec_lo
.LBB141_295:                            ;   in Loop: Header=BB141_31 Depth=1
	s_or_b32 exec_lo, exec_lo, s69
	s_delay_alu instid0(SALU_CYCLE_1)
	s_and_b32 s19, s25, exec_lo
	s_and_b32 s18, s68, exec_lo
	;; [unrolled: 1-line block ×3, first 2 shown]
	s_or_not1_b32 s25, s26, exec_lo
.LBB141_296:                            ;   in Loop: Header=BB141_31 Depth=1
	s_or_b32 exec_lo, exec_lo, s24
	s_mov_b32 s8, 0
	s_mov_b32 s24, 0
	s_and_saveexec_b32 s26, s25
	s_delay_alu instid0(SALU_CYCLE_1)
	s_xor_b32 s25, exec_lo, s26
; %bb.297:                              ;   in Loop: Header=BB141_31 Depth=1
	v_cmp_ne_u32_e32 vcc_lo, 8, v6
	v_cmp_eq_u32_e64 s8, 8, v6
	s_and_not1_b32 s19, s19, exec_lo
	s_and_not1_b32 s18, s18, exec_lo
	;; [unrolled: 1-line block ×3, first 2 shown]
	s_and_b32 s24, vcc_lo, exec_lo
	s_and_b32 s8, s8, exec_lo
; %bb.298:                              ;   in Loop: Header=BB141_31 Depth=1
	s_or_b32 exec_lo, exec_lo, s25
	s_delay_alu instid0(SALU_CYCLE_1)
	s_and_not1_b32 s23, s23, exec_lo
	s_and_b32 s19, s19, exec_lo
	s_and_b32 s18, s18, exec_lo
	s_or_b32 s23, s23, s19
	s_and_not1_b32 s19, s64, exec_lo
	s_and_not1_b32 s25, s54, exec_lo
	s_and_b32 s9, s9, exec_lo
	s_or_b32 s64, s19, s18
	s_or_b32 s54, s25, s9
	s_and_b32 s24, s24, exec_lo
	s_and_b32 s25, s8, exec_lo
.LBB141_299:                            ;   in Loop: Header=BB141_31 Depth=1
	s_or_b32 exec_lo, exec_lo, s66
	s_delay_alu instid0(SALU_CYCLE_1)
	s_and_b32 vcc_lo, exec_lo, s65
	s_cbranch_vccz .LBB141_118
.LBB141_300:                            ;   in Loop: Header=BB141_31 Depth=1
	s_cmp_eq_u64 s[16:17], 1
                                        ; implicit-def: $sgpr18
                                        ; implicit-def: $sgpr19
                                        ; implicit-def: $sgpr23
	s_cselect_b32 s8, -1, 0
	s_delay_alu instid0(SALU_CYCLE_1)
	s_and_b32 s64, s8, s7
	s_mov_b32 s7, -1
	s_and_saveexec_b32 s54, s64
	s_cbranch_execz .LBB141_332
; %bb.301:                              ;   in Loop: Header=BB141_31 Depth=1
	ds_load_b64 v[2:3], v13 offset:5120
	s_waitcnt lgkmcnt(0)
	s_barrier
	buffer_gl0_inv
	v_readfirstlane_b32 s8, v2
	v_readfirstlane_b32 s9, v3
	s_and_saveexec_b32 s7, s6
	s_cbranch_execz .LBB141_303
; %bb.302:                              ;   in Loop: Header=BB141_31 Depth=1
	ds_store_b8 v0, v13 offset:3072
.LBB141_303:                            ;   in Loop: Header=BB141_31 Depth=1
	s_or_b32 exec_lo, exec_lo, s7
	v_or_b32_e32 v39, s20, v39
	v_or_b32_e32 v38, s20, v38
	s_cmp_eq_u64 s[8:9], 0
	s_waitcnt lgkmcnt(0)
	s_barrier
	buffer_gl0_inv
	s_cbranch_scc1 .LBB141_315
; %bb.304:                              ;   in Loop: Header=BB141_31 Depth=1
	s_add_u32 s23, s81, s8
	s_addc_u32 s19, s82, s9
	s_mov_b32 s18, s55
	s_delay_alu instid0(SALU_CYCLE_1)
	s_cmp_lg_u64 s[18:19], 0
	s_cbranch_scc0 .LBB141_359
; %bb.305:                              ;   in Loop: Header=BB141_31 Depth=1
	v_cvt_f32_u32_e32 v2, s33
	s_sub_u32 s26, 0, s33
	s_subb_u32 s48, 0, 0
	s_delay_alu instid0(VALU_DEP_1) | instskip(NEXT) | instid1(VALU_DEP_1)
	v_fmac_f32_e64 v2, 0, 0x4f800000
	v_rcp_f32_e32 v2, v2
	s_waitcnt_depctr 0xfff
	v_mul_f32_e32 v2, 0x5f7ffffc, v2
	s_delay_alu instid0(VALU_DEP_1) | instskip(NEXT) | instid1(VALU_DEP_1)
	v_mul_f32_e32 v3, 0x2f800000, v2
	v_trunc_f32_e32 v3, v3
	s_delay_alu instid0(VALU_DEP_1) | instskip(SKIP_1) | instid1(VALU_DEP_2)
	v_fmac_f32_e32 v2, 0xcf800000, v3
	v_cvt_u32_f32_e32 v3, v3
	v_cvt_u32_f32_e32 v2, v2
	s_delay_alu instid0(VALU_DEP_2) | instskip(NEXT) | instid1(VALU_DEP_2)
	v_readfirstlane_b32 s7, v3
	v_readfirstlane_b32 s18, v2
	s_delay_alu instid0(VALU_DEP_2) | instskip(NEXT) | instid1(VALU_DEP_1)
	s_mul_i32 s49, s26, s7
	s_mul_hi_u32 s66, s26, s18
	s_mul_i32 s65, s48, s18
	s_add_i32 s49, s66, s49
	s_mul_i32 s67, s26, s18
	s_add_i32 s49, s49, s65
	s_mul_hi_u32 s66, s18, s67
	s_mul_hi_u32 s68, s7, s67
	s_mul_i32 s65, s7, s67
	s_mul_hi_u32 s67, s18, s49
	s_mul_i32 s18, s18, s49
	s_mul_hi_u32 s69, s7, s49
	s_add_u32 s18, s66, s18
	s_addc_u32 s66, 0, s67
	s_add_u32 s18, s18, s65
	s_mul_i32 s49, s7, s49
	s_addc_u32 s18, s66, s68
	s_addc_u32 s65, s69, 0
	s_add_u32 s18, s18, s49
	s_addc_u32 s49, 0, s65
	v_add_co_u32 v2, s18, v2, s18
	s_delay_alu instid0(VALU_DEP_1) | instskip(SKIP_1) | instid1(VALU_DEP_1)
	s_cmp_lg_u32 s18, 0
	s_addc_u32 s7, s7, s49
	v_readfirstlane_b32 s18, v2
	s_mul_i32 s49, s26, s7
	s_delay_alu instid0(VALU_DEP_1)
	s_mul_hi_u32 s65, s26, s18
	s_mul_i32 s48, s48, s18
	s_add_i32 s49, s65, s49
	s_mul_i32 s26, s26, s18
	s_add_i32 s49, s49, s48
	s_mul_hi_u32 s65, s7, s26
	s_mul_i32 s66, s7, s26
	s_mul_hi_u32 s26, s18, s26
	s_mul_hi_u32 s67, s18, s49
	s_mul_i32 s18, s18, s49
	s_mul_hi_u32 s48, s7, s49
	s_add_u32 s18, s26, s18
	s_addc_u32 s26, 0, s67
	s_add_u32 s18, s18, s66
	s_mul_i32 s49, s7, s49
	s_addc_u32 s18, s26, s65
	s_addc_u32 s26, s48, 0
	s_add_u32 s18, s18, s49
	s_addc_u32 s26, 0, s26
	v_add_co_u32 v2, s18, v2, s18
	s_delay_alu instid0(VALU_DEP_1) | instskip(SKIP_1) | instid1(VALU_DEP_1)
	s_cmp_lg_u32 s18, 0
	s_addc_u32 s7, s7, s26
	v_readfirstlane_b32 s18, v2
	s_mul_i32 s48, s23, s7
	s_mul_hi_u32 s26, s23, s7
	s_mul_hi_u32 s49, s19, s7
	s_mul_i32 s7, s19, s7
	s_mul_hi_u32 s65, s23, s18
	s_mul_hi_u32 s66, s19, s18
	s_mul_i32 s18, s19, s18
	s_add_u32 s48, s65, s48
	s_addc_u32 s26, 0, s26
	s_add_u32 s18, s48, s18
	s_addc_u32 s18, s26, s66
	s_addc_u32 s26, s49, 0
	s_add_u32 s7, s18, s7
	s_addc_u32 s18, 0, s26
	s_mul_hi_u32 s26, s33, s7
	s_mul_i32 s7, s33, s7
	s_mul_i32 s18, s33, s18
	v_sub_co_u32 v2, s7, s23, s7
	s_add_i32 s26, s26, s18
	s_cmp_lg_u32 s7, 0
	s_delay_alu instid0(VALU_DEP_1) | instskip(SKIP_2) | instid1(VALU_DEP_1)
	v_sub_co_u32 v3, s7, v2, s33
	s_subb_u32 s18, s19, s26
	s_cmp_lg_u32 s7, 0
	v_cmp_le_u32_e32 vcc_lo, s33, v3
	v_sub_co_u32 v4, s7, v3, s33
	s_subb_u32 s26, s18, 0
	s_cmp_lg_u32 s7, 0
	v_cndmask_b32_e64 v5, 0, -1, vcc_lo
	s_subb_u32 s7, s26, 0
	s_cmp_eq_u32 s26, 0
	v_mov_b32_e32 v7, s7
	s_cselect_b32 vcc_lo, -1, 0
	s_cmp_eq_u32 s18, 0
	v_cndmask_b32_e32 v5, -1, v5, vcc_lo
	v_cmp_le_u32_e32 vcc_lo, s33, v2
	s_cselect_b32 s7, -1, 0
	v_cndmask_b32_e64 v6, 0, -1, vcc_lo
	s_delay_alu instid0(VALU_DEP_3) | instskip(NEXT) | instid1(VALU_DEP_2)
	v_cmp_ne_u32_e32 vcc_lo, 0, v5
	v_cndmask_b32_e64 v5, -1, v6, s7
	v_cndmask_b32_e32 v6, s26, v7, vcc_lo
	v_cndmask_b32_e32 v4, v3, v4, vcc_lo
	s_delay_alu instid0(VALU_DEP_3) | instskip(NEXT) | instid1(VALU_DEP_3)
	v_cmp_ne_u32_e32 vcc_lo, 0, v5
	v_cndmask_b32_e32 v3, s18, v6, vcc_lo
	s_delay_alu instid0(VALU_DEP_3)
	v_cndmask_b32_e32 v2, v2, v4, vcc_lo
	s_cbranch_execnz .LBB141_307
.LBB141_306:                            ;   in Loop: Header=BB141_31 Depth=1
	v_cvt_f32_u32_e32 v2, s33
	s_sub_i32 s7, 0, s33
	s_delay_alu instid0(VALU_DEP_1) | instskip(SKIP_2) | instid1(VALU_DEP_1)
	v_rcp_iflag_f32_e32 v2, v2
	s_waitcnt_depctr 0xfff
	v_mul_f32_e32 v2, 0x4f7ffffe, v2
	v_cvt_u32_f32_e32 v2, v2
	s_delay_alu instid0(VALU_DEP_1) | instskip(NEXT) | instid1(VALU_DEP_1)
	v_mul_lo_u32 v3, s7, v2
	v_mul_hi_u32 v3, v2, v3
	s_delay_alu instid0(VALU_DEP_1) | instskip(NEXT) | instid1(VALU_DEP_1)
	v_add_nc_u32_e32 v2, v2, v3
	v_mul_hi_u32 v2, s23, v2
	s_delay_alu instid0(VALU_DEP_1) | instskip(NEXT) | instid1(VALU_DEP_1)
	v_mul_lo_u32 v2, v2, s33
	v_sub_nc_u32_e32 v2, s23, v2
	s_delay_alu instid0(VALU_DEP_1) | instskip(SKIP_1) | instid1(VALU_DEP_2)
	v_subrev_nc_u32_e32 v3, s33, v2
	v_cmp_le_u32_e32 vcc_lo, s33, v2
	v_cndmask_b32_e32 v2, v2, v3, vcc_lo
	s_delay_alu instid0(VALU_DEP_1) | instskip(SKIP_1) | instid1(VALU_DEP_2)
	v_subrev_nc_u32_e32 v3, s33, v2
	v_cmp_le_u32_e32 vcc_lo, s33, v2
	v_cndmask_b32_e32 v12, v2, v3, vcc_lo
	s_delay_alu instid0(VALU_DEP_1)
	v_dual_mov_b32 v2, v12 :: v_dual_mov_b32 v3, v13
.LBB141_307:                            ;   in Loop: Header=BB141_31 Depth=1
	s_delay_alu instid0(VALU_DEP_1) | instskip(NEXT) | instid1(VALU_DEP_2)
	v_sub_co_u32 v2, vcc_lo, s23, v2
	v_sub_co_ci_u32_e32 v3, vcc_lo, s19, v3, vcc_lo
	s_mov_b32 s7, 0
	s_mov_b32 s18, exec_lo
                                        ; implicit-def: $vgpr40
	s_delay_alu instid0(VALU_DEP_1)
	v_cmpx_gt_u64_e64 v[2:3], v[0:1]
	s_cbranch_execz .LBB141_317
; %bb.308:                              ;   in Loop: Header=BB141_31 Depth=1
	v_dual_mov_b32 v6, v0 :: v_dual_mov_b32 v5, v1
	v_mov_b32_e32 v4, v0
	s_mov_b32 s19, 0
                                        ; implicit-def: $sgpr23
	s_set_inst_prefetch_distance 0x1
	s_branch .LBB141_310
	.p2align	6
.LBB141_309:                            ;   in Loop: Header=BB141_310 Depth=2
	s_or_b32 exec_lo, exec_lo, s7
	s_waitcnt lgkmcnt(0)
	s_barrier
	buffer_gl0_inv
	ds_load_u16 v7, v13 offset:3072
	v_add_co_u32 v4, vcc_lo, v4, s33
	v_add_co_ci_u32_e32 v5, vcc_lo, 0, v5, vcc_lo
	v_add_nc_u32_e32 v6, s33, v6
	s_waitcnt lgkmcnt(0)
	s_barrier
	s_delay_alu instid0(VALU_DEP_2) | instskip(SKIP_2) | instid1(VALU_DEP_1)
	v_cmp_ge_u64_e32 vcc_lo, v[4:5], v[2:3]
	buffer_gl0_inv
	v_and_b32_e32 v8, 0xff, v7
	v_cmp_ne_u16_e64 s7, 0, v8
	s_delay_alu instid0(VALU_DEP_1) | instskip(NEXT) | instid1(SALU_CYCLE_1)
	s_or_b32 s26, vcc_lo, s7
	s_and_b32 s26, exec_lo, s26
	s_delay_alu instid0(SALU_CYCLE_1) | instskip(SKIP_2) | instid1(SALU_CYCLE_1)
	s_or_b32 s19, s26, s19
	s_and_not1_b32 s23, s23, exec_lo
	s_and_b32 s7, s7, exec_lo
	s_or_b32 s23, s23, s7
	s_and_not1_b32 exec_lo, exec_lo, s19
	s_cbranch_execz .LBB141_316
.LBB141_310:                            ;   Parent Loop BB141_31 Depth=1
                                        ; =>  This Inner Loop Header: Depth=2
	s_delay_alu instid0(VALU_DEP_1)
	v_cmp_gt_u64_e32 vcc_lo, s[8:9], v[4:5]
	v_mov_b32_e32 v7, 0
	s_and_saveexec_b32 s7, vcc_lo
	s_cbranch_execz .LBB141_312
; %bb.311:                              ;   in Loop: Header=BB141_310 Depth=2
	ds_load_u8 v7, v6
.LBB141_312:                            ;   in Loop: Header=BB141_310 Depth=2
	s_or_b32 exec_lo, exec_lo, s7
	s_and_saveexec_b32 s7, vcc_lo
	s_cbranch_execz .LBB141_309
; %bb.313:                              ;   in Loop: Header=BB141_310 Depth=2
	s_waitcnt lgkmcnt(0)
	v_bfe_i32 v8, v7, 0, 8
	s_delay_alu instid0(VALU_DEP_1) | instskip(NEXT) | instid1(VALU_DEP_1)
	v_add_nc_u32_e32 v8, 0x80, v8
	v_and_b32_e32 v8, v8, v38
	s_delay_alu instid0(VALU_DEP_1)
	v_cmp_eq_u32_e32 vcc_lo, v8, v39
	s_and_b32 exec_lo, exec_lo, vcc_lo
	s_cbranch_execz .LBB141_309
; %bb.314:                              ;   in Loop: Header=BB141_310 Depth=2
	v_lshlrev_b16 v7, 8, v7
	s_delay_alu instid0(VALU_DEP_1)
	v_or_b32_e32 v7, 1, v7
	ds_store_b16 v13, v7 offset:3072
	s_branch .LBB141_309
.LBB141_315:                            ;   in Loop: Header=BB141_31 Depth=1
	s_mov_b32 s18, -1
	s_mov_b32 s7, 0
                                        ; implicit-def: $sgpr19
                                        ; implicit-def: $vgpr40
	s_mov_b32 s23, s18
	s_cbranch_execnz .LBB141_318
	s_branch .LBB141_331
.LBB141_316:                            ;   in Loop: Header=BB141_31 Depth=1
	s_set_inst_prefetch_distance 0x2
	s_or_b32 exec_lo, exec_lo, s19
	v_lshrrev_b16 v40, 8, v7
	s_and_b32 s7, s23, exec_lo
.LBB141_317:                            ;   in Loop: Header=BB141_31 Depth=1
	s_or_b32 exec_lo, exec_lo, s18
	s_mov_b32 s18, 0
	s_mov_b32 s19, -1
	s_mov_b32 s23, s18
	s_branch .LBB141_331
.LBB141_318:                            ;   in Loop: Header=BB141_31 Depth=1
	s_mov_b32 s26, s55
	s_delay_alu instid0(SALU_CYCLE_1)
	s_cmp_lg_u64 s[26:27], 0
	s_cbranch_scc0 .LBB141_360
; %bb.319:                              ;   in Loop: Header=BB141_31 Depth=1
	v_cvt_f32_u32_e32 v2, s33
	s_sub_u32 s9, 0, s33
	s_subb_u32 s18, 0, 0
	s_delay_alu instid0(VALU_DEP_1) | instskip(NEXT) | instid1(VALU_DEP_1)
	v_fmac_f32_e64 v2, 0, 0x4f800000
	v_rcp_f32_e32 v2, v2
	s_waitcnt_depctr 0xfff
	v_mul_f32_e32 v2, 0x5f7ffffc, v2
	s_delay_alu instid0(VALU_DEP_1) | instskip(NEXT) | instid1(VALU_DEP_1)
	v_mul_f32_e32 v3, 0x2f800000, v2
	v_trunc_f32_e32 v3, v3
	s_delay_alu instid0(VALU_DEP_1) | instskip(SKIP_1) | instid1(VALU_DEP_2)
	v_fmac_f32_e32 v2, 0xcf800000, v3
	v_cvt_u32_f32_e32 v3, v3
	v_cvt_u32_f32_e32 v2, v2
	s_delay_alu instid0(VALU_DEP_2) | instskip(NEXT) | instid1(VALU_DEP_2)
	v_readfirstlane_b32 s7, v3
	v_readfirstlane_b32 s8, v2
	s_delay_alu instid0(VALU_DEP_2) | instskip(NEXT) | instid1(VALU_DEP_1)
	s_mul_i32 s19, s9, s7
	s_mul_hi_u32 s26, s9, s8
	s_mul_i32 s23, s18, s8
	s_add_i32 s19, s26, s19
	s_mul_i32 s48, s9, s8
	s_add_i32 s19, s19, s23
	s_mul_hi_u32 s26, s8, s48
	s_mul_hi_u32 s49, s7, s48
	s_mul_i32 s23, s7, s48
	s_mul_hi_u32 s48, s8, s19
	s_mul_i32 s8, s8, s19
	s_mul_hi_u32 s65, s7, s19
	s_add_u32 s8, s26, s8
	s_addc_u32 s26, 0, s48
	s_add_u32 s8, s8, s23
	s_mul_i32 s19, s7, s19
	s_addc_u32 s8, s26, s49
	s_addc_u32 s23, s65, 0
	s_add_u32 s8, s8, s19
	s_addc_u32 s19, 0, s23
	v_add_co_u32 v2, s8, v2, s8
	s_delay_alu instid0(VALU_DEP_1) | instskip(SKIP_1) | instid1(VALU_DEP_1)
	s_cmp_lg_u32 s8, 0
	s_addc_u32 s7, s7, s19
	v_readfirstlane_b32 s8, v2
	s_mul_i32 s19, s9, s7
	s_delay_alu instid0(VALU_DEP_1)
	s_mul_hi_u32 s23, s9, s8
	s_mul_i32 s18, s18, s8
	s_add_i32 s19, s23, s19
	s_mul_i32 s9, s9, s8
	s_add_i32 s19, s19, s18
	s_mul_hi_u32 s23, s7, s9
	s_mul_i32 s26, s7, s9
	s_mul_hi_u32 s9, s8, s9
	s_mul_hi_u32 s48, s8, s19
	s_mul_i32 s8, s8, s19
	s_mul_hi_u32 s18, s7, s19
	s_add_u32 s8, s9, s8
	s_addc_u32 s9, 0, s48
	s_add_u32 s8, s8, s26
	s_mul_i32 s19, s7, s19
	s_addc_u32 s8, s9, s23
	s_addc_u32 s9, s18, 0
	s_add_u32 s8, s8, s19
	s_addc_u32 s9, 0, s9
	v_add_co_u32 v2, s8, v2, s8
	s_delay_alu instid0(VALU_DEP_1) | instskip(SKIP_1) | instid1(VALU_DEP_1)
	s_cmp_lg_u32 s8, 0
	s_addc_u32 s7, s7, s9
	v_readfirstlane_b32 s8, v2
	s_mul_i32 s18, s83, s7
	s_mul_hi_u32 s9, s83, s7
	s_mul_hi_u32 s19, s27, s7
	s_mul_i32 s7, s27, s7
	s_mul_hi_u32 s23, s83, s8
	s_mul_hi_u32 s26, s27, s8
	s_mul_i32 s8, s27, s8
	s_add_u32 s18, s23, s18
	s_addc_u32 s9, 0, s9
	s_add_u32 s8, s18, s8
	s_addc_u32 s8, s9, s26
	s_addc_u32 s9, s19, 0
	s_add_u32 s7, s8, s7
	s_addc_u32 s8, 0, s9
	s_mul_hi_u32 s9, s33, s7
	s_mul_i32 s7, s33, s7
	s_mul_i32 s8, s33, s8
	v_sub_co_u32 v2, s7, s83, s7
	s_add_i32 s9, s9, s8
	s_cmp_lg_u32 s7, 0
	s_delay_alu instid0(VALU_DEP_1) | instskip(SKIP_2) | instid1(VALU_DEP_1)
	v_sub_co_u32 v3, s7, v2, s33
	s_subb_u32 s8, s27, s9
	s_cmp_lg_u32 s7, 0
	v_cmp_le_u32_e32 vcc_lo, s33, v3
	v_sub_co_u32 v4, s7, v3, s33
	s_subb_u32 s9, s8, 0
	s_cmp_lg_u32 s7, 0
	v_cndmask_b32_e64 v5, 0, -1, vcc_lo
	s_subb_u32 s7, s9, 0
	s_cmp_eq_u32 s9, 0
	v_mov_b32_e32 v7, s7
	s_cselect_b32 vcc_lo, -1, 0
	s_cmp_eq_u32 s8, 0
	v_cndmask_b32_e32 v5, -1, v5, vcc_lo
	v_cmp_le_u32_e32 vcc_lo, s33, v2
	s_cselect_b32 s7, -1, 0
	v_cndmask_b32_e64 v6, 0, -1, vcc_lo
	s_delay_alu instid0(VALU_DEP_3) | instskip(NEXT) | instid1(VALU_DEP_2)
	v_cmp_ne_u32_e32 vcc_lo, 0, v5
	v_cndmask_b32_e64 v5, -1, v6, s7
	v_cndmask_b32_e32 v6, s9, v7, vcc_lo
	v_cndmask_b32_e32 v4, v3, v4, vcc_lo
	s_delay_alu instid0(VALU_DEP_3) | instskip(NEXT) | instid1(VALU_DEP_3)
	v_cmp_ne_u32_e32 vcc_lo, 0, v5
	v_cndmask_b32_e32 v3, s8, v6, vcc_lo
	s_delay_alu instid0(VALU_DEP_3)
	v_cndmask_b32_e32 v2, v2, v4, vcc_lo
	s_cbranch_execnz .LBB141_321
.LBB141_320:                            ;   in Loop: Header=BB141_31 Depth=1
	v_cvt_f32_u32_e32 v2, s33
	s_sub_i32 s7, 0, s33
	s_delay_alu instid0(VALU_DEP_1) | instskip(SKIP_2) | instid1(VALU_DEP_1)
	v_rcp_iflag_f32_e32 v2, v2
	s_waitcnt_depctr 0xfff
	v_mul_f32_e32 v2, 0x4f7ffffe, v2
	v_cvt_u32_f32_e32 v2, v2
	s_delay_alu instid0(VALU_DEP_1) | instskip(NEXT) | instid1(VALU_DEP_1)
	v_mul_lo_u32 v3, s7, v2
	v_mul_hi_u32 v3, v2, v3
	s_delay_alu instid0(VALU_DEP_1) | instskip(NEXT) | instid1(VALU_DEP_1)
	v_add_nc_u32_e32 v2, v2, v3
	v_mul_hi_u32 v2, s83, v2
	s_delay_alu instid0(VALU_DEP_1) | instskip(NEXT) | instid1(VALU_DEP_1)
	v_mul_lo_u32 v2, v2, s33
	v_sub_nc_u32_e32 v2, s83, v2
	s_delay_alu instid0(VALU_DEP_1) | instskip(SKIP_1) | instid1(VALU_DEP_2)
	v_subrev_nc_u32_e32 v3, s33, v2
	v_cmp_le_u32_e32 vcc_lo, s33, v2
	v_cndmask_b32_e32 v2, v2, v3, vcc_lo
	s_delay_alu instid0(VALU_DEP_1) | instskip(SKIP_1) | instid1(VALU_DEP_2)
	v_subrev_nc_u32_e32 v3, s33, v2
	v_cmp_le_u32_e32 vcc_lo, s33, v2
	v_cndmask_b32_e32 v12, v2, v3, vcc_lo
	s_delay_alu instid0(VALU_DEP_1)
	v_dual_mov_b32 v2, v12 :: v_dual_mov_b32 v3, v13
.LBB141_321:                            ;   in Loop: Header=BB141_31 Depth=1
	s_delay_alu instid0(VALU_DEP_1) | instskip(NEXT) | instid1(VALU_DEP_2)
	v_sub_co_u32 v2, vcc_lo, s83, v2
	v_sub_co_ci_u32_e32 v3, vcc_lo, s27, v3, vcc_lo
	s_mov_b32 s7, 0
	s_mov_b32 s8, exec_lo
                                        ; implicit-def: $vgpr40
	s_delay_alu instid0(VALU_DEP_1)
	v_cmpx_gt_u64_e64 v[2:3], v[0:1]
	s_cbranch_execz .LBB141_330
; %bb.322:                              ;   in Loop: Header=BB141_31 Depth=1
	v_dual_mov_b32 v4, v23 :: v_dual_mov_b32 v5, v24
	v_dual_mov_b32 v7, v1 :: v_dual_mov_b32 v6, v0
	s_mov_b32 s9, 0
                                        ; implicit-def: $sgpr18
	s_set_inst_prefetch_distance 0x1
	s_branch .LBB141_324
	.p2align	6
.LBB141_323:                            ;   in Loop: Header=BB141_324 Depth=2
	s_or_b32 exec_lo, exec_lo, s7
	s_waitcnt vmcnt(0) lgkmcnt(0)
	s_barrier
	buffer_gl0_inv
	ds_load_u16 v8, v13 offset:3072
	v_add_co_u32 v6, vcc_lo, v6, s33
	v_add_co_ci_u32_e32 v7, vcc_lo, 0, v7, vcc_lo
	s_waitcnt lgkmcnt(0)
	s_barrier
	buffer_gl0_inv
	v_cmp_ge_u64_e32 vcc_lo, v[6:7], v[2:3]
	v_and_b32_e32 v9, 0xff, v8
	s_delay_alu instid0(VALU_DEP_1) | instskip(NEXT) | instid1(VALU_DEP_1)
	v_cmp_ne_u16_e64 s7, 0, v9
	s_or_b32 s19, vcc_lo, s7
	v_add_co_u32 v4, vcc_lo, v4, s75
	s_and_b32 s19, exec_lo, s19
	v_add_co_ci_u32_e32 v5, vcc_lo, s74, v5, vcc_lo
	s_or_b32 s9, s19, s9
	s_and_not1_b32 s18, s18, exec_lo
	s_and_b32 s7, s7, exec_lo
	s_delay_alu instid0(SALU_CYCLE_1)
	s_or_b32 s18, s18, s7
	s_and_not1_b32 exec_lo, exec_lo, s9
	s_cbranch_execz .LBB141_329
.LBB141_324:                            ;   Parent Loop BB141_31 Depth=1
                                        ; =>  This Inner Loop Header: Depth=2
	s_delay_alu instid0(VALU_DEP_1)
	v_cmp_gt_u64_e32 vcc_lo, s[36:37], v[6:7]
	v_mov_b32_e32 v8, 0
	s_and_saveexec_b32 s7, vcc_lo
	s_cbranch_execz .LBB141_326
; %bb.325:                              ;   in Loop: Header=BB141_324 Depth=2
	global_load_u8 v8, v[4:5], off
.LBB141_326:                            ;   in Loop: Header=BB141_324 Depth=2
	s_or_b32 exec_lo, exec_lo, s7
	s_and_saveexec_b32 s7, vcc_lo
	s_cbranch_execz .LBB141_323
; %bb.327:                              ;   in Loop: Header=BB141_324 Depth=2
	s_waitcnt vmcnt(0)
	v_bfe_i32 v9, v8, 0, 8
	s_delay_alu instid0(VALU_DEP_1) | instskip(NEXT) | instid1(VALU_DEP_1)
	v_add_nc_u32_e32 v9, 0x80, v9
	v_and_b32_e32 v9, v9, v38
	s_delay_alu instid0(VALU_DEP_1)
	v_cmp_eq_u32_e32 vcc_lo, v9, v39
	s_and_b32 exec_lo, exec_lo, vcc_lo
	s_cbranch_execz .LBB141_323
; %bb.328:                              ;   in Loop: Header=BB141_324 Depth=2
	v_lshlrev_b16 v8, 8, v8
	s_delay_alu instid0(VALU_DEP_1)
	v_or_b32_e32 v8, 1, v8
	ds_store_b16 v13, v8 offset:3072
	s_branch .LBB141_323
.LBB141_329:                            ;   in Loop: Header=BB141_31 Depth=1
	s_set_inst_prefetch_distance 0x2
	s_or_b32 exec_lo, exec_lo, s9
	v_lshrrev_b16 v40, 8, v8
	s_and_b32 s7, s18, exec_lo
.LBB141_330:                            ;   in Loop: Header=BB141_31 Depth=1
	s_or_b32 exec_lo, exec_lo, s8
	s_mov_b32 s19, 0
	s_mov_b32 s18, -1
	s_mov_b32 s23, 0
.LBB141_331:                            ;   in Loop: Header=BB141_31 Depth=1
	s_or_not1_b32 s7, s7, exec_lo
.LBB141_332:                            ;   in Loop: Header=BB141_31 Depth=1
	s_or_b32 exec_lo, exec_lo, s54
                                        ; implicit-def: $vgpr6
                                        ; implicit-def: $vgpr2_vgpr3
                                        ; implicit-def: $vgpr27
                                        ; implicit-def: $vgpr28
                                        ; implicit-def: $vgpr29
	s_and_saveexec_b32 s54, s7
	s_cbranch_execz .LBB141_495
; %bb.333:                              ;   in Loop: Header=BB141_31 Depth=1
	v_mov_b32_e32 v2, 1
	v_dual_mov_b32 v3, 0 :: v_dual_mov_b32 v6, 1
	s_xor_b32 s8, s64, -1
	s_mov_b32 s26, 0
	s_and_saveexec_b32 s7, s8
	s_cbranch_execz .LBB141_343
; %bb.334:                              ;   in Loop: Header=BB141_31 Depth=1
	s_mov_b32 s9, exec_lo
                                        ; implicit-def: $sgpr26
                                        ; implicit-def: $sgpr8
	v_cmpx_ge_u64_e64 s[16:17], v[25:26]
	s_xor_b32 s9, exec_lo, s9
	s_cbranch_execz .LBB141_340
; %bb.335:                              ;   in Loop: Header=BB141_31 Depth=1
	ds_load_b64 v[2:3], v13 offset:5120
	s_waitcnt lgkmcnt(0)
	v_cmp_ne_u64_e32 vcc_lo, 0, v[2:3]
	s_cbranch_vccnz .LBB141_339
; %bb.336:                              ;   in Loop: Header=BB141_31 Depth=1
	s_and_saveexec_b32 s8, s5
	s_cbranch_execz .LBB141_338
; %bb.337:                              ;   in Loop: Header=BB141_31 Depth=1
	v_dual_mov_b32 v2, s16 :: v_dual_mov_b32 v3, s17
	ds_store_b64 v13, v[2:3] offset:5128
.LBB141_338:                            ;   in Loop: Header=BB141_31 Depth=1
	s_or_b32 exec_lo, exec_lo, s8
	s_waitcnt lgkmcnt(0)
	s_barrier
	buffer_gl0_inv
.LBB141_339:                            ;   in Loop: Header=BB141_31 Depth=1
	v_or_b32_e32 v39, s20, v39
	v_or_b32_e32 v38, s20, v38
	s_mov_b32 s8, 0
	s_mov_b32 s26, 5
.LBB141_340:                            ;   in Loop: Header=BB141_31 Depth=1
	s_or_saveexec_b32 s9, s9
	v_mov_b32_e32 v6, s26
	s_xor_b32 exec_lo, exec_lo, s9
; %bb.341:                              ;   in Loop: Header=BB141_31 Depth=1
	v_sub_co_u32 v25, vcc_lo, v25, s16
	v_subrev_co_ci_u32_e32 v26, vcc_lo, s17, v26, vcc_lo
	v_mov_b32_e32 v6, 0
	s_or_b32 s8, s8, exec_lo
; %bb.342:                              ;   in Loop: Header=BB141_31 Depth=1
	s_or_b32 exec_lo, exec_lo, s9
	s_delay_alu instid0(VALU_DEP_2)
	v_dual_mov_b32 v2, v25 :: v_dual_mov_b32 v3, v26
	s_and_b32 s26, s8, exec_lo
.LBB141_343:                            ;   in Loop: Header=BB141_31 Depth=1
	s_or_b32 exec_lo, exec_lo, s7
	s_mov_b32 s17, -1
                                        ; implicit-def: $sgpr8
                                        ; implicit-def: $sgpr9
                                        ; implicit-def: $sgpr16
	s_and_saveexec_b32 s7, s26
	s_delay_alu instid0(SALU_CYCLE_1)
	s_xor_b32 s64, exec_lo, s7
	s_cbranch_execz .LBB141_492
; %bb.344:                              ;   in Loop: Header=BB141_31 Depth=1
	v_cmp_eq_u64_e32 vcc_lo, 1, v[2:3]
	s_cmp_eq_u64 s[14:15], 1
                                        ; implicit-def: $sgpr16
                                        ; implicit-def: $sgpr17
                                        ; implicit-def: $sgpr65
	s_cselect_b32 s7, -1, 0
	s_delay_alu instid0(SALU_CYCLE_1)
	s_and_b32 s67, s7, vcc_lo
	s_mov_b32 s7, -1
	s_and_saveexec_b32 s66, s67
	s_cbranch_execz .LBB141_378
; %bb.345:                              ;   in Loop: Header=BB141_31 Depth=1
	ds_load_b64 v[4:5], v13 offset:5120
	s_waitcnt lgkmcnt(0)
	s_barrier
	buffer_gl0_inv
	v_readfirstlane_b32 s8, v4
	v_readfirstlane_b32 s9, v5
	s_and_saveexec_b32 s7, s6
	s_cbranch_execz .LBB141_347
; %bb.346:                              ;   in Loop: Header=BB141_31 Depth=1
	ds_store_b8 v0, v13 offset:3072
.LBB141_347:                            ;   in Loop: Header=BB141_31 Depth=1
	s_or_b32 exec_lo, exec_lo, s7
	s_lshl_b32 s7, 2, s22
	v_or_b32_e32 v38, s20, v38
	v_and_or_b32 v39, v39, s21, s7
	s_cmp_eq_u64 s[8:9], 0
	s_waitcnt lgkmcnt(0)
	s_barrier
	buffer_gl0_inv
	s_cbranch_scc1 .LBB141_361
; %bb.348:                              ;   in Loop: Header=BB141_31 Depth=1
	s_add_u32 s26, s81, s8
	s_addc_u32 s17, s82, s9
	s_mov_b32 s16, s55
	s_delay_alu instid0(SALU_CYCLE_1)
	s_cmp_lg_u64 s[16:17], 0
	s_cbranch_scc0 .LBB141_405
; %bb.349:                              ;   in Loop: Header=BB141_31 Depth=1
	v_cvt_f32_u32_e32 v4, s33
	s_sub_u32 s48, 0, s33
	s_subb_u32 s49, 0, 0
	s_delay_alu instid0(VALU_DEP_1) | instskip(NEXT) | instid1(VALU_DEP_1)
	v_fmac_f32_e64 v4, 0, 0x4f800000
	v_rcp_f32_e32 v4, v4
	s_waitcnt_depctr 0xfff
	v_mul_f32_e32 v4, 0x5f7ffffc, v4
	s_delay_alu instid0(VALU_DEP_1) | instskip(NEXT) | instid1(VALU_DEP_1)
	v_mul_f32_e32 v5, 0x2f800000, v4
	v_trunc_f32_e32 v5, v5
	s_delay_alu instid0(VALU_DEP_1) | instskip(SKIP_1) | instid1(VALU_DEP_2)
	v_fmac_f32_e32 v4, 0xcf800000, v5
	v_cvt_u32_f32_e32 v5, v5
	v_cvt_u32_f32_e32 v4, v4
	s_delay_alu instid0(VALU_DEP_2) | instskip(NEXT) | instid1(VALU_DEP_2)
	v_readfirstlane_b32 s7, v5
	v_readfirstlane_b32 s16, v4
	s_delay_alu instid0(VALU_DEP_2) | instskip(NEXT) | instid1(VALU_DEP_1)
	s_mul_i32 s65, s48, s7
	s_mul_hi_u32 s69, s48, s16
	s_mul_i32 s68, s49, s16
	s_add_i32 s65, s69, s65
	s_mul_i32 s70, s48, s16
	s_add_i32 s65, s65, s68
	s_mul_hi_u32 s69, s16, s70
	s_mul_hi_u32 s71, s7, s70
	s_mul_i32 s68, s7, s70
	s_mul_hi_u32 s70, s16, s65
	s_mul_i32 s16, s16, s65
	s_mul_hi_u32 s72, s7, s65
	s_add_u32 s16, s69, s16
	s_addc_u32 s69, 0, s70
	s_add_u32 s16, s16, s68
	s_mul_i32 s65, s7, s65
	s_addc_u32 s16, s69, s71
	s_addc_u32 s68, s72, 0
	s_add_u32 s16, s16, s65
	s_addc_u32 s65, 0, s68
	v_add_co_u32 v4, s16, v4, s16
	s_delay_alu instid0(VALU_DEP_1) | instskip(SKIP_1) | instid1(VALU_DEP_1)
	s_cmp_lg_u32 s16, 0
	s_addc_u32 s7, s7, s65
	v_readfirstlane_b32 s16, v4
	s_mul_i32 s65, s48, s7
	s_delay_alu instid0(VALU_DEP_1)
	s_mul_hi_u32 s68, s48, s16
	s_mul_i32 s49, s49, s16
	s_add_i32 s65, s68, s65
	s_mul_i32 s48, s48, s16
	s_add_i32 s65, s65, s49
	s_mul_hi_u32 s68, s7, s48
	s_mul_i32 s69, s7, s48
	s_mul_hi_u32 s48, s16, s48
	s_mul_hi_u32 s70, s16, s65
	s_mul_i32 s16, s16, s65
	s_mul_hi_u32 s49, s7, s65
	s_add_u32 s16, s48, s16
	s_addc_u32 s48, 0, s70
	s_add_u32 s16, s16, s69
	s_mul_i32 s65, s7, s65
	s_addc_u32 s16, s48, s68
	s_addc_u32 s48, s49, 0
	s_add_u32 s16, s16, s65
	s_addc_u32 s48, 0, s48
	v_add_co_u32 v4, s16, v4, s16
	s_delay_alu instid0(VALU_DEP_1) | instskip(SKIP_1) | instid1(VALU_DEP_1)
	s_cmp_lg_u32 s16, 0
	s_addc_u32 s7, s7, s48
	v_readfirstlane_b32 s16, v4
	s_mul_i32 s49, s26, s7
	s_mul_hi_u32 s48, s26, s7
	s_mul_hi_u32 s65, s17, s7
	s_mul_i32 s7, s17, s7
	s_mul_hi_u32 s68, s26, s16
	s_mul_hi_u32 s69, s17, s16
	s_mul_i32 s16, s17, s16
	s_add_u32 s49, s68, s49
	s_addc_u32 s48, 0, s48
	s_add_u32 s16, s49, s16
	s_addc_u32 s16, s48, s69
	s_addc_u32 s48, s65, 0
	s_add_u32 s7, s16, s7
	s_addc_u32 s16, 0, s48
	s_mul_hi_u32 s48, s33, s7
	s_mul_i32 s7, s33, s7
	s_mul_i32 s16, s33, s16
	v_sub_co_u32 v4, s7, s26, s7
	s_add_i32 s48, s48, s16
	s_cmp_lg_u32 s7, 0
	s_delay_alu instid0(VALU_DEP_1) | instskip(SKIP_2) | instid1(VALU_DEP_1)
	v_sub_co_u32 v5, s7, v4, s33
	s_subb_u32 s16, s17, s48
	s_cmp_lg_u32 s7, 0
	v_cmp_le_u32_e32 vcc_lo, s33, v5
	v_sub_co_u32 v6, s7, v5, s33
	s_subb_u32 s48, s16, 0
	s_cmp_lg_u32 s7, 0
	v_cndmask_b32_e64 v7, 0, -1, vcc_lo
	s_subb_u32 s7, s48, 0
	s_cmp_eq_u32 s48, 0
	v_mov_b32_e32 v9, s7
	s_cselect_b32 vcc_lo, -1, 0
	s_cmp_eq_u32 s16, 0
	v_cndmask_b32_e32 v7, -1, v7, vcc_lo
	v_cmp_le_u32_e32 vcc_lo, s33, v4
	s_cselect_b32 s7, -1, 0
	v_cndmask_b32_e64 v8, 0, -1, vcc_lo
	s_delay_alu instid0(VALU_DEP_3) | instskip(NEXT) | instid1(VALU_DEP_2)
	v_cmp_ne_u32_e32 vcc_lo, 0, v7
	v_cndmask_b32_e64 v7, -1, v8, s7
	v_cndmask_b32_e32 v8, s48, v9, vcc_lo
	v_cndmask_b32_e32 v6, v5, v6, vcc_lo
	s_delay_alu instid0(VALU_DEP_3) | instskip(NEXT) | instid1(VALU_DEP_3)
	v_cmp_ne_u32_e32 vcc_lo, 0, v7
	v_cndmask_b32_e32 v5, s16, v8, vcc_lo
	s_delay_alu instid0(VALU_DEP_3)
	v_cndmask_b32_e32 v4, v4, v6, vcc_lo
	s_cbranch_execnz .LBB141_351
.LBB141_350:                            ;   in Loop: Header=BB141_31 Depth=1
	v_cvt_f32_u32_e32 v4, s33
	s_sub_i32 s7, 0, s33
	s_delay_alu instid0(VALU_DEP_1) | instskip(SKIP_2) | instid1(VALU_DEP_1)
	v_rcp_iflag_f32_e32 v4, v4
	s_waitcnt_depctr 0xfff
	v_mul_f32_e32 v4, 0x4f7ffffe, v4
	v_cvt_u32_f32_e32 v4, v4
	s_delay_alu instid0(VALU_DEP_1) | instskip(NEXT) | instid1(VALU_DEP_1)
	v_mul_lo_u32 v5, s7, v4
	v_mul_hi_u32 v5, v4, v5
	s_delay_alu instid0(VALU_DEP_1) | instskip(NEXT) | instid1(VALU_DEP_1)
	v_add_nc_u32_e32 v4, v4, v5
	v_mul_hi_u32 v4, s26, v4
	s_delay_alu instid0(VALU_DEP_1) | instskip(NEXT) | instid1(VALU_DEP_1)
	v_mul_lo_u32 v4, v4, s33
	v_sub_nc_u32_e32 v4, s26, v4
	s_delay_alu instid0(VALU_DEP_1) | instskip(SKIP_1) | instid1(VALU_DEP_2)
	v_subrev_nc_u32_e32 v5, s33, v4
	v_cmp_le_u32_e32 vcc_lo, s33, v4
	v_cndmask_b32_e32 v4, v4, v5, vcc_lo
	s_delay_alu instid0(VALU_DEP_1) | instskip(SKIP_1) | instid1(VALU_DEP_2)
	v_subrev_nc_u32_e32 v5, s33, v4
	v_cmp_le_u32_e32 vcc_lo, s33, v4
	v_cndmask_b32_e32 v12, v4, v5, vcc_lo
	s_delay_alu instid0(VALU_DEP_1)
	v_dual_mov_b32 v4, v12 :: v_dual_mov_b32 v5, v13
.LBB141_351:                            ;   in Loop: Header=BB141_31 Depth=1
	s_delay_alu instid0(VALU_DEP_1) | instskip(NEXT) | instid1(VALU_DEP_2)
	v_sub_co_u32 v4, vcc_lo, s26, v4
	v_sub_co_ci_u32_e32 v5, vcc_lo, s17, v5, vcc_lo
	s_mov_b32 s7, 0
	s_mov_b32 s16, exec_lo
                                        ; implicit-def: $vgpr40
	s_delay_alu instid0(VALU_DEP_1)
	v_cmpx_gt_u64_e64 v[4:5], v[0:1]
	s_cbranch_execz .LBB141_363
; %bb.352:                              ;   in Loop: Header=BB141_31 Depth=1
	v_dual_mov_b32 v8, v0 :: v_dual_mov_b32 v7, v1
	v_mov_b32_e32 v6, v0
	s_mov_b32 s17, 0
                                        ; implicit-def: $sgpr26
	s_set_inst_prefetch_distance 0x1
	s_branch .LBB141_354
	.p2align	6
.LBB141_353:                            ;   in Loop: Header=BB141_354 Depth=2
	s_or_b32 exec_lo, exec_lo, s7
	s_waitcnt lgkmcnt(0)
	s_barrier
	buffer_gl0_inv
	ds_load_u16 v9, v13 offset:3072
	v_add_co_u32 v6, vcc_lo, v6, s33
	v_add_co_ci_u32_e32 v7, vcc_lo, 0, v7, vcc_lo
	v_add_nc_u32_e32 v8, s33, v8
	s_waitcnt lgkmcnt(0)
	s_barrier
	s_delay_alu instid0(VALU_DEP_2) | instskip(SKIP_2) | instid1(VALU_DEP_1)
	v_cmp_ge_u64_e32 vcc_lo, v[6:7], v[4:5]
	buffer_gl0_inv
	v_and_b32_e32 v12, 0xff, v9
	v_cmp_ne_u16_e64 s7, 0, v12
	s_delay_alu instid0(VALU_DEP_1) | instskip(NEXT) | instid1(SALU_CYCLE_1)
	s_or_b32 s48, vcc_lo, s7
	s_and_b32 s48, exec_lo, s48
	s_delay_alu instid0(SALU_CYCLE_1) | instskip(SKIP_2) | instid1(SALU_CYCLE_1)
	s_or_b32 s17, s48, s17
	s_and_not1_b32 s26, s26, exec_lo
	s_and_b32 s7, s7, exec_lo
	s_or_b32 s26, s26, s7
	s_and_not1_b32 exec_lo, exec_lo, s17
	s_cbranch_execz .LBB141_362
.LBB141_354:                            ;   Parent Loop BB141_31 Depth=1
                                        ; =>  This Inner Loop Header: Depth=2
	s_delay_alu instid0(VALU_DEP_1)
	v_cmp_gt_u64_e32 vcc_lo, s[8:9], v[6:7]
	v_mov_b32_e32 v9, 0
	s_and_saveexec_b32 s7, vcc_lo
	s_cbranch_execz .LBB141_356
; %bb.355:                              ;   in Loop: Header=BB141_354 Depth=2
	ds_load_u8 v9, v8
.LBB141_356:                            ;   in Loop: Header=BB141_354 Depth=2
	s_or_b32 exec_lo, exec_lo, s7
	s_and_saveexec_b32 s7, vcc_lo
	s_cbranch_execz .LBB141_353
; %bb.357:                              ;   in Loop: Header=BB141_354 Depth=2
	s_waitcnt lgkmcnt(0)
	v_bfe_i32 v12, v9, 0, 8
	s_delay_alu instid0(VALU_DEP_1) | instskip(NEXT) | instid1(VALU_DEP_1)
	v_add_nc_u32_e32 v12, 0x80, v12
	v_and_b32_e32 v12, v12, v38
	s_delay_alu instid0(VALU_DEP_1)
	v_cmp_eq_u32_e32 vcc_lo, v12, v39
	s_and_b32 exec_lo, exec_lo, vcc_lo
	s_cbranch_execz .LBB141_353
; %bb.358:                              ;   in Loop: Header=BB141_354 Depth=2
	v_lshlrev_b16 v9, 8, v9
	s_delay_alu instid0(VALU_DEP_1)
	v_or_b32_e32 v9, 1, v9
	ds_store_b16 v13, v9 offset:3072
	s_branch .LBB141_353
.LBB141_359:                            ;   in Loop: Header=BB141_31 Depth=1
                                        ; implicit-def: $vgpr2_vgpr3
	s_branch .LBB141_306
.LBB141_360:                            ;   in Loop: Header=BB141_31 Depth=1
                                        ; implicit-def: $vgpr2_vgpr3
	s_branch .LBB141_320
.LBB141_361:                            ;   in Loop: Header=BB141_31 Depth=1
	s_mov_b32 s16, -1
	s_mov_b32 s7, 0
                                        ; implicit-def: $sgpr17
                                        ; implicit-def: $vgpr40
	s_mov_b32 s65, s16
	s_cbranch_execnz .LBB141_364
	s_branch .LBB141_377
.LBB141_362:                            ;   in Loop: Header=BB141_31 Depth=1
	s_set_inst_prefetch_distance 0x2
	s_or_b32 exec_lo, exec_lo, s17
	v_lshrrev_b16 v40, 8, v9
	s_and_b32 s7, s26, exec_lo
.LBB141_363:                            ;   in Loop: Header=BB141_31 Depth=1
	s_or_b32 exec_lo, exec_lo, s16
	s_mov_b32 s16, 0
	s_mov_b32 s17, -1
	s_mov_b32 s65, s16
	s_branch .LBB141_377
.LBB141_364:                            ;   in Loop: Header=BB141_31 Depth=1
	s_mov_b32 s26, s55
	s_delay_alu instid0(SALU_CYCLE_1)
	s_cmp_lg_u64 s[26:27], 0
	s_cbranch_scc0 .LBB141_406
; %bb.365:                              ;   in Loop: Header=BB141_31 Depth=1
	v_cvt_f32_u32_e32 v4, s33
	s_sub_u32 s9, 0, s33
	s_subb_u32 s16, 0, 0
	s_delay_alu instid0(VALU_DEP_1) | instskip(NEXT) | instid1(VALU_DEP_1)
	v_fmac_f32_e64 v4, 0, 0x4f800000
	v_rcp_f32_e32 v4, v4
	s_waitcnt_depctr 0xfff
	v_mul_f32_e32 v4, 0x5f7ffffc, v4
	s_delay_alu instid0(VALU_DEP_1) | instskip(NEXT) | instid1(VALU_DEP_1)
	v_mul_f32_e32 v5, 0x2f800000, v4
	v_trunc_f32_e32 v5, v5
	s_delay_alu instid0(VALU_DEP_1) | instskip(SKIP_1) | instid1(VALU_DEP_2)
	v_fmac_f32_e32 v4, 0xcf800000, v5
	v_cvt_u32_f32_e32 v5, v5
	v_cvt_u32_f32_e32 v4, v4
	s_delay_alu instid0(VALU_DEP_2) | instskip(NEXT) | instid1(VALU_DEP_2)
	v_readfirstlane_b32 s7, v5
	v_readfirstlane_b32 s8, v4
	s_delay_alu instid0(VALU_DEP_2) | instskip(NEXT) | instid1(VALU_DEP_1)
	s_mul_i32 s17, s9, s7
	s_mul_hi_u32 s48, s9, s8
	s_mul_i32 s26, s16, s8
	s_add_i32 s17, s48, s17
	s_mul_i32 s49, s9, s8
	s_add_i32 s17, s17, s26
	s_mul_hi_u32 s48, s8, s49
	s_mul_hi_u32 s65, s7, s49
	s_mul_i32 s26, s7, s49
	s_mul_hi_u32 s49, s8, s17
	s_mul_i32 s8, s8, s17
	s_mul_hi_u32 s68, s7, s17
	s_add_u32 s8, s48, s8
	s_addc_u32 s48, 0, s49
	s_add_u32 s8, s8, s26
	s_mul_i32 s17, s7, s17
	s_addc_u32 s8, s48, s65
	s_addc_u32 s26, s68, 0
	s_add_u32 s8, s8, s17
	s_addc_u32 s17, 0, s26
	v_add_co_u32 v4, s8, v4, s8
	s_delay_alu instid0(VALU_DEP_1) | instskip(SKIP_1) | instid1(VALU_DEP_1)
	s_cmp_lg_u32 s8, 0
	s_addc_u32 s7, s7, s17
	v_readfirstlane_b32 s8, v4
	s_mul_i32 s17, s9, s7
	s_delay_alu instid0(VALU_DEP_1)
	s_mul_hi_u32 s26, s9, s8
	s_mul_i32 s16, s16, s8
	s_add_i32 s17, s26, s17
	s_mul_i32 s9, s9, s8
	s_add_i32 s17, s17, s16
	s_mul_hi_u32 s26, s7, s9
	s_mul_i32 s48, s7, s9
	s_mul_hi_u32 s9, s8, s9
	s_mul_hi_u32 s49, s8, s17
	s_mul_i32 s8, s8, s17
	s_mul_hi_u32 s16, s7, s17
	s_add_u32 s8, s9, s8
	s_addc_u32 s9, 0, s49
	s_add_u32 s8, s8, s48
	s_mul_i32 s17, s7, s17
	s_addc_u32 s8, s9, s26
	s_addc_u32 s9, s16, 0
	s_add_u32 s8, s8, s17
	s_addc_u32 s9, 0, s9
	v_add_co_u32 v4, s8, v4, s8
	s_delay_alu instid0(VALU_DEP_1) | instskip(SKIP_1) | instid1(VALU_DEP_1)
	s_cmp_lg_u32 s8, 0
	s_addc_u32 s7, s7, s9
	v_readfirstlane_b32 s8, v4
	s_mul_i32 s16, s83, s7
	s_mul_hi_u32 s9, s83, s7
	s_mul_hi_u32 s17, s27, s7
	s_mul_i32 s7, s27, s7
	s_mul_hi_u32 s26, s83, s8
	s_mul_hi_u32 s48, s27, s8
	s_mul_i32 s8, s27, s8
	s_add_u32 s16, s26, s16
	s_addc_u32 s9, 0, s9
	s_add_u32 s8, s16, s8
	s_addc_u32 s8, s9, s48
	s_addc_u32 s9, s17, 0
	s_add_u32 s7, s8, s7
	s_addc_u32 s8, 0, s9
	s_mul_hi_u32 s9, s33, s7
	s_mul_i32 s7, s33, s7
	s_mul_i32 s8, s33, s8
	v_sub_co_u32 v4, s7, s83, s7
	s_add_i32 s9, s9, s8
	s_cmp_lg_u32 s7, 0
	s_delay_alu instid0(VALU_DEP_1) | instskip(SKIP_2) | instid1(VALU_DEP_1)
	v_sub_co_u32 v5, s7, v4, s33
	s_subb_u32 s8, s27, s9
	s_cmp_lg_u32 s7, 0
	v_cmp_le_u32_e32 vcc_lo, s33, v5
	v_sub_co_u32 v6, s7, v5, s33
	s_subb_u32 s9, s8, 0
	s_cmp_lg_u32 s7, 0
	v_cndmask_b32_e64 v7, 0, -1, vcc_lo
	s_subb_u32 s7, s9, 0
	s_cmp_eq_u32 s9, 0
	v_mov_b32_e32 v9, s7
	s_cselect_b32 vcc_lo, -1, 0
	s_cmp_eq_u32 s8, 0
	v_cndmask_b32_e32 v7, -1, v7, vcc_lo
	v_cmp_le_u32_e32 vcc_lo, s33, v4
	s_cselect_b32 s7, -1, 0
	v_cndmask_b32_e64 v8, 0, -1, vcc_lo
	s_delay_alu instid0(VALU_DEP_3) | instskip(NEXT) | instid1(VALU_DEP_2)
	v_cmp_ne_u32_e32 vcc_lo, 0, v7
	v_cndmask_b32_e64 v7, -1, v8, s7
	v_cndmask_b32_e32 v8, s9, v9, vcc_lo
	v_cndmask_b32_e32 v6, v5, v6, vcc_lo
	s_delay_alu instid0(VALU_DEP_3) | instskip(NEXT) | instid1(VALU_DEP_3)
	v_cmp_ne_u32_e32 vcc_lo, 0, v7
	v_cndmask_b32_e32 v5, s8, v8, vcc_lo
	s_delay_alu instid0(VALU_DEP_3)
	v_cndmask_b32_e32 v4, v4, v6, vcc_lo
	s_cbranch_execnz .LBB141_367
.LBB141_366:                            ;   in Loop: Header=BB141_31 Depth=1
	v_cvt_f32_u32_e32 v4, s33
	s_sub_i32 s7, 0, s33
	s_delay_alu instid0(VALU_DEP_1) | instskip(SKIP_2) | instid1(VALU_DEP_1)
	v_rcp_iflag_f32_e32 v4, v4
	s_waitcnt_depctr 0xfff
	v_mul_f32_e32 v4, 0x4f7ffffe, v4
	v_cvt_u32_f32_e32 v4, v4
	s_delay_alu instid0(VALU_DEP_1) | instskip(NEXT) | instid1(VALU_DEP_1)
	v_mul_lo_u32 v5, s7, v4
	v_mul_hi_u32 v5, v4, v5
	s_delay_alu instid0(VALU_DEP_1) | instskip(NEXT) | instid1(VALU_DEP_1)
	v_add_nc_u32_e32 v4, v4, v5
	v_mul_hi_u32 v4, s83, v4
	s_delay_alu instid0(VALU_DEP_1) | instskip(NEXT) | instid1(VALU_DEP_1)
	v_mul_lo_u32 v4, v4, s33
	v_sub_nc_u32_e32 v4, s83, v4
	s_delay_alu instid0(VALU_DEP_1) | instskip(SKIP_1) | instid1(VALU_DEP_2)
	v_subrev_nc_u32_e32 v5, s33, v4
	v_cmp_le_u32_e32 vcc_lo, s33, v4
	v_cndmask_b32_e32 v4, v4, v5, vcc_lo
	s_delay_alu instid0(VALU_DEP_1) | instskip(SKIP_1) | instid1(VALU_DEP_2)
	v_subrev_nc_u32_e32 v5, s33, v4
	v_cmp_le_u32_e32 vcc_lo, s33, v4
	v_cndmask_b32_e32 v12, v4, v5, vcc_lo
	s_delay_alu instid0(VALU_DEP_1)
	v_dual_mov_b32 v4, v12 :: v_dual_mov_b32 v5, v13
.LBB141_367:                            ;   in Loop: Header=BB141_31 Depth=1
	s_delay_alu instid0(VALU_DEP_1) | instskip(NEXT) | instid1(VALU_DEP_2)
	v_sub_co_u32 v4, vcc_lo, s83, v4
	v_sub_co_ci_u32_e32 v5, vcc_lo, s27, v5, vcc_lo
	s_mov_b32 s7, 0
	s_mov_b32 s8, exec_lo
                                        ; implicit-def: $vgpr40
	s_delay_alu instid0(VALU_DEP_1)
	v_cmpx_gt_u64_e64 v[4:5], v[0:1]
	s_cbranch_execz .LBB141_376
; %bb.368:                              ;   in Loop: Header=BB141_31 Depth=1
	v_dual_mov_b32 v6, v23 :: v_dual_mov_b32 v7, v24
	v_dual_mov_b32 v9, v1 :: v_dual_mov_b32 v8, v0
	s_mov_b32 s9, 0
                                        ; implicit-def: $sgpr16
	s_set_inst_prefetch_distance 0x1
	s_branch .LBB141_370
	.p2align	6
.LBB141_369:                            ;   in Loop: Header=BB141_370 Depth=2
	s_or_b32 exec_lo, exec_lo, s7
	s_waitcnt vmcnt(0) lgkmcnt(0)
	s_barrier
	buffer_gl0_inv
	ds_load_u16 v12, v13 offset:3072
	v_add_co_u32 v8, vcc_lo, v8, s33
	v_add_co_ci_u32_e32 v9, vcc_lo, 0, v9, vcc_lo
	s_waitcnt lgkmcnt(0)
	s_barrier
	buffer_gl0_inv
	v_cmp_ge_u64_e32 vcc_lo, v[8:9], v[4:5]
	v_and_b32_e32 v25, 0xff, v12
	s_delay_alu instid0(VALU_DEP_1) | instskip(NEXT) | instid1(VALU_DEP_1)
	v_cmp_ne_u16_e64 s7, 0, v25
	s_or_b32 s17, vcc_lo, s7
	v_add_co_u32 v6, vcc_lo, v6, s75
	s_and_b32 s17, exec_lo, s17
	v_add_co_ci_u32_e32 v7, vcc_lo, s74, v7, vcc_lo
	s_or_b32 s9, s17, s9
	s_and_not1_b32 s16, s16, exec_lo
	s_and_b32 s7, s7, exec_lo
	s_delay_alu instid0(SALU_CYCLE_1)
	s_or_b32 s16, s16, s7
	s_and_not1_b32 exec_lo, exec_lo, s9
	s_cbranch_execz .LBB141_375
.LBB141_370:                            ;   Parent Loop BB141_31 Depth=1
                                        ; =>  This Inner Loop Header: Depth=2
	s_delay_alu instid0(VALU_DEP_1)
	v_cmp_gt_u64_e32 vcc_lo, s[36:37], v[8:9]
	v_mov_b32_e32 v12, 0
	s_and_saveexec_b32 s7, vcc_lo
	s_cbranch_execz .LBB141_372
; %bb.371:                              ;   in Loop: Header=BB141_370 Depth=2
	global_load_u8 v12, v[6:7], off
.LBB141_372:                            ;   in Loop: Header=BB141_370 Depth=2
	s_or_b32 exec_lo, exec_lo, s7
	s_and_saveexec_b32 s7, vcc_lo
	s_cbranch_execz .LBB141_369
; %bb.373:                              ;   in Loop: Header=BB141_370 Depth=2
	s_waitcnt vmcnt(0)
	v_bfe_i32 v25, v12, 0, 8
	s_delay_alu instid0(VALU_DEP_1) | instskip(NEXT) | instid1(VALU_DEP_1)
	v_add_nc_u32_e32 v25, 0x80, v25
	v_and_b32_e32 v25, v25, v38
	s_delay_alu instid0(VALU_DEP_1)
	v_cmp_eq_u32_e32 vcc_lo, v25, v39
	s_and_b32 exec_lo, exec_lo, vcc_lo
	s_cbranch_execz .LBB141_369
; %bb.374:                              ;   in Loop: Header=BB141_370 Depth=2
	v_lshlrev_b16 v12, 8, v12
	s_delay_alu instid0(VALU_DEP_1)
	v_or_b32_e32 v12, 1, v12
	ds_store_b16 v13, v12 offset:3072
	s_branch .LBB141_369
.LBB141_375:                            ;   in Loop: Header=BB141_31 Depth=1
	s_set_inst_prefetch_distance 0x2
	s_or_b32 exec_lo, exec_lo, s9
	v_lshrrev_b16 v40, 8, v12
	s_and_b32 s7, s16, exec_lo
.LBB141_376:                            ;   in Loop: Header=BB141_31 Depth=1
	s_or_b32 exec_lo, exec_lo, s8
	s_mov_b32 s17, 0
	s_mov_b32 s16, -1
	s_mov_b32 s65, 0
.LBB141_377:                            ;   in Loop: Header=BB141_31 Depth=1
	s_or_not1_b32 s7, s7, exec_lo
.LBB141_378:                            ;   in Loop: Header=BB141_31 Depth=1
	s_or_b32 exec_lo, exec_lo, s66
	s_mov_b32 s26, 0
                                        ; implicit-def: $vgpr6
	s_and_saveexec_b32 s66, s7
	s_cbranch_execz .LBB141_491
; %bb.379:                              ;   in Loop: Header=BB141_31 Depth=1
	v_mov_b32_e32 v4, 1
	v_dual_mov_b32 v5, 0 :: v_dual_mov_b32 v6, 1
	s_xor_b32 s8, s67, -1
	s_delay_alu instid0(SALU_CYCLE_1)
	s_and_saveexec_b32 s7, s8
	s_cbranch_execz .LBB141_389
; %bb.380:                              ;   in Loop: Header=BB141_31 Depth=1
	s_mov_b32 s9, exec_lo
                                        ; implicit-def: $sgpr26
                                        ; implicit-def: $sgpr8
	v_cmpx_ge_u64_e64 s[14:15], v[2:3]
	s_xor_b32 s9, exec_lo, s9
	s_cbranch_execz .LBB141_386
; %bb.381:                              ;   in Loop: Header=BB141_31 Depth=1
	ds_load_b64 v[4:5], v13 offset:5120
	s_waitcnt lgkmcnt(0)
	v_cmp_ne_u64_e32 vcc_lo, 0, v[4:5]
	s_cbranch_vccnz .LBB141_385
; %bb.382:                              ;   in Loop: Header=BB141_31 Depth=1
	s_and_saveexec_b32 s8, s5
	s_cbranch_execz .LBB141_384
; %bb.383:                              ;   in Loop: Header=BB141_31 Depth=1
	v_dual_mov_b32 v4, s14 :: v_dual_mov_b32 v5, s15
	ds_store_b64 v13, v[4:5] offset:5128
.LBB141_384:                            ;   in Loop: Header=BB141_31 Depth=1
	s_or_b32 exec_lo, exec_lo, s8
	s_waitcnt lgkmcnt(0)
	s_barrier
	buffer_gl0_inv
.LBB141_385:                            ;   in Loop: Header=BB141_31 Depth=1
	s_lshl_b32 s8, 2, s22
	v_or_b32_e32 v38, s20, v38
	v_and_or_b32 v39, v39, s21, s8
	s_mov_b32 s8, 0
	s_mov_b32 s26, 5
.LBB141_386:                            ;   in Loop: Header=BB141_31 Depth=1
	s_or_saveexec_b32 s9, s9
	v_mov_b32_e32 v6, s26
	s_xor_b32 exec_lo, exec_lo, s9
; %bb.387:                              ;   in Loop: Header=BB141_31 Depth=1
	v_sub_co_u32 v2, vcc_lo, v2, s14
	v_subrev_co_ci_u32_e32 v3, vcc_lo, s15, v3, vcc_lo
	v_mov_b32_e32 v6, 0
	s_or_b32 s8, s8, exec_lo
; %bb.388:                              ;   in Loop: Header=BB141_31 Depth=1
	s_or_b32 exec_lo, exec_lo, s9
	s_delay_alu instid0(VALU_DEP_2)
	v_dual_mov_b32 v5, v3 :: v_dual_mov_b32 v4, v2
	s_and_b32 s26, s8, exec_lo
.LBB141_389:                            ;   in Loop: Header=BB141_31 Depth=1
	s_or_b32 exec_lo, exec_lo, s7
	s_mov_b32 s7, -1
                                        ; implicit-def: $sgpr8
                                        ; implicit-def: $sgpr9
                                        ; implicit-def: $sgpr14
	s_and_saveexec_b32 s67, s26
	s_cbranch_execz .LBB141_490
; %bb.390:                              ;   in Loop: Header=BB141_31 Depth=1
	v_cmp_eq_u64_e32 vcc_lo, 1, v[4:5]
	s_cmp_eq_u64 s[12:13], 1
                                        ; implicit-def: $sgpr14
                                        ; implicit-def: $sgpr15
                                        ; implicit-def: $sgpr68
	s_cselect_b32 s7, -1, 0
	s_delay_alu instid0(SALU_CYCLE_1)
	s_and_b32 s70, s7, vcc_lo
	s_mov_b32 s7, -1
	s_and_saveexec_b32 s69, s70
	s_cbranch_execz .LBB141_424
; %bb.391:                              ;   in Loop: Header=BB141_31 Depth=1
	ds_load_b64 v[2:3], v13 offset:5120
	s_waitcnt lgkmcnt(0)
	s_barrier
	buffer_gl0_inv
	v_readfirstlane_b32 s8, v2
	v_readfirstlane_b32 s9, v3
	s_and_saveexec_b32 s7, s6
	s_cbranch_execz .LBB141_393
; %bb.392:                              ;   in Loop: Header=BB141_31 Depth=1
	ds_store_b8 v0, v13 offset:3072
.LBB141_393:                            ;   in Loop: Header=BB141_31 Depth=1
	s_or_b32 exec_lo, exec_lo, s7
	s_lshl_b32 s7, 1, s22
	v_or_b32_e32 v38, s20, v38
	v_and_or_b32 v39, v39, s21, s7
	s_cmp_eq_u64 s[8:9], 0
	s_waitcnt lgkmcnt(0)
	s_barrier
	buffer_gl0_inv
	s_cbranch_scc1 .LBB141_407
; %bb.394:                              ;   in Loop: Header=BB141_31 Depth=1
	s_add_u32 s26, s81, s8
	s_addc_u32 s15, s82, s9
	s_mov_b32 s14, s55
	s_delay_alu instid0(SALU_CYCLE_1)
	s_cmp_lg_u64 s[14:15], 0
	s_cbranch_scc0 .LBB141_442
; %bb.395:                              ;   in Loop: Header=BB141_31 Depth=1
	v_cvt_f32_u32_e32 v2, s33
	s_sub_u32 s48, 0, s33
	s_subb_u32 s49, 0, 0
	s_delay_alu instid0(VALU_DEP_1) | instskip(NEXT) | instid1(VALU_DEP_1)
	v_fmac_f32_e64 v2, 0, 0x4f800000
	v_rcp_f32_e32 v2, v2
	s_waitcnt_depctr 0xfff
	v_mul_f32_e32 v2, 0x5f7ffffc, v2
	s_delay_alu instid0(VALU_DEP_1) | instskip(NEXT) | instid1(VALU_DEP_1)
	v_mul_f32_e32 v3, 0x2f800000, v2
	v_trunc_f32_e32 v3, v3
	s_delay_alu instid0(VALU_DEP_1) | instskip(SKIP_1) | instid1(VALU_DEP_2)
	v_fmac_f32_e32 v2, 0xcf800000, v3
	v_cvt_u32_f32_e32 v3, v3
	v_cvt_u32_f32_e32 v2, v2
	s_delay_alu instid0(VALU_DEP_2) | instskip(NEXT) | instid1(VALU_DEP_2)
	v_readfirstlane_b32 s7, v3
	v_readfirstlane_b32 s14, v2
	s_delay_alu instid0(VALU_DEP_2) | instskip(NEXT) | instid1(VALU_DEP_1)
	s_mul_i32 s68, s48, s7
	s_mul_hi_u32 s72, s48, s14
	s_mul_i32 s71, s49, s14
	s_add_i32 s68, s72, s68
	s_mul_i32 s73, s48, s14
	s_add_i32 s68, s68, s71
	s_mul_hi_u32 s72, s14, s73
	s_mul_hi_u32 s102, s7, s73
	s_mul_i32 s71, s7, s73
	s_mul_hi_u32 s73, s14, s68
	s_mul_i32 s14, s14, s68
	s_mul_hi_u32 s103, s7, s68
	s_add_u32 s14, s72, s14
	s_addc_u32 s72, 0, s73
	s_add_u32 s14, s14, s71
	s_mul_i32 s68, s7, s68
	s_addc_u32 s14, s72, s102
	s_addc_u32 s71, s103, 0
	s_add_u32 s14, s14, s68
	s_addc_u32 s68, 0, s71
	v_add_co_u32 v2, s14, v2, s14
	s_delay_alu instid0(VALU_DEP_1) | instskip(SKIP_1) | instid1(VALU_DEP_1)
	s_cmp_lg_u32 s14, 0
	s_addc_u32 s7, s7, s68
	v_readfirstlane_b32 s14, v2
	s_mul_i32 s68, s48, s7
	s_delay_alu instid0(VALU_DEP_1)
	s_mul_hi_u32 s71, s48, s14
	s_mul_i32 s49, s49, s14
	s_add_i32 s68, s71, s68
	s_mul_i32 s48, s48, s14
	s_add_i32 s68, s68, s49
	s_mul_hi_u32 s71, s7, s48
	s_mul_i32 s72, s7, s48
	s_mul_hi_u32 s48, s14, s48
	s_mul_hi_u32 s73, s14, s68
	s_mul_i32 s14, s14, s68
	s_mul_hi_u32 s49, s7, s68
	s_add_u32 s14, s48, s14
	s_addc_u32 s48, 0, s73
	s_add_u32 s14, s14, s72
	s_mul_i32 s68, s7, s68
	s_addc_u32 s14, s48, s71
	s_addc_u32 s48, s49, 0
	s_add_u32 s14, s14, s68
	s_addc_u32 s48, 0, s48
	v_add_co_u32 v2, s14, v2, s14
	s_delay_alu instid0(VALU_DEP_1) | instskip(SKIP_1) | instid1(VALU_DEP_1)
	s_cmp_lg_u32 s14, 0
	s_addc_u32 s7, s7, s48
	v_readfirstlane_b32 s14, v2
	s_mul_i32 s49, s26, s7
	s_mul_hi_u32 s48, s26, s7
	s_mul_hi_u32 s68, s15, s7
	s_mul_i32 s7, s15, s7
	s_mul_hi_u32 s71, s26, s14
	s_mul_hi_u32 s72, s15, s14
	s_mul_i32 s14, s15, s14
	s_add_u32 s49, s71, s49
	s_addc_u32 s48, 0, s48
	s_add_u32 s14, s49, s14
	s_addc_u32 s14, s48, s72
	s_addc_u32 s48, s68, 0
	s_add_u32 s7, s14, s7
	s_addc_u32 s14, 0, s48
	s_mul_hi_u32 s48, s33, s7
	s_mul_i32 s7, s33, s7
	s_mul_i32 s14, s33, s14
	v_sub_co_u32 v2, s7, s26, s7
	s_add_i32 s48, s48, s14
	s_cmp_lg_u32 s7, 0
	s_delay_alu instid0(VALU_DEP_1) | instskip(SKIP_2) | instid1(VALU_DEP_1)
	v_sub_co_u32 v3, s7, v2, s33
	s_subb_u32 s14, s15, s48
	s_cmp_lg_u32 s7, 0
	v_cmp_le_u32_e32 vcc_lo, s33, v3
	v_sub_co_u32 v6, s7, v3, s33
	s_subb_u32 s48, s14, 0
	s_cmp_lg_u32 s7, 0
	v_cndmask_b32_e64 v7, 0, -1, vcc_lo
	s_subb_u32 s7, s48, 0
	s_cmp_eq_u32 s48, 0
	v_mov_b32_e32 v9, s7
	s_cselect_b32 vcc_lo, -1, 0
	s_cmp_eq_u32 s14, 0
	v_cndmask_b32_e32 v7, -1, v7, vcc_lo
	v_cmp_le_u32_e32 vcc_lo, s33, v2
	s_cselect_b32 s7, -1, 0
	v_cndmask_b32_e64 v8, 0, -1, vcc_lo
	s_delay_alu instid0(VALU_DEP_3) | instskip(NEXT) | instid1(VALU_DEP_2)
	v_cmp_ne_u32_e32 vcc_lo, 0, v7
	v_cndmask_b32_e64 v7, -1, v8, s7
	v_cndmask_b32_e32 v8, s48, v9, vcc_lo
	v_cndmask_b32_e32 v6, v3, v6, vcc_lo
	s_delay_alu instid0(VALU_DEP_3) | instskip(NEXT) | instid1(VALU_DEP_3)
	v_cmp_ne_u32_e32 vcc_lo, 0, v7
	v_cndmask_b32_e32 v3, s14, v8, vcc_lo
	s_delay_alu instid0(VALU_DEP_3)
	v_cndmask_b32_e32 v2, v2, v6, vcc_lo
	s_cbranch_execnz .LBB141_397
.LBB141_396:                            ;   in Loop: Header=BB141_31 Depth=1
	v_cvt_f32_u32_e32 v2, s33
	s_sub_i32 s7, 0, s33
	s_delay_alu instid0(VALU_DEP_1) | instskip(SKIP_2) | instid1(VALU_DEP_1)
	v_rcp_iflag_f32_e32 v2, v2
	s_waitcnt_depctr 0xfff
	v_mul_f32_e32 v2, 0x4f7ffffe, v2
	v_cvt_u32_f32_e32 v2, v2
	s_delay_alu instid0(VALU_DEP_1) | instskip(NEXT) | instid1(VALU_DEP_1)
	v_mul_lo_u32 v3, s7, v2
	v_mul_hi_u32 v3, v2, v3
	s_delay_alu instid0(VALU_DEP_1) | instskip(NEXT) | instid1(VALU_DEP_1)
	v_add_nc_u32_e32 v2, v2, v3
	v_mul_hi_u32 v2, s26, v2
	s_delay_alu instid0(VALU_DEP_1) | instskip(NEXT) | instid1(VALU_DEP_1)
	v_mul_lo_u32 v2, v2, s33
	v_sub_nc_u32_e32 v2, s26, v2
	s_delay_alu instid0(VALU_DEP_1) | instskip(SKIP_1) | instid1(VALU_DEP_2)
	v_subrev_nc_u32_e32 v3, s33, v2
	v_cmp_le_u32_e32 vcc_lo, s33, v2
	v_cndmask_b32_e32 v2, v2, v3, vcc_lo
	s_delay_alu instid0(VALU_DEP_1) | instskip(SKIP_1) | instid1(VALU_DEP_2)
	v_subrev_nc_u32_e32 v3, s33, v2
	v_cmp_le_u32_e32 vcc_lo, s33, v2
	v_cndmask_b32_e32 v12, v2, v3, vcc_lo
	s_delay_alu instid0(VALU_DEP_1)
	v_dual_mov_b32 v2, v12 :: v_dual_mov_b32 v3, v13
.LBB141_397:                            ;   in Loop: Header=BB141_31 Depth=1
	s_delay_alu instid0(VALU_DEP_1) | instskip(NEXT) | instid1(VALU_DEP_2)
	v_sub_co_u32 v2, vcc_lo, s26, v2
	v_sub_co_ci_u32_e32 v3, vcc_lo, s15, v3, vcc_lo
	s_mov_b32 s7, 0
	s_mov_b32 s14, exec_lo
                                        ; implicit-def: $vgpr40
	s_delay_alu instid0(VALU_DEP_1)
	v_cmpx_gt_u64_e64 v[2:3], v[0:1]
	s_cbranch_execz .LBB141_409
; %bb.398:                              ;   in Loop: Header=BB141_31 Depth=1
	v_dual_mov_b32 v8, v0 :: v_dual_mov_b32 v7, v1
	v_mov_b32_e32 v6, v0
	s_mov_b32 s15, 0
                                        ; implicit-def: $sgpr26
	s_set_inst_prefetch_distance 0x1
	s_branch .LBB141_400
	.p2align	6
.LBB141_399:                            ;   in Loop: Header=BB141_400 Depth=2
	s_or_b32 exec_lo, exec_lo, s7
	s_waitcnt lgkmcnt(0)
	s_barrier
	buffer_gl0_inv
	ds_load_u16 v9, v13 offset:3072
	v_add_co_u32 v6, vcc_lo, v6, s33
	v_add_co_ci_u32_e32 v7, vcc_lo, 0, v7, vcc_lo
	v_add_nc_u32_e32 v8, s33, v8
	s_waitcnt lgkmcnt(0)
	s_barrier
	s_delay_alu instid0(VALU_DEP_2) | instskip(SKIP_2) | instid1(VALU_DEP_1)
	v_cmp_ge_u64_e32 vcc_lo, v[6:7], v[2:3]
	buffer_gl0_inv
	v_and_b32_e32 v12, 0xff, v9
	v_cmp_ne_u16_e64 s7, 0, v12
	s_delay_alu instid0(VALU_DEP_1) | instskip(NEXT) | instid1(SALU_CYCLE_1)
	s_or_b32 s48, vcc_lo, s7
	s_and_b32 s48, exec_lo, s48
	s_delay_alu instid0(SALU_CYCLE_1) | instskip(SKIP_2) | instid1(SALU_CYCLE_1)
	s_or_b32 s15, s48, s15
	s_and_not1_b32 s26, s26, exec_lo
	s_and_b32 s7, s7, exec_lo
	s_or_b32 s26, s26, s7
	s_and_not1_b32 exec_lo, exec_lo, s15
	s_cbranch_execz .LBB141_408
.LBB141_400:                            ;   Parent Loop BB141_31 Depth=1
                                        ; =>  This Inner Loop Header: Depth=2
	s_delay_alu instid0(VALU_DEP_1)
	v_cmp_gt_u64_e32 vcc_lo, s[8:9], v[6:7]
	v_mov_b32_e32 v9, 0
	s_and_saveexec_b32 s7, vcc_lo
	s_cbranch_execz .LBB141_402
; %bb.401:                              ;   in Loop: Header=BB141_400 Depth=2
	ds_load_u8 v9, v8
.LBB141_402:                            ;   in Loop: Header=BB141_400 Depth=2
	s_or_b32 exec_lo, exec_lo, s7
	s_and_saveexec_b32 s7, vcc_lo
	s_cbranch_execz .LBB141_399
; %bb.403:                              ;   in Loop: Header=BB141_400 Depth=2
	s_waitcnt lgkmcnt(0)
	v_bfe_i32 v12, v9, 0, 8
	s_delay_alu instid0(VALU_DEP_1) | instskip(NEXT) | instid1(VALU_DEP_1)
	v_add_nc_u32_e32 v12, 0x80, v12
	v_and_b32_e32 v12, v12, v38
	s_delay_alu instid0(VALU_DEP_1)
	v_cmp_eq_u32_e32 vcc_lo, v12, v39
	s_and_b32 exec_lo, exec_lo, vcc_lo
	s_cbranch_execz .LBB141_399
; %bb.404:                              ;   in Loop: Header=BB141_400 Depth=2
	v_lshlrev_b16 v9, 8, v9
	s_delay_alu instid0(VALU_DEP_1)
	v_or_b32_e32 v9, 1, v9
	ds_store_b16 v13, v9 offset:3072
	s_branch .LBB141_399
.LBB141_405:                            ;   in Loop: Header=BB141_31 Depth=1
                                        ; implicit-def: $vgpr4_vgpr5
	s_branch .LBB141_350
.LBB141_406:                            ;   in Loop: Header=BB141_31 Depth=1
                                        ; implicit-def: $vgpr4_vgpr5
	s_branch .LBB141_366
.LBB141_407:                            ;   in Loop: Header=BB141_31 Depth=1
	s_mov_b32 s14, -1
	s_mov_b32 s7, 0
                                        ; implicit-def: $sgpr15
                                        ; implicit-def: $vgpr40
	s_mov_b32 s68, s14
	s_cbranch_execnz .LBB141_410
	s_branch .LBB141_423
.LBB141_408:                            ;   in Loop: Header=BB141_31 Depth=1
	s_set_inst_prefetch_distance 0x2
	s_or_b32 exec_lo, exec_lo, s15
	v_lshrrev_b16 v40, 8, v9
	s_and_b32 s7, s26, exec_lo
.LBB141_409:                            ;   in Loop: Header=BB141_31 Depth=1
	s_or_b32 exec_lo, exec_lo, s14
	s_mov_b32 s14, 0
	s_mov_b32 s15, -1
	s_mov_b32 s68, s14
	s_branch .LBB141_423
.LBB141_410:                            ;   in Loop: Header=BB141_31 Depth=1
	s_mov_b32 s26, s55
	s_delay_alu instid0(SALU_CYCLE_1)
	s_cmp_lg_u64 s[26:27], 0
	s_cbranch_scc0 .LBB141_443
; %bb.411:                              ;   in Loop: Header=BB141_31 Depth=1
	v_cvt_f32_u32_e32 v2, s33
	s_sub_u32 s9, 0, s33
	s_subb_u32 s14, 0, 0
	s_delay_alu instid0(VALU_DEP_1) | instskip(NEXT) | instid1(VALU_DEP_1)
	v_fmac_f32_e64 v2, 0, 0x4f800000
	v_rcp_f32_e32 v2, v2
	s_waitcnt_depctr 0xfff
	v_mul_f32_e32 v2, 0x5f7ffffc, v2
	s_delay_alu instid0(VALU_DEP_1) | instskip(NEXT) | instid1(VALU_DEP_1)
	v_mul_f32_e32 v3, 0x2f800000, v2
	v_trunc_f32_e32 v3, v3
	s_delay_alu instid0(VALU_DEP_1) | instskip(SKIP_1) | instid1(VALU_DEP_2)
	v_fmac_f32_e32 v2, 0xcf800000, v3
	v_cvt_u32_f32_e32 v3, v3
	v_cvt_u32_f32_e32 v2, v2
	s_delay_alu instid0(VALU_DEP_2) | instskip(NEXT) | instid1(VALU_DEP_2)
	v_readfirstlane_b32 s7, v3
	v_readfirstlane_b32 s8, v2
	s_delay_alu instid0(VALU_DEP_2) | instskip(NEXT) | instid1(VALU_DEP_1)
	s_mul_i32 s15, s9, s7
	s_mul_hi_u32 s48, s9, s8
	s_mul_i32 s26, s14, s8
	s_add_i32 s15, s48, s15
	s_mul_i32 s49, s9, s8
	s_add_i32 s15, s15, s26
	s_mul_hi_u32 s48, s8, s49
	s_mul_hi_u32 s68, s7, s49
	s_mul_i32 s26, s7, s49
	s_mul_hi_u32 s49, s8, s15
	s_mul_i32 s8, s8, s15
	s_mul_hi_u32 s71, s7, s15
	s_add_u32 s8, s48, s8
	s_addc_u32 s48, 0, s49
	s_add_u32 s8, s8, s26
	s_mul_i32 s15, s7, s15
	s_addc_u32 s8, s48, s68
	s_addc_u32 s26, s71, 0
	s_add_u32 s8, s8, s15
	s_addc_u32 s15, 0, s26
	v_add_co_u32 v2, s8, v2, s8
	s_delay_alu instid0(VALU_DEP_1) | instskip(SKIP_1) | instid1(VALU_DEP_1)
	s_cmp_lg_u32 s8, 0
	s_addc_u32 s7, s7, s15
	v_readfirstlane_b32 s8, v2
	s_mul_i32 s15, s9, s7
	s_delay_alu instid0(VALU_DEP_1)
	s_mul_hi_u32 s26, s9, s8
	s_mul_i32 s14, s14, s8
	s_add_i32 s15, s26, s15
	s_mul_i32 s9, s9, s8
	s_add_i32 s15, s15, s14
	s_mul_hi_u32 s26, s7, s9
	s_mul_i32 s48, s7, s9
	s_mul_hi_u32 s9, s8, s9
	s_mul_hi_u32 s49, s8, s15
	s_mul_i32 s8, s8, s15
	s_mul_hi_u32 s14, s7, s15
	s_add_u32 s8, s9, s8
	s_addc_u32 s9, 0, s49
	s_add_u32 s8, s8, s48
	s_mul_i32 s15, s7, s15
	s_addc_u32 s8, s9, s26
	s_addc_u32 s9, s14, 0
	s_add_u32 s8, s8, s15
	s_addc_u32 s9, 0, s9
	v_add_co_u32 v2, s8, v2, s8
	s_delay_alu instid0(VALU_DEP_1) | instskip(SKIP_1) | instid1(VALU_DEP_1)
	s_cmp_lg_u32 s8, 0
	s_addc_u32 s7, s7, s9
	v_readfirstlane_b32 s8, v2
	s_mul_i32 s14, s83, s7
	s_mul_hi_u32 s9, s83, s7
	s_mul_hi_u32 s15, s27, s7
	s_mul_i32 s7, s27, s7
	s_mul_hi_u32 s26, s83, s8
	s_mul_hi_u32 s48, s27, s8
	s_mul_i32 s8, s27, s8
	s_add_u32 s14, s26, s14
	s_addc_u32 s9, 0, s9
	s_add_u32 s8, s14, s8
	s_addc_u32 s8, s9, s48
	s_addc_u32 s9, s15, 0
	s_add_u32 s7, s8, s7
	s_addc_u32 s8, 0, s9
	s_mul_hi_u32 s9, s33, s7
	s_mul_i32 s7, s33, s7
	s_mul_i32 s8, s33, s8
	v_sub_co_u32 v2, s7, s83, s7
	s_add_i32 s9, s9, s8
	s_cmp_lg_u32 s7, 0
	s_delay_alu instid0(VALU_DEP_1) | instskip(SKIP_2) | instid1(VALU_DEP_1)
	v_sub_co_u32 v3, s7, v2, s33
	s_subb_u32 s8, s27, s9
	s_cmp_lg_u32 s7, 0
	v_cmp_le_u32_e32 vcc_lo, s33, v3
	v_sub_co_u32 v6, s7, v3, s33
	s_subb_u32 s9, s8, 0
	s_cmp_lg_u32 s7, 0
	v_cndmask_b32_e64 v7, 0, -1, vcc_lo
	s_subb_u32 s7, s9, 0
	s_cmp_eq_u32 s9, 0
	v_mov_b32_e32 v9, s7
	s_cselect_b32 vcc_lo, -1, 0
	s_cmp_eq_u32 s8, 0
	v_cndmask_b32_e32 v7, -1, v7, vcc_lo
	v_cmp_le_u32_e32 vcc_lo, s33, v2
	s_cselect_b32 s7, -1, 0
	v_cndmask_b32_e64 v8, 0, -1, vcc_lo
	s_delay_alu instid0(VALU_DEP_3) | instskip(NEXT) | instid1(VALU_DEP_2)
	v_cmp_ne_u32_e32 vcc_lo, 0, v7
	v_cndmask_b32_e64 v7, -1, v8, s7
	v_cndmask_b32_e32 v8, s9, v9, vcc_lo
	v_cndmask_b32_e32 v6, v3, v6, vcc_lo
	s_delay_alu instid0(VALU_DEP_3) | instskip(NEXT) | instid1(VALU_DEP_3)
	v_cmp_ne_u32_e32 vcc_lo, 0, v7
	v_cndmask_b32_e32 v3, s8, v8, vcc_lo
	s_delay_alu instid0(VALU_DEP_3)
	v_cndmask_b32_e32 v2, v2, v6, vcc_lo
	s_cbranch_execnz .LBB141_413
.LBB141_412:                            ;   in Loop: Header=BB141_31 Depth=1
	v_cvt_f32_u32_e32 v2, s33
	s_sub_i32 s7, 0, s33
	s_delay_alu instid0(VALU_DEP_1) | instskip(SKIP_2) | instid1(VALU_DEP_1)
	v_rcp_iflag_f32_e32 v2, v2
	s_waitcnt_depctr 0xfff
	v_mul_f32_e32 v2, 0x4f7ffffe, v2
	v_cvt_u32_f32_e32 v2, v2
	s_delay_alu instid0(VALU_DEP_1) | instskip(NEXT) | instid1(VALU_DEP_1)
	v_mul_lo_u32 v3, s7, v2
	v_mul_hi_u32 v3, v2, v3
	s_delay_alu instid0(VALU_DEP_1) | instskip(NEXT) | instid1(VALU_DEP_1)
	v_add_nc_u32_e32 v2, v2, v3
	v_mul_hi_u32 v2, s83, v2
	s_delay_alu instid0(VALU_DEP_1) | instskip(NEXT) | instid1(VALU_DEP_1)
	v_mul_lo_u32 v2, v2, s33
	v_sub_nc_u32_e32 v2, s83, v2
	s_delay_alu instid0(VALU_DEP_1) | instskip(SKIP_1) | instid1(VALU_DEP_2)
	v_subrev_nc_u32_e32 v3, s33, v2
	v_cmp_le_u32_e32 vcc_lo, s33, v2
	v_cndmask_b32_e32 v2, v2, v3, vcc_lo
	s_delay_alu instid0(VALU_DEP_1) | instskip(SKIP_1) | instid1(VALU_DEP_2)
	v_subrev_nc_u32_e32 v3, s33, v2
	v_cmp_le_u32_e32 vcc_lo, s33, v2
	v_cndmask_b32_e32 v12, v2, v3, vcc_lo
	s_delay_alu instid0(VALU_DEP_1)
	v_dual_mov_b32 v2, v12 :: v_dual_mov_b32 v3, v13
.LBB141_413:                            ;   in Loop: Header=BB141_31 Depth=1
	s_delay_alu instid0(VALU_DEP_1) | instskip(NEXT) | instid1(VALU_DEP_2)
	v_sub_co_u32 v2, vcc_lo, s83, v2
	v_sub_co_ci_u32_e32 v3, vcc_lo, s27, v3, vcc_lo
	s_mov_b32 s7, 0
	s_mov_b32 s8, exec_lo
                                        ; implicit-def: $vgpr40
	s_delay_alu instid0(VALU_DEP_1)
	v_cmpx_gt_u64_e64 v[2:3], v[0:1]
	s_cbranch_execz .LBB141_422
; %bb.414:                              ;   in Loop: Header=BB141_31 Depth=1
	v_dual_mov_b32 v6, v23 :: v_dual_mov_b32 v7, v24
	v_dual_mov_b32 v9, v1 :: v_dual_mov_b32 v8, v0
	s_mov_b32 s9, 0
                                        ; implicit-def: $sgpr14
	s_set_inst_prefetch_distance 0x1
	s_branch .LBB141_416
	.p2align	6
.LBB141_415:                            ;   in Loop: Header=BB141_416 Depth=2
	s_or_b32 exec_lo, exec_lo, s7
	s_waitcnt vmcnt(0) lgkmcnt(0)
	s_barrier
	buffer_gl0_inv
	ds_load_u16 v12, v13 offset:3072
	v_add_co_u32 v8, vcc_lo, v8, s33
	v_add_co_ci_u32_e32 v9, vcc_lo, 0, v9, vcc_lo
	s_waitcnt lgkmcnt(0)
	s_barrier
	buffer_gl0_inv
	v_cmp_ge_u64_e32 vcc_lo, v[8:9], v[2:3]
	v_and_b32_e32 v25, 0xff, v12
	s_delay_alu instid0(VALU_DEP_1) | instskip(NEXT) | instid1(VALU_DEP_1)
	v_cmp_ne_u16_e64 s7, 0, v25
	s_or_b32 s15, vcc_lo, s7
	v_add_co_u32 v6, vcc_lo, v6, s75
	s_and_b32 s15, exec_lo, s15
	v_add_co_ci_u32_e32 v7, vcc_lo, s74, v7, vcc_lo
	s_or_b32 s9, s15, s9
	s_and_not1_b32 s14, s14, exec_lo
	s_and_b32 s7, s7, exec_lo
	s_delay_alu instid0(SALU_CYCLE_1)
	s_or_b32 s14, s14, s7
	s_and_not1_b32 exec_lo, exec_lo, s9
	s_cbranch_execz .LBB141_421
.LBB141_416:                            ;   Parent Loop BB141_31 Depth=1
                                        ; =>  This Inner Loop Header: Depth=2
	s_delay_alu instid0(VALU_DEP_1)
	v_cmp_gt_u64_e32 vcc_lo, s[36:37], v[8:9]
	v_mov_b32_e32 v12, 0
	s_and_saveexec_b32 s7, vcc_lo
	s_cbranch_execz .LBB141_418
; %bb.417:                              ;   in Loop: Header=BB141_416 Depth=2
	global_load_u8 v12, v[6:7], off
.LBB141_418:                            ;   in Loop: Header=BB141_416 Depth=2
	s_or_b32 exec_lo, exec_lo, s7
	s_and_saveexec_b32 s7, vcc_lo
	s_cbranch_execz .LBB141_415
; %bb.419:                              ;   in Loop: Header=BB141_416 Depth=2
	s_waitcnt vmcnt(0)
	v_bfe_i32 v25, v12, 0, 8
	s_delay_alu instid0(VALU_DEP_1) | instskip(NEXT) | instid1(VALU_DEP_1)
	v_add_nc_u32_e32 v25, 0x80, v25
	v_and_b32_e32 v25, v25, v38
	s_delay_alu instid0(VALU_DEP_1)
	v_cmp_eq_u32_e32 vcc_lo, v25, v39
	s_and_b32 exec_lo, exec_lo, vcc_lo
	s_cbranch_execz .LBB141_415
; %bb.420:                              ;   in Loop: Header=BB141_416 Depth=2
	v_lshlrev_b16 v12, 8, v12
	s_delay_alu instid0(VALU_DEP_1)
	v_or_b32_e32 v12, 1, v12
	ds_store_b16 v13, v12 offset:3072
	s_branch .LBB141_415
.LBB141_421:                            ;   in Loop: Header=BB141_31 Depth=1
	s_set_inst_prefetch_distance 0x2
	s_or_b32 exec_lo, exec_lo, s9
	v_lshrrev_b16 v40, 8, v12
	s_and_b32 s7, s14, exec_lo
.LBB141_422:                            ;   in Loop: Header=BB141_31 Depth=1
	s_or_b32 exec_lo, exec_lo, s8
	s_mov_b32 s15, 0
	s_mov_b32 s14, -1
	s_mov_b32 s68, 0
.LBB141_423:                            ;   in Loop: Header=BB141_31 Depth=1
	s_or_not1_b32 s7, s7, exec_lo
.LBB141_424:                            ;   in Loop: Header=BB141_31 Depth=1
	s_or_b32 exec_lo, exec_lo, s69
	s_mov_b32 s26, 0
                                        ; implicit-def: $vgpr6
	s_and_saveexec_b32 s69, s7
	s_cbranch_execz .LBB141_489
; %bb.425:                              ;   in Loop: Header=BB141_31 Depth=1
	v_mov_b32_e32 v2, 1
	v_dual_mov_b32 v3, 0 :: v_dual_mov_b32 v6, 1
	s_xor_b32 s8, s70, -1
	s_delay_alu instid0(SALU_CYCLE_1)
	s_and_saveexec_b32 s7, s8
	s_cbranch_execz .LBB141_435
; %bb.426:                              ;   in Loop: Header=BB141_31 Depth=1
	s_mov_b32 s9, exec_lo
                                        ; implicit-def: $sgpr26
                                        ; implicit-def: $sgpr8
	v_cmpx_ge_u64_e64 s[12:13], v[4:5]
	s_xor_b32 s9, exec_lo, s9
	s_cbranch_execz .LBB141_432
; %bb.427:                              ;   in Loop: Header=BB141_31 Depth=1
	ds_load_b64 v[2:3], v13 offset:5120
	s_waitcnt lgkmcnt(0)
	v_cmp_ne_u64_e32 vcc_lo, 0, v[2:3]
	s_cbranch_vccnz .LBB141_431
; %bb.428:                              ;   in Loop: Header=BB141_31 Depth=1
	s_and_saveexec_b32 s8, s5
	s_cbranch_execz .LBB141_430
; %bb.429:                              ;   in Loop: Header=BB141_31 Depth=1
	v_dual_mov_b32 v2, s12 :: v_dual_mov_b32 v3, s13
	ds_store_b64 v13, v[2:3] offset:5128
.LBB141_430:                            ;   in Loop: Header=BB141_31 Depth=1
	s_or_b32 exec_lo, exec_lo, s8
	s_waitcnt lgkmcnt(0)
	s_barrier
	buffer_gl0_inv
.LBB141_431:                            ;   in Loop: Header=BB141_31 Depth=1
	s_lshl_b32 s8, 1, s22
	v_or_b32_e32 v38, s20, v38
	v_and_or_b32 v39, v39, s21, s8
	s_mov_b32 s8, 0
	s_mov_b32 s26, 5
.LBB141_432:                            ;   in Loop: Header=BB141_31 Depth=1
	s_or_saveexec_b32 s9, s9
	v_mov_b32_e32 v6, s26
	s_xor_b32 exec_lo, exec_lo, s9
; %bb.433:                              ;   in Loop: Header=BB141_31 Depth=1
	v_sub_co_u32 v4, vcc_lo, v4, s12
	v_subrev_co_ci_u32_e32 v5, vcc_lo, s13, v5, vcc_lo
	v_mov_b32_e32 v6, 0
	s_or_b32 s8, s8, exec_lo
; %bb.434:                              ;   in Loop: Header=BB141_31 Depth=1
	s_or_b32 exec_lo, exec_lo, s9
	s_delay_alu instid0(VALU_DEP_2)
	v_dual_mov_b32 v2, v4 :: v_dual_mov_b32 v3, v5
	s_and_b32 s26, s8, exec_lo
.LBB141_435:                            ;   in Loop: Header=BB141_31 Depth=1
	s_or_b32 exec_lo, exec_lo, s7
	s_mov_b32 s12, -1
                                        ; implicit-def: $sgpr7
                                        ; implicit-def: $sgpr8
                                        ; implicit-def: $sgpr9
	s_and_saveexec_b32 s22, s26
	s_cbranch_execz .LBB141_488
; %bb.436:                              ;   in Loop: Header=BB141_31 Depth=1
	v_cmp_eq_u64_e32 vcc_lo, 1, v[2:3]
	s_cmp_eq_u64 s[10:11], 1
	s_mov_b32 s13, -1
	s_cselect_b32 s7, -1, 0
                                        ; implicit-def: $sgpr8
                                        ; implicit-def: $sgpr9
	s_delay_alu instid0(SALU_CYCLE_1) | instskip(NEXT) | instid1(SALU_CYCLE_1)
	s_and_b32 s70, s7, vcc_lo
                                        ; implicit-def: $sgpr7
	s_and_saveexec_b32 s71, s70
	s_cbranch_execz .LBB141_475
; %bb.437:                              ;   in Loop: Header=BB141_31 Depth=1
	ds_load_b64 v[4:5], v13 offset:5120
	s_waitcnt lgkmcnt(0)
	s_barrier
	buffer_gl0_inv
	v_readfirstlane_b32 s8, v4
	v_readfirstlane_b32 s9, v5
	s_and_saveexec_b32 s7, s6
	s_cbranch_execz .LBB141_439
; %bb.438:                              ;   in Loop: Header=BB141_31 Depth=1
	ds_store_b8 v0, v13 offset:3072
.LBB141_439:                            ;   in Loop: Header=BB141_31 Depth=1
	s_or_b32 exec_lo, exec_lo, s7
	v_and_b32_e32 v39, s21, v39
	v_or_b32_e32 v38, s20, v38
	s_cmp_eq_u64 s[8:9], 0
	s_waitcnt lgkmcnt(0)
	s_barrier
	buffer_gl0_inv
	s_cbranch_scc1 .LBB141_444
; %bb.440:                              ;   in Loop: Header=BB141_31 Depth=1
	s_add_u32 s26, s81, s8
	s_addc_u32 s13, s82, s9
	s_mov_b32 s12, s55
	s_delay_alu instid0(SALU_CYCLE_1)
	s_cmp_lg_u64 s[12:13], 0
	s_cbranch_scc0 .LBB141_445
; %bb.441:                              ;   in Loop: Header=BB141_31 Depth=1
	v_cvt_f32_u32_e32 v4, s33
	s_sub_u32 s48, 0, s33
	s_subb_u32 s49, 0, 0
	s_delay_alu instid0(VALU_DEP_1) | instskip(NEXT) | instid1(VALU_DEP_1)
	v_fmac_f32_e64 v4, 0, 0x4f800000
	v_rcp_f32_e32 v4, v4
	s_waitcnt_depctr 0xfff
	v_mul_f32_e32 v4, 0x5f7ffffc, v4
	s_delay_alu instid0(VALU_DEP_1) | instskip(NEXT) | instid1(VALU_DEP_1)
	v_mul_f32_e32 v5, 0x2f800000, v4
	v_trunc_f32_e32 v5, v5
	s_delay_alu instid0(VALU_DEP_1) | instskip(SKIP_1) | instid1(VALU_DEP_2)
	v_fmac_f32_e32 v4, 0xcf800000, v5
	v_cvt_u32_f32_e32 v5, v5
	v_cvt_u32_f32_e32 v4, v4
	s_delay_alu instid0(VALU_DEP_2) | instskip(NEXT) | instid1(VALU_DEP_2)
	v_readfirstlane_b32 s7, v5
	v_readfirstlane_b32 s12, v4
	s_delay_alu instid0(VALU_DEP_2) | instskip(NEXT) | instid1(VALU_DEP_1)
	s_mul_i32 s72, s48, s7
	s_mul_hi_u32 s102, s48, s12
	s_mul_i32 s73, s49, s12
	s_add_i32 s72, s102, s72
	s_mul_i32 s103, s48, s12
	s_add_i32 s72, s72, s73
	s_mul_hi_u32 s102, s12, s103
	s_mul_hi_u32 s104, s7, s103
	s_mul_i32 s73, s7, s103
	s_mul_hi_u32 s103, s12, s72
	s_mul_i32 s12, s12, s72
	s_mul_hi_u32 vcc_lo, s7, s72
	s_add_u32 s12, s102, s12
	s_addc_u32 s102, 0, s103
	s_add_u32 s12, s12, s73
	s_mul_i32 s72, s7, s72
	s_addc_u32 s12, s102, s104
	s_addc_u32 s73, vcc_lo, 0
	s_add_u32 s12, s12, s72
	s_addc_u32 s72, 0, s73
	v_add_co_u32 v4, s12, v4, s12
	s_delay_alu instid0(VALU_DEP_1) | instskip(SKIP_1) | instid1(VALU_DEP_1)
	s_cmp_lg_u32 s12, 0
	s_addc_u32 s7, s7, s72
	v_readfirstlane_b32 s12, v4
	s_mul_i32 s72, s48, s7
	s_delay_alu instid0(VALU_DEP_1)
	s_mul_hi_u32 s73, s48, s12
	s_mul_i32 s49, s49, s12
	s_add_i32 s72, s73, s72
	s_mul_i32 s48, s48, s12
	s_add_i32 s72, s72, s49
	s_mul_hi_u32 s73, s7, s48
	s_mul_i32 s102, s7, s48
	s_mul_hi_u32 s48, s12, s48
	s_mul_hi_u32 s103, s12, s72
	s_mul_i32 s12, s12, s72
	s_mul_hi_u32 s49, s7, s72
	s_add_u32 s12, s48, s12
	s_addc_u32 s48, 0, s103
	s_add_u32 s12, s12, s102
	s_mul_i32 s72, s7, s72
	s_addc_u32 s12, s48, s73
	s_addc_u32 s48, s49, 0
	s_add_u32 s12, s12, s72
	s_addc_u32 s48, 0, s48
	v_add_co_u32 v4, s12, v4, s12
	s_delay_alu instid0(VALU_DEP_1) | instskip(SKIP_1) | instid1(VALU_DEP_1)
	s_cmp_lg_u32 s12, 0
	s_addc_u32 s7, s7, s48
	v_readfirstlane_b32 s12, v4
	s_mul_i32 s49, s26, s7
	s_mul_hi_u32 s48, s26, s7
	s_mul_hi_u32 s72, s13, s7
	s_mul_i32 s7, s13, s7
	s_mul_hi_u32 s73, s26, s12
	s_mul_hi_u32 s102, s13, s12
	s_mul_i32 s12, s13, s12
	s_add_u32 s49, s73, s49
	s_addc_u32 s48, 0, s48
	s_add_u32 s12, s49, s12
	s_addc_u32 s12, s48, s102
	s_addc_u32 s48, s72, 0
	s_add_u32 s7, s12, s7
	s_addc_u32 s12, 0, s48
	s_mul_hi_u32 s48, s33, s7
	s_mul_i32 s7, s33, s7
	s_mul_i32 s12, s33, s12
	v_sub_co_u32 v4, s7, s26, s7
	s_add_i32 s48, s48, s12
	s_cmp_lg_u32 s7, 0
	s_delay_alu instid0(VALU_DEP_1) | instskip(SKIP_3) | instid1(VALU_DEP_2)
	v_sub_co_u32 v5, s7, v4, s33
	s_subb_u32 s12, s13, s48
	s_cmp_lg_u32 s7, 0
	v_cmp_le_u32_e32 vcc_lo, s33, v4
	v_cmp_le_u32_e64 s7, s33, v5
	v_sub_co_u32 v6, s48, v5, s33
	s_subb_u32 s49, s12, 0
	s_cmp_lg_u32 s48, 0
	s_delay_alu instid0(VALU_DEP_2)
	v_cndmask_b32_e64 v7, 0, -1, s7
	s_subb_u32 s48, s49, 0
	s_cmp_eq_u32 s49, 0
	v_mov_b32_e32 v9, s48
	v_cndmask_b32_e64 v8, 0, -1, vcc_lo
	s_cselect_b32 vcc_lo, -1, 0
	s_cmp_eq_u32 s12, 0
	v_cndmask_b32_e32 v7, -1, v7, vcc_lo
	s_cselect_b32 vcc_lo, -1, 0
	v_cndmask_b32_e32 v8, -1, v8, vcc_lo
	s_delay_alu instid0(VALU_DEP_2) | instskip(NEXT) | instid1(VALU_DEP_2)
	v_cmp_ne_u32_e32 vcc_lo, 0, v7
	v_cmp_ne_u32_e64 s7, 0, v8
	v_cndmask_b32_e32 v7, s49, v9, vcc_lo
	v_cndmask_b32_e32 v6, v5, v6, vcc_lo
	s_delay_alu instid0(VALU_DEP_2) | instskip(NEXT) | instid1(VALU_DEP_2)
	v_cndmask_b32_e64 v5, s12, v7, s7
	v_cndmask_b32_e64 v4, v4, v6, s7
	s_mov_b32 s7, 0
	s_branch .LBB141_446
.LBB141_442:                            ;   in Loop: Header=BB141_31 Depth=1
                                        ; implicit-def: $vgpr2_vgpr3
	s_branch .LBB141_396
.LBB141_443:                            ;   in Loop: Header=BB141_31 Depth=1
                                        ; implicit-def: $vgpr2_vgpr3
	s_branch .LBB141_412
.LBB141_444:                            ;   in Loop: Header=BB141_31 Depth=1
	s_mov_b32 s7, -1
	s_mov_b32 s13, 0
                                        ; implicit-def: $sgpr8
                                        ; implicit-def: $vgpr40
	s_branch .LBB141_458
.LBB141_445:                            ;   in Loop: Header=BB141_31 Depth=1
	s_mov_b32 s7, -1
                                        ; implicit-def: $vgpr4_vgpr5
.LBB141_446:                            ;   in Loop: Header=BB141_31 Depth=1
	s_delay_alu instid0(SALU_CYCLE_1)
	s_and_not1_b32 vcc_lo, exec_lo, s7
	s_cbranch_vccnz .LBB141_448
; %bb.447:                              ;   in Loop: Header=BB141_31 Depth=1
	v_cvt_f32_u32_e32 v4, s33
	s_sub_i32 s7, 0, s33
	s_delay_alu instid0(VALU_DEP_1) | instskip(SKIP_2) | instid1(VALU_DEP_1)
	v_rcp_iflag_f32_e32 v4, v4
	s_waitcnt_depctr 0xfff
	v_mul_f32_e32 v4, 0x4f7ffffe, v4
	v_cvt_u32_f32_e32 v4, v4
	s_delay_alu instid0(VALU_DEP_1) | instskip(NEXT) | instid1(VALU_DEP_1)
	v_mul_lo_u32 v5, s7, v4
	v_mul_hi_u32 v5, v4, v5
	s_delay_alu instid0(VALU_DEP_1) | instskip(NEXT) | instid1(VALU_DEP_1)
	v_add_nc_u32_e32 v4, v4, v5
	v_mul_hi_u32 v4, s26, v4
	s_delay_alu instid0(VALU_DEP_1) | instskip(NEXT) | instid1(VALU_DEP_1)
	v_mul_lo_u32 v4, v4, s33
	v_sub_nc_u32_e32 v4, s26, v4
	s_delay_alu instid0(VALU_DEP_1) | instskip(SKIP_1) | instid1(VALU_DEP_2)
	v_subrev_nc_u32_e32 v5, s33, v4
	v_cmp_le_u32_e32 vcc_lo, s33, v4
	v_cndmask_b32_e32 v4, v4, v5, vcc_lo
	s_delay_alu instid0(VALU_DEP_1) | instskip(SKIP_1) | instid1(VALU_DEP_2)
	v_subrev_nc_u32_e32 v5, s33, v4
	v_cmp_le_u32_e32 vcc_lo, s33, v4
	v_cndmask_b32_e32 v12, v4, v5, vcc_lo
	s_delay_alu instid0(VALU_DEP_1)
	v_dual_mov_b32 v4, v12 :: v_dual_mov_b32 v5, v13
.LBB141_448:                            ;   in Loop: Header=BB141_31 Depth=1
	s_delay_alu instid0(VALU_DEP_1) | instskip(NEXT) | instid1(VALU_DEP_2)
	v_sub_co_u32 v4, vcc_lo, s26, v4
	v_sub_co_ci_u32_e32 v5, vcc_lo, s13, v5, vcc_lo
	s_mov_b32 s13, 0
	s_mov_b32 s12, exec_lo
                                        ; implicit-def: $vgpr40
	s_delay_alu instid0(VALU_DEP_1)
	v_cmpx_gt_u64_e64 v[4:5], v[0:1]
	s_cbranch_execz .LBB141_457
; %bb.449:                              ;   in Loop: Header=BB141_31 Depth=1
	v_dual_mov_b32 v8, v0 :: v_dual_mov_b32 v7, v1
	v_mov_b32_e32 v6, v0
                                        ; implicit-def: $sgpr26
	s_set_inst_prefetch_distance 0x1
	s_branch .LBB141_451
	.p2align	6
.LBB141_450:                            ;   in Loop: Header=BB141_451 Depth=2
	s_or_b32 exec_lo, exec_lo, s7
	s_waitcnt lgkmcnt(0)
	s_barrier
	buffer_gl0_inv
	ds_load_u16 v9, v13 offset:3072
	v_add_co_u32 v6, vcc_lo, v6, s33
	v_add_co_ci_u32_e32 v7, vcc_lo, 0, v7, vcc_lo
	v_add_nc_u32_e32 v8, s33, v8
	s_waitcnt lgkmcnt(0)
	s_barrier
	s_delay_alu instid0(VALU_DEP_2) | instskip(SKIP_2) | instid1(VALU_DEP_1)
	v_cmp_ge_u64_e32 vcc_lo, v[6:7], v[4:5]
	buffer_gl0_inv
	v_and_b32_e32 v12, 0xff, v9
	v_cmp_ne_u16_e64 s7, 0, v12
	s_delay_alu instid0(VALU_DEP_1) | instskip(NEXT) | instid1(SALU_CYCLE_1)
	s_or_b32 s48, vcc_lo, s7
	s_and_b32 s48, exec_lo, s48
	s_delay_alu instid0(SALU_CYCLE_1) | instskip(SKIP_2) | instid1(SALU_CYCLE_1)
	s_or_b32 s13, s48, s13
	s_and_not1_b32 s26, s26, exec_lo
	s_and_b32 s7, s7, exec_lo
	s_or_b32 s26, s26, s7
	s_and_not1_b32 exec_lo, exec_lo, s13
	s_cbranch_execz .LBB141_456
.LBB141_451:                            ;   Parent Loop BB141_31 Depth=1
                                        ; =>  This Inner Loop Header: Depth=2
	s_delay_alu instid0(VALU_DEP_1)
	v_cmp_gt_u64_e32 vcc_lo, s[8:9], v[6:7]
	v_mov_b32_e32 v9, 0
	s_and_saveexec_b32 s7, vcc_lo
	s_cbranch_execz .LBB141_453
; %bb.452:                              ;   in Loop: Header=BB141_451 Depth=2
	ds_load_u8 v9, v8
.LBB141_453:                            ;   in Loop: Header=BB141_451 Depth=2
	s_or_b32 exec_lo, exec_lo, s7
	s_and_saveexec_b32 s7, vcc_lo
	s_cbranch_execz .LBB141_450
; %bb.454:                              ;   in Loop: Header=BB141_451 Depth=2
	s_waitcnt lgkmcnt(0)
	v_bfe_i32 v12, v9, 0, 8
	s_delay_alu instid0(VALU_DEP_1) | instskip(NEXT) | instid1(VALU_DEP_1)
	v_add_nc_u32_e32 v12, 0x80, v12
	v_and_b32_e32 v12, v12, v38
	s_delay_alu instid0(VALU_DEP_1)
	v_cmp_eq_u32_e32 vcc_lo, v12, v39
	s_and_b32 exec_lo, exec_lo, vcc_lo
	s_cbranch_execz .LBB141_450
; %bb.455:                              ;   in Loop: Header=BB141_451 Depth=2
	v_lshlrev_b16 v9, 8, v9
	s_delay_alu instid0(VALU_DEP_1)
	v_or_b32_e32 v9, 1, v9
	ds_store_b16 v13, v9 offset:3072
	s_branch .LBB141_450
.LBB141_456:                            ;   in Loop: Header=BB141_31 Depth=1
	s_set_inst_prefetch_distance 0x2
	s_or_b32 exec_lo, exec_lo, s13
	v_lshrrev_b16 v40, 8, v9
	s_and_b32 s13, s26, exec_lo
.LBB141_457:                            ;   in Loop: Header=BB141_31 Depth=1
	s_or_b32 exec_lo, exec_lo, s12
	s_mov_b32 s7, 0
	s_mov_b32 s8, -1
.LBB141_458:                            ;   in Loop: Header=BB141_31 Depth=1
	s_and_b32 vcc_lo, exec_lo, s7
	s_mov_b32 s9, s7
	s_cbranch_vccz .LBB141_474
; %bb.459:                              ;   in Loop: Header=BB141_31 Depth=1
	s_mov_b32 s26, s55
	s_delay_alu instid0(SALU_CYCLE_1)
	s_cmp_lg_u64 s[26:27], 0
	s_cbranch_scc0 .LBB141_461
; %bb.460:                              ;   in Loop: Header=BB141_31 Depth=1
	v_cvt_f32_u32_e32 v4, s33
	s_sub_u32 s9, 0, s33
	s_subb_u32 s12, 0, 0
	s_delay_alu instid0(VALU_DEP_1) | instskip(NEXT) | instid1(VALU_DEP_1)
	v_fmac_f32_e64 v4, 0, 0x4f800000
	v_rcp_f32_e32 v4, v4
	s_waitcnt_depctr 0xfff
	v_mul_f32_e32 v4, 0x5f7ffffc, v4
	s_delay_alu instid0(VALU_DEP_1) | instskip(NEXT) | instid1(VALU_DEP_1)
	v_mul_f32_e32 v5, 0x2f800000, v4
	v_trunc_f32_e32 v5, v5
	s_delay_alu instid0(VALU_DEP_1) | instskip(SKIP_1) | instid1(VALU_DEP_2)
	v_fmac_f32_e32 v4, 0xcf800000, v5
	v_cvt_u32_f32_e32 v5, v5
	v_cvt_u32_f32_e32 v4, v4
	s_delay_alu instid0(VALU_DEP_2) | instskip(NEXT) | instid1(VALU_DEP_2)
	v_readfirstlane_b32 s7, v5
	v_readfirstlane_b32 s8, v4
	s_delay_alu instid0(VALU_DEP_2) | instskip(NEXT) | instid1(VALU_DEP_1)
	s_mul_i32 s13, s9, s7
	s_mul_hi_u32 s48, s9, s8
	s_mul_i32 s26, s12, s8
	s_add_i32 s13, s48, s13
	s_mul_i32 s49, s9, s8
	s_add_i32 s13, s13, s26
	s_mul_hi_u32 s48, s8, s49
	s_mul_hi_u32 s72, s7, s49
	s_mul_i32 s26, s7, s49
	s_mul_hi_u32 s49, s8, s13
	s_mul_i32 s8, s8, s13
	s_mul_hi_u32 s73, s7, s13
	s_add_u32 s8, s48, s8
	s_addc_u32 s48, 0, s49
	s_add_u32 s8, s8, s26
	s_mul_i32 s13, s7, s13
	s_addc_u32 s8, s48, s72
	s_addc_u32 s26, s73, 0
	s_add_u32 s8, s8, s13
	s_addc_u32 s13, 0, s26
	v_add_co_u32 v4, s8, v4, s8
	s_delay_alu instid0(VALU_DEP_1) | instskip(SKIP_1) | instid1(VALU_DEP_1)
	s_cmp_lg_u32 s8, 0
	s_addc_u32 s7, s7, s13
	v_readfirstlane_b32 s8, v4
	s_mul_i32 s13, s9, s7
	s_delay_alu instid0(VALU_DEP_1)
	s_mul_hi_u32 s26, s9, s8
	s_mul_i32 s12, s12, s8
	s_add_i32 s13, s26, s13
	s_mul_i32 s9, s9, s8
	s_add_i32 s13, s13, s12
	s_mul_hi_u32 s26, s7, s9
	s_mul_i32 s48, s7, s9
	s_mul_hi_u32 s9, s8, s9
	s_mul_hi_u32 s49, s8, s13
	s_mul_i32 s8, s8, s13
	s_mul_hi_u32 s12, s7, s13
	s_add_u32 s8, s9, s8
	s_addc_u32 s9, 0, s49
	s_add_u32 s8, s8, s48
	s_mul_i32 s13, s7, s13
	s_addc_u32 s8, s9, s26
	s_addc_u32 s9, s12, 0
	s_add_u32 s8, s8, s13
	s_addc_u32 s9, 0, s9
	v_add_co_u32 v4, s8, v4, s8
	s_delay_alu instid0(VALU_DEP_1) | instskip(SKIP_1) | instid1(VALU_DEP_1)
	s_cmp_lg_u32 s8, 0
	s_addc_u32 s7, s7, s9
	v_readfirstlane_b32 s8, v4
	s_mul_i32 s12, s83, s7
	s_mul_hi_u32 s9, s83, s7
	s_mul_hi_u32 s13, s27, s7
	s_mul_i32 s7, s27, s7
	s_mul_hi_u32 s26, s83, s8
	s_mul_hi_u32 s48, s27, s8
	s_mul_i32 s8, s27, s8
	s_add_u32 s12, s26, s12
	s_addc_u32 s9, 0, s9
	s_add_u32 s8, s12, s8
	s_addc_u32 s8, s9, s48
	s_addc_u32 s9, s13, 0
	s_add_u32 s7, s8, s7
	s_addc_u32 s8, 0, s9
	s_mul_hi_u32 s9, s33, s7
	s_mul_i32 s7, s33, s7
	s_mul_i32 s8, s33, s8
	v_sub_co_u32 v4, s7, s83, s7
	s_add_i32 s9, s9, s8
	s_cmp_lg_u32 s7, 0
	s_delay_alu instid0(VALU_DEP_1) | instskip(SKIP_2) | instid1(VALU_DEP_1)
	v_sub_co_u32 v5, s7, v4, s33
	s_subb_u32 s8, s27, s9
	s_cmp_lg_u32 s7, 0
	v_cmp_le_u32_e32 vcc_lo, s33, v5
	v_sub_co_u32 v6, s7, v5, s33
	s_subb_u32 s9, s8, 0
	s_cmp_lg_u32 s7, 0
	v_cndmask_b32_e64 v7, 0, -1, vcc_lo
	s_subb_u32 s7, s9, 0
	s_cmp_eq_u32 s9, 0
	v_mov_b32_e32 v9, s7
	s_cselect_b32 vcc_lo, -1, 0
	s_cmp_eq_u32 s8, 0
	v_cndmask_b32_e32 v7, -1, v7, vcc_lo
	v_cmp_le_u32_e32 vcc_lo, s33, v4
	s_cselect_b32 s7, -1, 0
	v_cndmask_b32_e64 v8, 0, -1, vcc_lo
	s_delay_alu instid0(VALU_DEP_3) | instskip(NEXT) | instid1(VALU_DEP_2)
	v_cmp_ne_u32_e32 vcc_lo, 0, v7
	v_cndmask_b32_e64 v7, -1, v8, s7
	v_cndmask_b32_e32 v8, s9, v9, vcc_lo
	v_cndmask_b32_e32 v6, v5, v6, vcc_lo
	s_mov_b32 s7, 0
	s_delay_alu instid0(VALU_DEP_3) | instskip(NEXT) | instid1(VALU_DEP_3)
	v_cmp_ne_u32_e32 vcc_lo, 0, v7
	v_cndmask_b32_e32 v5, s8, v8, vcc_lo
	s_delay_alu instid0(VALU_DEP_3)
	v_cndmask_b32_e32 v4, v4, v6, vcc_lo
	s_branch .LBB141_462
.LBB141_461:                            ;   in Loop: Header=BB141_31 Depth=1
	s_mov_b32 s7, -1
                                        ; implicit-def: $vgpr4_vgpr5
.LBB141_462:                            ;   in Loop: Header=BB141_31 Depth=1
	s_delay_alu instid0(SALU_CYCLE_1)
	s_and_not1_b32 vcc_lo, exec_lo, s7
	s_cbranch_vccnz .LBB141_464
; %bb.463:                              ;   in Loop: Header=BB141_31 Depth=1
	v_cvt_f32_u32_e32 v4, s33
	s_sub_i32 s7, 0, s33
	s_delay_alu instid0(VALU_DEP_1) | instskip(SKIP_2) | instid1(VALU_DEP_1)
	v_rcp_iflag_f32_e32 v4, v4
	s_waitcnt_depctr 0xfff
	v_mul_f32_e32 v4, 0x4f7ffffe, v4
	v_cvt_u32_f32_e32 v4, v4
	s_delay_alu instid0(VALU_DEP_1) | instskip(NEXT) | instid1(VALU_DEP_1)
	v_mul_lo_u32 v5, s7, v4
	v_mul_hi_u32 v5, v4, v5
	s_delay_alu instid0(VALU_DEP_1) | instskip(NEXT) | instid1(VALU_DEP_1)
	v_add_nc_u32_e32 v4, v4, v5
	v_mul_hi_u32 v4, s83, v4
	s_delay_alu instid0(VALU_DEP_1) | instskip(NEXT) | instid1(VALU_DEP_1)
	v_mul_lo_u32 v4, v4, s33
	v_sub_nc_u32_e32 v4, s83, v4
	s_delay_alu instid0(VALU_DEP_1) | instskip(SKIP_1) | instid1(VALU_DEP_2)
	v_subrev_nc_u32_e32 v5, s33, v4
	v_cmp_le_u32_e32 vcc_lo, s33, v4
	v_cndmask_b32_e32 v4, v4, v5, vcc_lo
	s_delay_alu instid0(VALU_DEP_1) | instskip(SKIP_1) | instid1(VALU_DEP_2)
	v_subrev_nc_u32_e32 v5, s33, v4
	v_cmp_le_u32_e32 vcc_lo, s33, v4
	v_cndmask_b32_e32 v12, v4, v5, vcc_lo
	s_delay_alu instid0(VALU_DEP_1)
	v_dual_mov_b32 v4, v12 :: v_dual_mov_b32 v5, v13
.LBB141_464:                            ;   in Loop: Header=BB141_31 Depth=1
	s_delay_alu instid0(VALU_DEP_1) | instskip(NEXT) | instid1(VALU_DEP_2)
	v_sub_co_u32 v4, vcc_lo, s83, v4
	v_sub_co_ci_u32_e32 v5, vcc_lo, s27, v5, vcc_lo
	s_mov_b32 s13, 0
	s_mov_b32 s8, exec_lo
                                        ; implicit-def: $vgpr40
	s_delay_alu instid0(VALU_DEP_1)
	v_cmpx_gt_u64_e64 v[4:5], v[0:1]
	s_cbranch_execz .LBB141_473
; %bb.465:                              ;   in Loop: Header=BB141_31 Depth=1
	v_dual_mov_b32 v6, v23 :: v_dual_mov_b32 v7, v24
	v_dual_mov_b32 v9, v1 :: v_dual_mov_b32 v8, v0
	s_mov_b32 s9, 0
                                        ; implicit-def: $sgpr12
	s_set_inst_prefetch_distance 0x1
	s_branch .LBB141_467
	.p2align	6
.LBB141_466:                            ;   in Loop: Header=BB141_467 Depth=2
	s_or_b32 exec_lo, exec_lo, s7
	s_waitcnt vmcnt(0) lgkmcnt(0)
	s_barrier
	buffer_gl0_inv
	ds_load_u16 v12, v13 offset:3072
	v_add_co_u32 v8, vcc_lo, v8, s33
	v_add_co_ci_u32_e32 v9, vcc_lo, 0, v9, vcc_lo
	s_waitcnt lgkmcnt(0)
	s_barrier
	buffer_gl0_inv
	v_cmp_ge_u64_e32 vcc_lo, v[8:9], v[4:5]
	v_and_b32_e32 v25, 0xff, v12
	s_delay_alu instid0(VALU_DEP_1) | instskip(NEXT) | instid1(VALU_DEP_1)
	v_cmp_ne_u16_e64 s7, 0, v25
	s_or_b32 s13, vcc_lo, s7
	v_add_co_u32 v6, vcc_lo, v6, s75
	s_and_b32 s13, exec_lo, s13
	v_add_co_ci_u32_e32 v7, vcc_lo, s74, v7, vcc_lo
	s_or_b32 s9, s13, s9
	s_and_not1_b32 s12, s12, exec_lo
	s_and_b32 s7, s7, exec_lo
	s_delay_alu instid0(SALU_CYCLE_1)
	s_or_b32 s12, s12, s7
	s_and_not1_b32 exec_lo, exec_lo, s9
	s_cbranch_execz .LBB141_472
.LBB141_467:                            ;   Parent Loop BB141_31 Depth=1
                                        ; =>  This Inner Loop Header: Depth=2
	s_delay_alu instid0(VALU_DEP_1)
	v_cmp_gt_u64_e32 vcc_lo, s[36:37], v[8:9]
	v_mov_b32_e32 v12, 0
	s_and_saveexec_b32 s7, vcc_lo
	s_cbranch_execz .LBB141_469
; %bb.468:                              ;   in Loop: Header=BB141_467 Depth=2
	global_load_u8 v12, v[6:7], off
.LBB141_469:                            ;   in Loop: Header=BB141_467 Depth=2
	s_or_b32 exec_lo, exec_lo, s7
	s_and_saveexec_b32 s7, vcc_lo
	s_cbranch_execz .LBB141_466
; %bb.470:                              ;   in Loop: Header=BB141_467 Depth=2
	s_waitcnt vmcnt(0)
	v_bfe_i32 v25, v12, 0, 8
	s_delay_alu instid0(VALU_DEP_1) | instskip(NEXT) | instid1(VALU_DEP_1)
	v_add_nc_u32_e32 v25, 0x80, v25
	v_and_b32_e32 v25, v25, v38
	s_delay_alu instid0(VALU_DEP_1)
	v_cmp_eq_u32_e32 vcc_lo, v25, v39
	s_and_b32 exec_lo, exec_lo, vcc_lo
	s_cbranch_execz .LBB141_466
; %bb.471:                              ;   in Loop: Header=BB141_467 Depth=2
	v_lshlrev_b16 v12, 8, v12
	s_delay_alu instid0(VALU_DEP_1)
	v_or_b32_e32 v12, 1, v12
	ds_store_b16 v13, v12 offset:3072
	s_branch .LBB141_466
.LBB141_472:                            ;   in Loop: Header=BB141_31 Depth=1
	s_set_inst_prefetch_distance 0x2
	s_or_b32 exec_lo, exec_lo, s9
	v_lshrrev_b16 v40, 8, v12
	s_and_b32 s13, s12, exec_lo
.LBB141_473:                            ;   in Loop: Header=BB141_31 Depth=1
	s_or_b32 exec_lo, exec_lo, s8
	s_mov_b32 s8, 0
	s_mov_b32 s7, -1
	s_mov_b32 s9, 0
.LBB141_474:                            ;   in Loop: Header=BB141_31 Depth=1
	s_or_not1_b32 s13, s13, exec_lo
.LBB141_475:                            ;   in Loop: Header=BB141_31 Depth=1
	s_or_b32 exec_lo, exec_lo, s71
	s_mov_b32 s26, 0
                                        ; implicit-def: $vgpr6
                                        ; implicit-def: $vgpr4_vgpr5
	s_and_saveexec_b32 s12, s13
	s_cbranch_execz .LBB141_487
; %bb.476:                              ;   in Loop: Header=BB141_31 Depth=1
	v_mov_b32_e32 v4, 1
	v_dual_mov_b32 v5, 0 :: v_dual_mov_b32 v6, 1
	s_xor_b32 s26, s70, -1
	s_delay_alu instid0(SALU_CYCLE_1)
	s_and_saveexec_b32 s13, s26
	s_cbranch_execz .LBB141_486
; %bb.477:                              ;   in Loop: Header=BB141_31 Depth=1
	s_mov_b32 s26, exec_lo
                                        ; implicit-def: $sgpr48
	v_cmpx_ge_u64_e64 s[10:11], v[2:3]
	s_xor_b32 s26, exec_lo, s26
	s_cbranch_execz .LBB141_483
; %bb.478:                              ;   in Loop: Header=BB141_31 Depth=1
	ds_load_b64 v[4:5], v13 offset:5120
	s_waitcnt lgkmcnt(0)
	v_cmp_ne_u64_e32 vcc_lo, 0, v[4:5]
	s_cbranch_vccnz .LBB141_482
; %bb.479:                              ;   in Loop: Header=BB141_31 Depth=1
	s_and_saveexec_b32 s48, s5
	s_cbranch_execz .LBB141_481
; %bb.480:                              ;   in Loop: Header=BB141_31 Depth=1
	v_dual_mov_b32 v4, s10 :: v_dual_mov_b32 v5, s11
	ds_store_b64 v13, v[4:5] offset:5128
.LBB141_481:                            ;   in Loop: Header=BB141_31 Depth=1
	s_or_b32 exec_lo, exec_lo, s48
	s_waitcnt lgkmcnt(0)
	s_barrier
	buffer_gl0_inv
.LBB141_482:                            ;   in Loop: Header=BB141_31 Depth=1
	v_and_b32_e32 v39, s21, v39
	v_or_b32_e32 v38, s20, v38
	s_mov_b32 s48, 5
.LBB141_483:                            ;   in Loop: Header=BB141_31 Depth=1
	s_or_saveexec_b32 s20, s26
	v_mov_b32_e32 v6, s48
	s_xor_b32 exec_lo, exec_lo, s20
; %bb.484:                              ;   in Loop: Header=BB141_31 Depth=1
	v_sub_co_u32 v2, vcc_lo, v2, s10
	v_subrev_co_ci_u32_e32 v3, vcc_lo, s11, v3, vcc_lo
	v_mov_b32_e32 v6, 5
; %bb.485:                              ;   in Loop: Header=BB141_31 Depth=1
	s_or_b32 exec_lo, exec_lo, s20
	s_delay_alu instid0(VALU_DEP_2)
	v_dual_mov_b32 v5, v3 :: v_dual_mov_b32 v4, v2
.LBB141_486:                            ;   in Loop: Header=BB141_31 Depth=1
	s_or_b32 exec_lo, exec_lo, s13
	s_delay_alu instid0(SALU_CYCLE_1)
	s_mov_b32 s26, exec_lo
.LBB141_487:                            ;   in Loop: Header=BB141_31 Depth=1
	s_or_b32 exec_lo, exec_lo, s12
	s_delay_alu instid0(VALU_DEP_1)
	v_dual_mov_b32 v2, v4 :: v_dual_mov_b32 v3, v5
	s_or_not1_b32 s12, s26, exec_lo
.LBB141_488:                            ;   in Loop: Header=BB141_31 Depth=1
	s_or_b32 exec_lo, exec_lo, s22
	s_delay_alu instid0(SALU_CYCLE_1)
	s_and_not1_b32 s10, s14, exec_lo
	s_and_b32 s7, s7, exec_lo
	s_and_b32 s8, s8, exec_lo
	s_or_b32 s14, s10, s7
	s_and_not1_b32 s7, s15, exec_lo
	s_and_not1_b32 s10, s68, exec_lo
	s_and_b32 s9, s9, exec_lo
	v_dual_mov_b32 v5, v3 :: v_dual_mov_b32 v4, v2
	s_or_b32 s15, s7, s8
	s_or_b32 s68, s10, s9
	s_and_b32 s26, s12, exec_lo
.LBB141_489:                            ;   in Loop: Header=BB141_31 Depth=1
	s_or_b32 exec_lo, exec_lo, s69
	s_delay_alu instid0(SALU_CYCLE_1)
	s_and_b32 s14, s14, exec_lo
	s_and_b32 s9, s15, exec_lo
	;; [unrolled: 1-line block ×3, first 2 shown]
	s_or_not1_b32 s7, s26, exec_lo
.LBB141_490:                            ;   in Loop: Header=BB141_31 Depth=1
	s_or_b32 exec_lo, exec_lo, s67
	s_delay_alu instid0(SALU_CYCLE_1)
	s_and_not1_b32 s10, s16, exec_lo
	s_and_b32 s11, s14, exec_lo
	s_and_b32 s9, s9, exec_lo
	s_or_b32 s16, s10, s11
	s_and_not1_b32 s10, s17, exec_lo
	s_and_not1_b32 s11, s65, exec_lo
	s_and_b32 s8, s8, exec_lo
	v_dual_mov_b32 v2, v4 :: v_dual_mov_b32 v3, v5
	s_or_b32 s17, s10, s9
	s_or_b32 s65, s11, s8
	s_and_b32 s26, s7, exec_lo
.LBB141_491:                            ;   in Loop: Header=BB141_31 Depth=1
	s_or_b32 exec_lo, exec_lo, s66
	s_delay_alu instid0(SALU_CYCLE_1)
	s_and_b32 s16, s16, exec_lo
	s_and_b32 s9, s17, exec_lo
	;; [unrolled: 1-line block ×3, first 2 shown]
	s_or_not1_b32 s17, s26, exec_lo
.LBB141_492:                            ;   in Loop: Header=BB141_31 Depth=1
	s_or_b32 exec_lo, exec_lo, s64
	s_mov_b32 s7, s25
	s_mov_b32 s10, s24
	s_and_saveexec_b32 s11, s17
; %bb.493:                              ;   in Loop: Header=BB141_31 Depth=1
	v_cmp_eq_u32_e32 vcc_lo, 5, v6
	v_cmp_ne_u32_e64 s7, 5, v6
	s_and_not1_b32 s10, s24, exec_lo
	s_and_not1_b32 s12, s25, exec_lo
	;; [unrolled: 1-line block ×3, first 2 shown]
	s_and_b32 s13, vcc_lo, exec_lo
	s_and_b32 s7, s7, exec_lo
	s_and_not1_b32 s9, s9, exec_lo
	s_and_not1_b32 s8, s8, exec_lo
	s_or_b32 s10, s10, s7
	s_or_b32 s7, s12, s13
; %bb.494:                              ;   in Loop: Header=BB141_31 Depth=1
	s_or_b32 exec_lo, exec_lo, s11
	s_delay_alu instid0(SALU_CYCLE_1)
	s_and_not1_b32 s11, s18, exec_lo
	s_and_b32 s12, s16, exec_lo
	s_and_b32 s9, s9, exec_lo
	s_or_b32 s18, s11, s12
	s_and_not1_b32 s11, s19, exec_lo
	s_and_not1_b32 s12, s23, exec_lo
	s_and_b32 s8, s8, exec_lo
	v_dual_mov_b32 v27, v39 :: v_dual_mov_b32 v28, v38
	v_mov_b32_e32 v29, v40
	s_or_b32 s19, s11, s9
	s_or_b32 s23, s12, s8
	s_and_not1_b32 s8, s24, exec_lo
	s_and_b32 s9, s10, exec_lo
	s_and_not1_b32 s10, s25, exec_lo
	s_and_b32 s7, s7, exec_lo
	s_or_b32 s24, s8, s9
	s_or_b32 s25, s10, s7
.LBB141_495:                            ;   in Loop: Header=BB141_31 Depth=1
	s_or_b32 exec_lo, exec_lo, s54
	s_mov_b32 s64, s23
	s_mov_b32 s54, s23
	s_and_saveexec_b32 s7, s25
.LBB141_496:                            ;   in Loop: Header=BB141_31 Depth=1
	v_mov_b32_e32 v6, 0
	s_and_not1_b32 s23, s23, exec_lo
	s_and_not1_b32 s18, s18, exec_lo
	;; [unrolled: 1-line block ×5, first 2 shown]
	s_or_b32 s24, s24, exec_lo
.LBB141_497:                            ;   in Loop: Header=BB141_31 Depth=1
	s_or_b32 exec_lo, exec_lo, s7
	s_delay_alu instid0(SALU_CYCLE_1)
	s_and_not1_b32 s7, s101, exec_lo
	s_and_b32 s9, s23, exec_lo
	s_and_not1_b32 s10, s98, exec_lo
	s_or_b32 s101, s7, s9
	s_and_not1_b32 s7, s100, exec_lo
	s_and_b32 s9, s18, exec_lo
	s_and_b32 s11, s19, exec_lo
	s_or_b32 s100, s7, s9
	s_or_b32 s98, s10, s11
	s_and_not1_b32 s7, s99, exec_lo
	s_and_b32 s9, s64, exec_lo
	s_and_not1_b32 s10, s97, exec_lo
	s_and_b32 s11, s54, exec_lo
	s_mov_b32 s8, -1
	s_or_b32 s99, s7, s9
	s_or_b32 s97, s10, s11
                                        ; implicit-def: $vgpr38
                                        ; implicit-def: $vgpr39
                                        ; implicit-def: $vgpr25_vgpr26
                                        ; implicit-def: $vgpr40
	s_and_saveexec_b32 s7, s24
	s_delay_alu instid0(SALU_CYCLE_1)
	s_xor_b32 s7, exec_lo, s7
	s_cbranch_execz .LBB141_30
; %bb.498:                              ;   in Loop: Header=BB141_31 Depth=1
	s_mov_b32 s9, -1
	s_mov_b32 s10, exec_lo
	v_cmpx_eq_u32_e32 0, v6
	s_cbranch_execz .LBB141_29
; %bb.499:                              ;   in Loop: Header=BB141_31 Depth=1
	s_xor_b32 s92, s92, 1
	s_add_i32 s11, s89, -2
	s_cmp_eq_u32 s89, 0
	s_mov_b32 s89, s11
	s_cselect_b32 s8, -1, 0
	s_xor_b32 s9, exec_lo, -1
	s_or_not1_b32 s8, s8, exec_lo
	s_branch .LBB141_29
.LBB141_500:
	s_or_b32 exec_lo, exec_lo, s90
	s_xor_b32 s7, s96, -1
	s_xor_b32 s9, s94, -1
	;; [unrolled: 1-line block ×5, first 2 shown]
	s_mov_b32 s8, 0
	s_and_saveexec_b32 s12, s11
	s_delay_alu instid0(SALU_CYCLE_1)
	s_xor_b32 s14, exec_lo, s12
	s_cbranch_execz .LBB141_557
; %bb.501:
	s_and_saveexec_b32 s11, s10
	s_delay_alu instid0(SALU_CYCLE_1)
	s_xor_b32 s15, exec_lo, s11
	s_cbranch_execz .LBB141_555
; %bb.502:
	;; [unrolled: 5-line block ×4, first 2 shown]
	s_and_saveexec_b32 s7, s6
	s_delay_alu instid0(SALU_CYCLE_1)
	s_xor_b32 s6, exec_lo, s7
; %bb.505:
	v_xor_b32_e32 v29, 0xffffff80, v27
; %bb.506:
	s_or_b32 exec_lo, exec_lo, s6
	s_and_saveexec_b32 s6, s5
	s_cbranch_execz .LBB141_508
; %bb.507:
	v_mov_b32_e32 v2, 0
	s_delay_alu instid0(VALU_DEP_1)
	v_mov_b32_e32 v3, v2
	ds_store_b64 v2, v[2:3] offset:5136
.LBB141_508:
	s_or_b32 exec_lo, exec_lo, s6
	v_mov_b32_e32 v17, 0
	s_waitcnt lgkmcnt(0)
	s_barrier
	buffer_gl0_inv
	s_and_saveexec_b32 s5, s3
	s_cbranch_execz .LBB141_510
; %bb.509:
	global_load_u8 v17, v[10:11], off
.LBB141_510:
	s_or_b32 exec_lo, exec_lo, s5
	s_load_b64 s[18:19], s[0:1], 0x440
	v_readlane_b32 s12, v45, 0
	v_readlane_b32 s13, v45, 1
	s_add_u32 s5, s36, 31
	s_addc_u32 s7, s37, 0
	s_and_b32 s6, s5, 0xffffffe0
	s_mul_i32 s8, s12, s35
	s_mul_hi_u32 s9, s12, s34
	s_mul_i32 s12, s12, s34
	s_add_i32 s5, s9, s8
	s_mul_i32 s8, s13, s34
	v_add_nc_u32_e32 v16, s33, v0
	s_add_i32 s5, s5, s8
	s_mov_b32 s20, exec_lo
	s_waitcnt lgkmcnt(0)
	s_mul_i32 s9, s18, s47
	s_mul_hi_u32 s10, s18, s46
	s_mul_i32 s18, s18, s46
	s_add_i32 s8, s10, s9
	s_mul_i32 s9, s19, s46
	s_delay_alu instid0(SALU_CYCLE_1)
	s_add_i32 s19, s8, s9
	s_clause 0x1
	s_load_b64 s[8:9], s[0:1], 0x368
	s_load_b64 s[10:11], s[0:1], 0x510
	v_readlane_b32 s0, v45, 2
	v_readlane_b32 s1, v45, 3
	s_delay_alu instid0(VALU_DEP_2) | instskip(NEXT) | instid1(VALU_DEP_1)
	s_add_u32 s0, s0, s12
	s_addc_u32 s1, s1, s5
	s_add_u32 s12, s0, s28
	s_addc_u32 s13, s1, s29
	s_lshl_b64 s[0:1], s[18:19], 3
	v_readlane_b32 s18, v45, 4
	v_readlane_b32 s19, v45, 5
	s_delay_alu instid0(VALU_DEP_2) | instskip(NEXT) | instid1(VALU_DEP_1)
	s_add_u32 s0, s18, s0
	s_addc_u32 s5, s19, s1
	s_lshl_b64 s[18:19], s[40:41], 3
	s_delay_alu instid0(SALU_CYCLE_1)
	s_add_u32 s1, s0, s18
	s_addc_u32 s5, s5, s19
	s_mov_b32 s0, -1
	s_mov_b32 s19, 0
	s_mov_b32 s18, 0
	v_cmpx_gt_u64_e64 s[6:7], v[0:1]
	s_cbranch_execz .LBB141_526
; %bb.511:
	s_add_u32 s22, s44, s76
	s_addc_u32 s23, s45, s77
	v_dual_mov_b32 v13, v1 :: v_dual_mov_b32 v12, v0
	v_mad_u64_u32 v[2:3], null, s30, v16, s[22:23]
                                        ; implicit-def: $sgpr21
                                        ; implicit-def: $vgpr8_vgpr9
	s_delay_alu instid0(VALU_DEP_1) | instskip(SKIP_1) | instid1(VALU_DEP_1)
	v_mad_u64_u32 v[4:5], null, s31, v16, v[3:4]
	v_bfe_i32 v3, v29, 0, 8
	v_dual_mov_b32 v5, 0 :: v_dual_add_nc_u32 v18, 0x80, v3
	s_delay_alu instid0(VALU_DEP_3)
	v_mov_b32_e32 v3, v4
	s_branch .LBB141_513
.LBB141_512:                            ;   in Loop: Header=BB141_513 Depth=1
	s_or_b32 exec_lo, exec_lo, s22
	s_xor_b32 s22, s24, -1
	s_and_b32 s0, exec_lo, s0
	v_mov_b32_e32 v13, v7
	v_dual_mov_b32 v17, v19 :: v_dual_mov_b32 v12, v6
	s_or_b32 s18, s0, s18
	s_and_not1_b32 s0, s21, exec_lo
	s_and_b32 s21, s22, exec_lo
	s_delay_alu instid0(SALU_CYCLE_1)
	s_or_b32 s21, s0, s21
	s_and_not1_b32 exec_lo, exec_lo, s18
	s_cbranch_execz .LBB141_525
.LBB141_513:                            ; =>This Inner Loop Header: Depth=1
	v_add_co_u32 v6, vcc_lo, v12, s33
	v_add_co_ci_u32_e32 v7, vcc_lo, 0, v13, vcc_lo
	v_mov_b32_e32 v19, 0
	s_mov_b32 s0, exec_lo
	s_delay_alu instid0(VALU_DEP_2)
	v_cmpx_gt_u64_e64 s[36:37], v[6:7]
	s_cbranch_execz .LBB141_515
; %bb.514:                              ;   in Loop: Header=BB141_513 Depth=1
	global_load_u8 v19, v[2:3], off
.LBB141_515:                            ;   in Loop: Header=BB141_513 Depth=1
	s_or_b32 exec_lo, exec_lo, s0
	s_waitcnt vmcnt(0)
	v_bfe_i32 v4, v17, 0, 8
	s_delay_alu instid0(VALU_DEP_1) | instskip(NEXT) | instid1(VALU_DEP_1)
	v_add_nc_u32_e32 v4, 0x80, v4
	v_cmp_gt_u32_e32 vcc_lo, v4, v18
	v_cndmask_b32_e64 v14, 0, 1, vcc_lo
	v_cmp_lt_u32_e32 vcc_lo, v4, v18
	v_cndmask_b32_e64 v4, 0, 1, vcc_lo
	v_cmp_gt_u64_e32 vcc_lo, s[36:37], v[12:13]
	s_delay_alu instid0(VALU_DEP_2) | instskip(NEXT) | instid1(VALU_DEP_1)
	v_cndmask_b32_e64 v4, v4, v14, s4
	v_and_b32_e32 v4, 1, v4
	s_delay_alu instid0(VALU_DEP_1) | instskip(NEXT) | instid1(VALU_DEP_1)
	v_cmp_eq_u32_e64 s0, 1, v4
	s_and_b32 s22, vcc_lo, s0
	s_delay_alu instid0(SALU_CYCLE_1) | instskip(NEXT) | instid1(VALU_DEP_1)
	v_cndmask_b32_e64 v4, 0, 1, s22
	v_cmp_ne_u32_e32 vcc_lo, 0, v4
	s_cmp_lg_u32 vcc_lo, 0
	s_cselect_b32 s0, -1, 0
	s_delay_alu instid0(SALU_CYCLE_1) | instskip(NEXT) | instid1(SALU_CYCLE_1)
	s_and_b32 s0, s2, s0
	s_and_saveexec_b32 s23, s0
	s_cbranch_execz .LBB141_519
; %bb.516:                              ;   in Loop: Header=BB141_513 Depth=1
	s_mov_b32 s26, exec_lo
	s_bcnt1_i32_b32 s24, vcc_lo
	v_mbcnt_lo_u32_b32 v14, s26, 0
	s_mov_b32 s25, exec_lo
                                        ; implicit-def: $vgpr8_vgpr9
	s_delay_alu instid0(VALU_DEP_1)
	v_cmpx_eq_u32_e32 0, v14
	s_cbranch_execz .LBB141_518
; %bb.517:                              ;   in Loop: Header=BB141_513 Depth=1
	s_bcnt1_i32_b32 s0, s26
	s_delay_alu instid0(SALU_CYCLE_1) | instskip(NEXT) | instid1(SALU_CYCLE_1)
	s_mul_i32 s0, s24, s0
	v_mov_b32_e32 v4, s0
	s_waitcnt lgkmcnt(0)
	ds_add_rtn_u64 v[8:9], v5, v[4:5] offset:5136
.LBB141_518:                            ;   in Loop: Header=BB141_513 Depth=1
	s_or_b32 exec_lo, exec_lo, s25
	s_waitcnt lgkmcnt(0)
	v_readfirstlane_b32 s27, v9
	v_readfirstlane_b32 s26, v8
	s_delay_alu instid0(VALU_DEP_1)
	v_mad_u64_u32 v[8:9], null, s24, v14, s[26:27]
.LBB141_519:                            ;   in Loop: Header=BB141_513 Depth=1
	s_or_b32 exec_lo, exec_lo, s23
	s_waitcnt lgkmcnt(0)
	ds_bpermute_b32 v8, v5, v8
	ds_bpermute_b32 v9, v5, v9
	s_mov_b32 s0, -1
	s_mov_b32 s25, -1
                                        ; implicit-def: $sgpr24
	s_and_saveexec_b32 s23, s22
	s_cbranch_execz .LBB141_523
; %bb.520:                              ;   in Loop: Header=BB141_513 Depth=1
	v_and_b32_e32 v4, vcc_lo, v33
	s_mov_b32 s22, 0
	s_mov_b32 s24, exec_lo
	s_delay_alu instid0(VALU_DEP_1) | instskip(SKIP_1) | instid1(VALU_DEP_1)
	v_bcnt_u32_b32 v4, v4, 0
	s_waitcnt lgkmcnt(0)
	v_add_co_u32 v14, vcc_lo, v8, v4
	v_add_co_ci_u32_e32 v15, vcc_lo, 0, v9, vcc_lo
	s_delay_alu instid0(VALU_DEP_1)
	v_cmpx_gt_u64_e64 s[38:39], v[14:15]
	s_cbranch_execz .LBB141_522
; %bb.521:                              ;   in Loop: Header=BB141_513 Depth=1
	v_mul_lo_u32 v4, v15, s10
	v_mul_lo_u32 v24, v14, s11
	v_mad_u64_u32 v[20:21], null, v14, s10, 0
	v_mad_u64_u32 v[22:23], null, v14, s8, s[12:13]
	v_mul_lo_u32 v25, v14, s9
	s_mov_b32 s22, exec_lo
	s_delay_alu instid0(VALU_DEP_3) | instskip(SKIP_1) | instid1(VALU_DEP_2)
	v_add3_u32 v21, v21, v24, v4
	v_mul_lo_u32 v4, v15, s8
	v_lshlrev_b64 v[14:15], 3, v[20:21]
	s_delay_alu instid0(VALU_DEP_2) | instskip(NEXT) | instid1(VALU_DEP_2)
	v_add3_u32 v23, v4, v23, v25
	v_add_co_u32 v14, vcc_lo, s1, v14
	s_delay_alu instid0(VALU_DEP_3)
	v_add_co_ci_u32_e32 v15, vcc_lo, s5, v15, vcc_lo
	global_store_b8 v[22:23], v17, off
	global_store_b64 v[14:15], v[12:13], off
.LBB141_522:                            ;   in Loop: Header=BB141_513 Depth=1
	s_or_b32 exec_lo, exec_lo, s24
	s_mov_b32 s24, -1
	s_or_not1_b32 s25, s22, exec_lo
.LBB141_523:                            ;   in Loop: Header=BB141_513 Depth=1
	s_or_b32 exec_lo, exec_lo, s23
	s_and_saveexec_b32 s22, s25
	s_cbranch_execz .LBB141_512
; %bb.524:                              ;   in Loop: Header=BB141_513 Depth=1
	v_cmp_le_u64_e32 vcc_lo, s[6:7], v[6:7]
	v_add_co_u32 v2, s0, v2, s75
	s_delay_alu instid0(VALU_DEP_1)
	v_add_co_ci_u32_e64 v3, s0, s74, v3, s0
	s_and_not1_b32 s24, s24, exec_lo
	s_or_not1_b32 s0, vcc_lo, exec_lo
	s_branch .LBB141_512
.LBB141_525:
	s_or_b32 exec_lo, exec_lo, s18
	s_delay_alu instid0(SALU_CYCLE_1)
	s_mov_b32 s18, exec_lo
	s_or_not1_b32 s0, s21, exec_lo
.LBB141_526:
	s_or_b32 exec_lo, exec_lo, s20
	s_and_saveexec_b32 s4, s0
	s_cbranch_execz .LBB141_549
; %bb.527:
	v_mov_b32_e32 v3, 0
	v_mov_b32_e32 v13, 0
	s_waitcnt vmcnt(0) lgkmcnt(0)
	s_waitcnt_vscnt null, 0x0
	s_barrier
	buffer_gl0_inv
	s_and_saveexec_b32 s0, s3
	s_cbranch_execz .LBB141_529
; %bb.528:
	global_load_u8 v13, v[10:11], off
.LBB141_529:
	s_or_b32 exec_lo, exec_lo, s0
	s_add_u32 s20, s44, s76
	s_addc_u32 s21, s45, s77
	v_and_b32_e32 v12, 0xff, v29
	v_mad_u64_u32 v[4:5], null, s30, v16, s[20:21]
	s_mov_b32 s19, 0
                                        ; implicit-def: $sgpr3
                                        ; implicit-def: $sgpr20
                                        ; implicit-def: $sgpr21
	s_delay_alu instid0(VALU_DEP_1) | instskip(NEXT) | instid1(VALU_DEP_1)
	v_mov_b32_e32 v2, v5
	v_mad_u64_u32 v[5:6], null, s31, v16, v[2:3]
                                        ; implicit-def: $vgpr6_vgpr7
	s_branch .LBB141_532
.LBB141_530:                            ;   in Loop: Header=BB141_532 Depth=1
	s_or_b32 exec_lo, exec_lo, s24
	v_dual_mov_b32 v0, v8 :: v_dual_mov_b32 v1, v9
	s_and_not1_b32 s0, s21, exec_lo
	s_and_b32 s21, s26, exec_lo
	s_and_not1_b32 s20, s20, exec_lo
	s_and_b32 s23, s23, exec_lo
	s_or_b32 s21, s0, s21
	s_or_b32 s20, s20, s23
.LBB141_531:                            ;   in Loop: Header=BB141_532 Depth=1
	s_or_b32 exec_lo, exec_lo, s22
	s_xor_b32 s0, s21, -1
	s_and_b32 s22, exec_lo, s20
	s_delay_alu instid0(SALU_CYCLE_1) | instskip(SKIP_2) | instid1(SALU_CYCLE_1)
	s_or_b32 s19, s22, s19
	s_and_not1_b32 s3, s3, exec_lo
	s_and_b32 s0, s0, exec_lo
	s_or_b32 s3, s3, s0
	s_and_not1_b32 exec_lo, exec_lo, s19
	s_cbranch_execz .LBB141_547
.LBB141_532:                            ; =>This Inner Loop Header: Depth=1
	s_or_b32 s21, s21, exec_lo
	s_or_b32 s20, s20, exec_lo
	s_mov_b32 s22, exec_lo
	v_cmpx_gt_u64_e64 s[6:7], v[0:1]
	s_cbranch_execz .LBB141_531
; %bb.533:                              ;   in Loop: Header=BB141_532 Depth=1
	v_add_co_u32 v8, vcc_lo, v0, s33
	v_add_co_ci_u32_e32 v9, vcc_lo, 0, v1, vcc_lo
	v_mov_b32_e32 v14, 0
	s_mov_b32 s0, exec_lo
	s_delay_alu instid0(VALU_DEP_2)
	v_cmpx_gt_u64_e64 s[36:37], v[8:9]
	s_cbranch_execz .LBB141_535
; %bb.534:                              ;   in Loop: Header=BB141_532 Depth=1
	global_load_u8 v14, v[4:5], off
.LBB141_535:                            ;   in Loop: Header=BB141_532 Depth=1
	s_or_b32 exec_lo, exec_lo, s0
	s_waitcnt vmcnt(0)
	v_and_b32_e32 v2, 0xff, v13
	v_cmp_gt_u64_e32 vcc_lo, s[36:37], v[0:1]
	s_delay_alu instid0(VALU_DEP_2) | instskip(NEXT) | instid1(VALU_DEP_1)
	v_cmp_eq_u16_e64 s0, v2, v12
	s_and_b32 s24, vcc_lo, s0
	s_delay_alu instid0(SALU_CYCLE_1) | instskip(NEXT) | instid1(VALU_DEP_1)
	v_cndmask_b32_e64 v2, 0, 1, s24
	v_cmp_ne_u32_e32 vcc_lo, 0, v2
	s_cmp_lg_u32 vcc_lo, 0
	s_cselect_b32 s0, -1, 0
	s_delay_alu instid0(SALU_CYCLE_1) | instskip(NEXT) | instid1(SALU_CYCLE_1)
	s_and_b32 s0, s2, s0
	s_and_saveexec_b32 s23, s0
	s_cbranch_execz .LBB141_539
; %bb.536:                              ;   in Loop: Header=BB141_532 Depth=1
	s_mov_b32 s27, exec_lo
	s_bcnt1_i32_b32 s25, vcc_lo
	v_mbcnt_lo_u32_b32 v10, s27, 0
	s_mov_b32 s26, exec_lo
                                        ; implicit-def: $vgpr6_vgpr7
	s_delay_alu instid0(VALU_DEP_1)
	v_cmpx_eq_u32_e32 0, v10
	s_cbranch_execz .LBB141_538
; %bb.537:                              ;   in Loop: Header=BB141_532 Depth=1
	s_bcnt1_i32_b32 s0, s27
	s_delay_alu instid0(SALU_CYCLE_1) | instskip(NEXT) | instid1(SALU_CYCLE_1)
	s_mul_i32 s0, s25, s0
	v_mov_b32_e32 v2, s0
	ds_add_rtn_u64 v[6:7], v3, v[2:3] offset:5136
.LBB141_538:                            ;   in Loop: Header=BB141_532 Depth=1
	s_or_b32 exec_lo, exec_lo, s26
	s_waitcnt lgkmcnt(0)
	v_readfirstlane_b32 s27, v7
	v_readfirstlane_b32 s26, v6
	s_delay_alu instid0(VALU_DEP_1)
	v_mad_u64_u32 v[6:7], null, s25, v10, s[26:27]
.LBB141_539:                            ;   in Loop: Header=BB141_532 Depth=1
	s_or_b32 exec_lo, exec_lo, s23
	ds_bpermute_b32 v6, v3, v6
	ds_bpermute_b32 v7, v3, v7
	s_cmp_eq_u32 vcc_lo, 0
	s_mov_b32 s23, -1
	s_cselect_b32 s25, -1, 0
	s_mov_b32 s26, -1
	s_waitcnt lgkmcnt(0)
	v_cmp_gt_u64_e64 s0, s[38:39], v[6:7]
	s_delay_alu instid0(VALU_DEP_1) | instskip(SKIP_3) | instid1(SALU_CYCLE_1)
	s_or_b32 s0, s25, s0
	s_mov_b32 s25, -1
	v_cndmask_b32_e64 v13, v13, v14, s0
	s_and_b32 s27, s24, s0
	s_and_saveexec_b32 s24, s27
	s_cbranch_execz .LBB141_545
; %bb.540:                              ;   in Loop: Header=BB141_532 Depth=1
	v_and_b32_e32 v2, vcc_lo, v33
	v_sub_co_u32 v10, vcc_lo, s38, v6
	v_sub_co_ci_u32_e32 v11, vcc_lo, s39, v7, vcc_lo
	s_delay_alu instid0(VALU_DEP_3) | instskip(SKIP_2) | instid1(VALU_DEP_1)
	v_bcnt_u32_b32 v2, v2, 0
	s_mov_b32 s27, -1
	s_mov_b32 s26, exec_lo
	v_cmp_le_u64_e64 s25, v[10:11], v[2:3]
	v_cmpx_gt_u64_e64 v[10:11], v[2:3]
	s_cbranch_execz .LBB141_544
; %bb.541:                              ;   in Loop: Header=BB141_532 Depth=1
	v_add_co_u32 v10, vcc_lo, v6, v2
	v_add_co_ci_u32_e32 v11, vcc_lo, 0, v7, vcc_lo
	s_delay_alu instid0(VALU_DEP_4) | instskip(SKIP_1) | instid1(VALU_DEP_1)
	s_mov_b32 s28, s25
	s_mov_b32 s27, exec_lo
	v_cmpx_gt_u64_e64 s[38:39], v[10:11]
	s_cbranch_execz .LBB141_543
; %bb.542:                              ;   in Loop: Header=BB141_532 Depth=1
	v_mul_lo_u32 v2, v11, s10
	v_mul_lo_u32 v13, v10, s11
	v_mad_u64_u32 v[15:16], null, v10, s10, 0
	v_mad_u64_u32 v[17:18], null, v10, s8, s[12:13]
	v_mul_lo_u32 v19, v10, s9
	s_or_b32 s28, s25, exec_lo
	s_delay_alu instid0(VALU_DEP_3) | instskip(SKIP_1) | instid1(VALU_DEP_2)
	v_add3_u32 v16, v16, v13, v2
	v_mul_lo_u32 v2, v11, s8
	v_lshlrev_b64 v[10:11], 3, v[15:16]
	s_delay_alu instid0(VALU_DEP_2) | instskip(NEXT) | instid1(VALU_DEP_2)
	v_add3_u32 v18, v2, v18, v19
	v_add_co_u32 v10, vcc_lo, s1, v10
	s_delay_alu instid0(VALU_DEP_3)
	v_add_co_ci_u32_e32 v11, vcc_lo, s5, v11, vcc_lo
	global_store_b8 v[17:18], v29, off
	global_store_b64 v[10:11], v[0:1], off
.LBB141_543:                            ;   in Loop: Header=BB141_532 Depth=1
	s_or_b32 exec_lo, exec_lo, s27
	s_delay_alu instid0(SALU_CYCLE_1)
	s_and_not1_b32 s25, s25, exec_lo
	s_and_b32 s28, s28, exec_lo
	s_xor_b32 s27, exec_lo, -1
	s_or_b32 s25, s25, s28
.LBB141_544:                            ;   in Loop: Header=BB141_532 Depth=1
	s_or_b32 exec_lo, exec_lo, s26
	v_mov_b32_e32 v13, v14
	s_or_not1_b32 s26, s27, exec_lo
	s_or_b32 s0, s0, exec_lo
	s_or_not1_b32 s25, s25, exec_lo
.LBB141_545:                            ;   in Loop: Header=BB141_532 Depth=1
	s_or_b32 exec_lo, exec_lo, s24
	s_and_saveexec_b32 s24, s25
	s_cbranch_execz .LBB141_530
; %bb.546:                              ;   in Loop: Header=BB141_532 Depth=1
	v_add_co_u32 v4, vcc_lo, v4, s75
	v_add_co_ci_u32_e32 v5, vcc_lo, s74, v5, vcc_lo
	s_xor_b32 s0, s0, -1
	s_or_b32 s26, s26, exec_lo
	s_or_not1_b32 s23, s0, exec_lo
	s_branch .LBB141_530
.LBB141_547:
	s_or_b32 exec_lo, exec_lo, s19
	s_mov_b32 s0, 0
	s_and_saveexec_b32 s1, s3
	s_delay_alu instid0(SALU_CYCLE_1)
	s_xor_b32 s1, exec_lo, s1
	s_cbranch_execnz .LBB141_579
.LBB141_548:
	s_or_b32 exec_lo, exec_lo, s1
	s_delay_alu instid0(SALU_CYCLE_1)
	s_and_b32 s19, s0, exec_lo
	s_and_not1_b32 s18, s18, exec_lo
.LBB141_549:
	s_or_b32 exec_lo, exec_lo, s4
	s_and_saveexec_b32 s0, s18
	s_delay_alu instid0(SALU_CYCLE_1)
	s_xor_b32 s0, exec_lo, s0
	s_cbranch_execnz .LBB141_575
.LBB141_550:
	s_or_b32 exec_lo, exec_lo, s0
	s_waitcnt lgkmcnt(0)
	s_and_b32 s8, s19, exec_lo
.LBB141_551:
	s_and_not1_saveexec_b32 s0, s17
	s_cbranch_execnz .LBB141_571
.LBB141_552:
	s_or_b32 exec_lo, exec_lo, s0
	s_delay_alu instid0(SALU_CYCLE_1)
	s_and_b32 s8, s8, exec_lo
.LBB141_553:
	s_and_not1_saveexec_b32 s0, s16
	s_cbranch_execnz .LBB141_567
.LBB141_554:
	s_or_b32 exec_lo, exec_lo, s0
	s_delay_alu instid0(SALU_CYCLE_1)
	s_and_b32 s8, s8, exec_lo
.LBB141_555:
	s_and_not1_saveexec_b32 s0, s15
	s_cbranch_execnz .LBB141_563
.LBB141_556:
	s_or_b32 exec_lo, exec_lo, s0
	s_delay_alu instid0(SALU_CYCLE_1)
	s_and_b32 s8, s8, exec_lo
.LBB141_557:
	s_and_not1_saveexec_b32 s0, s14
	s_cbranch_execnz .LBB141_561
; %bb.558:
	s_or_b32 exec_lo, exec_lo, s0
	s_and_saveexec_b32 s0, s8
.LBB141_559:
	; divergent unreachable
.LBB141_560:
	s_nop 0
	s_sendmsg sendmsg(MSG_DEALLOC_VGPRS)
	s_endpgm
.LBB141_561:
	s_cbranch_execnz .LBB141_565
; %bb.562:
	s_or_b32 s8, s8, exec_lo
	s_or_b32 exec_lo, exec_lo, s0
	s_and_saveexec_b32 s0, s8
	s_cbranch_execnz .LBB141_559
	s_branch .LBB141_560
.LBB141_563:
	s_cbranch_execnz .LBB141_569
; %bb.564:
	s_or_b32 s8, s8, exec_lo
	s_branch .LBB141_556
.LBB141_565:
	s_trap 2
	s_sendmsg_rtn_b32 s0, sendmsg(MSG_RTN_GET_DOORBELL)
	s_mov_b32 ttmp2, m0
	s_waitcnt lgkmcnt(0)
	s_and_b32 s0, s0, 0x3ff
	s_delay_alu instid0(SALU_CYCLE_1) | instskip(NEXT) | instid1(SALU_CYCLE_1)
	s_bitset1_b32 s0, 10
	s_mov_b32 m0, s0
	s_sendmsg sendmsg(MSG_INTERRUPT)
	s_mov_b32 m0, ttmp2
.LBB141_566:                            ; =>This Inner Loop Header: Depth=1
	s_sethalt 5
	s_branch .LBB141_566
.LBB141_567:
	s_cbranch_execnz .LBB141_573
; %bb.568:
	s_or_b32 s8, s8, exec_lo
	s_branch .LBB141_554
.LBB141_569:
	s_trap 2
	s_sendmsg_rtn_b32 s0, sendmsg(MSG_RTN_GET_DOORBELL)
	s_mov_b32 ttmp2, m0
	s_waitcnt lgkmcnt(0)
	s_and_b32 s0, s0, 0x3ff
	s_delay_alu instid0(SALU_CYCLE_1) | instskip(NEXT) | instid1(SALU_CYCLE_1)
	s_bitset1_b32 s0, 10
	s_mov_b32 m0, s0
	s_sendmsg sendmsg(MSG_INTERRUPT)
	s_mov_b32 m0, ttmp2
.LBB141_570:                            ; =>This Inner Loop Header: Depth=1
	s_sethalt 5
	s_branch .LBB141_570
.LBB141_571:
	s_cbranch_execnz .LBB141_577
; %bb.572:
	s_or_b32 s8, s8, exec_lo
	s_branch .LBB141_552
.LBB141_573:
	s_trap 2
	s_sendmsg_rtn_b32 s0, sendmsg(MSG_RTN_GET_DOORBELL)
	s_mov_b32 ttmp2, m0
	s_waitcnt lgkmcnt(0)
	s_and_b32 s0, s0, 0x3ff
	s_delay_alu instid0(SALU_CYCLE_1) | instskip(NEXT) | instid1(SALU_CYCLE_1)
	s_bitset1_b32 s0, 10
	s_mov_b32 m0, s0
	s_sendmsg sendmsg(MSG_INTERRUPT)
	s_mov_b32 m0, ttmp2
.LBB141_574:                            ; =>This Inner Loop Header: Depth=1
	s_sethalt 5
	s_branch .LBB141_574
.LBB141_575:
	s_cbranch_execnz .LBB141_581
; %bb.576:
	s_or_b32 s19, s19, exec_lo
	s_branch .LBB141_550
.LBB141_577:
	s_trap 2
	s_sendmsg_rtn_b32 s0, sendmsg(MSG_RTN_GET_DOORBELL)
	s_mov_b32 ttmp2, m0
	s_waitcnt lgkmcnt(0)
	s_and_b32 s0, s0, 0x3ff
	s_delay_alu instid0(SALU_CYCLE_1) | instskip(NEXT) | instid1(SALU_CYCLE_1)
	s_bitset1_b32 s0, 10
	s_mov_b32 m0, s0
	s_sendmsg sendmsg(MSG_INTERRUPT)
	s_mov_b32 m0, ttmp2
.LBB141_578:                            ; =>This Inner Loop Header: Depth=1
	s_sethalt 5
	s_branch .LBB141_578
.LBB141_579:
	s_cbranch_execnz .LBB141_583
; %bb.580:
	s_mov_b32 s0, exec_lo
	s_branch .LBB141_548
.LBB141_581:
	s_trap 2
	s_sendmsg_rtn_b32 s0, sendmsg(MSG_RTN_GET_DOORBELL)
	s_mov_b32 ttmp2, m0
	s_waitcnt lgkmcnt(0)
	s_and_b32 s0, s0, 0x3ff
	s_delay_alu instid0(SALU_CYCLE_1) | instskip(NEXT) | instid1(SALU_CYCLE_1)
	s_bitset1_b32 s0, 10
	s_mov_b32 m0, s0
	s_sendmsg sendmsg(MSG_INTERRUPT)
	s_mov_b32 m0, ttmp2
.LBB141_582:                            ; =>This Inner Loop Header: Depth=1
	s_sethalt 5
	s_branch .LBB141_582
.LBB141_583:
	s_trap 2
	s_sendmsg_rtn_b32 s0, sendmsg(MSG_RTN_GET_DOORBELL)
	s_mov_b32 ttmp2, m0
	s_waitcnt lgkmcnt(0)
	s_and_b32 s0, s0, 0x3ff
	s_delay_alu instid0(SALU_CYCLE_1) | instskip(NEXT) | instid1(SALU_CYCLE_1)
	s_bitset1_b32 s0, 10
	s_mov_b32 m0, s0
	s_sendmsg sendmsg(MSG_INTERRUPT)
	s_mov_b32 m0, ttmp2
.LBB141_584:                            ; =>This Inner Loop Header: Depth=1
	s_sethalt 5
	s_branch .LBB141_584
	.section	.rodata,"a",@progbits
	.p2align	6, 0x0
	.amdhsa_kernel _ZN2at6native6sbtopk10gatherTopKIamLin1ELb0EEEvNS_4cuda6detail10TensorInfoIKT_T0_EES8_S8_bS8_S8_NS5_IS6_S8_EES8_NS5_IlS8_EES8_PS6_
		.amdhsa_group_segment_fixed_size 5152
		.amdhsa_private_segment_fixed_size 0
		.amdhsa_kernarg_size 1568
		.amdhsa_user_sgpr_count 13
		.amdhsa_user_sgpr_dispatch_ptr 0
		.amdhsa_user_sgpr_queue_ptr 0
		.amdhsa_user_sgpr_kernarg_segment_ptr 1
		.amdhsa_user_sgpr_dispatch_id 0
		.amdhsa_user_sgpr_private_segment_size 0
		.amdhsa_wavefront_size32 1
		.amdhsa_uses_dynamic_stack 0
		.amdhsa_enable_private_segment 0
		.amdhsa_system_sgpr_workgroup_id_x 1
		.amdhsa_system_sgpr_workgroup_id_y 1
		.amdhsa_system_sgpr_workgroup_id_z 1
		.amdhsa_system_sgpr_workgroup_info 0
		.amdhsa_system_vgpr_workitem_id 0
		.amdhsa_next_free_vgpr 46
		.amdhsa_next_free_sgpr 105
		.amdhsa_reserve_vcc 1
		.amdhsa_float_round_mode_32 0
		.amdhsa_float_round_mode_16_64 0
		.amdhsa_float_denorm_mode_32 3
		.amdhsa_float_denorm_mode_16_64 3
		.amdhsa_dx10_clamp 1
		.amdhsa_ieee_mode 1
		.amdhsa_fp16_overflow 0
		.amdhsa_workgroup_processor_mode 1
		.amdhsa_memory_ordered 1
		.amdhsa_forward_progress 0
		.amdhsa_shared_vgpr_count 0
		.amdhsa_exception_fp_ieee_invalid_op 0
		.amdhsa_exception_fp_denorm_src 0
		.amdhsa_exception_fp_ieee_div_zero 0
		.amdhsa_exception_fp_ieee_overflow 0
		.amdhsa_exception_fp_ieee_underflow 0
		.amdhsa_exception_fp_ieee_inexact 0
		.amdhsa_exception_int_div_zero 0
	.end_amdhsa_kernel
	.section	.text._ZN2at6native6sbtopk10gatherTopKIamLin1ELb0EEEvNS_4cuda6detail10TensorInfoIKT_T0_EES8_S8_bS8_S8_NS5_IS6_S8_EES8_NS5_IlS8_EES8_PS6_,"axG",@progbits,_ZN2at6native6sbtopk10gatherTopKIamLin1ELb0EEEvNS_4cuda6detail10TensorInfoIKT_T0_EES8_S8_bS8_S8_NS5_IS6_S8_EES8_NS5_IlS8_EES8_PS6_,comdat
.Lfunc_end141:
	.size	_ZN2at6native6sbtopk10gatherTopKIamLin1ELb0EEEvNS_4cuda6detail10TensorInfoIKT_T0_EES8_S8_bS8_S8_NS5_IS6_S8_EES8_NS5_IlS8_EES8_PS6_, .Lfunc_end141-_ZN2at6native6sbtopk10gatherTopKIamLin1ELb0EEEvNS_4cuda6detail10TensorInfoIKT_T0_EES8_S8_bS8_S8_NS5_IS6_S8_EES8_NS5_IlS8_EES8_PS6_
                                        ; -- End function
	.section	.AMDGPU.csdata,"",@progbits
; Kernel info:
; codeLenInByte = 31424
; NumSgprs: 107
; NumVgprs: 46
; ScratchSize: 0
; MemoryBound: 0
; FloatMode: 240
; IeeeMode: 1
; LDSByteSize: 5152 bytes/workgroup (compile time only)
; SGPRBlocks: 13
; VGPRBlocks: 5
; NumSGPRsForWavesPerEU: 107
; NumVGPRsForWavesPerEU: 46
; Occupancy: 16
; WaveLimiterHint : 1
; COMPUTE_PGM_RSRC2:SCRATCH_EN: 0
; COMPUTE_PGM_RSRC2:USER_SGPR: 13
; COMPUTE_PGM_RSRC2:TRAP_HANDLER: 0
; COMPUTE_PGM_RSRC2:TGID_X_EN: 1
; COMPUTE_PGM_RSRC2:TGID_Y_EN: 1
; COMPUTE_PGM_RSRC2:TGID_Z_EN: 1
; COMPUTE_PGM_RSRC2:TIDIG_COMP_CNT: 0
	.section	.text._ZN2at6native6mbtopk23computeBlockDigitCountsIimjLi1EEEvNS_4cuda6detail10TensorInfoIKT_T0_EEjPjjS8_iijT1_PSB_Ps,"axG",@progbits,_ZN2at6native6mbtopk23computeBlockDigitCountsIimjLi1EEEvNS_4cuda6detail10TensorInfoIKT_T0_EEjPjjS8_iijT1_PSB_Ps,comdat
	.protected	_ZN2at6native6mbtopk23computeBlockDigitCountsIimjLi1EEEvNS_4cuda6detail10TensorInfoIKT_T0_EEjPjjS8_iijT1_PSB_Ps ; -- Begin function _ZN2at6native6mbtopk23computeBlockDigitCountsIimjLi1EEEvNS_4cuda6detail10TensorInfoIKT_T0_EEjPjjS8_iijT1_PSB_Ps
	.globl	_ZN2at6native6mbtopk23computeBlockDigitCountsIimjLi1EEEvNS_4cuda6detail10TensorInfoIKT_T0_EEjPjjS8_iijT1_PSB_Ps
	.p2align	8
	.type	_ZN2at6native6mbtopk23computeBlockDigitCountsIimjLi1EEEvNS_4cuda6detail10TensorInfoIKT_T0_EEjPjjS8_iijT1_PSB_Ps,@function
_ZN2at6native6mbtopk23computeBlockDigitCountsIimjLi1EEEvNS_4cuda6detail10TensorInfoIKT_T0_EEjPjjS8_iijT1_PSB_Ps: ; @_ZN2at6native6mbtopk23computeBlockDigitCountsIimjLi1EEEvNS_4cuda6detail10TensorInfoIKT_T0_EEjPjjS8_iijT1_PSB_Ps
; %bb.0:
	s_clause 0x2
	s_load_b128 s[8:11], s[0:1], 0x1c0
	s_load_b32 s5, s[0:1], 0x1b0
	s_load_b64 s[2:3], s[0:1], 0x1e0
	s_waitcnt lgkmcnt(0)
	v_cvt_f32_u32_e32 v1, s10
	s_sub_i32 s6, 0, s10
	s_mul_i32 s3, s3, s15
	s_delay_alu instid0(SALU_CYCLE_1) | instskip(NEXT) | instid1(VALU_DEP_1)
	s_add_i32 s3, s3, s14
	v_rcp_iflag_f32_e32 v1, v1
	s_mul_i32 s14, s3, s2
	s_delay_alu instid0(SALU_CYCLE_1) | instskip(SKIP_3) | instid1(VALU_DEP_1)
	s_add_i32 s14, s14, s13
	s_mov_b32 s13, 0
	s_waitcnt_depctr 0xfff
	v_mul_f32_e32 v1, 0x4f7ffffe, v1
	v_cvt_u32_f32_e32 v1, v1
	s_delay_alu instid0(VALU_DEP_1) | instskip(NEXT) | instid1(VALU_DEP_1)
	v_readfirstlane_b32 s4, v1
	s_mul_i32 s6, s6, s4
	s_delay_alu instid0(SALU_CYCLE_1) | instskip(NEXT) | instid1(SALU_CYCLE_1)
	s_mul_hi_u32 s2, s4, s6
	s_add_i32 s4, s4, s2
	s_delay_alu instid0(SALU_CYCLE_1) | instskip(NEXT) | instid1(SALU_CYCLE_1)
	s_mul_hi_u32 s2, s14, s4
	s_mul_i32 s3, s2, s10
	s_add_i32 s4, s2, 1
	s_sub_i32 s3, s14, s3
	s_delay_alu instid0(SALU_CYCLE_1)
	s_sub_i32 s6, s3, s10
	s_cmp_ge_u32 s3, s10
	s_cselect_b32 s2, s4, s2
	s_cselect_b32 s3, s6, s3
	s_add_i32 s4, s2, 1
	s_cmp_ge_u32 s3, s10
	s_cselect_b32 s12, s4, s2
	s_delay_alu instid0(SALU_CYCLE_1)
	s_cmp_ge_u32 s12, s5
	s_cbranch_scc1 .LBB142_23
; %bb.1:
	s_load_b128 s[4:7], s[0:1], 0x1d0
	s_lshl_b64 s[2:3], s[12:13], 2
	v_cmp_gt_u32_e32 vcc_lo, 0x100, v0
	v_lshlrev_b32_e32 v1, 2, v0
	s_waitcnt lgkmcnt(0)
	s_add_u32 s4, s4, s2
	s_addc_u32 s5, s5, s3
	s_and_saveexec_b32 s2, vcc_lo
	s_cbranch_execz .LBB142_3
; %bb.2:
	v_mov_b32_e32 v2, 0
	ds_store_b32 v1, v2
.LBB142_3:
	s_or_b32 exec_lo, exec_lo, s2
	s_load_b32 s13, s[0:1], 0x1a0
	s_mul_i32 s2, s12, s10
	s_waitcnt lgkmcnt(0)
	s_sub_i32 s2, s14, s2
	s_barrier
	s_mul_i32 s3, s9, s2
	s_add_i32 s2, s2, 1
	s_lshl_b32 s16, s3, 8
	buffer_gl0_inv
	s_sub_i32 s3, s13, s16
	s_delay_alu instid0(SALU_CYCLE_1) | instskip(SKIP_4) | instid1(VALU_DEP_1)
	s_add_u32 s3, s3, 0xff
	s_addc_u32 s15, 0, 0
	s_cmp_lt_u32 s2, s10
	v_alignbit_b32 v2, s15, s3, 8
	s_mov_b32 s15, 0
	v_readfirstlane_b32 s3, v2
	s_delay_alu instid0(VALU_DEP_1) | instskip(NEXT) | instid1(SALU_CYCLE_1)
	s_cselect_b32 s9, s9, s3
	s_cmp_lt_i32 s9, 1
	s_cbranch_scc1 .LBB142_19
; %bb.4:
	s_clause 0x2
	s_load_b64 s[18:19], s[0:1], 0xd0
	s_load_b64 s[2:3], s[0:1], 0x1b8
	;; [unrolled: 1-line block ×3, first 2 shown]
	s_load_b32 s1, s[4:5], 0x0
	v_add_nc_u32_e32 v2, s16, v0
	s_waitcnt lgkmcnt(0)
	s_mul_i32 s0, s19, s12
	s_mul_hi_u32 s5, s18, s12
	s_mul_i32 s4, s18, s12
	s_add_i32 s5, s5, s0
	s_delay_alu instid0(SALU_CYCLE_1) | instskip(NEXT) | instid1(SALU_CYCLE_1)
	s_lshl_b64 s[18:19], s[4:5], 2
	s_add_u32 s5, s20, s18
	s_addc_u32 s10, s21, s19
	s_and_b32 s4, s8, 0xff
	s_cmp_eq_u32 s9, 1
	s_cbranch_scc1 .LBB142_14
; %bb.5:
	v_dual_mov_b32 v3, 1 :: v_dual_mov_b32 v4, v2
	s_and_b32 s8, s9, 0x7ffffffe
	s_mov_b32 s12, 0
	s_branch .LBB142_7
.LBB142_6:                              ;   in Loop: Header=BB142_7 Depth=1
	s_or_b32 exec_lo, exec_lo, s15
	v_add_nc_u32_e32 v4, 0x200, v4
	s_add_i32 s12, s12, 2
	s_delay_alu instid0(SALU_CYCLE_1)
	s_cmp_eq_u32 s8, s12
	s_cbranch_scc1 .LBB142_13
.LBB142_7:                              ; =>This Inner Loop Header: Depth=1
	s_mov_b32 s15, exec_lo
	v_cmpx_gt_u32_e64 s13, v4
	s_cbranch_execz .LBB142_10
; %bb.8:                                ;   in Loop: Header=BB142_7 Depth=1
	v_mad_u64_u32 v[5:6], null, v4, s2, 0
	s_delay_alu instid0(VALU_DEP_1) | instskip(NEXT) | instid1(VALU_DEP_1)
	v_mad_u64_u32 v[7:8], null, v4, s3, v[6:7]
	v_mov_b32_e32 v6, v7
	s_delay_alu instid0(VALU_DEP_1) | instskip(NEXT) | instid1(VALU_DEP_1)
	v_lshlrev_b64 v[5:6], 2, v[5:6]
	v_add_co_u32 v5, s0, s5, v5
	s_delay_alu instid0(VALU_DEP_1) | instskip(SKIP_3) | instid1(VALU_DEP_1)
	v_add_co_ci_u32_e64 v6, s0, s10, v6, s0
	global_load_b32 v5, v[5:6], off
	s_waitcnt vmcnt(0)
	v_xor_b32_e32 v5, 0x80000000, v5
	v_xor_b32_e32 v6, s1, v5
	s_delay_alu instid0(VALU_DEP_1) | instskip(NEXT) | instid1(VALU_DEP_1)
	v_and_b32_e32 v6, s11, v6
	v_cmp_eq_u32_e64 s0, 0, v6
	s_delay_alu instid0(VALU_DEP_1)
	s_and_b32 exec_lo, exec_lo, s0
	s_cbranch_execz .LBB142_10
; %bb.9:                                ;   in Loop: Header=BB142_7 Depth=1
	v_bfe_u32 v5, v5, s4, 8
	s_delay_alu instid0(VALU_DEP_1)
	v_lshlrev_b32_e32 v5, 2, v5
	ds_add_u32 v5, v3
.LBB142_10:                             ;   in Loop: Header=BB142_7 Depth=1
	s_or_b32 exec_lo, exec_lo, s15
	v_add_nc_u32_e32 v5, 0x100, v4
	s_mov_b32 s15, exec_lo
	s_delay_alu instid0(VALU_DEP_1)
	v_cmpx_gt_u32_e64 s13, v5
	s_cbranch_execz .LBB142_6
; %bb.11:                               ;   in Loop: Header=BB142_7 Depth=1
	v_mad_u64_u32 v[6:7], null, v5, s2, 0
	s_delay_alu instid0(VALU_DEP_1) | instskip(NEXT) | instid1(VALU_DEP_1)
	v_mad_u64_u32 v[8:9], null, v5, s3, v[7:8]
	v_mov_b32_e32 v7, v8
	s_delay_alu instid0(VALU_DEP_1) | instskip(NEXT) | instid1(VALU_DEP_1)
	v_lshlrev_b64 v[5:6], 2, v[6:7]
	v_add_co_u32 v5, s0, s5, v5
	s_delay_alu instid0(VALU_DEP_1) | instskip(SKIP_3) | instid1(VALU_DEP_1)
	v_add_co_ci_u32_e64 v6, s0, s10, v6, s0
	global_load_b32 v5, v[5:6], off
	s_waitcnt vmcnt(0)
	v_xor_b32_e32 v5, 0x80000000, v5
	v_xor_b32_e32 v6, s1, v5
	s_delay_alu instid0(VALU_DEP_1) | instskip(NEXT) | instid1(VALU_DEP_1)
	v_and_b32_e32 v6, s11, v6
	v_cmp_eq_u32_e64 s0, 0, v6
	s_delay_alu instid0(VALU_DEP_1)
	s_and_b32 exec_lo, exec_lo, s0
	s_cbranch_execz .LBB142_6
; %bb.12:                               ;   in Loop: Header=BB142_7 Depth=1
	v_bfe_u32 v5, v5, s4, 8
	s_delay_alu instid0(VALU_DEP_1)
	v_lshlrev_b32_e32 v5, 2, v5
	ds_add_u32 v5, v3
	s_branch .LBB142_6
.LBB142_13:
	s_lshl_b32 s15, s8, 8
.LBB142_14:
	s_bitcmp0_b32 s9, 0
	s_cbranch_scc1 .LBB142_19
; %bb.15:
	v_add_nc_u32_e32 v2, s15, v2
	s_mov_b32 s8, exec_lo
	s_delay_alu instid0(VALU_DEP_1)
	v_cmpx_gt_u32_e64 s13, v2
	s_cbranch_execz .LBB142_18
; %bb.16:
	v_mad_u64_u32 v[3:4], null, v2, s2, 0
	s_delay_alu instid0(VALU_DEP_1) | instskip(NEXT) | instid1(VALU_DEP_1)
	v_mad_u64_u32 v[5:6], null, v2, s3, v[4:5]
	v_mov_b32_e32 v4, v5
	s_delay_alu instid0(VALU_DEP_1) | instskip(NEXT) | instid1(VALU_DEP_1)
	v_lshlrev_b64 v[2:3], 2, v[3:4]
	v_add_co_u32 v2, s0, s5, v2
	s_delay_alu instid0(VALU_DEP_1) | instskip(SKIP_3) | instid1(VALU_DEP_1)
	v_add_co_ci_u32_e64 v3, s0, s10, v3, s0
	global_load_b32 v2, v[2:3], off
	s_waitcnt vmcnt(0)
	v_xor_b32_e32 v2, 0x80000000, v2
	v_xor_b32_e32 v3, s1, v2
	s_delay_alu instid0(VALU_DEP_1) | instskip(NEXT) | instid1(VALU_DEP_1)
	v_and_b32_e32 v3, s11, v3
	v_cmp_eq_u32_e64 s0, 0, v3
	s_delay_alu instid0(VALU_DEP_1)
	s_and_b32 exec_lo, exec_lo, s0
	s_cbranch_execz .LBB142_18
; %bb.17:
	v_bfe_u32 v2, v2, s4, 8
	s_delay_alu instid0(VALU_DEP_1)
	v_dual_mov_b32 v3, 1 :: v_dual_lshlrev_b32 v2, 2, v2
	ds_add_u32 v2, v3
.LBB142_18:
	s_or_b32 exec_lo, exec_lo, s8
.LBB142_19:
	v_mov_b32_e32 v2, 0
	s_waitcnt lgkmcnt(0)
	s_barrier
	buffer_gl0_inv
	s_and_saveexec_b32 s0, vcc_lo
	s_cbranch_execz .LBB142_21
; %bb.20:
	ds_load_b32 v2, v1
.LBB142_21:
	s_or_b32 exec_lo, exec_lo, s0
	s_and_saveexec_b32 s0, vcc_lo
	s_cbranch_execz .LBB142_23
; %bb.22:
	v_lshl_or_b32 v0, s14, 8, v0
	v_mov_b32_e32 v1, 0
	s_delay_alu instid0(VALU_DEP_1) | instskip(NEXT) | instid1(VALU_DEP_1)
	v_lshlrev_b64 v[0:1], 1, v[0:1]
	v_add_co_u32 v0, vcc_lo, s6, v0
	s_delay_alu instid0(VALU_DEP_2)
	v_add_co_ci_u32_e32 v1, vcc_lo, s7, v1, vcc_lo
	s_waitcnt lgkmcnt(0)
	global_store_b16 v[0:1], v2, off
.LBB142_23:
	s_nop 0
	s_sendmsg sendmsg(MSG_DEALLOC_VGPRS)
	s_endpgm
	.section	.rodata,"a",@progbits
	.p2align	6, 0x0
	.amdhsa_kernel _ZN2at6native6mbtopk23computeBlockDigitCountsIimjLi1EEEvNS_4cuda6detail10TensorInfoIKT_T0_EEjPjjS8_iijT1_PSB_Ps
		.amdhsa_group_segment_fixed_size 1024
		.amdhsa_private_segment_fixed_size 0
		.amdhsa_kernarg_size 736
		.amdhsa_user_sgpr_count 13
		.amdhsa_user_sgpr_dispatch_ptr 0
		.amdhsa_user_sgpr_queue_ptr 0
		.amdhsa_user_sgpr_kernarg_segment_ptr 1
		.amdhsa_user_sgpr_dispatch_id 0
		.amdhsa_user_sgpr_private_segment_size 0
		.amdhsa_wavefront_size32 1
		.amdhsa_uses_dynamic_stack 0
		.amdhsa_enable_private_segment 0
		.amdhsa_system_sgpr_workgroup_id_x 1
		.amdhsa_system_sgpr_workgroup_id_y 1
		.amdhsa_system_sgpr_workgroup_id_z 1
		.amdhsa_system_sgpr_workgroup_info 0
		.amdhsa_system_vgpr_workitem_id 0
		.amdhsa_next_free_vgpr 10
		.amdhsa_next_free_sgpr 22
		.amdhsa_reserve_vcc 1
		.amdhsa_float_round_mode_32 0
		.amdhsa_float_round_mode_16_64 0
		.amdhsa_float_denorm_mode_32 3
		.amdhsa_float_denorm_mode_16_64 3
		.amdhsa_dx10_clamp 1
		.amdhsa_ieee_mode 1
		.amdhsa_fp16_overflow 0
		.amdhsa_workgroup_processor_mode 1
		.amdhsa_memory_ordered 1
		.amdhsa_forward_progress 0
		.amdhsa_shared_vgpr_count 0
		.amdhsa_exception_fp_ieee_invalid_op 0
		.amdhsa_exception_fp_denorm_src 0
		.amdhsa_exception_fp_ieee_div_zero 0
		.amdhsa_exception_fp_ieee_overflow 0
		.amdhsa_exception_fp_ieee_underflow 0
		.amdhsa_exception_fp_ieee_inexact 0
		.amdhsa_exception_int_div_zero 0
	.end_amdhsa_kernel
	.section	.text._ZN2at6native6mbtopk23computeBlockDigitCountsIimjLi1EEEvNS_4cuda6detail10TensorInfoIKT_T0_EEjPjjS8_iijT1_PSB_Ps,"axG",@progbits,_ZN2at6native6mbtopk23computeBlockDigitCountsIimjLi1EEEvNS_4cuda6detail10TensorInfoIKT_T0_EEjPjjS8_iijT1_PSB_Ps,comdat
.Lfunc_end142:
	.size	_ZN2at6native6mbtopk23computeBlockDigitCountsIimjLi1EEEvNS_4cuda6detail10TensorInfoIKT_T0_EEjPjjS8_iijT1_PSB_Ps, .Lfunc_end142-_ZN2at6native6mbtopk23computeBlockDigitCountsIimjLi1EEEvNS_4cuda6detail10TensorInfoIKT_T0_EEjPjjS8_iijT1_PSB_Ps
                                        ; -- End function
	.section	.AMDGPU.csdata,"",@progbits
; Kernel info:
; codeLenInByte = 1084
; NumSgprs: 24
; NumVgprs: 10
; ScratchSize: 0
; MemoryBound: 0
; FloatMode: 240
; IeeeMode: 1
; LDSByteSize: 1024 bytes/workgroup (compile time only)
; SGPRBlocks: 2
; VGPRBlocks: 1
; NumSGPRsForWavesPerEU: 24
; NumVGPRsForWavesPerEU: 10
; Occupancy: 16
; WaveLimiterHint : 1
; COMPUTE_PGM_RSRC2:SCRATCH_EN: 0
; COMPUTE_PGM_RSRC2:USER_SGPR: 13
; COMPUTE_PGM_RSRC2:TRAP_HANDLER: 0
; COMPUTE_PGM_RSRC2:TGID_X_EN: 1
; COMPUTE_PGM_RSRC2:TGID_Y_EN: 1
; COMPUTE_PGM_RSRC2:TGID_Z_EN: 1
; COMPUTE_PGM_RSRC2:TIDIG_COMP_CNT: 0
	.section	.text._ZN2at6native6mbtopk10gatherTopKIimLi1EEEvNS_4cuda6detail10TensorInfoIKT_T0_EES8_S8_bjS8_NS5_IS6_S8_EES8_NS5_IlS8_EES8_jjPS6_PjSD_j,"axG",@progbits,_ZN2at6native6mbtopk10gatherTopKIimLi1EEEvNS_4cuda6detail10TensorInfoIKT_T0_EES8_S8_bjS8_NS5_IS6_S8_EES8_NS5_IlS8_EES8_jjPS6_PjSD_j,comdat
	.protected	_ZN2at6native6mbtopk10gatherTopKIimLi1EEEvNS_4cuda6detail10TensorInfoIKT_T0_EES8_S8_bjS8_NS5_IS6_S8_EES8_NS5_IlS8_EES8_jjPS6_PjSD_j ; -- Begin function _ZN2at6native6mbtopk10gatherTopKIimLi1EEEvNS_4cuda6detail10TensorInfoIKT_T0_EES8_S8_bjS8_NS5_IS6_S8_EES8_NS5_IlS8_EES8_jjPS6_PjSD_j
	.globl	_ZN2at6native6mbtopk10gatherTopKIimLi1EEEvNS_4cuda6detail10TensorInfoIKT_T0_EES8_S8_bjS8_NS5_IS6_S8_EES8_NS5_IlS8_EES8_jjPS6_PjSD_j
	.p2align	8
	.type	_ZN2at6native6mbtopk10gatherTopKIimLi1EEEvNS_4cuda6detail10TensorInfoIKT_T0_EES8_S8_bjS8_NS5_IS6_S8_EES8_NS5_IlS8_EES8_jjPS6_PjSD_j,@function
_ZN2at6native6mbtopk10gatherTopKIimLi1EEEvNS_4cuda6detail10TensorInfoIKT_T0_EES8_S8_bjS8_NS5_IS6_S8_EES8_NS5_IlS8_EES8_jjPS6_PjSD_j: ; @_ZN2at6native6mbtopk10gatherTopKIimLi1EEEvNS_4cuda6detail10TensorInfoIKT_T0_EES8_S8_bjS8_NS5_IS6_S8_EES8_NS5_IlS8_EES8_jjPS6_PjSD_j
; %bb.0:
	s_clause 0x1
	s_load_b64 s[2:3], s[0:1], 0x538
	s_load_b32 s4, s[0:1], 0x530
	s_waitcnt lgkmcnt(0)
	s_mul_i32 s3, s3, s15
	s_delay_alu instid0(SALU_CYCLE_1) | instskip(NEXT) | instid1(SALU_CYCLE_1)
	s_add_i32 s3, s3, s14
	s_mul_i32 s2, s3, s2
	s_delay_alu instid0(SALU_CYCLE_1) | instskip(NEXT) | instid1(SALU_CYCLE_1)
	s_add_i32 s2, s2, s13
	s_cmp_ge_u32 s2, s4
	s_cbranch_scc1 .LBB143_42
; %bb.1:
	s_load_b64 s[16:17], s[0:1], 0x510
	s_mov_b32 s19, 0
	s_waitcnt lgkmcnt(0)
	v_cvt_f32_u32_e32 v1, s17
	s_sub_i32 s4, 0, s17
	s_lshl_b32 s33, s16, 8
	s_delay_alu instid0(VALU_DEP_1) | instskip(SKIP_2) | instid1(VALU_DEP_1)
	v_rcp_iflag_f32_e32 v1, v1
	s_waitcnt_depctr 0xfff
	v_mul_f32_e32 v1, 0x4f7ffffe, v1
	v_cvt_u32_f32_e32 v1, v1
	s_delay_alu instid0(VALU_DEP_1) | instskip(NEXT) | instid1(VALU_DEP_1)
	v_readfirstlane_b32 s3, v1
	s_mul_i32 s4, s4, s3
	s_delay_alu instid0(SALU_CYCLE_1) | instskip(NEXT) | instid1(SALU_CYCLE_1)
	s_mul_hi_u32 s4, s3, s4
	s_add_i32 s3, s3, s4
	s_load_b128 s[4:7], s[0:1], 0x1a0
	s_mul_hi_u32 s3, s2, s3
	s_delay_alu instid0(SALU_CYCLE_1) | instskip(SKIP_2) | instid1(SALU_CYCLE_1)
	s_mul_i32 s8, s3, s17
	s_add_i32 s9, s3, 1
	s_sub_i32 s8, s2, s8
	s_sub_i32 s10, s8, s17
	s_cmp_ge_u32 s8, s17
	s_cselect_b32 s3, s9, s3
	s_cselect_b32 s8, s10, s8
	s_add_i32 s9, s3, 1
	s_cmp_ge_u32 s8, s17
	s_cselect_b32 s18, s9, s3
	s_delay_alu instid0(SALU_CYCLE_1) | instskip(NEXT) | instid1(SALU_CYCLE_1)
	s_mul_i32 s28, s18, s17
	s_sub_i32 s36, s2, s28
	s_delay_alu instid0(SALU_CYCLE_1) | instskip(NEXT) | instid1(SALU_CYCLE_1)
	s_add_i32 s2, s36, 1
	s_cmp_lt_u32 s2, s17
	s_cbranch_scc1 .LBB143_3
; %bb.2:
	s_mul_i32 s2, s36, s33
	s_waitcnt lgkmcnt(0)
	s_sub_u32 s2, s4, s2
	s_subb_u32 s3, s5, 0
	s_add_u32 s2, s2, 0xff
	s_addc_u32 s3, s3, 0
	s_delay_alu instid0(SALU_CYCLE_1) | instskip(NEXT) | instid1(SALU_CYCLE_1)
	s_ashr_i32 s8, s3, 31
	s_lshr_b32 s8, s8, 24
	s_delay_alu instid0(SALU_CYCLE_1) | instskip(SKIP_1) | instid1(SALU_CYCLE_1)
	s_add_u32 s2, s2, s8
	s_addc_u32 s3, s3, 0
	v_alignbit_b32 v1, s3, s2, 8
	s_delay_alu instid0(VALU_DEP_1)
	v_readfirstlane_b32 s16, v1
.LBB143_3:
	s_load_b128 s[8:11], s[0:1], 0x518
	s_lshl_b64 s[2:3], s[18:19], 2
	s_waitcnt lgkmcnt(0)
	s_add_u32 s2, s8, s2
	s_addc_u32 s3, s9, s3
	s_clause 0x3
	s_load_b64 s[20:21], s[0:1], 0x0
	s_load_b64 s[26:27], s[0:1], 0xd0
	;; [unrolled: 1-line block ×4, first 2 shown]
	s_load_b32 s19, s[2:3], 0x0
	v_cmp_ne_u32_e64 s2, 0, v0
	v_cmp_eq_u32_e64 s3, 0, v0
	s_delay_alu instid0(VALU_DEP_1)
	s_and_saveexec_b32 s37, s3
	s_cbranch_execz .LBB143_19
; %bb.4:
	s_load_b64 s[8:9], s[0:1], 0x528
	s_mov_b32 s29, 0
	s_mov_b32 s38, 0
	s_lshl_b64 s[30:31], s[28:29], 2
	s_mov_b32 s28, 0
	s_add_u32 s12, s10, s30
	s_addc_u32 s13, s11, s31
	s_waitcnt lgkmcnt(0)
	s_add_u32 s14, s8, s30
	s_addc_u32 s15, s9, s31
	s_cmp_lt_u32 s17, 4
	s_cbranch_scc1 .LBB143_16
; %bb.5:
	s_mov_b32 s39, 0
.LBB143_6:                              ; =>This Inner Loop Header: Depth=1
	s_add_u32 s12, s10, s30
	s_addc_u32 s13, s11, s31
	s_add_u32 s34, s8, s30
	s_load_b128 s[12:15], s[12:13], 0x0
	s_addc_u32 s35, s9, s31
	s_cmp_ge_u32 s39, s36
	s_cbranch_scc0 .LBB143_13
; %bb.7:                                ;   in Loop: Header=BB143_6 Depth=1
	s_add_i32 s40, s39, 1
	s_delay_alu instid0(SALU_CYCLE_1)
	s_cmp_ge_u32 s40, s36
	s_cbranch_scc0 .LBB143_14
.LBB143_8:                              ;   in Loop: Header=BB143_6 Depth=1
	s_add_i32 s40, s40, 1
	s_delay_alu instid0(SALU_CYCLE_1)
	s_cmp_ge_u32 s40, s36
	s_cbranch_scc0 .LBB143_15
.LBB143_9:                              ;   in Loop: Header=BB143_6 Depth=1
	s_add_i32 s40, s40, 1
	s_delay_alu instid0(SALU_CYCLE_1)
	s_cmp_ge_u32 s40, s36
	s_cbranch_scc1 .LBB143_11
.LBB143_10:                             ;   in Loop: Header=BB143_6 Depth=1
	s_load_b32 s34, s[34:35], 0xc
	s_waitcnt lgkmcnt(0)
	s_add_i32 s29, s29, s15
	s_add_i32 s28, s34, s28
.LBB143_11:                             ;   in Loop: Header=BB143_6 Depth=1
	s_waitcnt lgkmcnt(0)
	s_add_i32 s12, s12, s38
	s_delay_alu instid0(SALU_CYCLE_1) | instskip(NEXT) | instid1(SALU_CYCLE_1)
	s_add_i32 s12, s12, s13
	s_add_i32 s12, s12, s14
	s_delay_alu instid0(SALU_CYCLE_1)
	s_add_i32 s38, s12, s15
	s_add_u32 s10, s10, 16
	s_addc_u32 s11, s11, 0
	s_add_u32 s8, s8, 16
	s_addc_u32 s9, s9, 0
	s_add_i32 s35, s40, 4
	s_add_u32 s14, s8, s30
	s_addc_u32 s15, s9, s31
	s_add_u32 s12, s10, s30
	s_addc_u32 s13, s11, s31
	s_add_i32 s34, s40, 1
	s_cmp_ge_u32 s35, s17
	s_cbranch_scc1 .LBB143_17
; %bb.12:                               ;   in Loop: Header=BB143_6 Depth=1
	s_mov_b32 s39, s34
	s_branch .LBB143_6
.LBB143_13:                             ;   in Loop: Header=BB143_6 Depth=1
	s_load_b32 s40, s[34:35], 0x0
	s_waitcnt lgkmcnt(0)
	s_add_i32 s29, s12, s29
	s_add_i32 s28, s40, s28
	;; [unrolled: 1-line block ×3, first 2 shown]
	s_delay_alu instid0(SALU_CYCLE_1)
	s_cmp_ge_u32 s40, s36
	s_cbranch_scc1 .LBB143_8
.LBB143_14:                             ;   in Loop: Header=BB143_6 Depth=1
	s_load_b32 s41, s[34:35], 0x4
	s_waitcnt lgkmcnt(0)
	s_add_i32 s29, s29, s13
	s_add_i32 s28, s41, s28
	;; [unrolled: 1-line block ×3, first 2 shown]
	s_delay_alu instid0(SALU_CYCLE_1)
	s_cmp_ge_u32 s40, s36
	s_cbranch_scc1 .LBB143_9
.LBB143_15:                             ;   in Loop: Header=BB143_6 Depth=1
	s_load_b32 s41, s[34:35], 0x8
	s_waitcnt lgkmcnt(0)
	s_add_i32 s29, s29, s14
	s_add_i32 s28, s41, s28
	;; [unrolled: 1-line block ×3, first 2 shown]
	s_delay_alu instid0(SALU_CYCLE_1)
	s_cmp_ge_u32 s40, s36
	s_cbranch_scc0 .LBB143_10
	s_branch .LBB143_11
.LBB143_16:
	s_mov_b32 s8, 0
	s_delay_alu instid0(SALU_CYCLE_1)
	s_cmp_ge_u32 s8, s17
	s_cbranch_scc0 .LBB143_40
	s_branch .LBB143_18
.LBB143_17:
	s_add_i32 s8, s39, 4
	s_delay_alu instid0(SALU_CYCLE_1)
	s_cmp_ge_u32 s8, s17
	s_cbranch_scc0 .LBB143_40
.LBB143_18:
	v_dual_mov_b32 v1, s28 :: v_dual_mov_b32 v2, s38
	v_dual_mov_b32 v3, s29 :: v_dual_mov_b32 v4, 0
	ds_store_b96 v4, v[1:3] offset:1056
.LBB143_19:
	s_or_b32 exec_lo, exec_lo, s37
	s_clause 0x1
	s_load_b128 s[8:11], s[0:1], 0x1b8
	s_load_b128 s[12:15], s[0:1], 0x360
	s_cmp_eq_u32 s16, 0
	s_waitcnt lgkmcnt(0)
	s_barrier
	buffer_gl0_inv
	s_cbranch_scc1 .LBB143_42
; %bb.20:
	v_dual_mov_b32 v5, 0 :: v_dual_add_nc_u32 v4, -1, v0
	s_mul_i32 s17, s27, s18
	s_mul_hi_u32 s27, s26, s18
	s_mul_i32 s26, s26, s18
	ds_load_b96 v[1:3], v5 offset:1056
	s_add_i32 s27, s27, s17
	s_mul_i32 s17, s25, s18
	s_mul_hi_u32 s25, s24, s18
	s_lshl_b64 s[26:27], s[26:27], 2
	s_add_i32 s25, s25, s17
	s_mul_i32 s17, s23, s18
	s_mul_hi_u32 s23, s22, s18
	s_mul_i32 s24, s24, s18
	s_add_i32 s23, s23, s17
	s_add_u32 s17, s20, s26
	s_addc_u32 s20, s21, s27
	s_lshl_b64 s[24:25], s[24:25], 2
	s_mul_i32 s22, s22, s18
	s_add_u32 s18, s10, s24
	s_addc_u32 s21, s11, s25
	s_lshl_b64 s[10:11], s[22:23], 3
	s_load_b32 s23, s[0:1], 0x1b0
	s_add_u32 s14, s14, s10
	s_addc_u32 s15, s15, s11
	s_load_b64 s[10:11], s[0:1], 0x508
	s_waitcnt lgkmcnt(0)
	v_add_nc_u32_e32 v1, v1, v2
	v_lshrrev_b32_e32 v2, 5, v0
	v_lshlrev_b32_e32 v10, 3, v0
	v_lshrrev_b32_e32 v11, 2, v0
	v_lshrrev_b32_e32 v12, 5, v4
	v_mad_u64_u32 v[6:7], null, s36, s33, v[0:1]
	v_mbcnt_lo_u32_b32 v8, -1, 0
	s_xor_b32 s22, s19, 0x80000000
	v_add_lshl_u32 v9, v2, v0, 2
	v_cmp_gt_u32_e64 s0, 32, v0
	v_add_lshl_u32 v0, v11, v10, 2
	v_add_lshl_u32 v10, v12, v4, 2
	v_dual_mov_b32 v4, v6 :: v_dual_and_b32 v11, 15, v8
	v_bfe_i32 v12, v8, 4, 1
	v_add_nc_u32_e32 v13, -1, v8
	s_bitcmp1_b32 s23, 0
                                        ; implicit-def: $vgpr14
	s_cselect_b32 s1, -1, 0
	s_branch .LBB143_23
.LBB143_21:                             ;   in Loop: Header=BB143_23 Depth=1
	s_or_b32 exec_lo, exec_lo, s23
	v_add_nc_u32_e32 v1, v2, v1
.LBB143_22:                             ;   in Loop: Header=BB143_23 Depth=1
	v_add_nc_u32_e32 v3, v15, v3
	v_add_nc_u32_e32 v4, 0x100, v4
	s_add_i32 s16, s16, -1
	s_delay_alu instid0(SALU_CYCLE_1)
	s_cmp_lg_u32 s16, 0
	s_cbranch_scc0 .LBB143_42
.LBB143_23:                             ; =>This Inner Loop Header: Depth=1
	v_mov_b32_e32 v2, v5
	v_mov_b32_e32 v6, v5
	s_mov_b32 s23, exec_lo
	v_cmpx_gt_u64_e64 s[4:5], v[4:5]
	s_cbranch_execz .LBB143_25
; %bb.24:                               ;   in Loop: Header=BB143_23 Depth=1
	v_mad_u64_u32 v[6:7], null, v4, s8, 0
	s_delay_alu instid0(VALU_DEP_1) | instskip(NEXT) | instid1(VALU_DEP_1)
	v_mov_b32_e32 v2, v7
	v_mad_u64_u32 v[14:15], null, v4, s9, v[2:3]
	s_delay_alu instid0(VALU_DEP_1) | instskip(NEXT) | instid1(VALU_DEP_1)
	v_mov_b32_e32 v7, v14
	v_lshlrev_b64 v[6:7], 2, v[6:7]
	s_delay_alu instid0(VALU_DEP_1) | instskip(NEXT) | instid1(VALU_DEP_2)
	v_add_co_u32 v6, vcc_lo, s17, v6
	v_add_co_ci_u32_e32 v7, vcc_lo, s20, v7, vcc_lo
	global_load_b32 v14, v[6:7], off
	s_waitcnt vmcnt(0)
	v_xor_b32_e32 v2, 0x80000000, v14
	s_delay_alu instid0(VALU_DEP_1) | instskip(SKIP_4) | instid1(VALU_DEP_2)
	v_cmp_lt_u32_e32 vcc_lo, s22, v2
	v_cndmask_b32_e64 v6, 0, 1, vcc_lo
	v_cmp_gt_u32_e32 vcc_lo, s22, v2
	v_cndmask_b32_e64 v2, 0, 1, vcc_lo
	v_cmp_eq_u32_e32 vcc_lo, s19, v14
	v_cndmask_b32_e64 v2, v2, v6, s1
	v_cndmask_b32_e64 v6, 0, 1, vcc_lo
	s_delay_alu instid0(VALU_DEP_2)
	v_and_b32_e32 v2, 1, v2
.LBB143_25:                             ;   in Loop: Header=BB143_23 Depth=1
	s_or_b32 exec_lo, exec_lo, s23
	ds_store_b32 v9, v2
	s_waitcnt lgkmcnt(0)
	s_waitcnt_vscnt null, 0x0
	s_barrier
	buffer_gl0_inv
	s_and_saveexec_b32 s23, s0
	s_cbranch_execz .LBB143_27
; %bb.26:                               ;   in Loop: Header=BB143_23 Depth=1
	ds_load_2addr_b32 v[15:16], v0 offset1:1
	ds_load_2addr_b32 v[17:18], v0 offset0:2 offset1:3
	ds_load_2addr_b32 v[19:20], v0 offset0:4 offset1:5
	;; [unrolled: 1-line block ×3, first 2 shown]
	v_cmp_ne_u32_e32 vcc_lo, 0, v11
	; wave barrier
	s_waitcnt lgkmcnt(3)
	v_add_nc_u32_e32 v7, v16, v15
	s_waitcnt lgkmcnt(2)
	s_delay_alu instid0(VALU_DEP_1) | instskip(SKIP_1) | instid1(VALU_DEP_1)
	v_add3_u32 v7, v7, v17, v18
	s_waitcnt lgkmcnt(1)
	v_add3_u32 v7, v7, v19, v20
	s_waitcnt lgkmcnt(0)
	s_delay_alu instid0(VALU_DEP_1) | instskip(NEXT) | instid1(VALU_DEP_1)
	v_add3_u32 v7, v7, v21, v22
	v_mov_b32_dpp v16, v7 row_shr:1 row_mask:0xf bank_mask:0xf
	s_delay_alu instid0(VALU_DEP_1) | instskip(SKIP_1) | instid1(VALU_DEP_2)
	v_cndmask_b32_e32 v16, 0, v16, vcc_lo
	v_cmp_lt_u32_e32 vcc_lo, 1, v11
	v_add_nc_u32_e32 v7, v16, v7
	s_delay_alu instid0(VALU_DEP_1) | instskip(NEXT) | instid1(VALU_DEP_1)
	v_mov_b32_dpp v16, v7 row_shr:2 row_mask:0xf bank_mask:0xf
	v_cndmask_b32_e32 v16, 0, v16, vcc_lo
	v_cmp_lt_u32_e32 vcc_lo, 3, v11
	s_delay_alu instid0(VALU_DEP_2) | instskip(NEXT) | instid1(VALU_DEP_1)
	v_add_nc_u32_e32 v7, v7, v16
	v_mov_b32_dpp v16, v7 row_shr:4 row_mask:0xf bank_mask:0xf
	s_delay_alu instid0(VALU_DEP_1) | instskip(SKIP_1) | instid1(VALU_DEP_2)
	v_cndmask_b32_e32 v16, 0, v16, vcc_lo
	v_cmp_lt_u32_e32 vcc_lo, 7, v11
	v_add_nc_u32_e32 v7, v7, v16
	s_delay_alu instid0(VALU_DEP_1) | instskip(NEXT) | instid1(VALU_DEP_1)
	v_mov_b32_dpp v16, v7 row_shr:8 row_mask:0xf bank_mask:0xf
	v_cndmask_b32_e32 v16, 0, v16, vcc_lo
	v_cmp_gt_i32_e32 vcc_lo, 0, v13
	s_delay_alu instid0(VALU_DEP_2)
	v_add_nc_u32_e32 v7, v7, v16
	v_cndmask_b32_e32 v17, v13, v8, vcc_lo
	ds_swizzle_b32 v16, v7 offset:swizzle(BROADCAST,32,15)
	v_lshlrev_b32_e32 v17, 2, v17
	s_waitcnt lgkmcnt(0)
	v_and_b32_e32 v16, v12, v16
	s_delay_alu instid0(VALU_DEP_1) | instskip(SKIP_3) | instid1(VALU_DEP_1)
	v_add_nc_u32_e32 v7, v7, v16
	ds_bpermute_b32 v7, v17, v7
	s_waitcnt lgkmcnt(0)
	v_add_nc_u32_e32 v7, v7, v15
	v_cndmask_b32_e64 v7, v7, v2, s3
	ds_store_b32 v0, v7
	; wave barrier
	ds_load_2addr_b32 v[15:16], v0 offset0:1 offset1:2
	ds_load_2addr_b32 v[17:18], v0 offset0:3 offset1:4
	;; [unrolled: 1-line block ×3, first 2 shown]
	ds_load_b32 v21, v0 offset:28
	s_waitcnt lgkmcnt(3)
	v_add_nc_u32_e32 v7, v15, v7
	s_delay_alu instid0(VALU_DEP_1) | instskip(SKIP_1) | instid1(VALU_DEP_1)
	v_add_nc_u32_e32 v15, v16, v7
	s_waitcnt lgkmcnt(2)
	v_add_nc_u32_e32 v16, v17, v15
	s_delay_alu instid0(VALU_DEP_1) | instskip(SKIP_1) | instid1(VALU_DEP_1)
	v_add_nc_u32_e32 v17, v18, v16
	;; [unrolled: 4-line block ×3, first 2 shown]
	s_waitcnt lgkmcnt(0)
	v_add_nc_u32_e32 v20, v21, v19
	ds_store_2addr_b32 v0, v7, v15 offset0:1 offset1:2
	ds_store_2addr_b32 v0, v16, v17 offset0:3 offset1:4
	;; [unrolled: 1-line block ×3, first 2 shown]
	ds_store_b32 v0, v20 offset:28
.LBB143_27:                             ;   in Loop: Header=BB143_23 Depth=1
	s_or_b32 exec_lo, exec_lo, s23
	v_mov_b32_e32 v7, 0
	s_waitcnt lgkmcnt(0)
	s_barrier
	buffer_gl0_inv
	s_and_saveexec_b32 s23, s2
	s_cbranch_execz .LBB143_29
; %bb.28:                               ;   in Loop: Header=BB143_23 Depth=1
	ds_load_b32 v7, v10
.LBB143_29:                             ;   in Loop: Header=BB143_23 Depth=1
	s_or_b32 exec_lo, exec_lo, s23
	ds_load_b32 v15, v5 offset:1048
	s_mov_b32 s23, exec_lo
	s_waitcnt lgkmcnt(0)
	s_barrier
	buffer_gl0_inv
	v_cmpx_ne_u32_e32 0, v2
	s_cbranch_execz .LBB143_31
; %bb.30:                               ;   in Loop: Header=BB143_23 Depth=1
	v_add_nc_u32_e32 v22, v7, v3
	s_delay_alu instid0(VALU_DEP_1) | instskip(SKIP_1) | instid1(VALU_DEP_1)
	v_mad_u64_u32 v[16:17], null, v22, s12, 0
	v_mad_u64_u32 v[18:19], null, v22, s10, 0
	v_dual_mov_b32 v2, v17 :: v_dual_mov_b32 v7, v19
	s_delay_alu instid0(VALU_DEP_1) | instskip(NEXT) | instid1(VALU_DEP_2)
	v_mad_u64_u32 v[19:20], null, v22, s13, v[2:3]
	v_mad_u64_u32 v[20:21], null, v22, s11, v[7:8]
	s_delay_alu instid0(VALU_DEP_2) | instskip(NEXT) | instid1(VALU_DEP_2)
	v_mov_b32_e32 v17, v19
	v_mov_b32_e32 v19, v20
	s_delay_alu instid0(VALU_DEP_2) | instskip(NEXT) | instid1(VALU_DEP_2)
	v_lshlrev_b64 v[16:17], 2, v[16:17]
	v_lshlrev_b64 v[18:19], 3, v[18:19]
	s_delay_alu instid0(VALU_DEP_2) | instskip(NEXT) | instid1(VALU_DEP_3)
	v_add_co_u32 v16, vcc_lo, s18, v16
	v_add_co_ci_u32_e32 v17, vcc_lo, s21, v17, vcc_lo
	s_delay_alu instid0(VALU_DEP_3) | instskip(NEXT) | instid1(VALU_DEP_4)
	v_add_co_u32 v18, vcc_lo, s14, v18
	v_add_co_ci_u32_e32 v19, vcc_lo, s15, v19, vcc_lo
	global_store_b32 v[16:17], v14, off
	global_store_b64 v[18:19], v[4:5], off
.LBB143_31:                             ;   in Loop: Header=BB143_23 Depth=1
	s_or_b32 exec_lo, exec_lo, s23
	v_mov_b32_e32 v2, v5
	s_delay_alu instid0(VALU_DEP_1)
	v_cmp_le_u64_e32 vcc_lo, s[6:7], v[1:2]
	s_cbranch_vccnz .LBB143_22
; %bb.32:                               ;   in Loop: Header=BB143_23 Depth=1
	ds_store_b32 v9, v6
	s_waitcnt lgkmcnt(0)
	s_waitcnt_vscnt null, 0x0
	s_barrier
	buffer_gl0_inv
	s_and_saveexec_b32 s23, s0
	s_cbranch_execz .LBB143_34
; %bb.33:                               ;   in Loop: Header=BB143_23 Depth=1
	ds_load_2addr_b32 v[16:17], v0 offset1:1
	ds_load_2addr_b32 v[18:19], v0 offset0:2 offset1:3
	ds_load_2addr_b32 v[20:21], v0 offset0:4 offset1:5
	;; [unrolled: 1-line block ×3, first 2 shown]
	v_cmp_ne_u32_e32 vcc_lo, 0, v11
	; wave barrier
	s_waitcnt lgkmcnt(3)
	v_add_nc_u32_e32 v2, v17, v16
	s_waitcnt lgkmcnt(2)
	s_delay_alu instid0(VALU_DEP_1) | instskip(SKIP_1) | instid1(VALU_DEP_1)
	v_add3_u32 v2, v2, v18, v19
	s_waitcnt lgkmcnt(1)
	v_add3_u32 v2, v2, v20, v21
	s_waitcnt lgkmcnt(0)
	s_delay_alu instid0(VALU_DEP_1) | instskip(NEXT) | instid1(VALU_DEP_1)
	v_add3_u32 v2, v2, v22, v23
	v_mov_b32_dpp v7, v2 row_shr:1 row_mask:0xf bank_mask:0xf
	s_delay_alu instid0(VALU_DEP_1) | instskip(SKIP_1) | instid1(VALU_DEP_2)
	v_cndmask_b32_e32 v7, 0, v7, vcc_lo
	v_cmp_lt_u32_e32 vcc_lo, 1, v11
	v_add_nc_u32_e32 v2, v7, v2
	s_delay_alu instid0(VALU_DEP_1) | instskip(NEXT) | instid1(VALU_DEP_1)
	v_mov_b32_dpp v7, v2 row_shr:2 row_mask:0xf bank_mask:0xf
	v_cndmask_b32_e32 v7, 0, v7, vcc_lo
	v_cmp_lt_u32_e32 vcc_lo, 3, v11
	s_delay_alu instid0(VALU_DEP_2) | instskip(NEXT) | instid1(VALU_DEP_1)
	v_add_nc_u32_e32 v2, v2, v7
	v_mov_b32_dpp v7, v2 row_shr:4 row_mask:0xf bank_mask:0xf
	s_delay_alu instid0(VALU_DEP_1) | instskip(SKIP_1) | instid1(VALU_DEP_2)
	v_cndmask_b32_e32 v7, 0, v7, vcc_lo
	v_cmp_lt_u32_e32 vcc_lo, 7, v11
	v_add_nc_u32_e32 v2, v2, v7
	s_delay_alu instid0(VALU_DEP_1) | instskip(NEXT) | instid1(VALU_DEP_1)
	v_mov_b32_dpp v7, v2 row_shr:8 row_mask:0xf bank_mask:0xf
	v_cndmask_b32_e32 v7, 0, v7, vcc_lo
	v_cmp_gt_i32_e32 vcc_lo, 0, v13
	s_delay_alu instid0(VALU_DEP_2) | instskip(SKIP_4) | instid1(VALU_DEP_1)
	v_dual_cndmask_b32 v17, v13, v8 :: v_dual_add_nc_u32 v2, v2, v7
	ds_swizzle_b32 v7, v2 offset:swizzle(BROADCAST,32,15)
	v_lshlrev_b32_e32 v17, 2, v17
	s_waitcnt lgkmcnt(0)
	v_and_b32_e32 v7, v12, v7
	v_add_nc_u32_e32 v2, v2, v7
	ds_bpermute_b32 v2, v17, v2
	s_waitcnt lgkmcnt(0)
	v_add_nc_u32_e32 v2, v2, v16
	s_delay_alu instid0(VALU_DEP_1)
	v_cndmask_b32_e64 v2, v2, v6, s3
	ds_store_b32 v0, v2
	; wave barrier
	ds_load_2addr_b32 v[16:17], v0 offset0:1 offset1:2
	ds_load_2addr_b32 v[18:19], v0 offset0:3 offset1:4
	;; [unrolled: 1-line block ×3, first 2 shown]
	ds_load_b32 v7, v0 offset:28
	s_waitcnt lgkmcnt(3)
	v_add_nc_u32_e32 v2, v16, v2
	s_delay_alu instid0(VALU_DEP_1) | instskip(SKIP_1) | instid1(VALU_DEP_1)
	v_add_nc_u32_e32 v16, v17, v2
	s_waitcnt lgkmcnt(2)
	v_add_nc_u32_e32 v17, v18, v16
	s_delay_alu instid0(VALU_DEP_1) | instskip(SKIP_1) | instid1(VALU_DEP_1)
	v_add_nc_u32_e32 v18, v19, v17
	;; [unrolled: 4-line block ×3, first 2 shown]
	s_waitcnt lgkmcnt(0)
	v_add_nc_u32_e32 v7, v7, v20
	ds_store_2addr_b32 v0, v2, v16 offset0:1 offset1:2
	ds_store_2addr_b32 v0, v17, v18 offset0:3 offset1:4
	;; [unrolled: 1-line block ×3, first 2 shown]
	ds_store_b32 v0, v7 offset:28
.LBB143_34:                             ;   in Loop: Header=BB143_23 Depth=1
	s_or_b32 exec_lo, exec_lo, s23
	v_mov_b32_e32 v7, 0
	s_waitcnt lgkmcnt(0)
	s_barrier
	buffer_gl0_inv
	s_and_saveexec_b32 s23, s2
	s_cbranch_execz .LBB143_36
; %bb.35:                               ;   in Loop: Header=BB143_23 Depth=1
	ds_load_b32 v7, v10
.LBB143_36:                             ;   in Loop: Header=BB143_23 Depth=1
	s_or_b32 exec_lo, exec_lo, s23
	ds_load_b32 v2, v5 offset:1048
	s_mov_b32 s23, exec_lo
	s_waitcnt lgkmcnt(0)
	s_barrier
	buffer_gl0_inv
	v_cmpx_ne_u32_e32 0, v6
	s_cbranch_execz .LBB143_21
; %bb.37:                               ;   in Loop: Header=BB143_23 Depth=1
	v_dual_mov_b32 v7, v5 :: v_dual_add_nc_u32 v6, v7, v1
	s_delay_alu instid0(VALU_DEP_1)
	v_cmp_gt_u64_e32 vcc_lo, s[6:7], v[6:7]
	s_and_b32 exec_lo, exec_lo, vcc_lo
	s_cbranch_execz .LBB143_21
; %bb.38:                               ;   in Loop: Header=BB143_23 Depth=1
	v_mad_u64_u32 v[16:17], null, v6, s12, 0
	v_mad_u64_u32 v[18:19], null, v6, s10, 0
	s_delay_alu instid0(VALU_DEP_2) | instskip(NEXT) | instid1(VALU_DEP_2)
	v_mov_b32_e32 v7, v17
	v_mov_b32_e32 v17, v19
	s_delay_alu instid0(VALU_DEP_2) | instskip(NEXT) | instid1(VALU_DEP_2)
	v_mad_u64_u32 v[19:20], null, v6, s13, v[7:8]
	v_mad_u64_u32 v[20:21], null, v6, s11, v[17:18]
	s_delay_alu instid0(VALU_DEP_2) | instskip(NEXT) | instid1(VALU_DEP_2)
	v_mov_b32_e32 v17, v19
	v_mov_b32_e32 v19, v20
	s_delay_alu instid0(VALU_DEP_2) | instskip(NEXT) | instid1(VALU_DEP_2)
	v_lshlrev_b64 v[6:7], 2, v[16:17]
	v_lshlrev_b64 v[16:17], 3, v[18:19]
	s_delay_alu instid0(VALU_DEP_2) | instskip(NEXT) | instid1(VALU_DEP_3)
	v_add_co_u32 v6, vcc_lo, s18, v6
	v_add_co_ci_u32_e32 v7, vcc_lo, s21, v7, vcc_lo
	s_delay_alu instid0(VALU_DEP_3) | instskip(NEXT) | instid1(VALU_DEP_4)
	v_add_co_u32 v16, vcc_lo, s14, v16
	v_add_co_ci_u32_e32 v17, vcc_lo, s15, v17, vcc_lo
	global_store_b32 v[6:7], v14, off
	global_store_b64 v[16:17], v[4:5], off
	s_branch .LBB143_21
	.p2align	6
.LBB143_39:                             ;   in Loop: Header=BB143_40 Depth=1
	s_add_u32 s12, s12, 4
	s_addc_u32 s13, s13, 0
	s_waitcnt lgkmcnt(0)
	s_add_i32 s38, s9, s38
	s_add_u32 s14, s14, 4
	s_addc_u32 s15, s15, 0
	s_add_i32 s8, s8, 1
	s_delay_alu instid0(SALU_CYCLE_1)
	s_cmp_lt_u32 s8, s17
	s_cbranch_scc0 .LBB143_18
.LBB143_40:                             ; =>This Inner Loop Header: Depth=1
	s_load_b32 s9, s[12:13], 0x0
	s_cmp_ge_u32 s8, s36
	s_cbranch_scc1 .LBB143_39
; %bb.41:                               ;   in Loop: Header=BB143_40 Depth=1
	s_load_b32 s10, s[14:15], 0x0
	s_waitcnt lgkmcnt(0)
	s_add_i32 s29, s9, s29
	s_add_i32 s28, s10, s28
	s_branch .LBB143_39
.LBB143_42:
	s_nop 0
	s_sendmsg sendmsg(MSG_DEALLOC_VGPRS)
	s_endpgm
	.section	.rodata,"a",@progbits
	.p2align	6, 0x0
	.amdhsa_kernel _ZN2at6native6mbtopk10gatherTopKIimLi1EEEvNS_4cuda6detail10TensorInfoIKT_T0_EES8_S8_bjS8_NS5_IS6_S8_EES8_NS5_IlS8_EES8_jjPS6_PjSD_j
		.amdhsa_group_segment_fixed_size 1068
		.amdhsa_private_segment_fixed_size 0
		.amdhsa_kernarg_size 1592
		.amdhsa_user_sgpr_count 13
		.amdhsa_user_sgpr_dispatch_ptr 0
		.amdhsa_user_sgpr_queue_ptr 0
		.amdhsa_user_sgpr_kernarg_segment_ptr 1
		.amdhsa_user_sgpr_dispatch_id 0
		.amdhsa_user_sgpr_private_segment_size 0
		.amdhsa_wavefront_size32 1
		.amdhsa_uses_dynamic_stack 0
		.amdhsa_enable_private_segment 0
		.amdhsa_system_sgpr_workgroup_id_x 1
		.amdhsa_system_sgpr_workgroup_id_y 1
		.amdhsa_system_sgpr_workgroup_id_z 1
		.amdhsa_system_sgpr_workgroup_info 0
		.amdhsa_system_vgpr_workitem_id 0
		.amdhsa_next_free_vgpr 24
		.amdhsa_next_free_sgpr 42
		.amdhsa_reserve_vcc 1
		.amdhsa_float_round_mode_32 0
		.amdhsa_float_round_mode_16_64 0
		.amdhsa_float_denorm_mode_32 3
		.amdhsa_float_denorm_mode_16_64 3
		.amdhsa_dx10_clamp 1
		.amdhsa_ieee_mode 1
		.amdhsa_fp16_overflow 0
		.amdhsa_workgroup_processor_mode 1
		.amdhsa_memory_ordered 1
		.amdhsa_forward_progress 0
		.amdhsa_shared_vgpr_count 0
		.amdhsa_exception_fp_ieee_invalid_op 0
		.amdhsa_exception_fp_denorm_src 0
		.amdhsa_exception_fp_ieee_div_zero 0
		.amdhsa_exception_fp_ieee_overflow 0
		.amdhsa_exception_fp_ieee_underflow 0
		.amdhsa_exception_fp_ieee_inexact 0
		.amdhsa_exception_int_div_zero 0
	.end_amdhsa_kernel
	.section	.text._ZN2at6native6mbtopk10gatherTopKIimLi1EEEvNS_4cuda6detail10TensorInfoIKT_T0_EES8_S8_bjS8_NS5_IS6_S8_EES8_NS5_IlS8_EES8_jjPS6_PjSD_j,"axG",@progbits,_ZN2at6native6mbtopk10gatherTopKIimLi1EEEvNS_4cuda6detail10TensorInfoIKT_T0_EES8_S8_bjS8_NS5_IS6_S8_EES8_NS5_IlS8_EES8_jjPS6_PjSD_j,comdat
.Lfunc_end143:
	.size	_ZN2at6native6mbtopk10gatherTopKIimLi1EEEvNS_4cuda6detail10TensorInfoIKT_T0_EES8_S8_bjS8_NS5_IS6_S8_EES8_NS5_IlS8_EES8_jjPS6_PjSD_j, .Lfunc_end143-_ZN2at6native6mbtopk10gatherTopKIimLi1EEEvNS_4cuda6detail10TensorInfoIKT_T0_EES8_S8_bjS8_NS5_IS6_S8_EES8_NS5_IlS8_EES8_jjPS6_PjSD_j
                                        ; -- End function
	.section	.AMDGPU.csdata,"",@progbits
; Kernel info:
; codeLenInByte = 2648
; NumSgprs: 44
; NumVgprs: 24
; ScratchSize: 0
; MemoryBound: 0
; FloatMode: 240
; IeeeMode: 1
; LDSByteSize: 1068 bytes/workgroup (compile time only)
; SGPRBlocks: 5
; VGPRBlocks: 2
; NumSGPRsForWavesPerEU: 44
; NumVGPRsForWavesPerEU: 24
; Occupancy: 16
; WaveLimiterHint : 1
; COMPUTE_PGM_RSRC2:SCRATCH_EN: 0
; COMPUTE_PGM_RSRC2:USER_SGPR: 13
; COMPUTE_PGM_RSRC2:TRAP_HANDLER: 0
; COMPUTE_PGM_RSRC2:TGID_X_EN: 1
; COMPUTE_PGM_RSRC2:TGID_Y_EN: 1
; COMPUTE_PGM_RSRC2:TGID_Z_EN: 1
; COMPUTE_PGM_RSRC2:TIDIG_COMP_CNT: 0
	.section	.text._ZN2at6native6sbtopk10gatherTopKIimLi1ELb0EEEvNS_4cuda6detail10TensorInfoIKT_T0_EES8_S8_bS8_S8_NS5_IS6_S8_EES8_NS5_IlS8_EES8_PS6_,"axG",@progbits,_ZN2at6native6sbtopk10gatherTopKIimLi1ELb0EEEvNS_4cuda6detail10TensorInfoIKT_T0_EES8_S8_bS8_S8_NS5_IS6_S8_EES8_NS5_IlS8_EES8_PS6_,comdat
	.protected	_ZN2at6native6sbtopk10gatherTopKIimLi1ELb0EEEvNS_4cuda6detail10TensorInfoIKT_T0_EES8_S8_bS8_S8_NS5_IS6_S8_EES8_NS5_IlS8_EES8_PS6_ ; -- Begin function _ZN2at6native6sbtopk10gatherTopKIimLi1ELb0EEEvNS_4cuda6detail10TensorInfoIKT_T0_EES8_S8_bS8_S8_NS5_IS6_S8_EES8_NS5_IlS8_EES8_PS6_
	.globl	_ZN2at6native6sbtopk10gatherTopKIimLi1ELb0EEEvNS_4cuda6detail10TensorInfoIKT_T0_EES8_S8_bS8_S8_NS5_IS6_S8_EES8_NS5_IlS8_EES8_PS6_
	.p2align	8
	.type	_ZN2at6native6sbtopk10gatherTopKIimLi1ELb0EEEvNS_4cuda6detail10TensorInfoIKT_T0_EES8_S8_bS8_S8_NS5_IS6_S8_EES8_NS5_IlS8_EES8_PS6_,@function
_ZN2at6native6sbtopk10gatherTopKIimLi1ELb0EEEvNS_4cuda6detail10TensorInfoIKT_T0_EES8_S8_bS8_S8_NS5_IS6_S8_EES8_NS5_IlS8_EES8_PS6_: ; @_ZN2at6native6sbtopk10gatherTopKIimLi1ELb0EEEvNS_4cuda6detail10TensorInfoIKT_T0_EES8_S8_bS8_S8_NS5_IS6_S8_EES8_NS5_IlS8_EES8_PS6_
; %bb.0:
	s_clause 0x1
	s_load_b64 s[10:11], s[0:1], 0x520
	s_load_b128 s[36:39], s[0:1], 0x1b8
	s_add_u32 s8, s0, 0x520
	s_addc_u32 s9, s1, 0
	s_mov_b32 s43, 0
	s_waitcnt lgkmcnt(0)
	s_mul_i32 s2, s11, s15
	s_delay_alu instid0(SALU_CYCLE_1) | instskip(NEXT) | instid1(SALU_CYCLE_1)
	s_add_i32 s2, s2, s14
	s_mul_i32 s2, s2, s10
	s_delay_alu instid0(SALU_CYCLE_1) | instskip(NEXT) | instid1(SALU_CYCLE_1)
	s_add_i32 s42, s2, s13
	v_cmp_ge_u64_e64 s2, s[42:43], s[36:37]
	s_delay_alu instid0(VALU_DEP_1)
	s_and_b32 vcc_lo, exec_lo, s2
	s_cbranch_vccnz .LBB144_538
; %bb.1:
	s_clause 0x1
	s_load_b64 s[46:47], s[0:1], 0x440
	s_load_b64 s[2:3], s[0:1], 0x370
                                        ; implicit-def: $vgpr45 : SGPR spill to VGPR lane
	v_cmp_eq_u32_e64 s5, 0, v0
	s_waitcnt lgkmcnt(0)
	v_writelane_b32 v45, s2, 0
	v_writelane_b32 v45, s3, 1
	s_clause 0x4
	s_load_b64 s[50:51], s[0:1], 0x298
	s_load_b128 s[28:31], s[0:1], 0x1a0
	s_load_b64 s[48:49], s[0:1], 0x1c8
	s_load_b64 s[2:3], s[0:1], 0xd0
	;; [unrolled: 1-line block ×3, first 2 shown]
	s_and_saveexec_b32 s4, s5
	s_cbranch_execz .LBB144_3
; %bb.2:
	s_waitcnt lgkmcnt(0)
	v_dual_mov_b32 v1, 0 :: v_dual_mov_b32 v4, s29
	s_delay_alu instid0(VALU_DEP_1)
	v_dual_mov_b32 v3, s28 :: v_dual_mov_b32 v2, v1
	ds_store_b32 v1, v1 offset:5144
	ds_store_b128 v1, v[1:4] offset:5120
.LBB144_3:
	s_or_b32 exec_lo, exec_lo, s4
	v_mad_u64_u32 v[2:3], null, v0, s38, 0
	s_load_b32 s4, s[0:1], 0x1b0
	v_lshrrev_b32_e32 v6, 3, v0
	v_mov_b32_e32 v13, 0
	s_waitcnt lgkmcnt(0)
	s_mul_i32 s3, s3, s42
	s_mul_hi_u32 s6, s2, s42
	v_mbcnt_lo_u32_b32 v33, -1, 0
	v_dual_mov_b32 v1, v3 :: v_dual_and_b32 v34, 0x7c, v6
	v_lshlrev_b32_e32 v14, 2, v0
	s_mul_i32 s2, s2, s42
	v_lshlrev_b32_e32 v36, 4, v0
	s_delay_alu instid0(VALU_DEP_3)
	v_mad_u64_u32 v[3:4], null, v0, s39, v[1:2]
	v_mov_b32_e32 v1, v13
	s_barrier
	buffer_gl0_inv
	s_add_i32 s3, s6, s3
	s_load_b32 s7, s[8:9], 0xc
	s_lshl_b64 s[40:41], s[2:3], 2
	v_lshlrev_b64 v[4:5], 2, v[2:3]
	v_cmp_gt_u32_e32 vcc_lo, 32, v0
	v_cmp_gt_i32_e64 s3, 4, v33
	v_or_b32_e32 v9, 12, v36
	v_or_b32_e32 v12, 8, v36
	s_add_u32 s52, s36, s40
	s_addc_u32 s53, s37, s41
	s_bitcmp1_b32 s4, 0
	v_or_b32_e32 v22, 4, v36
	s_cselect_b32 s4, -1, 0
	s_and_b32 s74, vcc_lo, s3
	v_add_co_u32 v10, vcc_lo, s52, v4
	v_mad_u64_u32 v[16:17], null, s38, v9, 0
	v_mad_u64_u32 v[18:19], null, s38, v12, 0
	v_add_co_ci_u32_e32 v11, vcc_lo, s53, v5, vcc_lo
	v_lshlrev_b64 v[4:5], v33, -1
	v_mad_u64_u32 v[20:21], null, s38, v22, 0
	v_add_nc_u32_e32 v35, 0xc00, v14
	v_mov_b32_e32 v5, v19
	s_waitcnt lgkmcnt(0)
	s_and_b32 s33, s7, 0xffff
	v_not_b32_e32 v32, v4
	v_mov_b32_e32 v4, v17
	s_xor_b32 s43, s4, -1
	v_mov_b32_e32 v6, v21
	s_bfe_u32 s11, s7, 0xb0005
	s_add_u32 s76, s33, -1
	v_mad_u64_u32 v[7:8], null, s39, v9, v[4:5]
	s_addc_u32 s77, 0, -1
	s_add_u32 s78, s76, s28
	s_addc_u32 s27, s77, s29
	s_cmp_lt_u32 s13, s10
	v_mad_u64_u32 v[8:9], null, s39, v12, v[5:6]
	s_cselect_b32 s10, 12, 18
	s_delay_alu instid0(VALU_DEP_2)
	v_mad_u64_u32 v[4:5], null, s39, v22, v[6:7]
	s_add_u32 s56, s8, s10
	s_addc_u32 s57, s9, 0
	s_add_i32 s8, s11, -1
	s_bfe_u32 s79, s33, 0x30005
	s_cmp_gt_u32 s8, 6
	v_cmp_lt_u64_e64 s75, 0x300, s[28:29]
	s_cselect_b32 s80, -1, 0
	s_and_b32 s81, s11, 0x7f8
	v_cmp_gt_u64_e64 s3, s[28:29], v[0:1]
	v_dual_mov_b32 v15, v13 :: v_dual_mov_b32 v26, s30
	s_cmp_lg_u32 s79, 0
	v_cmp_gt_u16_e64 s82, s7, 31
	v_lshlrev_b64 v[21:22], 4, v[2:3]
	s_mul_i32 s7, s39, s33
	s_mul_hi_u32 s8, s38, s33
	v_cmp_eq_u32_e64 s2, 0, v33
	v_cmp_gt_u32_e64 s6, 2, v0
	v_dual_mov_b32 v17, v7 :: v_dual_mov_b32 v40, 0
	v_mov_b32_e32 v19, v8
	v_mov_b32_e32 v37, v4
	v_lshl_or_b32 v38, v33, 3, 0xc00
	v_mov_b32_e32 v27, s31
	v_mov_b32_e32 v23, 1
	;; [unrolled: 1-line block ×4, first 2 shown]
	s_cselect_b32 s83, -1, 0
	s_add_i32 s9, s8, s7
	s_mul_i32 s8, s38, s33
	s_mov_b32 s55, 0
	s_lshl_b64 s[58:59], s[38:39], 2
	s_lshl_b64 s[60:61], s[38:39], 4
	s_lshl_b32 s84, s33, 2
	s_lshl_b64 s[34:35], s[8:9], 2
	s_mov_b32 s91, 30
	s_mov_b32 s85, 0
	;; [unrolled: 1-line block ×3, first 2 shown]
                                        ; implicit-def: $sgpr86
                                        ; implicit-def: $sgpr90
                                        ; implicit-def: $sgpr89
                                        ; implicit-def: $sgpr92
                                        ; implicit-def: $sgpr88
                                        ; implicit-def: $sgpr93
                                        ; implicit-def: $sgpr95
                                        ; implicit-def: $sgpr94
                                        ; implicit-def: $sgpr96
                                        ; implicit-def: $sgpr97
	s_branch .LBB144_6
.LBB144_4:                              ;   in Loop: Header=BB144_6 Depth=1
	s_or_b32 exec_lo, exec_lo, s10
	v_dual_mov_b32 v39, v31 :: v_dual_mov_b32 v40, v30
	v_dual_mov_b32 v27, v5 :: v_dual_mov_b32 v26, v4
	v_mov_b32_e32 v25, v3
	s_and_not1_b32 s10, s97, exec_lo
	s_and_b32 s9, s9, exec_lo
	s_and_not1_b32 s96, s96, exec_lo
	s_or_b32 s97, s10, s9
	s_and_not1_b32 s94, s94, exec_lo
	s_and_not1_b32 s95, s95, exec_lo
	;; [unrolled: 1-line block ×3, first 2 shown]
	s_or_not1_b32 s8, s8, exec_lo
.LBB144_5:                              ;   in Loop: Header=BB144_6 Depth=1
	s_or_b32 exec_lo, exec_lo, s7
	s_delay_alu instid0(SALU_CYCLE_1) | instskip(NEXT) | instid1(SALU_CYCLE_1)
	s_and_b32 s7, exec_lo, s8
	s_or_b32 s85, s7, s85
	s_and_not1_b32 s7, s88, exec_lo
	s_and_b32 s8, s97, exec_lo
	s_and_not1_b32 s9, s92, exec_lo
	s_or_b32 s88, s7, s8
	s_and_b32 s7, s96, exec_lo
	s_and_not1_b32 s8, s89, exec_lo
	s_and_b32 s10, s94, exec_lo
	s_or_b32 s92, s9, s7
	s_or_b32 s89, s8, s10
	s_and_not1_b32 s7, s90, exec_lo
	s_and_b32 s8, s95, exec_lo
	s_and_not1_b32 s9, s86, exec_lo
	s_and_b32 s10, s93, exec_lo
	s_or_b32 s90, s7, s8
	s_or_b32 s86, s9, s10
	s_and_not1_b32 exec_lo, exec_lo, s85
	s_cbranch_execz .LBB144_478
.LBB144_6:                              ; =>This Loop Header: Depth=1
                                        ;     Child Loop BB144_14 Depth 2
                                        ;     Child Loop BB144_32 Depth 2
	;; [unrolled: 1-line block ×24, first 2 shown]
	ds_load_b128 v[2:5], v13 offset:5120
	s_waitcnt lgkmcnt(0)
	v_readfirstlane_b32 s63, v3
	v_readfirstlane_b32 s62, v2
	s_delay_alu instid0(VALU_DEP_1)
	s_cmp_lg_u64 s[62:63], 0
	s_cbranch_scc1 .LBB144_39
; %bb.7:                                ;   in Loop: Header=BB144_6 Depth=1
	s_and_b32 vcc_lo, exec_lo, s75
	s_cbranch_vccz .LBB144_22
; %bb.8:                                ;   in Loop: Header=BB144_6 Depth=1
	v_cmp_gt_u64_e32 vcc_lo, 0x301, v[4:5]
	s_mov_b32 s9, 0
	s_mov_b32 s7, 0
	s_cbranch_vccz .LBB144_23
; %bb.9:                                ;   in Loop: Header=BB144_6 Depth=1
	v_mov_b32_e32 v6, 0
	s_and_saveexec_b32 s7, s3
	s_cbranch_execz .LBB144_11
; %bb.10:                               ;   in Loop: Header=BB144_6 Depth=1
	global_load_b32 v6, v[10:11], off
.LBB144_11:                             ;   in Loop: Header=BB144_6 Depth=1
	s_or_b32 exec_lo, exec_lo, s7
	s_and_saveexec_b32 s10, s3
	s_cbranch_execz .LBB144_24
; %bb.12:                               ;   in Loop: Header=BB144_6 Depth=1
	global_load_u16 v7, v13, s[56:57]
	s_mov_b32 s13, 0
	s_waitcnt vmcnt(0)
	v_readfirstlane_b32 s7, v7
	v_and_b32_e32 v7, 0xffff, v7
	s_delay_alu instid0(VALU_DEP_2) | instskip(NEXT) | instid1(SALU_CYCLE_1)
	s_and_b32 s7, 0xffff, s7
	v_add_nc_u32_e32 v8, s7, v0
	s_mul_i32 s8, s59, s7
	s_mul_hi_u32 s11, s58, s7
	s_mul_i32 s12, s58, s7
	s_add_i32 s11, s11, s8
	v_mad_u64_u32 v[2:3], null, s58, v8, s[52:53]
	s_delay_alu instid0(VALU_DEP_1) | instskip(NEXT) | instid1(VALU_DEP_1)
	v_mad_u64_u32 v[4:5], null, s59, v8, v[3:4]
	v_mov_b32_e32 v3, v4
	v_dual_mov_b32 v5, v1 :: v_dual_mov_b32 v4, v0
	s_branch .LBB144_14
.LBB144_13:                             ;   in Loop: Header=BB144_14 Depth=2
	s_or_b32 exec_lo, exec_lo, s8
	v_add_co_u32 v2, vcc_lo, v2, s12
	v_add_co_ci_u32_e32 v3, vcc_lo, s11, v3, vcc_lo
	s_waitcnt vmcnt(0)
	v_mov_b32_e32 v6, v8
	s_and_not1_b32 exec_lo, exec_lo, s13
	s_cbranch_execz .LBB144_24
.LBB144_14:                             ;   Parent Loop BB144_6 Depth=1
                                        ; =>  This Inner Loop Header: Depth=2
	s_delay_alu instid0(VALU_DEP_1) | instskip(NEXT) | instid1(VALU_DEP_2)
	v_add_co_u32 v4, vcc_lo, v4, v7
	v_add_co_ci_u32_e32 v5, vcc_lo, 0, v5, vcc_lo
	s_waitcnt lgkmcnt(0)
	v_dual_mov_b32 v9, 0 :: v_dual_mov_b32 v8, 0
	s_mov_b32 s8, exec_lo
	s_delay_alu instid0(VALU_DEP_2)
	v_cmp_le_u64_e32 vcc_lo, s[28:29], v[4:5]
	v_cmpx_gt_u64_e64 s[28:29], v[4:5]
	s_cbranch_execz .LBB144_16
; %bb.15:                               ;   in Loop: Header=BB144_14 Depth=2
	global_load_b32 v8, v[2:3], off
.LBB144_16:                             ;   in Loop: Header=BB144_14 Depth=2
	s_or_b32 exec_lo, exec_lo, s8
	v_xor_b32_e32 v12, 0x80000000, v6
	s_delay_alu instid0(VALU_DEP_1) | instskip(NEXT) | instid1(VALU_DEP_1)
	v_and_b32_e32 v12, v12, v39
	v_cmp_eq_u32_e64 s7, v12, v40
	s_delay_alu instid0(VALU_DEP_1) | instskip(SKIP_1) | instid1(SALU_CYCLE_1)
	s_cmp_lg_u32 s7, 0
	s_cselect_b32 s8, -1, 0
	s_and_b32 s8, s2, s8
	s_delay_alu instid0(SALU_CYCLE_1)
	s_and_saveexec_b32 s14, s8
	s_cbranch_execz .LBB144_20
; %bb.17:                               ;   in Loop: Header=BB144_14 Depth=2
	s_mov_b32 s17, exec_lo
	s_bcnt1_i32_b32 s15, s7
	v_mbcnt_lo_u32_b32 v9, s17, 0
	s_mov_b32 s16, exec_lo
                                        ; implicit-def: $vgpr12
	s_delay_alu instid0(VALU_DEP_1)
	v_cmpx_eq_u32_e32 0, v9
	s_cbranch_execz .LBB144_19
; %bb.18:                               ;   in Loop: Header=BB144_14 Depth=2
	s_bcnt1_i32_b32 s8, s17
	s_delay_alu instid0(SALU_CYCLE_1) | instskip(NEXT) | instid1(SALU_CYCLE_1)
	s_mul_i32 s8, s15, s8
	v_mov_b32_e32 v12, s8
	ds_add_rtn_u32 v12, v13, v12 offset:5144
.LBB144_19:                             ;   in Loop: Header=BB144_14 Depth=2
	s_or_b32 exec_lo, exec_lo, s16
	s_waitcnt lgkmcnt(0)
	v_readfirstlane_b32 s8, v12
	s_delay_alu instid0(VALU_DEP_1)
	v_mad_u32_u24 v9, s15, v9, s8
.LBB144_20:                             ;   in Loop: Header=BB144_14 Depth=2
	s_or_b32 exec_lo, exec_lo, s14
	ds_bpermute_b32 v9, v13, v9
	s_and_b32 s8, exec_lo, vcc_lo
	s_delay_alu instid0(SALU_CYCLE_1)
	s_or_b32 s13, s8, s13
	s_and_saveexec_b32 s8, s7
	s_cbranch_execz .LBB144_13
; %bb.21:                               ;   in Loop: Header=BB144_14 Depth=2
	v_and_b32_e32 v12, s7, v32
	s_delay_alu instid0(VALU_DEP_1) | instskip(NEXT) | instid1(VALU_DEP_1)
	v_bcnt_u32_b32 v12, v12, 0
	v_lshlrev_b32_e32 v12, 2, v12
	s_waitcnt lgkmcnt(0)
	s_delay_alu instid0(VALU_DEP_1)
	v_lshl_add_u32 v9, v9, 2, v12
	ds_store_b32 v9, v6
	s_branch .LBB144_13
.LBB144_22:                             ;   in Loop: Header=BB144_6 Depth=1
	s_mov_b32 s7, 0
                                        ; implicit-def: $sgpr62_sgpr63
	s_cbranch_execnz .LBB144_27
	s_branch .LBB144_37
.LBB144_23:                             ;   in Loop: Header=BB144_6 Depth=1
	s_mov_b64 s[62:63], 0
	s_and_b32 vcc_lo, exec_lo, s9
	s_cbranch_vccnz .LBB144_27
	s_branch .LBB144_37
.LBB144_24:                             ;   in Loop: Header=BB144_6 Depth=1
	s_or_b32 exec_lo, exec_lo, s10
	s_waitcnt vmcnt(0) lgkmcnt(0)
	s_barrier
	buffer_gl0_inv
	s_and_saveexec_b32 s7, s5
	s_cbranch_execz .LBB144_26
; %bb.25:                               ;   in Loop: Header=BB144_6 Depth=1
	ds_load_b32 v2, v13 offset:5144
	s_waitcnt lgkmcnt(0)
	v_ashrrev_i32_e32 v3, 31, v2
	ds_store_b64 v13, v[2:3] offset:5120
.LBB144_26:                             ;   in Loop: Header=BB144_6 Depth=1
	s_or_b32 exec_lo, exec_lo, s7
	s_waitcnt lgkmcnt(0)
	s_mov_b32 s7, -1
	s_barrier
	s_mov_b64 s[62:63], 0
	s_and_b32 vcc_lo, exec_lo, s9
	s_cbranch_vccz .LBB144_37
.LBB144_27:                             ;   in Loop: Header=BB144_6 Depth=1
	v_mov_b32_e32 v6, 0
	s_and_saveexec_b32 s7, s3
	s_cbranch_execz .LBB144_29
; %bb.28:                               ;   in Loop: Header=BB144_6 Depth=1
	global_load_b32 v6, v[10:11], off
.LBB144_29:                             ;   in Loop: Header=BB144_6 Depth=1
	s_or_b32 exec_lo, exec_lo, s7
	s_and_saveexec_b32 s8, s3
	s_cbranch_execz .LBB144_34
; %bb.30:                               ;   in Loop: Header=BB144_6 Depth=1
	global_load_u16 v8, v13, s[56:57]
	s_mov_b32 s12, 0
	s_waitcnt vmcnt(0)
	v_readfirstlane_b32 s7, v8
	v_and_b32_e32 v8, 0xffff, v8
	s_delay_alu instid0(VALU_DEP_2) | instskip(NEXT) | instid1(SALU_CYCLE_1)
	s_and_b32 s7, 0xffff, s7
	v_add_nc_u32_e32 v7, s7, v0
	s_mul_i32 s10, s59, s7
	s_mul_hi_u32 s11, s58, s7
	s_lshl_b32 s9, s7, 2
	s_add_i32 s10, s11, s10
	v_mad_u64_u32 v[2:3], null, s58, v7, s[52:53]
	s_mul_i32 s11, s58, s7
	s_delay_alu instid0(VALU_DEP_1) | instskip(SKIP_1) | instid1(VALU_DEP_2)
	v_mad_u64_u32 v[4:5], null, s59, v7, v[3:4]
	v_mov_b32_e32 v7, v14
	v_mov_b32_e32 v3, v4
	v_dual_mov_b32 v5, v1 :: v_dual_mov_b32 v4, v0
	s_branch .LBB144_32
	.p2align	6
.LBB144_31:                             ;   in Loop: Header=BB144_32 Depth=2
	s_or_b32 exec_lo, exec_lo, s13
	s_delay_alu instid0(SALU_CYCLE_1)
	s_and_b32 s7, exec_lo, vcc_lo
	v_add_co_u32 v2, vcc_lo, v2, s11
	ds_store_b32 v7, v6
	s_waitcnt vmcnt(0)
	v_dual_mov_b32 v6, v9 :: v_dual_add_nc_u32 v7, s9, v7
	v_add_co_ci_u32_e32 v3, vcc_lo, s10, v3, vcc_lo
	s_or_b32 s12, s7, s12
	s_delay_alu instid0(SALU_CYCLE_1)
	s_and_not1_b32 exec_lo, exec_lo, s12
	s_cbranch_execz .LBB144_34
.LBB144_32:                             ;   Parent Loop BB144_6 Depth=1
                                        ; =>  This Inner Loop Header: Depth=2
	s_delay_alu instid0(VALU_DEP_1) | instskip(NEXT) | instid1(VALU_DEP_2)
	v_add_co_u32 v4, vcc_lo, v4, v8
	v_add_co_ci_u32_e32 v5, vcc_lo, 0, v5, vcc_lo
	v_mov_b32_e32 v9, 0
	s_mov_b32 s13, exec_lo
	s_delay_alu instid0(VALU_DEP_2)
	v_cmp_le_u64_e32 vcc_lo, s[28:29], v[4:5]
	v_cmpx_gt_u64_e64 s[28:29], v[4:5]
	s_cbranch_execz .LBB144_31
; %bb.33:                               ;   in Loop: Header=BB144_32 Depth=2
	global_load_b32 v9, v[2:3], off
	s_branch .LBB144_31
.LBB144_34:                             ;   in Loop: Header=BB144_6 Depth=1
	s_or_b32 exec_lo, exec_lo, s8
	s_waitcnt vmcnt(0) lgkmcnt(0)
	s_barrier
	buffer_gl0_inv
	s_and_saveexec_b32 s7, s5
	s_cbranch_execz .LBB144_36
; %bb.35:                               ;   in Loop: Header=BB144_6 Depth=1
	v_dual_mov_b32 v2, s28 :: v_dual_mov_b32 v3, s29
	ds_store_b64 v13, v[2:3] offset:5120
.LBB144_36:                             ;   in Loop: Header=BB144_6 Depth=1
	s_or_b32 exec_lo, exec_lo, s7
	s_mov_b32 s7, -1
	s_waitcnt lgkmcnt(0)
	s_barrier
                                        ; implicit-def: $sgpr62_sgpr63
.LBB144_37:                             ;   in Loop: Header=BB144_6 Depth=1
	s_and_b32 vcc_lo, exec_lo, s7
	s_cbranch_vccz .LBB144_39
; %bb.38:                               ;   in Loop: Header=BB144_6 Depth=1
	buffer_gl0_inv
	ds_load_b64 v[2:3], v13 offset:5120
	s_waitcnt lgkmcnt(0)
	v_readfirstlane_b32 s62, v2
.LBB144_39:                             ;   in Loop: Header=BB144_6 Depth=1
	s_delay_alu instid0(VALU_DEP_1)
	s_cmp_lt_i32 s62, 1
	s_cbranch_scc0 .LBB144_54
; %bb.40:                               ;   in Loop: Header=BB144_6 Depth=1
	global_load_u16 v2, v13, s[56:57]
	s_mov_b32 s8, s55
	s_mov_b32 s9, s29
	s_waitcnt vmcnt(0)
	v_readfirstlane_b32 s7, v2
	s_delay_alu instid0(VALU_DEP_1) | instskip(NEXT) | instid1(SALU_CYCLE_1)
	s_and_b32 s54, s7, 0xffff
	s_lshl_b32 s63, s54, 2
	s_cmp_lg_u64 s[8:9], 0
	s_cbranch_scc0 .LBB144_74
; %bb.41:                               ;   in Loop: Header=BB144_6 Depth=1
	v_cvt_f32_u32_e32 v2, s63
	s_sub_u32 s9, 0, s63
	s_subb_u32 s10, 0, 0
	s_delay_alu instid0(VALU_DEP_1) | instskip(NEXT) | instid1(VALU_DEP_1)
	v_fmac_f32_e64 v2, 0, 0x4f800000
	v_rcp_f32_e32 v2, v2
	s_waitcnt_depctr 0xfff
	v_mul_f32_e32 v2, 0x5f7ffffc, v2
	s_delay_alu instid0(VALU_DEP_1) | instskip(NEXT) | instid1(VALU_DEP_1)
	v_mul_f32_e32 v3, 0x2f800000, v2
	v_trunc_f32_e32 v3, v3
	s_delay_alu instid0(VALU_DEP_1) | instskip(SKIP_1) | instid1(VALU_DEP_2)
	v_fmac_f32_e32 v2, 0xcf800000, v3
	v_cvt_u32_f32_e32 v3, v3
	v_cvt_u32_f32_e32 v2, v2
	s_delay_alu instid0(VALU_DEP_2) | instskip(NEXT) | instid1(VALU_DEP_2)
	v_readfirstlane_b32 s7, v3
	v_readfirstlane_b32 s8, v2
	s_delay_alu instid0(VALU_DEP_2) | instskip(NEXT) | instid1(VALU_DEP_1)
	s_mul_i32 s11, s9, s7
	s_mul_hi_u32 s13, s9, s8
	s_mul_i32 s12, s10, s8
	s_add_i32 s11, s13, s11
	s_mul_i32 s14, s9, s8
	s_add_i32 s11, s11, s12
	s_mul_hi_u32 s13, s8, s14
	s_mul_hi_u32 s15, s7, s14
	s_mul_i32 s12, s7, s14
	s_mul_hi_u32 s14, s8, s11
	s_mul_i32 s8, s8, s11
	s_mul_hi_u32 s16, s7, s11
	s_add_u32 s8, s13, s8
	s_addc_u32 s13, 0, s14
	s_add_u32 s8, s8, s12
	s_mul_i32 s11, s7, s11
	s_addc_u32 s8, s13, s15
	s_addc_u32 s12, s16, 0
	s_add_u32 s8, s8, s11
	s_addc_u32 s11, 0, s12
	v_add_co_u32 v2, s8, v2, s8
	s_delay_alu instid0(VALU_DEP_1) | instskip(SKIP_1) | instid1(VALU_DEP_1)
	s_cmp_lg_u32 s8, 0
	s_addc_u32 s7, s7, s11
	v_readfirstlane_b32 s8, v2
	s_mul_i32 s11, s9, s7
	s_delay_alu instid0(VALU_DEP_1)
	s_mul_hi_u32 s12, s9, s8
	s_mul_i32 s10, s10, s8
	s_add_i32 s11, s12, s11
	s_mul_i32 s9, s9, s8
	s_add_i32 s11, s11, s10
	s_mul_hi_u32 s12, s7, s9
	s_mul_i32 s13, s7, s9
	s_mul_hi_u32 s9, s8, s9
	s_mul_hi_u32 s14, s8, s11
	s_mul_i32 s8, s8, s11
	s_mul_hi_u32 s10, s7, s11
	s_add_u32 s8, s9, s8
	s_addc_u32 s9, 0, s14
	s_add_u32 s8, s8, s13
	s_mul_i32 s11, s7, s11
	s_addc_u32 s8, s9, s12
	s_addc_u32 s9, s10, 0
	s_add_u32 s8, s8, s11
	s_addc_u32 s9, 0, s9
	v_add_co_u32 v2, s8, v2, s8
	s_delay_alu instid0(VALU_DEP_1) | instskip(SKIP_1) | instid1(VALU_DEP_1)
	s_cmp_lg_u32 s8, 0
	s_addc_u32 s7, s7, s9
	v_readfirstlane_b32 s8, v2
	s_mul_i32 s10, s28, s7
	s_mul_hi_u32 s9, s28, s7
	s_mul_hi_u32 s11, s29, s7
	s_mul_i32 s7, s29, s7
	s_mul_hi_u32 s12, s28, s8
	s_mul_hi_u32 s13, s29, s8
	s_mul_i32 s8, s29, s8
	s_add_u32 s10, s12, s10
	s_addc_u32 s9, 0, s9
	s_add_u32 s8, s10, s8
	s_addc_u32 s8, s9, s13
	s_addc_u32 s9, s11, 0
	s_add_u32 s7, s8, s7
	s_addc_u32 s8, 0, s9
	s_mul_hi_u32 s9, s63, s7
	s_mul_i32 s7, s63, s7
	s_mul_i32 s8, s63, s8
	v_sub_co_u32 v2, s7, s28, s7
	s_add_i32 s9, s9, s8
	s_cmp_lg_u32 s7, 0
	s_delay_alu instid0(VALU_DEP_1) | instskip(SKIP_2) | instid1(VALU_DEP_1)
	v_sub_co_u32 v3, s7, v2, s63
	s_subb_u32 s8, s29, s9
	s_cmp_lg_u32 s7, 0
	v_cmp_le_u32_e32 vcc_lo, s63, v3
	v_sub_co_u32 v4, s7, v3, s63
	s_subb_u32 s9, s8, 0
	s_cmp_lg_u32 s7, 0
	v_cndmask_b32_e64 v5, 0, -1, vcc_lo
	s_subb_u32 s7, s9, 0
	s_cmp_eq_u32 s9, 0
	v_mov_b32_e32 v7, s7
	s_cselect_b32 vcc_lo, -1, 0
	s_cmp_eq_u32 s8, 0
	v_cndmask_b32_e32 v5, -1, v5, vcc_lo
	v_cmp_le_u32_e32 vcc_lo, s63, v2
	s_cselect_b32 s7, -1, 0
	v_cndmask_b32_e64 v6, 0, -1, vcc_lo
	s_delay_alu instid0(VALU_DEP_3) | instskip(NEXT) | instid1(VALU_DEP_2)
	v_cmp_ne_u32_e32 vcc_lo, 0, v5
	v_cndmask_b32_e64 v5, -1, v6, s7
	v_cndmask_b32_e32 v6, s9, v7, vcc_lo
	v_cndmask_b32_e32 v4, v3, v4, vcc_lo
	s_delay_alu instid0(VALU_DEP_3) | instskip(NEXT) | instid1(VALU_DEP_3)
	v_cmp_ne_u32_e32 vcc_lo, 0, v5
	v_cndmask_b32_e32 v3, s8, v6, vcc_lo
	s_delay_alu instid0(VALU_DEP_3)
	v_cndmask_b32_e32 v2, v2, v4, vcc_lo
	s_cbranch_execnz .LBB144_43
.LBB144_42:                             ;   in Loop: Header=BB144_6 Depth=1
	v_cvt_f32_u32_e32 v2, s63
	s_sub_i32 s7, 0, s63
	s_delay_alu instid0(VALU_DEP_1) | instskip(SKIP_2) | instid1(VALU_DEP_1)
	v_rcp_iflag_f32_e32 v2, v2
	s_waitcnt_depctr 0xfff
	v_mul_f32_e32 v2, 0x4f7ffffe, v2
	v_cvt_u32_f32_e32 v2, v2
	s_delay_alu instid0(VALU_DEP_1) | instskip(NEXT) | instid1(VALU_DEP_1)
	v_mul_lo_u32 v3, s7, v2
	v_mul_hi_u32 v3, v2, v3
	s_delay_alu instid0(VALU_DEP_1) | instskip(NEXT) | instid1(VALU_DEP_1)
	v_add_nc_u32_e32 v2, v2, v3
	v_mul_hi_u32 v2, s28, v2
	s_delay_alu instid0(VALU_DEP_1) | instskip(NEXT) | instid1(VALU_DEP_1)
	v_mul_lo_u32 v2, v2, s63
	v_sub_nc_u32_e32 v2, s28, v2
	s_delay_alu instid0(VALU_DEP_1) | instskip(SKIP_1) | instid1(VALU_DEP_2)
	v_subrev_nc_u32_e32 v3, s63, v2
	v_cmp_le_u32_e32 vcc_lo, s63, v2
	v_cndmask_b32_e32 v2, v2, v3, vcc_lo
	s_delay_alu instid0(VALU_DEP_1) | instskip(SKIP_1) | instid1(VALU_DEP_2)
	v_subrev_nc_u32_e32 v3, s63, v2
	v_cmp_le_u32_e32 vcc_lo, s63, v2
	v_cndmask_b32_e32 v12, v2, v3, vcc_lo
	s_delay_alu instid0(VALU_DEP_1)
	v_dual_mov_b32 v2, v12 :: v_dual_mov_b32 v3, v13
.LBB144_43:                             ;   in Loop: Header=BB144_6 Depth=1
	s_delay_alu instid0(VALU_DEP_1) | instskip(NEXT) | instid1(VALU_DEP_2)
	v_sub_co_u32 v28, vcc_lo, s28, v2
	v_sub_co_ci_u32_e32 v29, vcc_lo, s29, v3, vcc_lo
	v_mov_b32_e32 v2, 0
	v_mov_b32_e32 v3, 0
	s_mov_b64 s[64:65], 0
	s_mov_b32 s98, exec_lo
	s_delay_alu instid0(VALU_DEP_1)
	v_dual_mov_b32 v5, v3 :: v_dual_mov_b32 v4, v2
	v_dual_mov_b32 v7, v3 :: v_dual_mov_b32 v6, v2
	;; [unrolled: 1-line block ×3, first 2 shown]
	v_cmpx_gt_u64_e64 v[28:29], v[14:15]
	s_cbranch_execz .LBB144_47
; %bb.44:                               ;   in Loop: Header=BB144_6 Depth=1
	v_dual_mov_b32 v31, v15 :: v_dual_mov_b32 v30, v14
	s_mul_i32 s7, s61, s54
	s_mul_hi_u32 s8, s60, s54
	s_and_b32 s99, s91, 0xfe
	s_add_i32 s100, s8, s7
	s_mul_i32 s101, s60, s54
	s_mov_b32 s102, 0
	s_mov_b64 s[66:67], s[52:53]
	s_mov_b64 s[68:69], 0
	;; [unrolled: 1-line block ×4, first 2 shown]
.LBB144_45:                             ;   Parent Loop BB144_6 Depth=1
                                        ; =>  This Inner Loop Header: Depth=2
	v_add_co_u32 v2, vcc_lo, s66, v21
	v_add_co_ci_u32_e32 v3, vcc_lo, s67, v22, vcc_lo
	v_add_co_u32 v4, vcc_lo, s66, v20
	v_add_co_ci_u32_e32 v5, vcc_lo, s67, v37, vcc_lo
	;; [unrolled: 2-line block ×4, first 2 shown]
	s_clause 0x3
	global_load_b32 v2, v[2:3], off
	global_load_b32 v3, v[4:5], off
	;; [unrolled: 1-line block ×4, first 2 shown]
	v_add_co_u32 v30, vcc_lo, v30, s63
	v_add_co_ci_u32_e32 v31, vcc_lo, 0, v31, vcc_lo
	s_delay_alu instid0(VALU_DEP_1)
	v_cmp_ge_u64_e32 vcc_lo, v[30:31], v[28:29]
	s_waitcnt vmcnt(3)
	v_xor_b32_e32 v2, 0x80000000, v2
	s_waitcnt vmcnt(2)
	v_xor_b32_e32 v3, 0x80000000, v3
	;; [unrolled: 2-line block ×4, first 2 shown]
	v_and_b32_e32 v6, v2, v39
	v_bfe_u32 v2, v2, s99, 2
	v_and_b32_e32 v7, v3, v39
	v_bfe_u32 v3, v3, s99, 2
	v_and_b32_e32 v8, v4, v39
	v_bfe_u32 v4, v4, s99, 2
	v_cmp_eq_u32_e64 s7, v6, v40
	v_cmp_eq_u32_e64 s11, 0, v2
	v_and_b32_e32 v9, v5, v39
	v_bfe_u32 v5, v5, s99, 2
	v_cmp_eq_u32_e64 s8, v7, v40
	v_cmp_eq_u32_e64 s12, 0, v3
	;; [unrolled: 1-line block ×4, first 2 shown]
	s_and_b32 s11, s7, s11
	v_cmp_eq_u32_e64 s10, v9, v40
	v_cmp_eq_u32_e64 s14, 0, v5
	;; [unrolled: 1-line block ×5, first 2 shown]
	v_cndmask_b32_e64 v2, 0, 1, s11
	s_and_b32 s11, s8, s12
	v_cmp_eq_u32_e64 s16, 1, v3
	v_cmp_eq_u32_e64 s20, 2, v3
	v_cmp_eq_u32_e64 s24, 3, v3
	v_cndmask_b32_e64 v3, 0, 1, s11
	s_and_b32 s11, s9, s13
	v_cmp_eq_u32_e64 s17, 1, v4
	v_cmp_eq_u32_e64 s21, 2, v4
	v_cmp_eq_u32_e64 s25, 3, v4
	;; [unrolled: 5-line block ×3, first 2 shown]
	v_cndmask_b32_e64 v5, 0, 1, s11
	v_cmp_ne_u32_e64 s11, 0, v2
	v_cmp_ne_u32_e64 s12, 0, v3
	;; [unrolled: 1-line block ×3, first 2 shown]
	s_delay_alu instid0(VALU_DEP_4) | instskip(NEXT) | instid1(VALU_DEP_4)
	v_cmp_ne_u32_e64 s14, 0, v5
	s_bcnt1_i32_b32 s11, s11
	s_delay_alu instid0(VALU_DEP_3) | instskip(NEXT) | instid1(VALU_DEP_2)
	s_bcnt1_i32_b32 s12, s12
	s_bcnt1_i32_b32 s13, s13
	s_add_i32 s11, s12, s11
	s_bcnt1_i32_b32 s14, s14
	s_add_i32 s11, s11, s13
	s_delay_alu instid0(SALU_CYCLE_1) | instskip(NEXT) | instid1(SALU_CYCLE_1)
	s_add_i32 s11, s11, s14
	s_add_u32 s72, s72, s11
	s_addc_u32 s73, s73, 0
	s_and_b32 s11, s7, s15
	v_mov_b32_e32 v2, s72
	v_cndmask_b32_e64 v4, 0, 1, s11
	s_and_b32 s11, s8, s16
	v_mov_b32_e32 v3, s73
	v_cndmask_b32_e64 v5, 0, 1, s11
	s_and_b32 s11, s9, s17
	s_delay_alu instid0(SALU_CYCLE_1) | instskip(SKIP_1) | instid1(VALU_DEP_2)
	v_cndmask_b32_e64 v6, 0, 1, s11
	s_and_b32 s11, s10, s18
	v_cmp_ne_u32_e64 s12, 0, v5
	v_cndmask_b32_e64 v7, 0, 1, s11
	v_cmp_ne_u32_e64 s11, 0, v4
	v_cmp_ne_u32_e64 s13, 0, v6
	s_delay_alu instid0(VALU_DEP_4) | instskip(NEXT) | instid1(VALU_DEP_3)
	s_bcnt1_i32_b32 s12, s12
	v_cmp_ne_u32_e64 s14, 0, v7
	s_delay_alu instid0(VALU_DEP_3) | instskip(NEXT) | instid1(VALU_DEP_2)
	s_bcnt1_i32_b32 s11, s11
	s_bcnt1_i32_b32 s13, s13
	s_add_i32 s11, s12, s11
	s_delay_alu instid0(VALU_DEP_1) | instskip(SKIP_1) | instid1(SALU_CYCLE_1)
	s_bcnt1_i32_b32 s14, s14
	s_add_i32 s11, s11, s13
	s_add_i32 s11, s11, s14
	s_delay_alu instid0(SALU_CYCLE_1) | instskip(SKIP_2) | instid1(SALU_CYCLE_1)
	s_add_u32 s70, s70, s11
	s_addc_u32 s71, s71, 0
	s_and_b32 s11, s7, s19
	v_cndmask_b32_e64 v4, 0, 1, s11
	s_and_b32 s11, s8, s20
	s_delay_alu instid0(SALU_CYCLE_1) | instskip(SKIP_1) | instid1(SALU_CYCLE_1)
	v_cndmask_b32_e64 v5, 0, 1, s11
	s_and_b32 s11, s9, s21
	v_cndmask_b32_e64 v6, 0, 1, s11
	s_and_b32 s11, s10, s22
	s_delay_alu instid0(VALU_DEP_2) | instskip(SKIP_3) | instid1(VALU_DEP_4)
	v_cmp_ne_u32_e64 s12, 0, v5
	v_cndmask_b32_e64 v7, 0, 1, s11
	v_cmp_ne_u32_e64 s11, 0, v4
	v_cmp_ne_u32_e64 s13, 0, v6
	s_bcnt1_i32_b32 s12, s12
	s_delay_alu instid0(VALU_DEP_3) | instskip(NEXT) | instid1(VALU_DEP_3)
	v_cmp_ne_u32_e64 s14, 0, v7
	s_bcnt1_i32_b32 s11, s11
	s_delay_alu instid0(VALU_DEP_2) | instskip(SKIP_1) | instid1(VALU_DEP_1)
	s_bcnt1_i32_b32 s13, s13
	s_add_i32 s11, s12, s11
	s_bcnt1_i32_b32 s14, s14
	s_add_i32 s11, s11, s13
	s_delay_alu instid0(SALU_CYCLE_1) | instskip(NEXT) | instid1(SALU_CYCLE_1)
	s_add_i32 s11, s11, s14
	s_add_u32 s68, s68, s11
	s_addc_u32 s69, s69, 0
	s_and_b32 s7, s7, s23
	s_delay_alu instid0(SALU_CYCLE_1) | instskip(SKIP_1) | instid1(SALU_CYCLE_1)
	v_cndmask_b32_e64 v4, 0, 1, s7
	s_and_b32 s7, s8, s24
	v_cndmask_b32_e64 v5, 0, 1, s7
	s_and_b32 s7, s9, s25
	s_delay_alu instid0(SALU_CYCLE_1) | instskip(SKIP_1) | instid1(VALU_DEP_2)
	v_cndmask_b32_e64 v6, 0, 1, s7
	s_and_b32 s7, s10, s26
	v_cmp_ne_u32_e64 s8, 0, v5
	v_cndmask_b32_e64 v7, 0, 1, s7
	v_cmp_ne_u32_e64 s7, 0, v4
	v_mov_b32_e32 v4, s70
	v_cmp_ne_u32_e64 s9, 0, v6
	s_bcnt1_i32_b32 s8, s8
	v_cmp_ne_u32_e64 s10, 0, v7
	s_bcnt1_i32_b32 s7, s7
	v_mov_b32_e32 v5, s71
	s_bcnt1_i32_b32 s9, s9
	s_add_i32 s7, s8, s7
	s_bcnt1_i32_b32 s8, s10
	s_add_i32 s7, s7, s9
	v_dual_mov_b32 v6, s68 :: v_dual_mov_b32 v7, s69
	s_add_i32 s7, s7, s8
	s_delay_alu instid0(SALU_CYCLE_1) | instskip(SKIP_1) | instid1(SALU_CYCLE_1)
	s_add_u32 s64, s64, s7
	s_addc_u32 s65, s65, 0
	v_dual_mov_b32 v8, s64 :: v_dual_mov_b32 v9, s65
	s_add_u32 s66, s66, s101
	s_addc_u32 s67, s67, s100
	s_or_b32 s102, vcc_lo, s102
	s_delay_alu instid0(SALU_CYCLE_1)
	s_and_not1_b32 exec_lo, exec_lo, s102
	s_cbranch_execnz .LBB144_45
; %bb.46:                               ;   in Loop: Header=BB144_6 Depth=1
	s_or_b32 exec_lo, exec_lo, s102
.LBB144_47:                             ;   in Loop: Header=BB144_6 Depth=1
	s_delay_alu instid0(SALU_CYCLE_1) | instskip(SKIP_3) | instid1(VALU_DEP_2)
	s_or_b32 exec_lo, exec_lo, s98
	v_add_co_u32 v28, vcc_lo, v28, v0
	v_add_co_ci_u32_e32 v29, vcc_lo, 0, v29, vcc_lo
	v_mov_b32_e32 v24, 0
	v_cmp_gt_u64_e32 vcc_lo, s[28:29], v[28:29]
	s_and_saveexec_b32 s8, vcc_lo
	s_cbranch_execz .LBB144_49
; %bb.48:                               ;   in Loop: Header=BB144_6 Depth=1
	v_mul_lo_u32 v12, v29, s38
	v_mul_lo_u32 v24, v28, s39
	v_mad_u64_u32 v[30:31], null, v28, s38, 0
	s_delay_alu instid0(VALU_DEP_1) | instskip(NEXT) | instid1(VALU_DEP_1)
	v_add3_u32 v31, v31, v24, v12
	v_lshlrev_b64 v[30:31], 2, v[30:31]
	s_delay_alu instid0(VALU_DEP_1) | instskip(NEXT) | instid1(VALU_DEP_1)
	v_add_co_u32 v30, s7, s52, v30
	v_add_co_ci_u32_e64 v31, s7, s53, v31, s7
	global_load_b32 v24, v[30:31], off
.LBB144_49:                             ;   in Loop: Header=BB144_6 Depth=1
	s_or_b32 exec_lo, exec_lo, s8
	s_and_saveexec_b32 s10, vcc_lo
	s_cbranch_execz .LBB144_56
; %bb.50:                               ;   in Loop: Header=BB144_6 Depth=1
	s_and_b32 s12, s91, 0xfe
	s_mov_b32 s11, 0
	s_branch .LBB144_52
.LBB144_51:                             ;   in Loop: Header=BB144_52 Depth=2
	s_or_b32 exec_lo, exec_lo, s8
	s_waitcnt vmcnt(0)
	v_xor_b32_e32 v24, 0x80000000, v24
	s_and_b32 s9, exec_lo, vcc_lo
	s_delay_alu instid0(SALU_CYCLE_1) | instskip(NEXT) | instid1(VALU_DEP_1)
	s_or_b32 s11, s9, s11
	v_and_b32_e32 v30, v24, v39
	v_bfe_u32 v24, v24, s12, 2
	s_delay_alu instid0(VALU_DEP_2) | instskip(NEXT) | instid1(VALU_DEP_2)
	v_cmp_eq_u32_e64 s7, v30, v40
	v_cmp_eq_u32_e64 s8, 0, v24
	v_cmp_eq_u32_e32 vcc_lo, 1, v24
	v_cmp_eq_u32_e64 s9, 2, v24
	s_delay_alu instid0(VALU_DEP_3) | instskip(NEXT) | instid1(SALU_CYCLE_1)
	s_and_b32 s8, s7, s8
	v_cndmask_b32_e64 v30, 0, 1, s8
	s_and_b32 s8, s7, vcc_lo
	v_cmp_eq_u32_e32 vcc_lo, 3, v24
	v_cndmask_b32_e64 v31, 0, 1, s8
	s_and_b32 s8, s7, s9
	s_delay_alu instid0(SALU_CYCLE_1) | instskip(SKIP_1) | instid1(VALU_DEP_3)
	v_cndmask_b32_e64 v24, 0, 1, s8
	v_cmp_ne_u32_e64 s8, 0, v30
	v_cmp_ne_u32_e64 s9, 0, v31
	s_and_b32 s7, s7, vcc_lo
	s_delay_alu instid0(SALU_CYCLE_1) | instskip(NEXT) | instid1(VALU_DEP_3)
	v_cndmask_b32_e64 v30, 0, 1, s7
	s_bcnt1_i32_b32 s7, s8
	v_cmp_ne_u32_e32 vcc_lo, 0, v24
	v_add_co_u32 v2, s7, v2, s7
	s_bcnt1_i32_b32 s8, s9
	v_add_co_ci_u32_e64 v3, s7, 0, v3, s7
	v_add_co_u32 v4, s7, v4, s8
	s_delay_alu instid0(VALU_DEP_1) | instskip(SKIP_3) | instid1(VALU_DEP_1)
	v_add_co_ci_u32_e64 v5, s7, 0, v5, s7
	s_bcnt1_i32_b32 s7, vcc_lo
	v_cmp_ne_u32_e32 vcc_lo, 0, v30
	v_add_co_u32 v6, s7, v6, s7
	v_add_co_ci_u32_e64 v7, s7, 0, v7, s7
	s_bcnt1_i32_b32 s7, vcc_lo
	v_mov_b32_e32 v24, v12
	v_add_co_u32 v8, vcc_lo, v8, s7
	v_add_co_ci_u32_e32 v9, vcc_lo, 0, v9, vcc_lo
	s_and_not1_b32 exec_lo, exec_lo, s11
	s_cbranch_execz .LBB144_55
.LBB144_52:                             ;   Parent Loop BB144_6 Depth=1
                                        ; =>  This Inner Loop Header: Depth=2
	v_add_co_u32 v28, vcc_lo, v28, s54
	v_add_co_ci_u32_e32 v29, vcc_lo, 0, v29, vcc_lo
	v_mov_b32_e32 v12, 0
	s_mov_b32 s8, exec_lo
	s_delay_alu instid0(VALU_DEP_2)
	v_cmp_le_u64_e32 vcc_lo, s[28:29], v[28:29]
	v_cmpx_gt_u64_e64 s[28:29], v[28:29]
	s_cbranch_execz .LBB144_51
; %bb.53:                               ;   in Loop: Header=BB144_52 Depth=2
	v_mul_lo_u32 v12, v29, s38
	v_mul_lo_u32 v41, v28, s39
	v_mad_u64_u32 v[30:31], null, v28, s38, 0
	s_delay_alu instid0(VALU_DEP_1) | instskip(NEXT) | instid1(VALU_DEP_1)
	v_add3_u32 v31, v31, v41, v12
	v_lshlrev_b64 v[30:31], 2, v[30:31]
	s_delay_alu instid0(VALU_DEP_1) | instskip(NEXT) | instid1(VALU_DEP_1)
	v_add_co_u32 v30, s7, s52, v30
	v_add_co_ci_u32_e64 v31, s7, s53, v31, s7
	global_load_b32 v12, v[30:31], off
	s_branch .LBB144_51
.LBB144_54:                             ;   in Loop: Header=BB144_6 Depth=1
                                        ; implicit-def: $vgpr8_vgpr9
                                        ; implicit-def: $vgpr4_vgpr5
	s_cbranch_execnz .LBB144_57
	s_branch .LBB144_66
.LBB144_55:                             ;   in Loop: Header=BB144_6 Depth=1
	s_or_b32 exec_lo, exec_lo, s11
.LBB144_56:                             ;   in Loop: Header=BB144_6 Depth=1
	s_delay_alu instid0(SALU_CYCLE_1)
	s_or_b32 exec_lo, exec_lo, s10
	s_branch .LBB144_66
.LBB144_57:                             ;   in Loop: Header=BB144_6 Depth=1
	global_load_u16 v8, v13, s[56:57]
	s_mov_b64 s[64:65], 0
	s_mov_b32 s72, exec_lo
	s_waitcnt vmcnt(0)
	v_readfirstlane_b32 s7, v8
	v_and_b32_e32 v24, 0xffff, v8
	s_delay_alu instid0(VALU_DEP_2) | instskip(NEXT) | instid1(SALU_CYCLE_1)
	s_and_b32 s7, 0xffff, s7
	s_lshl_b32 s63, s7, 2
	s_delay_alu instid0(SALU_CYCLE_1) | instskip(SKIP_1) | instid1(VALU_DEP_1)
	v_cvt_f32_u32_e32 v2, s63
	s_sub_i32 s8, 0, s63
	v_rcp_iflag_f32_e32 v2, v2
	s_waitcnt_depctr 0xfff
	v_mul_f32_e32 v2, 0x4f7ffffe, v2
	s_delay_alu instid0(VALU_DEP_1) | instskip(NEXT) | instid1(VALU_DEP_1)
	v_cvt_u32_f32_e32 v2, v2
	v_readfirstlane_b32 s7, v2
	v_mov_b32_e32 v2, 0
	v_mov_b32_e32 v3, 0
	s_delay_alu instid0(VALU_DEP_3) | instskip(NEXT) | instid1(VALU_DEP_1)
	s_mul_i32 s8, s8, s7
	v_dual_mov_b32 v5, v3 :: v_dual_mov_b32 v4, v2
	s_mul_hi_u32 s8, s7, s8
	v_dual_mov_b32 v7, v3 :: v_dual_mov_b32 v6, v2
	s_add_i32 s7, s7, s8
	v_dual_mov_b32 v9, v3 :: v_dual_mov_b32 v8, v2
	s_mul_hi_u32 s7, s62, s7
	s_delay_alu instid0(SALU_CYCLE_1) | instskip(NEXT) | instid1(SALU_CYCLE_1)
	s_mul_i32 s7, s7, s63
	s_sub_i32 s7, s62, s7
	s_delay_alu instid0(SALU_CYCLE_1) | instskip(SKIP_2) | instid1(SALU_CYCLE_1)
	s_sub_i32 s8, s7, s63
	s_cmp_ge_u32 s7, s63
	s_cselect_b32 s7, s8, s7
	s_sub_i32 s8, s7, s63
	s_cmp_ge_u32 s7, s63
	s_cselect_b32 s7, s8, s7
	s_delay_alu instid0(SALU_CYCLE_1) | instskip(NEXT) | instid1(SALU_CYCLE_1)
	s_sub_i32 s54, s62, s7
	v_cmpx_gt_u32_e64 s54, v14
	s_cbranch_execz .LBB144_61
; %bb.58:                               ;   in Loop: Header=BB144_6 Depth=1
	v_dual_mov_b32 v29, v15 :: v_dual_lshlrev_b32 v12, 4, v24
	v_mov_b32_e32 v30, v36
	v_mov_b32_e32 v28, v14
	s_and_b32 s73, s91, 0xfe
	s_mov_b32 s98, 0
	s_mov_b64 s[66:67], 0
	s_mov_b64 s[68:69], 0
	;; [unrolled: 1-line block ×3, first 2 shown]
.LBB144_59:                             ;   Parent Loop BB144_6 Depth=1
                                        ; =>  This Inner Loop Header: Depth=2
	ds_load_b128 v[2:5], v30
	v_add_co_u32 v28, vcc_lo, v28, s63
	v_add_co_ci_u32_e32 v29, vcc_lo, 0, v29, vcc_lo
	s_delay_alu instid0(VALU_DEP_1)
	v_cmp_le_u64_e32 vcc_lo, s[54:55], v[28:29]
	s_waitcnt lgkmcnt(0)
	v_xor_b32_e32 v2, 0x80000000, v2
	v_xor_b32_e32 v3, 0x80000000, v3
	;; [unrolled: 1-line block ×4, first 2 shown]
	s_delay_alu instid0(VALU_DEP_4)
	v_and_b32_e32 v6, v2, v39
	v_bfe_u32 v2, v2, s73, 2
	v_and_b32_e32 v7, v3, v39
	v_bfe_u32 v3, v3, s73, 2
	;; [unrolled: 2-line block ×3, first 2 shown]
	v_cmp_eq_u32_e64 s7, v6, v40
	v_cmp_eq_u32_e64 s11, 0, v2
	v_and_b32_e32 v9, v5, v39
	v_bfe_u32 v5, v5, s73, 2
	v_cmp_eq_u32_e64 s8, v7, v40
	v_cmp_eq_u32_e64 s12, 0, v3
	;; [unrolled: 1-line block ×4, first 2 shown]
	s_and_b32 s11, s7, s11
	v_cmp_eq_u32_e64 s10, v9, v40
	v_cmp_eq_u32_e64 s14, 0, v5
	;; [unrolled: 1-line block ×5, first 2 shown]
	v_cndmask_b32_e64 v2, 0, 1, s11
	s_and_b32 s11, s8, s12
	v_cmp_eq_u32_e64 s16, 1, v3
	v_cmp_eq_u32_e64 s20, 2, v3
	v_cmp_eq_u32_e64 s24, 3, v3
	v_cndmask_b32_e64 v3, 0, 1, s11
	s_and_b32 s11, s9, s13
	v_cmp_eq_u32_e64 s17, 1, v4
	v_cmp_eq_u32_e64 s21, 2, v4
	v_cmp_eq_u32_e64 s25, 3, v4
	;; [unrolled: 5-line block ×3, first 2 shown]
	v_cndmask_b32_e64 v5, 0, 1, s11
	v_cmp_ne_u32_e64 s11, 0, v2
	v_cmp_ne_u32_e64 s12, 0, v3
	;; [unrolled: 1-line block ×3, first 2 shown]
	s_delay_alu instid0(VALU_DEP_4) | instskip(NEXT) | instid1(VALU_DEP_4)
	v_cmp_ne_u32_e64 s14, 0, v5
	s_bcnt1_i32_b32 s11, s11
	s_delay_alu instid0(VALU_DEP_3) | instskip(NEXT) | instid1(VALU_DEP_2)
	s_bcnt1_i32_b32 s12, s12
	s_bcnt1_i32_b32 s13, s13
	s_add_i32 s11, s12, s11
	s_bcnt1_i32_b32 s14, s14
	s_add_i32 s11, s11, s13
	s_delay_alu instid0(SALU_CYCLE_1) | instskip(NEXT) | instid1(SALU_CYCLE_1)
	s_add_i32 s11, s11, s14
	s_add_u32 s70, s70, s11
	s_addc_u32 s71, s71, 0
	s_and_b32 s11, s7, s15
	v_add_nc_u32_e32 v30, v30, v12
	v_cndmask_b32_e64 v2, 0, 1, s11
	s_and_b32 s11, s8, s16
	s_delay_alu instid0(SALU_CYCLE_1) | instskip(SKIP_1) | instid1(SALU_CYCLE_1)
	v_cndmask_b32_e64 v3, 0, 1, s11
	s_and_b32 s11, s9, s17
	v_cndmask_b32_e64 v4, 0, 1, s11
	s_and_b32 s11, s10, s18
	s_delay_alu instid0(VALU_DEP_2) | instskip(SKIP_3) | instid1(VALU_DEP_4)
	v_cmp_ne_u32_e64 s12, 0, v3
	v_cndmask_b32_e64 v5, 0, 1, s11
	v_cmp_ne_u32_e64 s11, 0, v2
	v_cmp_ne_u32_e64 s13, 0, v4
	s_bcnt1_i32_b32 s12, s12
	s_delay_alu instid0(VALU_DEP_3) | instskip(NEXT) | instid1(VALU_DEP_3)
	v_cmp_ne_u32_e64 s14, 0, v5
	s_bcnt1_i32_b32 s11, s11
	s_delay_alu instid0(VALU_DEP_2) | instskip(SKIP_1) | instid1(VALU_DEP_1)
	s_bcnt1_i32_b32 s13, s13
	s_add_i32 s11, s12, s11
	s_bcnt1_i32_b32 s14, s14
	s_add_i32 s11, s11, s13
	s_delay_alu instid0(SALU_CYCLE_1) | instskip(NEXT) | instid1(SALU_CYCLE_1)
	s_add_i32 s11, s11, s14
	s_add_u32 s68, s68, s11
	s_addc_u32 s69, s69, 0
	s_and_b32 s11, s7, s19
	s_delay_alu instid0(SALU_CYCLE_1) | instskip(SKIP_1) | instid1(SALU_CYCLE_1)
	v_cndmask_b32_e64 v2, 0, 1, s11
	s_and_b32 s11, s8, s20
	v_cndmask_b32_e64 v3, 0, 1, s11
	s_and_b32 s11, s9, s21
	s_delay_alu instid0(SALU_CYCLE_1) | instskip(SKIP_1) | instid1(VALU_DEP_2)
	v_cndmask_b32_e64 v4, 0, 1, s11
	s_and_b32 s11, s10, s22
	v_cmp_ne_u32_e64 s12, 0, v3
	v_cndmask_b32_e64 v5, 0, 1, s11
	v_cmp_ne_u32_e64 s11, 0, v2
	v_cmp_ne_u32_e64 s13, 0, v4
	s_delay_alu instid0(VALU_DEP_4) | instskip(NEXT) | instid1(VALU_DEP_3)
	s_bcnt1_i32_b32 s12, s12
	v_cmp_ne_u32_e64 s14, 0, v5
	s_delay_alu instid0(VALU_DEP_3) | instskip(NEXT) | instid1(VALU_DEP_2)
	s_bcnt1_i32_b32 s11, s11
	s_bcnt1_i32_b32 s13, s13
	s_add_i32 s11, s12, s11
	s_delay_alu instid0(VALU_DEP_1) | instskip(SKIP_1) | instid1(SALU_CYCLE_1)
	s_bcnt1_i32_b32 s14, s14
	s_add_i32 s11, s11, s13
	s_add_i32 s11, s11, s14
	s_delay_alu instid0(SALU_CYCLE_1) | instskip(SKIP_2) | instid1(SALU_CYCLE_1)
	s_add_u32 s66, s66, s11
	s_addc_u32 s67, s67, 0
	s_and_b32 s7, s7, s23
	v_cndmask_b32_e64 v2, 0, 1, s7
	s_and_b32 s7, s8, s24
	s_delay_alu instid0(SALU_CYCLE_1) | instskip(SKIP_1) | instid1(SALU_CYCLE_1)
	v_cndmask_b32_e64 v3, 0, 1, s7
	s_and_b32 s7, s9, s25
	v_cndmask_b32_e64 v4, 0, 1, s7
	s_and_b32 s7, s10, s26
	s_delay_alu instid0(VALU_DEP_2) | instskip(SKIP_4) | instid1(VALU_DEP_4)
	v_cmp_ne_u32_e64 s8, 0, v3
	v_cndmask_b32_e64 v5, 0, 1, s7
	v_cmp_ne_u32_e64 s7, 0, v2
	v_cmp_ne_u32_e64 s9, 0, v4
	v_dual_mov_b32 v2, s70 :: v_dual_mov_b32 v3, s71
	v_cmp_ne_u32_e64 s10, 0, v5
	s_delay_alu instid0(VALU_DEP_4)
	s_bcnt1_i32_b32 s7, s7
	s_bcnt1_i32_b32 s8, s8
	;; [unrolled: 1-line block ×3, first 2 shown]
	s_add_i32 s7, s8, s7
	s_bcnt1_i32_b32 s8, s10
	s_add_i32 s7, s7, s9
	v_mov_b32_e32 v4, s68
	s_add_i32 s7, s7, s8
	v_mov_b32_e32 v5, s69
	s_add_u32 s64, s64, s7
	s_addc_u32 s65, s65, 0
	v_mov_b32_e32 v6, s66
	v_dual_mov_b32 v8, s64 :: v_dual_mov_b32 v9, s65
	v_mov_b32_e32 v7, s67
	s_or_b32 s98, vcc_lo, s98
	s_delay_alu instid0(SALU_CYCLE_1)
	s_and_not1_b32 exec_lo, exec_lo, s98
	s_cbranch_execnz .LBB144_59
; %bb.60:                               ;   in Loop: Header=BB144_6 Depth=1
	s_or_b32 exec_lo, exec_lo, s98
.LBB144_61:                             ;   in Loop: Header=BB144_6 Depth=1
	s_delay_alu instid0(SALU_CYCLE_1) | instskip(SKIP_2) | instid1(VALU_DEP_1)
	s_or_b32 exec_lo, exec_lo, s72
	v_add_nc_u32_e32 v12, s54, v0
	s_mov_b32 s14, exec_lo
	v_cmpx_gt_u32_e64 s62, v12
	s_cbranch_execz .LBB144_65
; %bb.62:                               ;   in Loop: Header=BB144_6 Depth=1
	v_dual_mov_b32 v29, v13 :: v_dual_lshlrev_b32 v30, 2, v12
	v_mov_b32_e32 v28, v12
	s_mov_b32 s13, 0
	s_and_b32 s12, s62, 0x7fffffff
	s_and_b32 s16, s91, 0xfe
	s_mov_b32 s15, s13
.LBB144_63:                             ;   Parent Loop BB144_6 Depth=1
                                        ; =>  This Inner Loop Header: Depth=2
	ds_load_b32 v12, v30
	v_add_co_u32 v28, vcc_lo, v28, v24
	v_add_co_ci_u32_e32 v29, vcc_lo, 0, v29, vcc_lo
	v_add_nc_u32_e32 v30, s63, v30
	s_delay_alu instid0(VALU_DEP_2) | instskip(SKIP_2) | instid1(VALU_DEP_1)
	v_cmp_le_u64_e32 vcc_lo, s[12:13], v[28:29]
	s_waitcnt lgkmcnt(0)
	v_xor_b32_e32 v12, 0x80000000, v12
	v_and_b32_e32 v31, v12, v39
	v_bfe_u32 v12, v12, s16, 2
	s_delay_alu instid0(VALU_DEP_2) | instskip(NEXT) | instid1(VALU_DEP_2)
	v_cmp_eq_u32_e64 s7, v31, v40
	v_cmp_eq_u32_e64 s8, 0, v12
	;; [unrolled: 1-line block ×5, first 2 shown]
	s_delay_alu instid0(VALU_DEP_4) | instskip(NEXT) | instid1(SALU_CYCLE_1)
	s_and_b32 s8, s7, s8
	v_cndmask_b32_e64 v12, 0, 1, s8
	s_and_b32 s8, s7, s9
	s_delay_alu instid0(SALU_CYCLE_1)
	v_cndmask_b32_e64 v31, 0, 1, s8
	s_and_b32 s8, s7, s10
	s_and_b32 s7, s7, s11
	v_cndmask_b32_e64 v41, 0, 1, s8
	v_cndmask_b32_e64 v42, 0, 1, s7
	v_cmp_ne_u32_e64 s7, 0, v12
	v_cmp_ne_u32_e64 s8, 0, v31
	s_delay_alu instid0(VALU_DEP_4) | instskip(NEXT) | instid1(VALU_DEP_4)
	v_cmp_ne_u32_e64 s9, 0, v41
	v_cmp_ne_u32_e64 s10, 0, v42
	s_delay_alu instid0(VALU_DEP_4) | instskip(NEXT) | instid1(VALU_DEP_3)
	s_bcnt1_i32_b32 s7, s7
	s_bcnt1_i32_b32 s8, s8
	v_add_co_u32 v2, s7, v2, s7
	s_delay_alu instid0(VALU_DEP_1)
	v_add_co_ci_u32_e64 v3, s7, 0, v3, s7
	v_add_co_u32 v4, s7, v4, s8
	s_bcnt1_i32_b32 s9, s9
	v_add_co_ci_u32_e64 v5, s7, 0, v5, s7
	v_add_co_u32 v6, s7, v6, s9
	s_bcnt1_i32_b32 s10, s10
	v_add_co_ci_u32_e64 v7, s7, 0, v7, s7
	v_add_co_u32 v8, s7, v8, s10
	s_delay_alu instid0(VALU_DEP_1) | instskip(SKIP_1) | instid1(SALU_CYCLE_1)
	v_add_co_ci_u32_e64 v9, s7, 0, v9, s7
	s_or_b32 s15, vcc_lo, s15
	s_and_not1_b32 exec_lo, exec_lo, s15
	s_cbranch_execnz .LBB144_63
; %bb.64:                               ;   in Loop: Header=BB144_6 Depth=1
	s_or_b32 exec_lo, exec_lo, s15
.LBB144_65:                             ;   in Loop: Header=BB144_6 Depth=1
	s_delay_alu instid0(SALU_CYCLE_1)
	s_or_b32 exec_lo, exec_lo, s14
.LBB144_66:                             ;   in Loop: Header=BB144_6 Depth=1
	s_lshl_b32 s7, s87, 7
	s_and_saveexec_b32 s8, s2
	s_cbranch_execz .LBB144_68
; %bb.67:                               ;   in Loop: Header=BB144_6 Depth=1
	v_or_b32_e32 v12, s7, v34
	s_delay_alu instid0(VALU_DEP_1)
	v_lshlrev_b32_e32 v12, 3, v12
	ds_store_b128 v12, v[2:5] offset:3072
	ds_store_b128 v12, v[6:9] offset:3088
.LBB144_68:                             ;   in Loop: Header=BB144_6 Depth=1
	s_or_b32 exec_lo, exec_lo, s8
	s_waitcnt vmcnt(0) lgkmcnt(0)
	s_barrier
	buffer_gl0_inv
	s_and_saveexec_b32 s8, s74
	s_cbranch_execz .LBB144_79
; %bb.69:                               ;   in Loop: Header=BB144_6 Depth=1
	v_mov_b32_e32 v2, 0
	v_mov_b32_e32 v3, 0
	s_and_not1_b32 vcc_lo, exec_lo, s82
	s_cbranch_vccnz .LBB144_78
; %bb.70:                               ;   in Loop: Header=BB144_6 Depth=1
	v_mov_b32_e32 v2, 0
	v_mov_b32_e32 v3, 0
	s_and_not1_b32 vcc_lo, exec_lo, s80
	s_cbranch_vccnz .LBB144_75
; %bb.71:                               ;   in Loop: Header=BB144_6 Depth=1
	v_lshl_add_u32 v4, s87, 10, v38
	s_mov_b32 s9, 0
	s_set_inst_prefetch_distance 0x1
	.p2align	6
.LBB144_72:                             ;   Parent Loop BB144_6 Depth=1
                                        ; =>  This Inner Loop Header: Depth=2
	ds_load_2addr_b64 v[5:8], v4 offset1:4
	ds_load_2addr_b64 v[28:31], v4 offset0:8 offset1:12
	ds_load_2addr_b64 v[41:44], v4 offset0:16 offset1:20
	s_add_i32 s9, s9, 8
	s_delay_alu instid0(SALU_CYCLE_1) | instskip(SKIP_3) | instid1(VALU_DEP_2)
	s_cmp_eq_u32 s81, s9
	s_waitcnt lgkmcnt(2)
	v_add_co_u32 v2, vcc_lo, v5, v2
	v_add_co_ci_u32_e32 v3, vcc_lo, v6, v3, vcc_lo
	v_add_co_u32 v2, vcc_lo, v7, v2
	s_delay_alu instid0(VALU_DEP_2)
	v_add_co_ci_u32_e32 v3, vcc_lo, v8, v3, vcc_lo
	ds_load_2addr_b64 v[5:8], v4 offset0:24 offset1:28
	s_waitcnt lgkmcnt(2)
	v_add_co_u32 v2, vcc_lo, v28, v2
	v_add_co_ci_u32_e32 v3, vcc_lo, v29, v3, vcc_lo
	v_add_nc_u32_e32 v4, 0x100, v4
	s_delay_alu instid0(VALU_DEP_3) | instskip(NEXT) | instid1(VALU_DEP_3)
	v_add_co_u32 v2, vcc_lo, v30, v2
	v_add_co_ci_u32_e32 v3, vcc_lo, v31, v3, vcc_lo
	s_waitcnt lgkmcnt(1)
	s_delay_alu instid0(VALU_DEP_2) | instskip(NEXT) | instid1(VALU_DEP_2)
	v_add_co_u32 v2, vcc_lo, v41, v2
	v_add_co_ci_u32_e32 v3, vcc_lo, v42, v3, vcc_lo
	s_delay_alu instid0(VALU_DEP_2) | instskip(NEXT) | instid1(VALU_DEP_2)
	v_add_co_u32 v2, vcc_lo, v43, v2
	v_add_co_ci_u32_e32 v3, vcc_lo, v44, v3, vcc_lo
	s_waitcnt lgkmcnt(0)
	s_delay_alu instid0(VALU_DEP_2) | instskip(NEXT) | instid1(VALU_DEP_2)
	v_add_co_u32 v2, vcc_lo, v5, v2
	v_add_co_ci_u32_e32 v3, vcc_lo, v6, v3, vcc_lo
	s_delay_alu instid0(VALU_DEP_2) | instskip(NEXT) | instid1(VALU_DEP_2)
	v_add_co_u32 v2, vcc_lo, v7, v2
	v_add_co_ci_u32_e32 v3, vcc_lo, v8, v3, vcc_lo
	s_cbranch_scc0 .LBB144_72
; %bb.73:                               ;   in Loop: Header=BB144_6 Depth=1
	s_set_inst_prefetch_distance 0x2
	s_mov_b32 s9, s81
	s_and_not1_b32 vcc_lo, exec_lo, s83
	s_cbranch_vccz .LBB144_76
	s_branch .LBB144_78
.LBB144_74:                             ;   in Loop: Header=BB144_6 Depth=1
                                        ; implicit-def: $vgpr2_vgpr3
	s_branch .LBB144_42
.LBB144_75:                             ;   in Loop: Header=BB144_6 Depth=1
	s_mov_b32 s9, 0
	s_and_not1_b32 vcc_lo, exec_lo, s83
	s_cbranch_vccnz .LBB144_78
.LBB144_76:                             ;   in Loop: Header=BB144_6 Depth=1
	s_lshl_b32 s10, s87, 10
	s_lshl_b32 s9, s9, 5
	s_delay_alu instid0(SALU_CYCLE_1)
	v_add3_u32 v4, s10, s9, v38
	s_mov_b32 s9, s79
.LBB144_77:                             ;   Parent Loop BB144_6 Depth=1
                                        ; =>  This Inner Loop Header: Depth=2
	ds_load_b64 v[5:6], v4
	v_add_nc_u32_e32 v4, 32, v4
	s_add_i32 s9, s9, -1
	s_delay_alu instid0(SALU_CYCLE_1)
	s_cmp_lg_u32 s9, 0
	s_waitcnt lgkmcnt(0)
	v_add_co_u32 v2, vcc_lo, v5, v2
	v_add_co_ci_u32_e32 v3, vcc_lo, v6, v3, vcc_lo
	s_cbranch_scc1 .LBB144_77
.LBB144_78:                             ;   in Loop: Header=BB144_6 Depth=1
	v_add_lshl_u32 v4, s7, v33, 3
	ds_store_b64 v4, v[2:3] offset:3072
.LBB144_79:                             ;   in Loop: Header=BB144_6 Depth=1
	s_or_b32 exec_lo, exec_lo, s8
	s_lshl_b32 s7, s7, 3
	s_waitcnt lgkmcnt(0)
	v_mov_b32_e32 v6, s7
	s_barrier
	buffer_gl0_inv
	s_and_b32 s22, s91, 0xfe
	v_cmp_eq_u64_e64 s7, 1, v[26:27]
	ds_load_b128 v[2:5], v6 offset:3072
	ds_load_b128 v[6:9], v6 offset:3088
	s_lshl_b32 s20, 3, s22
	s_and_not1_b32 vcc_lo, exec_lo, s43
	s_not_b32 s21, s20
	s_waitcnt lgkmcnt(1)
	v_readfirstlane_b32 s11, v3
	v_readfirstlane_b32 s10, v2
	;; [unrolled: 1-line block ×4, first 2 shown]
	s_waitcnt lgkmcnt(0)
	v_readfirstlane_b32 s15, v7
	v_readfirstlane_b32 s14, v6
	;; [unrolled: 1-line block ×4, first 2 shown]
	s_cbranch_vccnz .LBB144_95
; %bb.80:                               ;   in Loop: Header=BB144_6 Depth=1
	s_cmp_eq_u64 s[10:11], 1
	v_dual_mov_b32 v30, v40 :: v_dual_mov_b32 v31, v39
	v_mov_b32_e32 v3, v25
	s_cselect_b32 s8, -1, 0
                                        ; implicit-def: $sgpr23
                                        ; implicit-def: $sgpr62
                                        ; implicit-def: $sgpr54
	s_delay_alu instid0(SALU_CYCLE_1)
	s_and_b32 s65, s8, s7
	s_mov_b32 s8, -1
	s_and_saveexec_b32 s24, s65
	s_cbranch_execz .LBB144_114
; %bb.81:                               ;   in Loop: Header=BB144_6 Depth=1
	ds_load_b64 v[2:3], v13 offset:5120
	s_waitcnt lgkmcnt(0)
	s_barrier
	buffer_gl0_inv
	v_readfirstlane_b32 s18, v2
	v_readfirstlane_b32 s19, v3
	s_and_saveexec_b32 s8, s6
	s_cbranch_execz .LBB144_83
; %bb.82:                               ;   in Loop: Header=BB144_6 Depth=1
	ds_store_b32 v35, v13
.LBB144_83:                             ;   in Loop: Header=BB144_6 Depth=1
	s_or_b32 exec_lo, exec_lo, s8
	v_and_b32_e32 v30, s21, v40
	v_or_b32_e32 v31, s20, v39
	s_cmp_eq_u64 s[18:19], 0
	s_waitcnt lgkmcnt(0)
	s_barrier
	buffer_gl0_inv
	s_cbranch_scc1 .LBB144_97
; %bb.84:                               ;   in Loop: Header=BB144_6 Depth=1
	s_add_u32 s23, s76, s18
	s_addc_u32 s9, s77, s19
	s_mov_b32 s8, s55
	s_delay_alu instid0(SALU_CYCLE_1)
	s_cmp_lg_u64 s[8:9], 0
	s_cbranch_scc0 .LBB144_141
; %bb.85:                               ;   in Loop: Header=BB144_6 Depth=1
	v_cvt_f32_u32_e32 v2, s33
	s_sub_u32 s26, 0, s33
	s_subb_u32 s44, 0, 0
	s_delay_alu instid0(VALU_DEP_1) | instskip(NEXT) | instid1(VALU_DEP_1)
	v_fmac_f32_e64 v2, 0, 0x4f800000
	v_rcp_f32_e32 v2, v2
	s_waitcnt_depctr 0xfff
	v_mul_f32_e32 v2, 0x5f7ffffc, v2
	s_delay_alu instid0(VALU_DEP_1) | instskip(NEXT) | instid1(VALU_DEP_1)
	v_mul_f32_e32 v3, 0x2f800000, v2
	v_trunc_f32_e32 v3, v3
	s_delay_alu instid0(VALU_DEP_1) | instskip(SKIP_1) | instid1(VALU_DEP_2)
	v_fmac_f32_e32 v2, 0xcf800000, v3
	v_cvt_u32_f32_e32 v3, v3
	v_cvt_u32_f32_e32 v2, v2
	s_delay_alu instid0(VALU_DEP_2) | instskip(NEXT) | instid1(VALU_DEP_2)
	v_readfirstlane_b32 s8, v3
	v_readfirstlane_b32 s25, v2
	s_delay_alu instid0(VALU_DEP_2) | instskip(NEXT) | instid1(VALU_DEP_1)
	s_mul_i32 s45, s26, s8
	s_mul_hi_u32 s62, s26, s25
	s_mul_i32 s54, s44, s25
	s_add_i32 s45, s62, s45
	s_mul_i32 s63, s26, s25
	s_add_i32 s45, s45, s54
	s_mul_hi_u32 s62, s25, s63
	s_mul_hi_u32 s64, s8, s63
	s_mul_i32 s54, s8, s63
	s_mul_hi_u32 s63, s25, s45
	s_mul_i32 s25, s25, s45
	s_mul_hi_u32 s66, s8, s45
	s_add_u32 s25, s62, s25
	s_addc_u32 s62, 0, s63
	s_add_u32 s25, s25, s54
	s_mul_i32 s45, s8, s45
	s_addc_u32 s25, s62, s64
	s_addc_u32 s54, s66, 0
	s_add_u32 s25, s25, s45
	s_addc_u32 s45, 0, s54
	v_add_co_u32 v2, s25, v2, s25
	s_delay_alu instid0(VALU_DEP_1) | instskip(SKIP_1) | instid1(VALU_DEP_1)
	s_cmp_lg_u32 s25, 0
	s_addc_u32 s8, s8, s45
	v_readfirstlane_b32 s25, v2
	s_mul_i32 s45, s26, s8
	s_delay_alu instid0(VALU_DEP_1)
	s_mul_hi_u32 s54, s26, s25
	s_mul_i32 s44, s44, s25
	s_add_i32 s45, s54, s45
	s_mul_i32 s26, s26, s25
	s_add_i32 s45, s45, s44
	s_mul_hi_u32 s54, s8, s26
	s_mul_i32 s62, s8, s26
	s_mul_hi_u32 s26, s25, s26
	s_mul_hi_u32 s63, s25, s45
	s_mul_i32 s25, s25, s45
	s_mul_hi_u32 s44, s8, s45
	s_add_u32 s25, s26, s25
	s_addc_u32 s26, 0, s63
	s_add_u32 s25, s25, s62
	s_mul_i32 s45, s8, s45
	s_addc_u32 s25, s26, s54
	s_addc_u32 s26, s44, 0
	s_add_u32 s25, s25, s45
	s_addc_u32 s26, 0, s26
	v_add_co_u32 v2, s25, v2, s25
	s_delay_alu instid0(VALU_DEP_1) | instskip(SKIP_1) | instid1(VALU_DEP_1)
	s_cmp_lg_u32 s25, 0
	s_addc_u32 s8, s8, s26
	v_readfirstlane_b32 s25, v2
	s_mul_i32 s44, s23, s8
	s_mul_hi_u32 s26, s23, s8
	s_mul_hi_u32 s45, s9, s8
	s_mul_i32 s8, s9, s8
	s_mul_hi_u32 s54, s23, s25
	s_mul_hi_u32 s62, s9, s25
	s_mul_i32 s25, s9, s25
	s_add_u32 s44, s54, s44
	s_addc_u32 s26, 0, s26
	s_add_u32 s25, s44, s25
	s_addc_u32 s25, s26, s62
	s_addc_u32 s26, s45, 0
	s_add_u32 s8, s25, s8
	s_addc_u32 s25, 0, s26
	s_mul_hi_u32 s26, s33, s8
	s_mul_i32 s8, s33, s8
	s_mul_i32 s25, s33, s25
	v_sub_co_u32 v2, s8, s23, s8
	s_add_i32 s26, s26, s25
	s_cmp_lg_u32 s8, 0
	s_delay_alu instid0(VALU_DEP_1) | instskip(SKIP_2) | instid1(VALU_DEP_1)
	v_sub_co_u32 v3, s8, v2, s33
	s_subb_u32 s25, s9, s26
	s_cmp_lg_u32 s8, 0
	v_cmp_le_u32_e32 vcc_lo, s33, v3
	v_sub_co_u32 v4, s8, v3, s33
	s_subb_u32 s26, s25, 0
	s_cmp_lg_u32 s8, 0
	v_cndmask_b32_e64 v5, 0, -1, vcc_lo
	s_subb_u32 s8, s26, 0
	s_cmp_eq_u32 s26, 0
	v_mov_b32_e32 v7, s8
	s_cselect_b32 vcc_lo, -1, 0
	s_cmp_eq_u32 s25, 0
	v_cndmask_b32_e32 v5, -1, v5, vcc_lo
	v_cmp_le_u32_e32 vcc_lo, s33, v2
	s_cselect_b32 s8, -1, 0
	v_cndmask_b32_e64 v6, 0, -1, vcc_lo
	s_delay_alu instid0(VALU_DEP_3) | instskip(NEXT) | instid1(VALU_DEP_2)
	v_cmp_ne_u32_e32 vcc_lo, 0, v5
	v_cndmask_b32_e64 v5, -1, v6, s8
	v_cndmask_b32_e32 v6, s26, v7, vcc_lo
	v_cndmask_b32_e32 v4, v3, v4, vcc_lo
	s_delay_alu instid0(VALU_DEP_3) | instskip(NEXT) | instid1(VALU_DEP_3)
	v_cmp_ne_u32_e32 vcc_lo, 0, v5
	v_cndmask_b32_e32 v3, s25, v6, vcc_lo
	s_delay_alu instid0(VALU_DEP_3)
	v_cndmask_b32_e32 v2, v2, v4, vcc_lo
	s_cbranch_execnz .LBB144_87
.LBB144_86:                             ;   in Loop: Header=BB144_6 Depth=1
	v_cvt_f32_u32_e32 v2, s33
	s_sub_i32 s8, 0, s33
	s_delay_alu instid0(VALU_DEP_1) | instskip(SKIP_2) | instid1(VALU_DEP_1)
	v_rcp_iflag_f32_e32 v2, v2
	s_waitcnt_depctr 0xfff
	v_mul_f32_e32 v2, 0x4f7ffffe, v2
	v_cvt_u32_f32_e32 v2, v2
	s_delay_alu instid0(VALU_DEP_1) | instskip(NEXT) | instid1(VALU_DEP_1)
	v_mul_lo_u32 v3, s8, v2
	v_mul_hi_u32 v3, v2, v3
	s_delay_alu instid0(VALU_DEP_1) | instskip(NEXT) | instid1(VALU_DEP_1)
	v_add_nc_u32_e32 v2, v2, v3
	v_mul_hi_u32 v2, s23, v2
	s_delay_alu instid0(VALU_DEP_1) | instskip(NEXT) | instid1(VALU_DEP_1)
	v_mul_lo_u32 v2, v2, s33
	v_sub_nc_u32_e32 v2, s23, v2
	s_delay_alu instid0(VALU_DEP_1) | instskip(SKIP_1) | instid1(VALU_DEP_2)
	v_subrev_nc_u32_e32 v3, s33, v2
	v_cmp_le_u32_e32 vcc_lo, s33, v2
	v_cndmask_b32_e32 v2, v2, v3, vcc_lo
	s_delay_alu instid0(VALU_DEP_1) | instskip(SKIP_1) | instid1(VALU_DEP_2)
	v_subrev_nc_u32_e32 v3, s33, v2
	v_cmp_le_u32_e32 vcc_lo, s33, v2
	v_cndmask_b32_e32 v12, v2, v3, vcc_lo
	s_delay_alu instid0(VALU_DEP_1)
	v_dual_mov_b32 v2, v12 :: v_dual_mov_b32 v3, v13
.LBB144_87:                             ;   in Loop: Header=BB144_6 Depth=1
	s_delay_alu instid0(VALU_DEP_1) | instskip(NEXT) | instid1(VALU_DEP_2)
	v_sub_co_u32 v4, vcc_lo, s23, v2
	v_sub_co_ci_u32_e32 v5, vcc_lo, s9, v3, vcc_lo
	s_mov_b32 s9, 0
	s_mov_b32 s8, exec_lo
                                        ; implicit-def: $vgpr3
	s_delay_alu instid0(VALU_DEP_1)
	v_cmpx_gt_u64_e64 v[4:5], v[0:1]
	s_cbranch_execz .LBB144_99
; %bb.88:                               ;   in Loop: Header=BB144_6 Depth=1
	v_dual_mov_b32 v8, v14 :: v_dual_mov_b32 v7, v1
	v_mov_b32_e32 v6, v0
                                        ; implicit-def: $sgpr23
	s_set_inst_prefetch_distance 0x1
	s_branch .LBB144_90
	.p2align	6
.LBB144_89:                             ;   in Loop: Header=BB144_90 Depth=2
	s_or_b32 exec_lo, exec_lo, s25
	s_waitcnt lgkmcnt(0)
	s_barrier
	buffer_gl0_inv
	ds_load_b64 v[2:3], v13 offset:3072
	v_add_co_u32 v6, vcc_lo, v6, s33
	v_add_co_ci_u32_e32 v7, vcc_lo, 0, v7, vcc_lo
	v_add_nc_u32_e32 v8, s84, v8
	s_waitcnt lgkmcnt(0)
	s_barrier
	s_delay_alu instid0(VALU_DEP_2) | instskip(SKIP_2) | instid1(VALU_DEP_1)
	v_cmp_ge_u64_e32 vcc_lo, v[6:7], v[4:5]
	buffer_gl0_inv
	v_readfirstlane_b32 s25, v2
	s_cmp_lg_u32 s25, 0
	s_cselect_b32 s25, -1, 0
	s_delay_alu instid0(SALU_CYCLE_1) | instskip(NEXT) | instid1(SALU_CYCLE_1)
	s_or_b32 s26, vcc_lo, s25
	s_and_b32 s26, exec_lo, s26
	s_delay_alu instid0(SALU_CYCLE_1) | instskip(SKIP_2) | instid1(SALU_CYCLE_1)
	s_or_b32 s9, s26, s9
	s_and_not1_b32 s23, s23, exec_lo
	s_and_b32 s25, s25, exec_lo
	s_or_b32 s23, s23, s25
	s_and_not1_b32 exec_lo, exec_lo, s9
	s_cbranch_execz .LBB144_98
.LBB144_90:                             ;   Parent Loop BB144_6 Depth=1
                                        ; =>  This Inner Loop Header: Depth=2
	s_delay_alu instid0(VALU_DEP_1)
	v_cmp_gt_u64_e32 vcc_lo, s[18:19], v[6:7]
	v_mov_b32_e32 v24, 0
	s_and_saveexec_b32 s25, vcc_lo
	s_cbranch_execz .LBB144_92
; %bb.91:                               ;   in Loop: Header=BB144_90 Depth=2
	ds_load_b32 v24, v8
.LBB144_92:                             ;   in Loop: Header=BB144_90 Depth=2
	s_or_b32 exec_lo, exec_lo, s25
	s_and_saveexec_b32 s25, vcc_lo
	s_cbranch_execz .LBB144_89
; %bb.93:                               ;   in Loop: Header=BB144_90 Depth=2
	s_waitcnt lgkmcnt(0)
	v_xor_b32_e32 v2, 0x80000000, v24
	s_delay_alu instid0(VALU_DEP_1) | instskip(NEXT) | instid1(VALU_DEP_1)
	v_and_b32_e32 v2, v2, v31
	v_cmp_eq_u32_e32 vcc_lo, v2, v30
	s_and_b32 exec_lo, exec_lo, vcc_lo
	s_cbranch_execz .LBB144_89
; %bb.94:                               ;   in Loop: Header=BB144_90 Depth=2
	ds_store_b64 v13, v[23:24] offset:3072
	s_branch .LBB144_89
.LBB144_95:                             ;   in Loop: Header=BB144_6 Depth=1
	s_mov_b32 s25, 0
	s_mov_b32 s24, 0
                                        ; implicit-def: $sgpr54
                                        ; implicit-def: $sgpr62
                                        ; implicit-def: $sgpr23
                                        ; implicit-def: $vgpr8
                                        ; implicit-def: $vgpr4_vgpr5
                                        ; implicit-def: $vgpr30
                                        ; implicit-def: $vgpr31
                                        ; implicit-def: $vgpr3
	s_cbranch_execnz .LBB144_278
.LBB144_96:                             ;   in Loop: Header=BB144_6 Depth=1
	s_mov_b32 s18, s23
	s_mov_b32 s19, s23
	s_and_saveexec_b32 s7, s25
	s_cbranch_execnz .LBB144_474
	s_branch .LBB144_475
.LBB144_97:                             ;   in Loop: Header=BB144_6 Depth=1
	s_mov_b32 s23, -1
	s_mov_b32 s9, 0
                                        ; implicit-def: $sgpr54
                                        ; implicit-def: $vgpr3
	s_mov_b32 s62, s23
	s_cbranch_execnz .LBB144_100
	s_branch .LBB144_113
.LBB144_98:                             ;   in Loop: Header=BB144_6 Depth=1
	s_set_inst_prefetch_distance 0x2
	s_or_b32 exec_lo, exec_lo, s9
	s_delay_alu instid0(SALU_CYCLE_1)
	s_and_b32 s9, s23, exec_lo
.LBB144_99:                             ;   in Loop: Header=BB144_6 Depth=1
	s_or_b32 exec_lo, exec_lo, s8
	s_mov_b32 s54, -1
	s_mov_b32 s23, 0
	s_delay_alu instid0(SALU_CYCLE_1)
	s_mov_b32 s62, s23
	s_branch .LBB144_113
.LBB144_100:                            ;   in Loop: Header=BB144_6 Depth=1
	s_mov_b32 s26, s55
	s_delay_alu instid0(SALU_CYCLE_1)
	s_cmp_lg_u64 s[26:27], 0
	s_cbranch_scc0 .LBB144_142
; %bb.101:                              ;   in Loop: Header=BB144_6 Depth=1
	v_cvt_f32_u32_e32 v2, s33
	s_sub_u32 s18, 0, s33
	s_subb_u32 s19, 0, 0
	s_delay_alu instid0(VALU_DEP_1) | instskip(NEXT) | instid1(VALU_DEP_1)
	v_fmac_f32_e64 v2, 0, 0x4f800000
	v_rcp_f32_e32 v2, v2
	s_waitcnt_depctr 0xfff
	v_mul_f32_e32 v2, 0x5f7ffffc, v2
	s_delay_alu instid0(VALU_DEP_1) | instskip(NEXT) | instid1(VALU_DEP_1)
	v_mul_f32_e32 v3, 0x2f800000, v2
	v_trunc_f32_e32 v3, v3
	s_delay_alu instid0(VALU_DEP_1) | instskip(SKIP_1) | instid1(VALU_DEP_2)
	v_fmac_f32_e32 v2, 0xcf800000, v3
	v_cvt_u32_f32_e32 v3, v3
	v_cvt_u32_f32_e32 v2, v2
	s_delay_alu instid0(VALU_DEP_2) | instskip(NEXT) | instid1(VALU_DEP_2)
	v_readfirstlane_b32 s8, v3
	v_readfirstlane_b32 s9, v2
	s_delay_alu instid0(VALU_DEP_2) | instskip(NEXT) | instid1(VALU_DEP_1)
	s_mul_i32 s23, s18, s8
	s_mul_hi_u32 s26, s18, s9
	s_mul_i32 s25, s19, s9
	s_add_i32 s23, s26, s23
	s_mul_i32 s44, s18, s9
	s_add_i32 s23, s23, s25
	s_mul_hi_u32 s26, s9, s44
	s_mul_hi_u32 s45, s8, s44
	s_mul_i32 s25, s8, s44
	s_mul_hi_u32 s44, s9, s23
	s_mul_i32 s9, s9, s23
	s_mul_hi_u32 s54, s8, s23
	s_add_u32 s9, s26, s9
	s_addc_u32 s26, 0, s44
	s_add_u32 s9, s9, s25
	s_mul_i32 s23, s8, s23
	s_addc_u32 s9, s26, s45
	s_addc_u32 s25, s54, 0
	s_add_u32 s9, s9, s23
	s_addc_u32 s23, 0, s25
	v_add_co_u32 v2, s9, v2, s9
	s_delay_alu instid0(VALU_DEP_1) | instskip(SKIP_1) | instid1(VALU_DEP_1)
	s_cmp_lg_u32 s9, 0
	s_addc_u32 s8, s8, s23
	v_readfirstlane_b32 s9, v2
	s_mul_i32 s23, s18, s8
	s_delay_alu instid0(VALU_DEP_1)
	s_mul_hi_u32 s25, s18, s9
	s_mul_i32 s19, s19, s9
	s_add_i32 s23, s25, s23
	s_mul_i32 s18, s18, s9
	s_add_i32 s23, s23, s19
	s_mul_hi_u32 s25, s8, s18
	s_mul_i32 s26, s8, s18
	s_mul_hi_u32 s18, s9, s18
	s_mul_hi_u32 s44, s9, s23
	s_mul_i32 s9, s9, s23
	s_mul_hi_u32 s19, s8, s23
	s_add_u32 s9, s18, s9
	s_addc_u32 s18, 0, s44
	s_add_u32 s9, s9, s26
	s_mul_i32 s23, s8, s23
	s_addc_u32 s9, s18, s25
	s_addc_u32 s18, s19, 0
	s_add_u32 s9, s9, s23
	s_addc_u32 s18, 0, s18
	v_add_co_u32 v2, s9, v2, s9
	s_delay_alu instid0(VALU_DEP_1) | instskip(SKIP_1) | instid1(VALU_DEP_1)
	s_cmp_lg_u32 s9, 0
	s_addc_u32 s8, s8, s18
	v_readfirstlane_b32 s9, v2
	s_mul_i32 s19, s78, s8
	s_mul_hi_u32 s18, s78, s8
	s_mul_hi_u32 s23, s27, s8
	s_mul_i32 s8, s27, s8
	s_mul_hi_u32 s25, s78, s9
	s_mul_hi_u32 s26, s27, s9
	s_mul_i32 s9, s27, s9
	s_add_u32 s19, s25, s19
	s_addc_u32 s18, 0, s18
	s_add_u32 s9, s19, s9
	s_addc_u32 s9, s18, s26
	s_addc_u32 s18, s23, 0
	s_add_u32 s8, s9, s8
	s_addc_u32 s9, 0, s18
	s_mul_hi_u32 s18, s33, s8
	s_mul_i32 s8, s33, s8
	s_mul_i32 s9, s33, s9
	v_sub_co_u32 v2, s8, s78, s8
	s_add_i32 s18, s18, s9
	s_cmp_lg_u32 s8, 0
	s_delay_alu instid0(VALU_DEP_1) | instskip(SKIP_2) | instid1(VALU_DEP_1)
	v_sub_co_u32 v3, s8, v2, s33
	s_subb_u32 s9, s27, s18
	s_cmp_lg_u32 s8, 0
	v_cmp_le_u32_e32 vcc_lo, s33, v3
	v_sub_co_u32 v4, s8, v3, s33
	s_subb_u32 s18, s9, 0
	s_cmp_lg_u32 s8, 0
	v_cndmask_b32_e64 v5, 0, -1, vcc_lo
	s_subb_u32 s8, s18, 0
	s_cmp_eq_u32 s18, 0
	v_mov_b32_e32 v7, s8
	s_cselect_b32 vcc_lo, -1, 0
	s_cmp_eq_u32 s9, 0
	v_cndmask_b32_e32 v5, -1, v5, vcc_lo
	v_cmp_le_u32_e32 vcc_lo, s33, v2
	s_cselect_b32 s8, -1, 0
	v_cndmask_b32_e64 v6, 0, -1, vcc_lo
	s_delay_alu instid0(VALU_DEP_3) | instskip(NEXT) | instid1(VALU_DEP_2)
	v_cmp_ne_u32_e32 vcc_lo, 0, v5
	v_cndmask_b32_e64 v5, -1, v6, s8
	v_cndmask_b32_e32 v6, s18, v7, vcc_lo
	v_cndmask_b32_e32 v4, v3, v4, vcc_lo
	s_delay_alu instid0(VALU_DEP_3) | instskip(NEXT) | instid1(VALU_DEP_3)
	v_cmp_ne_u32_e32 vcc_lo, 0, v5
	v_cndmask_b32_e32 v3, s9, v6, vcc_lo
	s_delay_alu instid0(VALU_DEP_3)
	v_cndmask_b32_e32 v2, v2, v4, vcc_lo
	s_cbranch_execnz .LBB144_103
.LBB144_102:                            ;   in Loop: Header=BB144_6 Depth=1
	v_cvt_f32_u32_e32 v2, s33
	s_sub_i32 s8, 0, s33
	s_delay_alu instid0(VALU_DEP_1) | instskip(SKIP_2) | instid1(VALU_DEP_1)
	v_rcp_iflag_f32_e32 v2, v2
	s_waitcnt_depctr 0xfff
	v_mul_f32_e32 v2, 0x4f7ffffe, v2
	v_cvt_u32_f32_e32 v2, v2
	s_delay_alu instid0(VALU_DEP_1) | instskip(NEXT) | instid1(VALU_DEP_1)
	v_mul_lo_u32 v3, s8, v2
	v_mul_hi_u32 v3, v2, v3
	s_delay_alu instid0(VALU_DEP_1) | instskip(NEXT) | instid1(VALU_DEP_1)
	v_add_nc_u32_e32 v2, v2, v3
	v_mul_hi_u32 v2, s78, v2
	s_delay_alu instid0(VALU_DEP_1) | instskip(NEXT) | instid1(VALU_DEP_1)
	v_mul_lo_u32 v2, v2, s33
	v_sub_nc_u32_e32 v2, s78, v2
	s_delay_alu instid0(VALU_DEP_1) | instskip(SKIP_1) | instid1(VALU_DEP_2)
	v_subrev_nc_u32_e32 v3, s33, v2
	v_cmp_le_u32_e32 vcc_lo, s33, v2
	v_cndmask_b32_e32 v2, v2, v3, vcc_lo
	s_delay_alu instid0(VALU_DEP_1) | instskip(SKIP_1) | instid1(VALU_DEP_2)
	v_subrev_nc_u32_e32 v3, s33, v2
	v_cmp_le_u32_e32 vcc_lo, s33, v2
	v_cndmask_b32_e32 v12, v2, v3, vcc_lo
	s_delay_alu instid0(VALU_DEP_1)
	v_dual_mov_b32 v2, v12 :: v_dual_mov_b32 v3, v13
.LBB144_103:                            ;   in Loop: Header=BB144_6 Depth=1
	s_delay_alu instid0(VALU_DEP_1) | instskip(NEXT) | instid1(VALU_DEP_2)
	v_sub_co_u32 v4, vcc_lo, s78, v2
	v_sub_co_ci_u32_e32 v5, vcc_lo, s27, v3, vcc_lo
	s_mov_b32 s9, 0
	s_mov_b32 s8, exec_lo
                                        ; implicit-def: $vgpr3
	s_delay_alu instid0(VALU_DEP_1)
	v_cmpx_gt_u64_e64 v[4:5], v[0:1]
	s_cbranch_execz .LBB144_112
; %bb.104:                              ;   in Loop: Header=BB144_6 Depth=1
	v_dual_mov_b32 v6, v10 :: v_dual_mov_b32 v7, v11
	v_dual_mov_b32 v9, v1 :: v_dual_mov_b32 v8, v0
                                        ; implicit-def: $sgpr18
	s_set_inst_prefetch_distance 0x1
	s_branch .LBB144_106
	.p2align	6
.LBB144_105:                            ;   in Loop: Header=BB144_106 Depth=2
	s_or_b32 exec_lo, exec_lo, s19
	s_waitcnt vmcnt(0) lgkmcnt(0)
	s_barrier
	buffer_gl0_inv
	ds_load_b64 v[2:3], v13 offset:3072
	v_add_co_u32 v8, vcc_lo, v8, s33
	v_add_co_ci_u32_e32 v9, vcc_lo, 0, v9, vcc_lo
	s_waitcnt lgkmcnt(0)
	s_barrier
	buffer_gl0_inv
	v_cmp_ge_u64_e32 vcc_lo, v[8:9], v[4:5]
	v_readfirstlane_b32 s19, v2
	s_delay_alu instid0(VALU_DEP_1) | instskip(SKIP_1) | instid1(SALU_CYCLE_1)
	s_cmp_lg_u32 s19, 0
	s_cselect_b32 s19, -1, 0
	s_or_b32 s23, vcc_lo, s19
	v_add_co_u32 v6, vcc_lo, v6, s34
	s_and_b32 s23, exec_lo, s23
	v_add_co_ci_u32_e32 v7, vcc_lo, s35, v7, vcc_lo
	s_or_b32 s9, s23, s9
	s_and_not1_b32 s18, s18, exec_lo
	s_and_b32 s19, s19, exec_lo
	s_delay_alu instid0(SALU_CYCLE_1)
	s_or_b32 s18, s18, s19
	s_and_not1_b32 exec_lo, exec_lo, s9
	s_cbranch_execz .LBB144_111
.LBB144_106:                            ;   Parent Loop BB144_6 Depth=1
                                        ; =>  This Inner Loop Header: Depth=2
	s_delay_alu instid0(VALU_DEP_1)
	v_cmp_gt_u64_e32 vcc_lo, s[28:29], v[8:9]
	v_mov_b32_e32 v24, 0
	s_and_saveexec_b32 s19, vcc_lo
	s_cbranch_execz .LBB144_108
; %bb.107:                              ;   in Loop: Header=BB144_106 Depth=2
	global_load_b32 v24, v[6:7], off
.LBB144_108:                            ;   in Loop: Header=BB144_106 Depth=2
	s_or_b32 exec_lo, exec_lo, s19
	s_and_saveexec_b32 s19, vcc_lo
	s_cbranch_execz .LBB144_105
; %bb.109:                              ;   in Loop: Header=BB144_106 Depth=2
	s_waitcnt vmcnt(0)
	v_xor_b32_e32 v2, 0x80000000, v24
	s_delay_alu instid0(VALU_DEP_1) | instskip(NEXT) | instid1(VALU_DEP_1)
	v_and_b32_e32 v2, v2, v31
	v_cmp_eq_u32_e32 vcc_lo, v2, v30
	s_and_b32 exec_lo, exec_lo, vcc_lo
	s_cbranch_execz .LBB144_105
; %bb.110:                              ;   in Loop: Header=BB144_106 Depth=2
	ds_store_b64 v13, v[23:24] offset:3072
	s_branch .LBB144_105
.LBB144_111:                            ;   in Loop: Header=BB144_6 Depth=1
	s_set_inst_prefetch_distance 0x2
	s_or_b32 exec_lo, exec_lo, s9
	s_delay_alu instid0(SALU_CYCLE_1)
	s_and_b32 s9, s18, exec_lo
.LBB144_112:                            ;   in Loop: Header=BB144_6 Depth=1
	s_or_b32 exec_lo, exec_lo, s8
	s_mov_b32 s62, -1
	s_mov_b32 s23, 0
	s_mov_b32 s54, 0
.LBB144_113:                            ;   in Loop: Header=BB144_6 Depth=1
	s_or_not1_b32 s8, s9, exec_lo
.LBB144_114:                            ;   in Loop: Header=BB144_6 Depth=1
	s_or_b32 exec_lo, exec_lo, s24
	s_mov_b32 s63, 0
	s_mov_b32 s25, 0
	s_mov_b32 s24, 0
                                        ; implicit-def: $vgpr8
                                        ; implicit-def: $vgpr4_vgpr5
	s_and_saveexec_b32 s64, s8
	s_cbranch_execz .LBB144_277
; %bb.115:                              ;   in Loop: Header=BB144_6 Depth=1
	v_mov_b32_e32 v4, 1
	v_dual_mov_b32 v5, 0 :: v_dual_mov_b32 v8, 1
	s_xor_b32 s9, s65, -1
	s_delay_alu instid0(SALU_CYCLE_1)
	s_and_saveexec_b32 s8, s9
	s_cbranch_execz .LBB144_125
; %bb.116:                              ;   in Loop: Header=BB144_6 Depth=1
	s_mov_b32 s18, exec_lo
                                        ; implicit-def: $sgpr19
                                        ; implicit-def: $sgpr9
	v_cmpx_ge_u64_e64 s[10:11], v[26:27]
	s_xor_b32 s18, exec_lo, s18
	s_cbranch_execz .LBB144_122
; %bb.117:                              ;   in Loop: Header=BB144_6 Depth=1
	ds_load_b64 v[4:5], v13 offset:5120
	s_waitcnt lgkmcnt(0)
	v_cmp_ne_u64_e32 vcc_lo, 0, v[4:5]
	s_cbranch_vccnz .LBB144_121
; %bb.118:                              ;   in Loop: Header=BB144_6 Depth=1
	s_and_saveexec_b32 s9, s5
	s_cbranch_execz .LBB144_120
; %bb.119:                              ;   in Loop: Header=BB144_6 Depth=1
	v_dual_mov_b32 v4, s10 :: v_dual_mov_b32 v5, s11
	ds_store_b64 v13, v[4:5] offset:5128
.LBB144_120:                            ;   in Loop: Header=BB144_6 Depth=1
	s_or_b32 exec_lo, exec_lo, s9
	s_waitcnt lgkmcnt(0)
	s_barrier
	buffer_gl0_inv
.LBB144_121:                            ;   in Loop: Header=BB144_6 Depth=1
	v_and_b32_e32 v30, s21, v30
	v_or_b32_e32 v31, s20, v31
	s_mov_b32 s9, 0
	s_mov_b32 s19, 8
.LBB144_122:                            ;   in Loop: Header=BB144_6 Depth=1
	s_or_saveexec_b32 s18, s18
	v_mov_b32_e32 v4, v26
	v_dual_mov_b32 v8, s19 :: v_dual_mov_b32 v5, v27
	s_xor_b32 exec_lo, exec_lo, s18
; %bb.123:                              ;   in Loop: Header=BB144_6 Depth=1
	v_sub_co_u32 v4, vcc_lo, v26, s10
	v_subrev_co_ci_u32_e32 v5, vcc_lo, s11, v27, vcc_lo
	v_mov_b32_e32 v8, 0
	s_or_b32 s9, s9, exec_lo
; %bb.124:                              ;   in Loop: Header=BB144_6 Depth=1
	s_or_b32 exec_lo, exec_lo, s18
	s_delay_alu instid0(SALU_CYCLE_1)
	s_and_b32 s24, s9, exec_lo
.LBB144_125:                            ;   in Loop: Header=BB144_6 Depth=1
	s_or_b32 exec_lo, exec_lo, s8
	s_mov_b32 s25, -1
                                        ; implicit-def: $sgpr9
                                        ; implicit-def: $sgpr18
                                        ; implicit-def: $sgpr19
	s_and_saveexec_b32 s8, s24
	s_delay_alu instid0(SALU_CYCLE_1)
	s_xor_b32 s24, exec_lo, s8
	s_cbranch_execz .LBB144_274
; %bb.126:                              ;   in Loop: Header=BB144_6 Depth=1
	v_cmp_eq_u64_e32 vcc_lo, 1, v[4:5]
	s_cmp_eq_u64 s[12:13], 1
                                        ; implicit-def: $sgpr25
                                        ; implicit-def: $sgpr66
                                        ; implicit-def: $sgpr65
	s_cselect_b32 s8, -1, 0
	s_delay_alu instid0(SALU_CYCLE_1)
	s_and_b32 s68, s8, vcc_lo
	s_mov_b32 s8, -1
	s_and_saveexec_b32 s67, s68
	s_cbranch_execz .LBB144_160
; %bb.127:                              ;   in Loop: Header=BB144_6 Depth=1
	ds_load_b64 v[2:3], v13 offset:5120
	s_waitcnt lgkmcnt(0)
	s_barrier
	buffer_gl0_inv
	v_readfirstlane_b32 s18, v2
	v_readfirstlane_b32 s19, v3
	s_and_saveexec_b32 s8, s6
	s_cbranch_execz .LBB144_129
; %bb.128:                              ;   in Loop: Header=BB144_6 Depth=1
	ds_store_b32 v35, v13
.LBB144_129:                            ;   in Loop: Header=BB144_6 Depth=1
	s_or_b32 exec_lo, exec_lo, s8
	s_lshl_b32 s8, 1, s22
	v_or_b32_e32 v31, s20, v31
	v_and_or_b32 v30, v30, s21, s8
	s_cmp_eq_u64 s[18:19], 0
	s_waitcnt lgkmcnt(0)
	s_barrier
	buffer_gl0_inv
	s_cbranch_scc1 .LBB144_143
; %bb.130:                              ;   in Loop: Header=BB144_6 Depth=1
	s_add_u32 s25, s76, s18
	s_addc_u32 s9, s77, s19
	s_mov_b32 s8, s55
	s_delay_alu instid0(SALU_CYCLE_1)
	s_cmp_lg_u64 s[8:9], 0
	s_cbranch_scc0 .LBB144_187
; %bb.131:                              ;   in Loop: Header=BB144_6 Depth=1
	v_cvt_f32_u32_e32 v2, s33
	s_sub_u32 s65, 0, s33
	s_subb_u32 s66, 0, 0
	s_delay_alu instid0(VALU_DEP_1) | instskip(NEXT) | instid1(VALU_DEP_1)
	v_fmac_f32_e64 v2, 0, 0x4f800000
	v_rcp_f32_e32 v2, v2
	s_waitcnt_depctr 0xfff
	v_mul_f32_e32 v2, 0x5f7ffffc, v2
	s_delay_alu instid0(VALU_DEP_1) | instskip(NEXT) | instid1(VALU_DEP_1)
	v_mul_f32_e32 v3, 0x2f800000, v2
	v_trunc_f32_e32 v3, v3
	s_delay_alu instid0(VALU_DEP_1) | instskip(SKIP_1) | instid1(VALU_DEP_2)
	v_fmac_f32_e32 v2, 0xcf800000, v3
	v_cvt_u32_f32_e32 v3, v3
	v_cvt_u32_f32_e32 v2, v2
	s_delay_alu instid0(VALU_DEP_2) | instskip(NEXT) | instid1(VALU_DEP_2)
	v_readfirstlane_b32 s8, v3
	v_readfirstlane_b32 s26, v2
	s_delay_alu instid0(VALU_DEP_2) | instskip(NEXT) | instid1(VALU_DEP_1)
	s_mul_i32 s69, s65, s8
	s_mul_hi_u32 s71, s65, s26
	s_mul_i32 s70, s66, s26
	s_add_i32 s69, s71, s69
	s_mul_i32 s72, s65, s26
	s_add_i32 s69, s69, s70
	s_mul_hi_u32 s71, s26, s72
	s_mul_hi_u32 s73, s8, s72
	s_mul_i32 s70, s8, s72
	s_mul_hi_u32 s72, s26, s69
	s_mul_i32 s26, s26, s69
	s_mul_hi_u32 s98, s8, s69
	s_add_u32 s26, s71, s26
	s_addc_u32 s71, 0, s72
	s_add_u32 s26, s26, s70
	s_mul_i32 s69, s8, s69
	s_addc_u32 s26, s71, s73
	s_addc_u32 s70, s98, 0
	s_add_u32 s26, s26, s69
	s_addc_u32 s69, 0, s70
	v_add_co_u32 v2, s26, v2, s26
	s_delay_alu instid0(VALU_DEP_1) | instskip(SKIP_1) | instid1(VALU_DEP_1)
	s_cmp_lg_u32 s26, 0
	s_addc_u32 s8, s8, s69
	v_readfirstlane_b32 s26, v2
	s_mul_i32 s69, s65, s8
	s_delay_alu instid0(VALU_DEP_1)
	s_mul_hi_u32 s70, s65, s26
	s_mul_i32 s66, s66, s26
	s_add_i32 s69, s70, s69
	s_mul_i32 s65, s65, s26
	s_add_i32 s69, s69, s66
	s_mul_hi_u32 s70, s8, s65
	s_mul_i32 s71, s8, s65
	s_mul_hi_u32 s65, s26, s65
	s_mul_hi_u32 s72, s26, s69
	s_mul_i32 s26, s26, s69
	s_mul_hi_u32 s66, s8, s69
	s_add_u32 s26, s65, s26
	s_addc_u32 s65, 0, s72
	s_add_u32 s26, s26, s71
	s_mul_i32 s69, s8, s69
	s_addc_u32 s26, s65, s70
	s_addc_u32 s65, s66, 0
	s_add_u32 s26, s26, s69
	s_addc_u32 s65, 0, s65
	v_add_co_u32 v2, s26, v2, s26
	s_delay_alu instid0(VALU_DEP_1) | instskip(SKIP_1) | instid1(VALU_DEP_1)
	s_cmp_lg_u32 s26, 0
	s_addc_u32 s8, s8, s65
	v_readfirstlane_b32 s26, v2
	s_mul_i32 s66, s25, s8
	s_mul_hi_u32 s65, s25, s8
	s_mul_hi_u32 s69, s9, s8
	s_mul_i32 s8, s9, s8
	s_mul_hi_u32 s70, s25, s26
	s_mul_hi_u32 s71, s9, s26
	s_mul_i32 s26, s9, s26
	s_add_u32 s66, s70, s66
	s_addc_u32 s65, 0, s65
	s_add_u32 s26, s66, s26
	s_addc_u32 s26, s65, s71
	s_addc_u32 s65, s69, 0
	s_add_u32 s8, s26, s8
	s_addc_u32 s26, 0, s65
	s_mul_hi_u32 s65, s33, s8
	s_mul_i32 s8, s33, s8
	s_mul_i32 s26, s33, s26
	v_sub_co_u32 v2, s8, s25, s8
	s_add_i32 s65, s65, s26
	s_cmp_lg_u32 s8, 0
	s_delay_alu instid0(VALU_DEP_1) | instskip(SKIP_2) | instid1(VALU_DEP_1)
	v_sub_co_u32 v3, s8, v2, s33
	s_subb_u32 s26, s9, s65
	s_cmp_lg_u32 s8, 0
	v_cmp_le_u32_e32 vcc_lo, s33, v3
	v_sub_co_u32 v6, s8, v3, s33
	s_subb_u32 s65, s26, 0
	s_cmp_lg_u32 s8, 0
	v_cndmask_b32_e64 v7, 0, -1, vcc_lo
	s_subb_u32 s8, s65, 0
	s_cmp_eq_u32 s65, 0
	v_mov_b32_e32 v9, s8
	s_cselect_b32 vcc_lo, -1, 0
	s_cmp_eq_u32 s26, 0
	v_cndmask_b32_e32 v7, -1, v7, vcc_lo
	v_cmp_le_u32_e32 vcc_lo, s33, v2
	s_cselect_b32 s8, -1, 0
	v_cndmask_b32_e64 v8, 0, -1, vcc_lo
	s_delay_alu instid0(VALU_DEP_3) | instskip(NEXT) | instid1(VALU_DEP_2)
	v_cmp_ne_u32_e32 vcc_lo, 0, v7
	v_cndmask_b32_e64 v7, -1, v8, s8
	v_cndmask_b32_e32 v8, s65, v9, vcc_lo
	v_cndmask_b32_e32 v6, v3, v6, vcc_lo
	s_delay_alu instid0(VALU_DEP_3) | instskip(NEXT) | instid1(VALU_DEP_3)
	v_cmp_ne_u32_e32 vcc_lo, 0, v7
	v_cndmask_b32_e32 v3, s26, v8, vcc_lo
	s_delay_alu instid0(VALU_DEP_3)
	v_cndmask_b32_e32 v2, v2, v6, vcc_lo
	s_cbranch_execnz .LBB144_133
.LBB144_132:                            ;   in Loop: Header=BB144_6 Depth=1
	v_cvt_f32_u32_e32 v2, s33
	s_sub_i32 s8, 0, s33
	s_delay_alu instid0(VALU_DEP_1) | instskip(SKIP_2) | instid1(VALU_DEP_1)
	v_rcp_iflag_f32_e32 v2, v2
	s_waitcnt_depctr 0xfff
	v_mul_f32_e32 v2, 0x4f7ffffe, v2
	v_cvt_u32_f32_e32 v2, v2
	s_delay_alu instid0(VALU_DEP_1) | instskip(NEXT) | instid1(VALU_DEP_1)
	v_mul_lo_u32 v3, s8, v2
	v_mul_hi_u32 v3, v2, v3
	s_delay_alu instid0(VALU_DEP_1) | instskip(NEXT) | instid1(VALU_DEP_1)
	v_add_nc_u32_e32 v2, v2, v3
	v_mul_hi_u32 v2, s25, v2
	s_delay_alu instid0(VALU_DEP_1) | instskip(NEXT) | instid1(VALU_DEP_1)
	v_mul_lo_u32 v2, v2, s33
	v_sub_nc_u32_e32 v2, s25, v2
	s_delay_alu instid0(VALU_DEP_1) | instskip(SKIP_1) | instid1(VALU_DEP_2)
	v_subrev_nc_u32_e32 v3, s33, v2
	v_cmp_le_u32_e32 vcc_lo, s33, v2
	v_cndmask_b32_e32 v2, v2, v3, vcc_lo
	s_delay_alu instid0(VALU_DEP_1) | instskip(SKIP_1) | instid1(VALU_DEP_2)
	v_subrev_nc_u32_e32 v3, s33, v2
	v_cmp_le_u32_e32 vcc_lo, s33, v2
	v_cndmask_b32_e32 v12, v2, v3, vcc_lo
	s_delay_alu instid0(VALU_DEP_1)
	v_dual_mov_b32 v2, v12 :: v_dual_mov_b32 v3, v13
.LBB144_133:                            ;   in Loop: Header=BB144_6 Depth=1
	s_delay_alu instid0(VALU_DEP_1) | instskip(NEXT) | instid1(VALU_DEP_2)
	v_sub_co_u32 v6, vcc_lo, s25, v2
	v_sub_co_ci_u32_e32 v7, vcc_lo, s9, v3, vcc_lo
	s_mov_b32 s9, 0
	s_mov_b32 s8, exec_lo
                                        ; implicit-def: $vgpr3
	s_delay_alu instid0(VALU_DEP_1)
	v_cmpx_gt_u64_e64 v[6:7], v[0:1]
	s_cbranch_execz .LBB144_145
; %bb.134:                              ;   in Loop: Header=BB144_6 Depth=1
	v_dual_mov_b32 v12, v14 :: v_dual_mov_b32 v9, v1
	v_mov_b32_e32 v8, v0
                                        ; implicit-def: $sgpr25
	s_set_inst_prefetch_distance 0x1
	s_branch .LBB144_136
	.p2align	6
.LBB144_135:                            ;   in Loop: Header=BB144_136 Depth=2
	s_or_b32 exec_lo, exec_lo, s26
	s_waitcnt lgkmcnt(0)
	s_barrier
	buffer_gl0_inv
	ds_load_b64 v[2:3], v13 offset:3072
	v_add_co_u32 v8, vcc_lo, v8, s33
	v_add_co_ci_u32_e32 v9, vcc_lo, 0, v9, vcc_lo
	v_add_nc_u32_e32 v12, s84, v12
	s_waitcnt lgkmcnt(0)
	s_barrier
	s_delay_alu instid0(VALU_DEP_2) | instskip(SKIP_2) | instid1(VALU_DEP_1)
	v_cmp_ge_u64_e32 vcc_lo, v[8:9], v[6:7]
	buffer_gl0_inv
	v_readfirstlane_b32 s26, v2
	s_cmp_lg_u32 s26, 0
	s_cselect_b32 s26, -1, 0
	s_delay_alu instid0(SALU_CYCLE_1) | instskip(NEXT) | instid1(SALU_CYCLE_1)
	s_or_b32 s65, vcc_lo, s26
	s_and_b32 s65, exec_lo, s65
	s_delay_alu instid0(SALU_CYCLE_1) | instskip(SKIP_2) | instid1(SALU_CYCLE_1)
	s_or_b32 s9, s65, s9
	s_and_not1_b32 s25, s25, exec_lo
	s_and_b32 s26, s26, exec_lo
	s_or_b32 s25, s25, s26
	s_and_not1_b32 exec_lo, exec_lo, s9
	s_cbranch_execz .LBB144_144
.LBB144_136:                            ;   Parent Loop BB144_6 Depth=1
                                        ; =>  This Inner Loop Header: Depth=2
	s_delay_alu instid0(VALU_DEP_1)
	v_cmp_gt_u64_e32 vcc_lo, s[18:19], v[8:9]
	v_mov_b32_e32 v24, 0
	s_and_saveexec_b32 s26, vcc_lo
	s_cbranch_execz .LBB144_138
; %bb.137:                              ;   in Loop: Header=BB144_136 Depth=2
	ds_load_b32 v24, v12
.LBB144_138:                            ;   in Loop: Header=BB144_136 Depth=2
	s_or_b32 exec_lo, exec_lo, s26
	s_and_saveexec_b32 s26, vcc_lo
	s_cbranch_execz .LBB144_135
; %bb.139:                              ;   in Loop: Header=BB144_136 Depth=2
	s_waitcnt lgkmcnt(0)
	v_xor_b32_e32 v2, 0x80000000, v24
	s_delay_alu instid0(VALU_DEP_1) | instskip(NEXT) | instid1(VALU_DEP_1)
	v_and_b32_e32 v2, v2, v31
	v_cmp_eq_u32_e32 vcc_lo, v2, v30
	s_and_b32 exec_lo, exec_lo, vcc_lo
	s_cbranch_execz .LBB144_135
; %bb.140:                              ;   in Loop: Header=BB144_136 Depth=2
	ds_store_b64 v13, v[23:24] offset:3072
	s_branch .LBB144_135
.LBB144_141:                            ;   in Loop: Header=BB144_6 Depth=1
                                        ; implicit-def: $vgpr2_vgpr3
	s_branch .LBB144_86
.LBB144_142:                            ;   in Loop: Header=BB144_6 Depth=1
                                        ; implicit-def: $vgpr2_vgpr3
	s_branch .LBB144_102
.LBB144_143:                            ;   in Loop: Header=BB144_6 Depth=1
	s_mov_b32 s25, -1
	s_mov_b32 s9, 0
                                        ; implicit-def: $sgpr65
                                        ; implicit-def: $vgpr3
	s_mov_b32 s66, s25
	s_cbranch_execnz .LBB144_146
	s_branch .LBB144_159
.LBB144_144:                            ;   in Loop: Header=BB144_6 Depth=1
	s_set_inst_prefetch_distance 0x2
	s_or_b32 exec_lo, exec_lo, s9
	s_delay_alu instid0(SALU_CYCLE_1)
	s_and_b32 s9, s25, exec_lo
.LBB144_145:                            ;   in Loop: Header=BB144_6 Depth=1
	s_or_b32 exec_lo, exec_lo, s8
	s_mov_b32 s65, -1
	s_mov_b32 s25, 0
	s_delay_alu instid0(SALU_CYCLE_1)
	s_mov_b32 s66, s25
	s_branch .LBB144_159
.LBB144_146:                            ;   in Loop: Header=BB144_6 Depth=1
	s_mov_b32 s26, s55
	s_delay_alu instid0(SALU_CYCLE_1)
	s_cmp_lg_u64 s[26:27], 0
	s_cbranch_scc0 .LBB144_188
; %bb.147:                              ;   in Loop: Header=BB144_6 Depth=1
	v_cvt_f32_u32_e32 v2, s33
	s_sub_u32 s18, 0, s33
	s_subb_u32 s19, 0, 0
	s_delay_alu instid0(VALU_DEP_1) | instskip(NEXT) | instid1(VALU_DEP_1)
	v_fmac_f32_e64 v2, 0, 0x4f800000
	v_rcp_f32_e32 v2, v2
	s_waitcnt_depctr 0xfff
	v_mul_f32_e32 v2, 0x5f7ffffc, v2
	s_delay_alu instid0(VALU_DEP_1) | instskip(NEXT) | instid1(VALU_DEP_1)
	v_mul_f32_e32 v3, 0x2f800000, v2
	v_trunc_f32_e32 v3, v3
	s_delay_alu instid0(VALU_DEP_1) | instskip(SKIP_1) | instid1(VALU_DEP_2)
	v_fmac_f32_e32 v2, 0xcf800000, v3
	v_cvt_u32_f32_e32 v3, v3
	v_cvt_u32_f32_e32 v2, v2
	s_delay_alu instid0(VALU_DEP_2) | instskip(NEXT) | instid1(VALU_DEP_2)
	v_readfirstlane_b32 s8, v3
	v_readfirstlane_b32 s9, v2
	s_delay_alu instid0(VALU_DEP_2) | instskip(NEXT) | instid1(VALU_DEP_1)
	s_mul_i32 s25, s18, s8
	s_mul_hi_u32 s65, s18, s9
	s_mul_i32 s26, s19, s9
	s_add_i32 s25, s65, s25
	s_mul_i32 s66, s18, s9
	s_add_i32 s25, s25, s26
	s_mul_hi_u32 s65, s9, s66
	s_mul_hi_u32 s69, s8, s66
	s_mul_i32 s26, s8, s66
	s_mul_hi_u32 s66, s9, s25
	s_mul_i32 s9, s9, s25
	s_mul_hi_u32 s70, s8, s25
	s_add_u32 s9, s65, s9
	s_addc_u32 s65, 0, s66
	s_add_u32 s9, s9, s26
	s_mul_i32 s25, s8, s25
	s_addc_u32 s9, s65, s69
	s_addc_u32 s26, s70, 0
	s_add_u32 s9, s9, s25
	s_addc_u32 s25, 0, s26
	v_add_co_u32 v2, s9, v2, s9
	s_delay_alu instid0(VALU_DEP_1) | instskip(SKIP_1) | instid1(VALU_DEP_1)
	s_cmp_lg_u32 s9, 0
	s_addc_u32 s8, s8, s25
	v_readfirstlane_b32 s9, v2
	s_mul_i32 s25, s18, s8
	s_delay_alu instid0(VALU_DEP_1)
	s_mul_hi_u32 s26, s18, s9
	s_mul_i32 s19, s19, s9
	s_add_i32 s25, s26, s25
	s_mul_i32 s18, s18, s9
	s_add_i32 s25, s25, s19
	s_mul_hi_u32 s26, s8, s18
	s_mul_i32 s65, s8, s18
	s_mul_hi_u32 s18, s9, s18
	s_mul_hi_u32 s66, s9, s25
	s_mul_i32 s9, s9, s25
	s_mul_hi_u32 s19, s8, s25
	s_add_u32 s9, s18, s9
	s_addc_u32 s18, 0, s66
	s_add_u32 s9, s9, s65
	s_mul_i32 s25, s8, s25
	s_addc_u32 s9, s18, s26
	s_addc_u32 s18, s19, 0
	s_add_u32 s9, s9, s25
	s_addc_u32 s18, 0, s18
	v_add_co_u32 v2, s9, v2, s9
	s_delay_alu instid0(VALU_DEP_1) | instskip(SKIP_1) | instid1(VALU_DEP_1)
	s_cmp_lg_u32 s9, 0
	s_addc_u32 s8, s8, s18
	v_readfirstlane_b32 s9, v2
	s_mul_i32 s19, s78, s8
	s_mul_hi_u32 s18, s78, s8
	s_mul_hi_u32 s25, s27, s8
	s_mul_i32 s8, s27, s8
	s_mul_hi_u32 s26, s78, s9
	s_mul_hi_u32 s65, s27, s9
	s_mul_i32 s9, s27, s9
	s_add_u32 s19, s26, s19
	s_addc_u32 s18, 0, s18
	s_add_u32 s9, s19, s9
	s_addc_u32 s9, s18, s65
	s_addc_u32 s18, s25, 0
	s_add_u32 s8, s9, s8
	s_addc_u32 s9, 0, s18
	s_mul_hi_u32 s18, s33, s8
	s_mul_i32 s8, s33, s8
	s_mul_i32 s9, s33, s9
	v_sub_co_u32 v2, s8, s78, s8
	s_add_i32 s18, s18, s9
	s_cmp_lg_u32 s8, 0
	s_delay_alu instid0(VALU_DEP_1) | instskip(SKIP_2) | instid1(VALU_DEP_1)
	v_sub_co_u32 v3, s8, v2, s33
	s_subb_u32 s9, s27, s18
	s_cmp_lg_u32 s8, 0
	v_cmp_le_u32_e32 vcc_lo, s33, v3
	v_sub_co_u32 v6, s8, v3, s33
	s_subb_u32 s18, s9, 0
	s_cmp_lg_u32 s8, 0
	v_cndmask_b32_e64 v7, 0, -1, vcc_lo
	s_subb_u32 s8, s18, 0
	s_cmp_eq_u32 s18, 0
	v_mov_b32_e32 v9, s8
	s_cselect_b32 vcc_lo, -1, 0
	s_cmp_eq_u32 s9, 0
	v_cndmask_b32_e32 v7, -1, v7, vcc_lo
	v_cmp_le_u32_e32 vcc_lo, s33, v2
	s_cselect_b32 s8, -1, 0
	v_cndmask_b32_e64 v8, 0, -1, vcc_lo
	s_delay_alu instid0(VALU_DEP_3) | instskip(NEXT) | instid1(VALU_DEP_2)
	v_cmp_ne_u32_e32 vcc_lo, 0, v7
	v_cndmask_b32_e64 v7, -1, v8, s8
	v_cndmask_b32_e32 v8, s18, v9, vcc_lo
	v_cndmask_b32_e32 v6, v3, v6, vcc_lo
	s_delay_alu instid0(VALU_DEP_3) | instskip(NEXT) | instid1(VALU_DEP_3)
	v_cmp_ne_u32_e32 vcc_lo, 0, v7
	v_cndmask_b32_e32 v3, s9, v8, vcc_lo
	s_delay_alu instid0(VALU_DEP_3)
	v_cndmask_b32_e32 v2, v2, v6, vcc_lo
	s_cbranch_execnz .LBB144_149
.LBB144_148:                            ;   in Loop: Header=BB144_6 Depth=1
	v_cvt_f32_u32_e32 v2, s33
	s_sub_i32 s8, 0, s33
	s_delay_alu instid0(VALU_DEP_1) | instskip(SKIP_2) | instid1(VALU_DEP_1)
	v_rcp_iflag_f32_e32 v2, v2
	s_waitcnt_depctr 0xfff
	v_mul_f32_e32 v2, 0x4f7ffffe, v2
	v_cvt_u32_f32_e32 v2, v2
	s_delay_alu instid0(VALU_DEP_1) | instskip(NEXT) | instid1(VALU_DEP_1)
	v_mul_lo_u32 v3, s8, v2
	v_mul_hi_u32 v3, v2, v3
	s_delay_alu instid0(VALU_DEP_1) | instskip(NEXT) | instid1(VALU_DEP_1)
	v_add_nc_u32_e32 v2, v2, v3
	v_mul_hi_u32 v2, s78, v2
	s_delay_alu instid0(VALU_DEP_1) | instskip(NEXT) | instid1(VALU_DEP_1)
	v_mul_lo_u32 v2, v2, s33
	v_sub_nc_u32_e32 v2, s78, v2
	s_delay_alu instid0(VALU_DEP_1) | instskip(SKIP_1) | instid1(VALU_DEP_2)
	v_subrev_nc_u32_e32 v3, s33, v2
	v_cmp_le_u32_e32 vcc_lo, s33, v2
	v_cndmask_b32_e32 v2, v2, v3, vcc_lo
	s_delay_alu instid0(VALU_DEP_1) | instskip(SKIP_1) | instid1(VALU_DEP_2)
	v_subrev_nc_u32_e32 v3, s33, v2
	v_cmp_le_u32_e32 vcc_lo, s33, v2
	v_cndmask_b32_e32 v12, v2, v3, vcc_lo
	s_delay_alu instid0(VALU_DEP_1)
	v_dual_mov_b32 v2, v12 :: v_dual_mov_b32 v3, v13
.LBB144_149:                            ;   in Loop: Header=BB144_6 Depth=1
	s_delay_alu instid0(VALU_DEP_1) | instskip(NEXT) | instid1(VALU_DEP_2)
	v_sub_co_u32 v6, vcc_lo, s78, v2
	v_sub_co_ci_u32_e32 v7, vcc_lo, s27, v3, vcc_lo
	s_mov_b32 s9, 0
	s_mov_b32 s8, exec_lo
                                        ; implicit-def: $vgpr3
	s_delay_alu instid0(VALU_DEP_1)
	v_cmpx_gt_u64_e64 v[6:7], v[0:1]
	s_cbranch_execz .LBB144_158
; %bb.150:                              ;   in Loop: Header=BB144_6 Depth=1
	v_dual_mov_b32 v8, v10 :: v_dual_mov_b32 v9, v11
	v_dual_mov_b32 v29, v1 :: v_dual_mov_b32 v28, v0
                                        ; implicit-def: $sgpr18
	s_set_inst_prefetch_distance 0x1
	s_branch .LBB144_152
	.p2align	6
.LBB144_151:                            ;   in Loop: Header=BB144_152 Depth=2
	s_or_b32 exec_lo, exec_lo, s19
	s_waitcnt vmcnt(0) lgkmcnt(0)
	s_barrier
	buffer_gl0_inv
	ds_load_b64 v[2:3], v13 offset:3072
	v_add_co_u32 v28, vcc_lo, v28, s33
	v_add_co_ci_u32_e32 v29, vcc_lo, 0, v29, vcc_lo
	s_waitcnt lgkmcnt(0)
	s_barrier
	buffer_gl0_inv
	v_cmp_ge_u64_e32 vcc_lo, v[28:29], v[6:7]
	v_readfirstlane_b32 s19, v2
	s_delay_alu instid0(VALU_DEP_1) | instskip(SKIP_1) | instid1(SALU_CYCLE_1)
	s_cmp_lg_u32 s19, 0
	s_cselect_b32 s19, -1, 0
	s_or_b32 s25, vcc_lo, s19
	v_add_co_u32 v8, vcc_lo, v8, s34
	s_and_b32 s25, exec_lo, s25
	v_add_co_ci_u32_e32 v9, vcc_lo, s35, v9, vcc_lo
	s_or_b32 s9, s25, s9
	s_and_not1_b32 s18, s18, exec_lo
	s_and_b32 s19, s19, exec_lo
	s_delay_alu instid0(SALU_CYCLE_1)
	s_or_b32 s18, s18, s19
	s_and_not1_b32 exec_lo, exec_lo, s9
	s_cbranch_execz .LBB144_157
.LBB144_152:                            ;   Parent Loop BB144_6 Depth=1
                                        ; =>  This Inner Loop Header: Depth=2
	s_delay_alu instid0(VALU_DEP_1)
	v_cmp_gt_u64_e32 vcc_lo, s[28:29], v[28:29]
	v_mov_b32_e32 v24, 0
	s_and_saveexec_b32 s19, vcc_lo
	s_cbranch_execz .LBB144_154
; %bb.153:                              ;   in Loop: Header=BB144_152 Depth=2
	global_load_b32 v24, v[8:9], off
.LBB144_154:                            ;   in Loop: Header=BB144_152 Depth=2
	s_or_b32 exec_lo, exec_lo, s19
	s_and_saveexec_b32 s19, vcc_lo
	s_cbranch_execz .LBB144_151
; %bb.155:                              ;   in Loop: Header=BB144_152 Depth=2
	s_waitcnt vmcnt(0)
	v_xor_b32_e32 v2, 0x80000000, v24
	s_delay_alu instid0(VALU_DEP_1) | instskip(NEXT) | instid1(VALU_DEP_1)
	v_and_b32_e32 v2, v2, v31
	v_cmp_eq_u32_e32 vcc_lo, v2, v30
	s_and_b32 exec_lo, exec_lo, vcc_lo
	s_cbranch_execz .LBB144_151
; %bb.156:                              ;   in Loop: Header=BB144_152 Depth=2
	ds_store_b64 v13, v[23:24] offset:3072
	s_branch .LBB144_151
.LBB144_157:                            ;   in Loop: Header=BB144_6 Depth=1
	s_set_inst_prefetch_distance 0x2
	s_or_b32 exec_lo, exec_lo, s9
	s_delay_alu instid0(SALU_CYCLE_1)
	s_and_b32 s9, s18, exec_lo
.LBB144_158:                            ;   in Loop: Header=BB144_6 Depth=1
	s_or_b32 exec_lo, exec_lo, s8
	s_mov_b32 s66, -1
	s_mov_b32 s25, 0
	s_mov_b32 s65, 0
.LBB144_159:                            ;   in Loop: Header=BB144_6 Depth=1
	s_or_not1_b32 s8, s9, exec_lo
.LBB144_160:                            ;   in Loop: Header=BB144_6 Depth=1
	s_or_b32 exec_lo, exec_lo, s67
	s_mov_b32 s26, 0
                                        ; implicit-def: $vgpr8
	s_and_saveexec_b32 s67, s8
	s_cbranch_execz .LBB144_273
; %bb.161:                              ;   in Loop: Header=BB144_6 Depth=1
	v_mov_b32_e32 v6, 1
	v_dual_mov_b32 v7, 0 :: v_dual_mov_b32 v8, 1
	s_xor_b32 s9, s68, -1
	s_delay_alu instid0(SALU_CYCLE_1)
	s_and_saveexec_b32 s8, s9
	s_cbranch_execz .LBB144_171
; %bb.162:                              ;   in Loop: Header=BB144_6 Depth=1
	s_mov_b32 s18, exec_lo
                                        ; implicit-def: $sgpr19
                                        ; implicit-def: $sgpr9
	v_cmpx_ge_u64_e64 s[12:13], v[4:5]
	s_xor_b32 s18, exec_lo, s18
	s_cbranch_execz .LBB144_168
; %bb.163:                              ;   in Loop: Header=BB144_6 Depth=1
	ds_load_b64 v[6:7], v13 offset:5120
	s_waitcnt lgkmcnt(0)
	v_cmp_ne_u64_e32 vcc_lo, 0, v[6:7]
	s_cbranch_vccnz .LBB144_167
; %bb.164:                              ;   in Loop: Header=BB144_6 Depth=1
	s_and_saveexec_b32 s9, s5
	s_cbranch_execz .LBB144_166
; %bb.165:                              ;   in Loop: Header=BB144_6 Depth=1
	v_dual_mov_b32 v6, s12 :: v_dual_mov_b32 v7, s13
	ds_store_b64 v13, v[6:7] offset:5128
.LBB144_166:                            ;   in Loop: Header=BB144_6 Depth=1
	s_or_b32 exec_lo, exec_lo, s9
	s_waitcnt lgkmcnt(0)
	s_barrier
	buffer_gl0_inv
.LBB144_167:                            ;   in Loop: Header=BB144_6 Depth=1
	s_lshl_b32 s9, 1, s22
	v_or_b32_e32 v31, s20, v31
	v_and_or_b32 v30, v30, s21, s9
	s_mov_b32 s9, 0
	s_mov_b32 s19, 8
.LBB144_168:                            ;   in Loop: Header=BB144_6 Depth=1
	s_or_saveexec_b32 s18, s18
	v_mov_b32_e32 v8, s19
	s_xor_b32 exec_lo, exec_lo, s18
; %bb.169:                              ;   in Loop: Header=BB144_6 Depth=1
	v_sub_co_u32 v4, vcc_lo, v4, s12
	v_subrev_co_ci_u32_e32 v5, vcc_lo, s13, v5, vcc_lo
	v_mov_b32_e32 v8, 0
	s_or_b32 s9, s9, exec_lo
; %bb.170:                              ;   in Loop: Header=BB144_6 Depth=1
	s_or_b32 exec_lo, exec_lo, s18
	s_delay_alu instid0(VALU_DEP_2)
	v_dual_mov_b32 v7, v5 :: v_dual_mov_b32 v6, v4
	s_and_b32 s26, s9, exec_lo
.LBB144_171:                            ;   in Loop: Header=BB144_6 Depth=1
	s_or_b32 exec_lo, exec_lo, s8
	s_mov_b32 s8, -1
                                        ; implicit-def: $sgpr9
                                        ; implicit-def: $sgpr18
                                        ; implicit-def: $sgpr19
	s_and_saveexec_b32 s68, s26
	s_cbranch_execz .LBB144_272
; %bb.172:                              ;   in Loop: Header=BB144_6 Depth=1
	v_cmp_eq_u64_e32 vcc_lo, 1, v[6:7]
	s_cmp_eq_u64 s[14:15], 1
                                        ; implicit-def: $sgpr69
                                        ; implicit-def: $sgpr71
                                        ; implicit-def: $sgpr70
	s_cselect_b32 s8, -1, 0
	s_delay_alu instid0(SALU_CYCLE_1)
	s_and_b32 s73, s8, vcc_lo
	s_mov_b32 s8, -1
	s_and_saveexec_b32 s72, s73
	s_cbranch_execz .LBB144_206
; %bb.173:                              ;   in Loop: Header=BB144_6 Depth=1
	ds_load_b64 v[2:3], v13 offset:5120
	s_waitcnt lgkmcnt(0)
	s_barrier
	buffer_gl0_inv
	v_readfirstlane_b32 s18, v2
	v_readfirstlane_b32 s19, v3
	s_and_saveexec_b32 s8, s6
	s_cbranch_execz .LBB144_175
; %bb.174:                              ;   in Loop: Header=BB144_6 Depth=1
	ds_store_b32 v35, v13
.LBB144_175:                            ;   in Loop: Header=BB144_6 Depth=1
	s_or_b32 exec_lo, exec_lo, s8
	s_lshl_b32 s8, 2, s22
	v_or_b32_e32 v31, s20, v31
	v_and_or_b32 v30, v30, s21, s8
	s_cmp_eq_u64 s[18:19], 0
	s_waitcnt lgkmcnt(0)
	s_barrier
	buffer_gl0_inv
	s_cbranch_scc1 .LBB144_189
; %bb.176:                              ;   in Loop: Header=BB144_6 Depth=1
	s_add_u32 s26, s76, s18
	s_addc_u32 s9, s77, s19
	s_mov_b32 s8, s55
	s_delay_alu instid0(SALU_CYCLE_1)
	s_cmp_lg_u64 s[8:9], 0
	s_cbranch_scc0 .LBB144_224
; %bb.177:                              ;   in Loop: Header=BB144_6 Depth=1
	v_cvt_f32_u32_e32 v2, s33
	s_sub_u32 s70, 0, s33
	s_subb_u32 s71, 0, 0
	s_delay_alu instid0(VALU_DEP_1) | instskip(NEXT) | instid1(VALU_DEP_1)
	v_fmac_f32_e64 v2, 0, 0x4f800000
	v_rcp_f32_e32 v2, v2
	s_waitcnt_depctr 0xfff
	v_mul_f32_e32 v2, 0x5f7ffffc, v2
	s_delay_alu instid0(VALU_DEP_1) | instskip(NEXT) | instid1(VALU_DEP_1)
	v_mul_f32_e32 v3, 0x2f800000, v2
	v_trunc_f32_e32 v3, v3
	s_delay_alu instid0(VALU_DEP_1) | instskip(SKIP_1) | instid1(VALU_DEP_2)
	v_fmac_f32_e32 v2, 0xcf800000, v3
	v_cvt_u32_f32_e32 v3, v3
	v_cvt_u32_f32_e32 v2, v2
	s_delay_alu instid0(VALU_DEP_2) | instskip(NEXT) | instid1(VALU_DEP_2)
	v_readfirstlane_b32 s8, v3
	v_readfirstlane_b32 s69, v2
	s_delay_alu instid0(VALU_DEP_2) | instskip(NEXT) | instid1(VALU_DEP_1)
	s_mul_i32 s98, s70, s8
	s_mul_hi_u32 s100, s70, s69
	s_mul_i32 s99, s71, s69
	s_add_i32 s98, s100, s98
	s_mul_i32 s101, s70, s69
	s_add_i32 s98, s98, s99
	s_mul_hi_u32 s100, s69, s101
	s_mul_hi_u32 s102, s8, s101
	s_mul_i32 s99, s8, s101
	s_mul_hi_u32 s101, s69, s98
	s_mul_i32 s69, s69, s98
	s_mul_hi_u32 s103, s8, s98
	s_add_u32 s69, s100, s69
	s_addc_u32 s100, 0, s101
	s_add_u32 s69, s69, s99
	s_mul_i32 s98, s8, s98
	s_addc_u32 s69, s100, s102
	s_addc_u32 s99, s103, 0
	s_add_u32 s69, s69, s98
	s_addc_u32 s98, 0, s99
	v_add_co_u32 v2, s69, v2, s69
	s_delay_alu instid0(VALU_DEP_1) | instskip(SKIP_1) | instid1(VALU_DEP_1)
	s_cmp_lg_u32 s69, 0
	s_addc_u32 s8, s8, s98
	v_readfirstlane_b32 s69, v2
	s_mul_i32 s98, s70, s8
	s_delay_alu instid0(VALU_DEP_1)
	s_mul_hi_u32 s99, s70, s69
	s_mul_i32 s71, s71, s69
	s_add_i32 s98, s99, s98
	s_mul_i32 s70, s70, s69
	s_add_i32 s98, s98, s71
	s_mul_hi_u32 s99, s8, s70
	s_mul_i32 s100, s8, s70
	s_mul_hi_u32 s70, s69, s70
	s_mul_hi_u32 s101, s69, s98
	s_mul_i32 s69, s69, s98
	s_mul_hi_u32 s71, s8, s98
	s_add_u32 s69, s70, s69
	s_addc_u32 s70, 0, s101
	s_add_u32 s69, s69, s100
	s_mul_i32 s98, s8, s98
	s_addc_u32 s69, s70, s99
	s_addc_u32 s70, s71, 0
	s_add_u32 s69, s69, s98
	s_addc_u32 s70, 0, s70
	v_add_co_u32 v2, s69, v2, s69
	s_delay_alu instid0(VALU_DEP_1) | instskip(SKIP_1) | instid1(VALU_DEP_1)
	s_cmp_lg_u32 s69, 0
	s_addc_u32 s8, s8, s70
	v_readfirstlane_b32 s69, v2
	s_mul_i32 s71, s26, s8
	s_mul_hi_u32 s70, s26, s8
	s_mul_hi_u32 s98, s9, s8
	s_mul_i32 s8, s9, s8
	s_mul_hi_u32 s99, s26, s69
	s_mul_hi_u32 s100, s9, s69
	s_mul_i32 s69, s9, s69
	s_add_u32 s71, s99, s71
	s_addc_u32 s70, 0, s70
	s_add_u32 s69, s71, s69
	s_addc_u32 s69, s70, s100
	s_addc_u32 s70, s98, 0
	s_add_u32 s8, s69, s8
	s_addc_u32 s69, 0, s70
	s_mul_hi_u32 s70, s33, s8
	s_mul_i32 s8, s33, s8
	s_mul_i32 s69, s33, s69
	v_sub_co_u32 v2, s8, s26, s8
	s_add_i32 s70, s70, s69
	s_cmp_lg_u32 s8, 0
	s_delay_alu instid0(VALU_DEP_1) | instskip(SKIP_2) | instid1(VALU_DEP_1)
	v_sub_co_u32 v3, s8, v2, s33
	s_subb_u32 s69, s9, s70
	s_cmp_lg_u32 s8, 0
	v_cmp_le_u32_e32 vcc_lo, s33, v3
	v_sub_co_u32 v4, s8, v3, s33
	s_subb_u32 s70, s69, 0
	s_cmp_lg_u32 s8, 0
	v_cndmask_b32_e64 v5, 0, -1, vcc_lo
	s_subb_u32 s8, s70, 0
	s_cmp_eq_u32 s70, 0
	v_mov_b32_e32 v9, s8
	s_cselect_b32 vcc_lo, -1, 0
	s_cmp_eq_u32 s69, 0
	v_cndmask_b32_e32 v5, -1, v5, vcc_lo
	v_cmp_le_u32_e32 vcc_lo, s33, v2
	s_cselect_b32 s8, -1, 0
	v_cndmask_b32_e64 v8, 0, -1, vcc_lo
	s_delay_alu instid0(VALU_DEP_3) | instskip(NEXT) | instid1(VALU_DEP_2)
	v_cmp_ne_u32_e32 vcc_lo, 0, v5
	v_cndmask_b32_e64 v5, -1, v8, s8
	v_cndmask_b32_e32 v8, s70, v9, vcc_lo
	v_cndmask_b32_e32 v4, v3, v4, vcc_lo
	s_delay_alu instid0(VALU_DEP_3) | instskip(NEXT) | instid1(VALU_DEP_3)
	v_cmp_ne_u32_e32 vcc_lo, 0, v5
	v_cndmask_b32_e32 v3, s69, v8, vcc_lo
	s_delay_alu instid0(VALU_DEP_3)
	v_cndmask_b32_e32 v2, v2, v4, vcc_lo
	s_cbranch_execnz .LBB144_179
.LBB144_178:                            ;   in Loop: Header=BB144_6 Depth=1
	v_cvt_f32_u32_e32 v2, s33
	s_sub_i32 s8, 0, s33
	s_delay_alu instid0(VALU_DEP_1) | instskip(SKIP_2) | instid1(VALU_DEP_1)
	v_rcp_iflag_f32_e32 v2, v2
	s_waitcnt_depctr 0xfff
	v_mul_f32_e32 v2, 0x4f7ffffe, v2
	v_cvt_u32_f32_e32 v2, v2
	s_delay_alu instid0(VALU_DEP_1) | instskip(NEXT) | instid1(VALU_DEP_1)
	v_mul_lo_u32 v3, s8, v2
	v_mul_hi_u32 v3, v2, v3
	s_delay_alu instid0(VALU_DEP_1) | instskip(NEXT) | instid1(VALU_DEP_1)
	v_add_nc_u32_e32 v2, v2, v3
	v_mul_hi_u32 v2, s26, v2
	s_delay_alu instid0(VALU_DEP_1) | instskip(NEXT) | instid1(VALU_DEP_1)
	v_mul_lo_u32 v2, v2, s33
	v_sub_nc_u32_e32 v2, s26, v2
	s_delay_alu instid0(VALU_DEP_1) | instskip(SKIP_1) | instid1(VALU_DEP_2)
	v_subrev_nc_u32_e32 v3, s33, v2
	v_cmp_le_u32_e32 vcc_lo, s33, v2
	v_cndmask_b32_e32 v2, v2, v3, vcc_lo
	s_delay_alu instid0(VALU_DEP_1) | instskip(SKIP_1) | instid1(VALU_DEP_2)
	v_subrev_nc_u32_e32 v3, s33, v2
	v_cmp_le_u32_e32 vcc_lo, s33, v2
	v_cndmask_b32_e32 v12, v2, v3, vcc_lo
	s_delay_alu instid0(VALU_DEP_1)
	v_dual_mov_b32 v2, v12 :: v_dual_mov_b32 v3, v13
.LBB144_179:                            ;   in Loop: Header=BB144_6 Depth=1
	s_delay_alu instid0(VALU_DEP_1) | instskip(NEXT) | instid1(VALU_DEP_2)
	v_sub_co_u32 v4, vcc_lo, s26, v2
	v_sub_co_ci_u32_e32 v5, vcc_lo, s9, v3, vcc_lo
	s_mov_b32 s9, 0
	s_mov_b32 s8, exec_lo
                                        ; implicit-def: $vgpr3
	s_delay_alu instid0(VALU_DEP_1)
	v_cmpx_gt_u64_e64 v[4:5], v[0:1]
	s_cbranch_execz .LBB144_191
; %bb.180:                              ;   in Loop: Header=BB144_6 Depth=1
	v_dual_mov_b32 v12, v14 :: v_dual_mov_b32 v9, v1
	v_mov_b32_e32 v8, v0
                                        ; implicit-def: $sgpr26
	s_set_inst_prefetch_distance 0x1
	s_branch .LBB144_182
	.p2align	6
.LBB144_181:                            ;   in Loop: Header=BB144_182 Depth=2
	s_or_b32 exec_lo, exec_lo, s69
	s_waitcnt lgkmcnt(0)
	s_barrier
	buffer_gl0_inv
	ds_load_b64 v[2:3], v13 offset:3072
	v_add_co_u32 v8, vcc_lo, v8, s33
	v_add_co_ci_u32_e32 v9, vcc_lo, 0, v9, vcc_lo
	v_add_nc_u32_e32 v12, s84, v12
	s_waitcnt lgkmcnt(0)
	s_barrier
	s_delay_alu instid0(VALU_DEP_2) | instskip(SKIP_2) | instid1(VALU_DEP_1)
	v_cmp_ge_u64_e32 vcc_lo, v[8:9], v[4:5]
	buffer_gl0_inv
	v_readfirstlane_b32 s69, v2
	s_cmp_lg_u32 s69, 0
	s_cselect_b32 s69, -1, 0
	s_delay_alu instid0(SALU_CYCLE_1) | instskip(NEXT) | instid1(SALU_CYCLE_1)
	s_or_b32 s70, vcc_lo, s69
	s_and_b32 s70, exec_lo, s70
	s_delay_alu instid0(SALU_CYCLE_1) | instskip(SKIP_2) | instid1(SALU_CYCLE_1)
	s_or_b32 s9, s70, s9
	s_and_not1_b32 s26, s26, exec_lo
	s_and_b32 s69, s69, exec_lo
	s_or_b32 s26, s26, s69
	s_and_not1_b32 exec_lo, exec_lo, s9
	s_cbranch_execz .LBB144_190
.LBB144_182:                            ;   Parent Loop BB144_6 Depth=1
                                        ; =>  This Inner Loop Header: Depth=2
	s_delay_alu instid0(VALU_DEP_1)
	v_cmp_gt_u64_e32 vcc_lo, s[18:19], v[8:9]
	v_mov_b32_e32 v24, 0
	s_and_saveexec_b32 s69, vcc_lo
	s_cbranch_execz .LBB144_184
; %bb.183:                              ;   in Loop: Header=BB144_182 Depth=2
	ds_load_b32 v24, v12
.LBB144_184:                            ;   in Loop: Header=BB144_182 Depth=2
	s_or_b32 exec_lo, exec_lo, s69
	s_and_saveexec_b32 s69, vcc_lo
	s_cbranch_execz .LBB144_181
; %bb.185:                              ;   in Loop: Header=BB144_182 Depth=2
	s_waitcnt lgkmcnt(0)
	v_xor_b32_e32 v2, 0x80000000, v24
	s_delay_alu instid0(VALU_DEP_1) | instskip(NEXT) | instid1(VALU_DEP_1)
	v_and_b32_e32 v2, v2, v31
	v_cmp_eq_u32_e32 vcc_lo, v2, v30
	s_and_b32 exec_lo, exec_lo, vcc_lo
	s_cbranch_execz .LBB144_181
; %bb.186:                              ;   in Loop: Header=BB144_182 Depth=2
	ds_store_b64 v13, v[23:24] offset:3072
	s_branch .LBB144_181
.LBB144_187:                            ;   in Loop: Header=BB144_6 Depth=1
                                        ; implicit-def: $vgpr2_vgpr3
	s_branch .LBB144_132
.LBB144_188:                            ;   in Loop: Header=BB144_6 Depth=1
                                        ; implicit-def: $vgpr2_vgpr3
	s_branch .LBB144_148
.LBB144_189:                            ;   in Loop: Header=BB144_6 Depth=1
	s_mov_b32 s69, -1
	s_mov_b32 s9, 0
                                        ; implicit-def: $sgpr70
                                        ; implicit-def: $vgpr3
	s_mov_b32 s71, s69
	s_cbranch_execnz .LBB144_192
	s_branch .LBB144_205
.LBB144_190:                            ;   in Loop: Header=BB144_6 Depth=1
	s_set_inst_prefetch_distance 0x2
	s_or_b32 exec_lo, exec_lo, s9
	s_delay_alu instid0(SALU_CYCLE_1)
	s_and_b32 s9, s26, exec_lo
.LBB144_191:                            ;   in Loop: Header=BB144_6 Depth=1
	s_or_b32 exec_lo, exec_lo, s8
	s_mov_b32 s70, -1
	s_mov_b32 s69, 0
	s_delay_alu instid0(SALU_CYCLE_1)
	s_mov_b32 s71, s69
	s_branch .LBB144_205
.LBB144_192:                            ;   in Loop: Header=BB144_6 Depth=1
	s_mov_b32 s26, s55
	s_delay_alu instid0(SALU_CYCLE_1)
	s_cmp_lg_u64 s[26:27], 0
	s_cbranch_scc0 .LBB144_225
; %bb.193:                              ;   in Loop: Header=BB144_6 Depth=1
	v_cvt_f32_u32_e32 v2, s33
	s_sub_u32 s18, 0, s33
	s_subb_u32 s19, 0, 0
	s_delay_alu instid0(VALU_DEP_1) | instskip(NEXT) | instid1(VALU_DEP_1)
	v_fmac_f32_e64 v2, 0, 0x4f800000
	v_rcp_f32_e32 v2, v2
	s_waitcnt_depctr 0xfff
	v_mul_f32_e32 v2, 0x5f7ffffc, v2
	s_delay_alu instid0(VALU_DEP_1) | instskip(NEXT) | instid1(VALU_DEP_1)
	v_mul_f32_e32 v3, 0x2f800000, v2
	v_trunc_f32_e32 v3, v3
	s_delay_alu instid0(VALU_DEP_1) | instskip(SKIP_1) | instid1(VALU_DEP_2)
	v_fmac_f32_e32 v2, 0xcf800000, v3
	v_cvt_u32_f32_e32 v3, v3
	v_cvt_u32_f32_e32 v2, v2
	s_delay_alu instid0(VALU_DEP_2) | instskip(NEXT) | instid1(VALU_DEP_2)
	v_readfirstlane_b32 s8, v3
	v_readfirstlane_b32 s9, v2
	s_delay_alu instid0(VALU_DEP_2) | instskip(NEXT) | instid1(VALU_DEP_1)
	s_mul_i32 s26, s18, s8
	s_mul_hi_u32 s70, s18, s9
	s_mul_i32 s69, s19, s9
	s_add_i32 s26, s70, s26
	s_mul_i32 s71, s18, s9
	s_add_i32 s26, s26, s69
	s_mul_hi_u32 s70, s9, s71
	s_mul_hi_u32 s98, s8, s71
	s_mul_i32 s69, s8, s71
	s_mul_hi_u32 s71, s9, s26
	s_mul_i32 s9, s9, s26
	s_mul_hi_u32 s99, s8, s26
	s_add_u32 s9, s70, s9
	s_addc_u32 s70, 0, s71
	s_add_u32 s9, s9, s69
	s_mul_i32 s26, s8, s26
	s_addc_u32 s9, s70, s98
	s_addc_u32 s69, s99, 0
	s_add_u32 s9, s9, s26
	s_addc_u32 s26, 0, s69
	v_add_co_u32 v2, s9, v2, s9
	s_delay_alu instid0(VALU_DEP_1) | instskip(SKIP_1) | instid1(VALU_DEP_1)
	s_cmp_lg_u32 s9, 0
	s_addc_u32 s8, s8, s26
	v_readfirstlane_b32 s9, v2
	s_mul_i32 s26, s18, s8
	s_delay_alu instid0(VALU_DEP_1)
	s_mul_hi_u32 s69, s18, s9
	s_mul_i32 s19, s19, s9
	s_add_i32 s26, s69, s26
	s_mul_i32 s18, s18, s9
	s_add_i32 s26, s26, s19
	s_mul_hi_u32 s69, s8, s18
	s_mul_i32 s70, s8, s18
	s_mul_hi_u32 s18, s9, s18
	s_mul_hi_u32 s71, s9, s26
	s_mul_i32 s9, s9, s26
	s_mul_hi_u32 s19, s8, s26
	s_add_u32 s9, s18, s9
	s_addc_u32 s18, 0, s71
	s_add_u32 s9, s9, s70
	s_mul_i32 s26, s8, s26
	s_addc_u32 s9, s18, s69
	s_addc_u32 s18, s19, 0
	s_add_u32 s9, s9, s26
	s_addc_u32 s18, 0, s18
	v_add_co_u32 v2, s9, v2, s9
	s_delay_alu instid0(VALU_DEP_1) | instskip(SKIP_1) | instid1(VALU_DEP_1)
	s_cmp_lg_u32 s9, 0
	s_addc_u32 s8, s8, s18
	v_readfirstlane_b32 s9, v2
	s_mul_i32 s19, s78, s8
	s_mul_hi_u32 s18, s78, s8
	s_mul_hi_u32 s26, s27, s8
	s_mul_i32 s8, s27, s8
	s_mul_hi_u32 s69, s78, s9
	s_mul_hi_u32 s70, s27, s9
	s_mul_i32 s9, s27, s9
	s_add_u32 s19, s69, s19
	s_addc_u32 s18, 0, s18
	s_add_u32 s9, s19, s9
	s_addc_u32 s9, s18, s70
	s_addc_u32 s18, s26, 0
	s_add_u32 s8, s9, s8
	s_addc_u32 s9, 0, s18
	s_mul_hi_u32 s18, s33, s8
	s_mul_i32 s8, s33, s8
	s_mul_i32 s9, s33, s9
	v_sub_co_u32 v2, s8, s78, s8
	s_add_i32 s18, s18, s9
	s_cmp_lg_u32 s8, 0
	s_delay_alu instid0(VALU_DEP_1) | instskip(SKIP_2) | instid1(VALU_DEP_1)
	v_sub_co_u32 v3, s8, v2, s33
	s_subb_u32 s9, s27, s18
	s_cmp_lg_u32 s8, 0
	v_cmp_le_u32_e32 vcc_lo, s33, v3
	v_sub_co_u32 v4, s8, v3, s33
	s_subb_u32 s18, s9, 0
	s_cmp_lg_u32 s8, 0
	v_cndmask_b32_e64 v5, 0, -1, vcc_lo
	s_subb_u32 s8, s18, 0
	s_cmp_eq_u32 s18, 0
	v_mov_b32_e32 v9, s8
	s_cselect_b32 vcc_lo, -1, 0
	s_cmp_eq_u32 s9, 0
	v_cndmask_b32_e32 v5, -1, v5, vcc_lo
	v_cmp_le_u32_e32 vcc_lo, s33, v2
	s_cselect_b32 s8, -1, 0
	v_cndmask_b32_e64 v8, 0, -1, vcc_lo
	s_delay_alu instid0(VALU_DEP_3) | instskip(NEXT) | instid1(VALU_DEP_2)
	v_cmp_ne_u32_e32 vcc_lo, 0, v5
	v_cndmask_b32_e64 v5, -1, v8, s8
	v_cndmask_b32_e32 v8, s18, v9, vcc_lo
	v_cndmask_b32_e32 v4, v3, v4, vcc_lo
	s_delay_alu instid0(VALU_DEP_3) | instskip(NEXT) | instid1(VALU_DEP_3)
	v_cmp_ne_u32_e32 vcc_lo, 0, v5
	v_cndmask_b32_e32 v3, s9, v8, vcc_lo
	s_delay_alu instid0(VALU_DEP_3)
	v_cndmask_b32_e32 v2, v2, v4, vcc_lo
	s_cbranch_execnz .LBB144_195
.LBB144_194:                            ;   in Loop: Header=BB144_6 Depth=1
	v_cvt_f32_u32_e32 v2, s33
	s_sub_i32 s8, 0, s33
	s_delay_alu instid0(VALU_DEP_1) | instskip(SKIP_2) | instid1(VALU_DEP_1)
	v_rcp_iflag_f32_e32 v2, v2
	s_waitcnt_depctr 0xfff
	v_mul_f32_e32 v2, 0x4f7ffffe, v2
	v_cvt_u32_f32_e32 v2, v2
	s_delay_alu instid0(VALU_DEP_1) | instskip(NEXT) | instid1(VALU_DEP_1)
	v_mul_lo_u32 v3, s8, v2
	v_mul_hi_u32 v3, v2, v3
	s_delay_alu instid0(VALU_DEP_1) | instskip(NEXT) | instid1(VALU_DEP_1)
	v_add_nc_u32_e32 v2, v2, v3
	v_mul_hi_u32 v2, s78, v2
	s_delay_alu instid0(VALU_DEP_1) | instskip(NEXT) | instid1(VALU_DEP_1)
	v_mul_lo_u32 v2, v2, s33
	v_sub_nc_u32_e32 v2, s78, v2
	s_delay_alu instid0(VALU_DEP_1) | instskip(SKIP_1) | instid1(VALU_DEP_2)
	v_subrev_nc_u32_e32 v3, s33, v2
	v_cmp_le_u32_e32 vcc_lo, s33, v2
	v_cndmask_b32_e32 v2, v2, v3, vcc_lo
	s_delay_alu instid0(VALU_DEP_1) | instskip(SKIP_1) | instid1(VALU_DEP_2)
	v_subrev_nc_u32_e32 v3, s33, v2
	v_cmp_le_u32_e32 vcc_lo, s33, v2
	v_cndmask_b32_e32 v12, v2, v3, vcc_lo
	s_delay_alu instid0(VALU_DEP_1)
	v_dual_mov_b32 v2, v12 :: v_dual_mov_b32 v3, v13
.LBB144_195:                            ;   in Loop: Header=BB144_6 Depth=1
	s_delay_alu instid0(VALU_DEP_1) | instskip(NEXT) | instid1(VALU_DEP_2)
	v_sub_co_u32 v4, vcc_lo, s78, v2
	v_sub_co_ci_u32_e32 v5, vcc_lo, s27, v3, vcc_lo
	s_mov_b32 s9, 0
	s_mov_b32 s8, exec_lo
                                        ; implicit-def: $vgpr3
	s_delay_alu instid0(VALU_DEP_1)
	v_cmpx_gt_u64_e64 v[4:5], v[0:1]
	s_cbranch_execz .LBB144_204
; %bb.196:                              ;   in Loop: Header=BB144_6 Depth=1
	v_dual_mov_b32 v8, v10 :: v_dual_mov_b32 v9, v11
	v_dual_mov_b32 v29, v1 :: v_dual_mov_b32 v28, v0
                                        ; implicit-def: $sgpr18
	s_set_inst_prefetch_distance 0x1
	s_branch .LBB144_198
	.p2align	6
.LBB144_197:                            ;   in Loop: Header=BB144_198 Depth=2
	s_or_b32 exec_lo, exec_lo, s19
	s_waitcnt vmcnt(0) lgkmcnt(0)
	s_barrier
	buffer_gl0_inv
	ds_load_b64 v[2:3], v13 offset:3072
	v_add_co_u32 v28, vcc_lo, v28, s33
	v_add_co_ci_u32_e32 v29, vcc_lo, 0, v29, vcc_lo
	s_waitcnt lgkmcnt(0)
	s_barrier
	buffer_gl0_inv
	v_cmp_ge_u64_e32 vcc_lo, v[28:29], v[4:5]
	v_readfirstlane_b32 s19, v2
	s_delay_alu instid0(VALU_DEP_1) | instskip(SKIP_1) | instid1(SALU_CYCLE_1)
	s_cmp_lg_u32 s19, 0
	s_cselect_b32 s19, -1, 0
	s_or_b32 s26, vcc_lo, s19
	v_add_co_u32 v8, vcc_lo, v8, s34
	s_and_b32 s26, exec_lo, s26
	v_add_co_ci_u32_e32 v9, vcc_lo, s35, v9, vcc_lo
	s_or_b32 s9, s26, s9
	s_and_not1_b32 s18, s18, exec_lo
	s_and_b32 s19, s19, exec_lo
	s_delay_alu instid0(SALU_CYCLE_1)
	s_or_b32 s18, s18, s19
	s_and_not1_b32 exec_lo, exec_lo, s9
	s_cbranch_execz .LBB144_203
.LBB144_198:                            ;   Parent Loop BB144_6 Depth=1
                                        ; =>  This Inner Loop Header: Depth=2
	s_delay_alu instid0(VALU_DEP_1)
	v_cmp_gt_u64_e32 vcc_lo, s[28:29], v[28:29]
	v_mov_b32_e32 v24, 0
	s_and_saveexec_b32 s19, vcc_lo
	s_cbranch_execz .LBB144_200
; %bb.199:                              ;   in Loop: Header=BB144_198 Depth=2
	global_load_b32 v24, v[8:9], off
.LBB144_200:                            ;   in Loop: Header=BB144_198 Depth=2
	s_or_b32 exec_lo, exec_lo, s19
	s_and_saveexec_b32 s19, vcc_lo
	s_cbranch_execz .LBB144_197
; %bb.201:                              ;   in Loop: Header=BB144_198 Depth=2
	s_waitcnt vmcnt(0)
	v_xor_b32_e32 v2, 0x80000000, v24
	s_delay_alu instid0(VALU_DEP_1) | instskip(NEXT) | instid1(VALU_DEP_1)
	v_and_b32_e32 v2, v2, v31
	v_cmp_eq_u32_e32 vcc_lo, v2, v30
	s_and_b32 exec_lo, exec_lo, vcc_lo
	s_cbranch_execz .LBB144_197
; %bb.202:                              ;   in Loop: Header=BB144_198 Depth=2
	ds_store_b64 v13, v[23:24] offset:3072
	s_branch .LBB144_197
.LBB144_203:                            ;   in Loop: Header=BB144_6 Depth=1
	s_set_inst_prefetch_distance 0x2
	s_or_b32 exec_lo, exec_lo, s9
	s_delay_alu instid0(SALU_CYCLE_1)
	s_and_b32 s9, s18, exec_lo
.LBB144_204:                            ;   in Loop: Header=BB144_6 Depth=1
	s_or_b32 exec_lo, exec_lo, s8
	s_mov_b32 s71, -1
	s_mov_b32 s69, 0
	s_mov_b32 s70, 0
.LBB144_205:                            ;   in Loop: Header=BB144_6 Depth=1
	s_or_not1_b32 s8, s9, exec_lo
.LBB144_206:                            ;   in Loop: Header=BB144_6 Depth=1
	s_or_b32 exec_lo, exec_lo, s72
	s_mov_b32 s26, 0
                                        ; implicit-def: $vgpr8
	s_and_saveexec_b32 s72, s8
	s_cbranch_execz .LBB144_271
; %bb.207:                              ;   in Loop: Header=BB144_6 Depth=1
	v_mov_b32_e32 v4, 1
	v_dual_mov_b32 v5, 0 :: v_dual_mov_b32 v8, 1
	s_xor_b32 s9, s73, -1
	s_delay_alu instid0(SALU_CYCLE_1)
	s_and_saveexec_b32 s8, s9
	s_cbranch_execz .LBB144_217
; %bb.208:                              ;   in Loop: Header=BB144_6 Depth=1
	s_mov_b32 s18, exec_lo
                                        ; implicit-def: $sgpr19
                                        ; implicit-def: $sgpr9
	v_cmpx_ge_u64_e64 s[14:15], v[6:7]
	s_xor_b32 s18, exec_lo, s18
	s_cbranch_execz .LBB144_214
; %bb.209:                              ;   in Loop: Header=BB144_6 Depth=1
	ds_load_b64 v[4:5], v13 offset:5120
	s_waitcnt lgkmcnt(0)
	v_cmp_ne_u64_e32 vcc_lo, 0, v[4:5]
	s_cbranch_vccnz .LBB144_213
; %bb.210:                              ;   in Loop: Header=BB144_6 Depth=1
	s_and_saveexec_b32 s9, s5
	s_cbranch_execz .LBB144_212
; %bb.211:                              ;   in Loop: Header=BB144_6 Depth=1
	v_dual_mov_b32 v4, s14 :: v_dual_mov_b32 v5, s15
	ds_store_b64 v13, v[4:5] offset:5128
.LBB144_212:                            ;   in Loop: Header=BB144_6 Depth=1
	s_or_b32 exec_lo, exec_lo, s9
	s_waitcnt lgkmcnt(0)
	s_barrier
	buffer_gl0_inv
.LBB144_213:                            ;   in Loop: Header=BB144_6 Depth=1
	s_lshl_b32 s9, 2, s22
	v_or_b32_e32 v31, s20, v31
	v_and_or_b32 v30, v30, s21, s9
	s_mov_b32 s9, 0
	s_mov_b32 s19, 8
.LBB144_214:                            ;   in Loop: Header=BB144_6 Depth=1
	s_or_saveexec_b32 s18, s18
	v_mov_b32_e32 v8, s19
	s_xor_b32 exec_lo, exec_lo, s18
; %bb.215:                              ;   in Loop: Header=BB144_6 Depth=1
	v_sub_co_u32 v6, vcc_lo, v6, s14
	v_subrev_co_ci_u32_e32 v7, vcc_lo, s15, v7, vcc_lo
	v_mov_b32_e32 v8, 0
	s_or_b32 s9, s9, exec_lo
; %bb.216:                              ;   in Loop: Header=BB144_6 Depth=1
	s_or_b32 exec_lo, exec_lo, s18
	s_delay_alu instid0(VALU_DEP_2)
	v_dual_mov_b32 v4, v6 :: v_dual_mov_b32 v5, v7
	s_and_b32 s26, s9, exec_lo
.LBB144_217:                            ;   in Loop: Header=BB144_6 Depth=1
	s_or_b32 exec_lo, exec_lo, s8
	s_mov_b32 s19, -1
                                        ; implicit-def: $sgpr8
                                        ; implicit-def: $sgpr18
                                        ; implicit-def: $sgpr9
	s_and_saveexec_b32 s73, s26
	s_cbranch_execz .LBB144_270
; %bb.218:                              ;   in Loop: Header=BB144_6 Depth=1
	v_cmp_eq_u64_e32 vcc_lo, 1, v[4:5]
	s_cmp_eq_u64 s[16:17], 1
	s_mov_b32 s26, -1
	s_cselect_b32 s8, -1, 0
                                        ; implicit-def: $sgpr18
                                        ; implicit-def: $sgpr9
	s_delay_alu instid0(SALU_CYCLE_1) | instskip(NEXT) | instid1(SALU_CYCLE_1)
	s_and_b32 s98, s8, vcc_lo
                                        ; implicit-def: $sgpr8
	s_and_saveexec_b32 s99, s98
	s_cbranch_execz .LBB144_257
; %bb.219:                              ;   in Loop: Header=BB144_6 Depth=1
	ds_load_b64 v[2:3], v13 offset:5120
	s_waitcnt lgkmcnt(0)
	s_barrier
	buffer_gl0_inv
	v_readfirstlane_b32 s18, v2
	v_readfirstlane_b32 s19, v3
	s_and_saveexec_b32 s8, s6
	s_cbranch_execz .LBB144_221
; %bb.220:                              ;   in Loop: Header=BB144_6 Depth=1
	ds_store_b32 v35, v13
.LBB144_221:                            ;   in Loop: Header=BB144_6 Depth=1
	s_or_b32 exec_lo, exec_lo, s8
	v_or_b32_e32 v30, s20, v30
	v_or_b32_e32 v31, s20, v31
	s_cmp_eq_u64 s[18:19], 0
	s_waitcnt lgkmcnt(0)
	s_barrier
	buffer_gl0_inv
	s_cbranch_scc1 .LBB144_226
; %bb.222:                              ;   in Loop: Header=BB144_6 Depth=1
	s_add_u32 s26, s76, s18
	s_addc_u32 s9, s77, s19
	s_mov_b32 s8, s55
	s_delay_alu instid0(SALU_CYCLE_1)
	s_cmp_lg_u64 s[8:9], 0
	s_cbranch_scc0 .LBB144_227
; %bb.223:                              ;   in Loop: Header=BB144_6 Depth=1
	v_cvt_f32_u32_e32 v2, s33
	s_sub_u32 s101, 0, s33
	s_subb_u32 s102, 0, 0
	s_delay_alu instid0(VALU_DEP_1) | instskip(NEXT) | instid1(VALU_DEP_1)
	v_fmac_f32_e64 v2, 0, 0x4f800000
	v_rcp_f32_e32 v2, v2
	s_waitcnt_depctr 0xfff
	v_mul_f32_e32 v2, 0x5f7ffffc, v2
	s_delay_alu instid0(VALU_DEP_1) | instskip(NEXT) | instid1(VALU_DEP_1)
	v_mul_f32_e32 v3, 0x2f800000, v2
	v_trunc_f32_e32 v3, v3
	s_delay_alu instid0(VALU_DEP_1) | instskip(SKIP_1) | instid1(VALU_DEP_2)
	v_fmac_f32_e32 v2, 0xcf800000, v3
	v_cvt_u32_f32_e32 v3, v3
	v_cvt_u32_f32_e32 v2, v2
	s_delay_alu instid0(VALU_DEP_2) | instskip(NEXT) | instid1(VALU_DEP_2)
	v_readfirstlane_b32 s8, v3
	v_readfirstlane_b32 s100, v2
	s_delay_alu instid0(VALU_DEP_2) | instskip(NEXT) | instid1(VALU_DEP_1)
	s_mul_i32 s103, s101, s8
	s_mul_hi_u32 vcc_lo, s101, s100
	s_mul_i32 s104, s102, s100
	s_add_i32 s103, vcc_lo, s103
	s_mul_i32 vcc_hi, s101, s100
	s_add_i32 s103, s103, s104
	s_mul_hi_u32 vcc_lo, s100, vcc_hi
	s_mul_hi_u32 s104, s100, s103
	s_mul_i32 s100, s100, s103
	s_mul_i32 s45, s8, vcc_hi
	s_add_u32 s100, vcc_lo, s100
	s_mul_hi_u32 s44, s8, vcc_hi
	s_addc_u32 s104, 0, s104
	s_mul_hi_u32 vcc_hi, s8, s103
	s_add_u32 s45, s100, s45
	s_mul_i32 s103, s8, s103
	s_addc_u32 s44, s104, s44
	s_addc_u32 s45, vcc_hi, 0
	s_add_u32 s44, s44, s103
	s_addc_u32 s45, 0, s45
	v_add_co_u32 v2, s44, v2, s44
	s_delay_alu instid0(VALU_DEP_1) | instskip(SKIP_1) | instid1(VALU_DEP_1)
	s_cmp_lg_u32 s44, 0
	s_addc_u32 s8, s8, s45
	v_readfirstlane_b32 s44, v2
	s_mul_i32 s45, s101, s8
	s_delay_alu instid0(VALU_DEP_1)
	s_mul_hi_u32 s100, s101, s44
	s_mul_i32 s102, s102, s44
	s_add_i32 s45, s100, s45
	s_mul_i32 s101, s101, s44
	s_add_i32 s45, s45, s102
	s_mul_hi_u32 s100, s8, s101
	s_mul_i32 s103, s8, s101
	s_mul_hi_u32 s101, s44, s101
	s_mul_hi_u32 s104, s44, s45
	s_mul_i32 s44, s44, s45
	s_mul_hi_u32 s102, s8, s45
	s_add_u32 s44, s101, s44
	s_addc_u32 s101, 0, s104
	s_add_u32 s44, s44, s103
	s_mul_i32 s45, s8, s45
	s_addc_u32 s44, s101, s100
	s_addc_u32 s100, s102, 0
	s_add_u32 s44, s44, s45
	s_addc_u32 s45, 0, s100
	v_add_co_u32 v2, s44, v2, s44
	s_delay_alu instid0(VALU_DEP_1) | instskip(SKIP_1) | instid1(VALU_DEP_1)
	s_cmp_lg_u32 s44, 0
	s_addc_u32 s8, s8, s45
	v_readfirstlane_b32 s44, v2
	s_mul_i32 s100, s26, s8
	s_mul_hi_u32 s45, s26, s8
	s_mul_hi_u32 s101, s9, s8
	s_mul_i32 s8, s9, s8
	s_mul_hi_u32 s102, s26, s44
	s_mul_hi_u32 s103, s9, s44
	s_mul_i32 s44, s9, s44
	s_add_u32 s100, s102, s100
	s_addc_u32 s45, 0, s45
	s_add_u32 s44, s100, s44
	s_addc_u32 s44, s45, s103
	s_addc_u32 s45, s101, 0
	s_add_u32 s8, s44, s8
	s_addc_u32 s44, 0, s45
	s_mul_hi_u32 s45, s33, s8
	s_mul_i32 s8, s33, s8
	s_mul_i32 s44, s33, s44
	v_sub_co_u32 v2, s8, s26, s8
	s_add_i32 s45, s45, s44
	s_cmp_lg_u32 s8, 0
	s_delay_alu instid0(VALU_DEP_1) | instskip(SKIP_3) | instid1(VALU_DEP_2)
	v_sub_co_u32 v3, s8, v2, s33
	s_subb_u32 s44, s9, s45
	s_cmp_lg_u32 s8, 0
	v_cmp_le_u32_e32 vcc_lo, s33, v2
	v_cmp_le_u32_e64 s8, s33, v3
	v_sub_co_u32 v6, s45, v3, s33
	s_subb_u32 s100, s44, 0
	s_cmp_lg_u32 s45, 0
	s_delay_alu instid0(VALU_DEP_2)
	v_cndmask_b32_e64 v7, 0, -1, s8
	s_subb_u32 s45, s100, 0
	s_cmp_eq_u32 s100, 0
	v_mov_b32_e32 v9, s45
	v_cndmask_b32_e64 v8, 0, -1, vcc_lo
	s_cselect_b32 vcc_lo, -1, 0
	s_cmp_eq_u32 s44, 0
	v_cndmask_b32_e32 v7, -1, v7, vcc_lo
	s_cselect_b32 vcc_lo, -1, 0
	v_cndmask_b32_e32 v8, -1, v8, vcc_lo
	s_delay_alu instid0(VALU_DEP_2) | instskip(NEXT) | instid1(VALU_DEP_2)
	v_cmp_ne_u32_e32 vcc_lo, 0, v7
	v_cmp_ne_u32_e64 s8, 0, v8
	v_cndmask_b32_e32 v7, s100, v9, vcc_lo
	v_cndmask_b32_e32 v6, v3, v6, vcc_lo
	s_delay_alu instid0(VALU_DEP_2) | instskip(NEXT) | instid1(VALU_DEP_2)
	v_cndmask_b32_e64 v3, s44, v7, s8
	v_cndmask_b32_e64 v2, v2, v6, s8
	s_mov_b32 s8, 0
	s_branch .LBB144_228
.LBB144_224:                            ;   in Loop: Header=BB144_6 Depth=1
                                        ; implicit-def: $vgpr2_vgpr3
	s_branch .LBB144_178
.LBB144_225:                            ;   in Loop: Header=BB144_6 Depth=1
                                        ; implicit-def: $vgpr2_vgpr3
	s_branch .LBB144_194
.LBB144_226:                            ;   in Loop: Header=BB144_6 Depth=1
	s_mov_b32 s8, -1
	s_mov_b32 s26, 0
                                        ; implicit-def: $sgpr9
                                        ; implicit-def: $vgpr3
	s_branch .LBB144_240
.LBB144_227:                            ;   in Loop: Header=BB144_6 Depth=1
	s_mov_b32 s8, -1
                                        ; implicit-def: $vgpr2_vgpr3
.LBB144_228:                            ;   in Loop: Header=BB144_6 Depth=1
	s_delay_alu instid0(SALU_CYCLE_1)
	s_and_not1_b32 vcc_lo, exec_lo, s8
	s_cbranch_vccnz .LBB144_230
; %bb.229:                              ;   in Loop: Header=BB144_6 Depth=1
	v_cvt_f32_u32_e32 v2, s33
	s_sub_i32 s8, 0, s33
	s_delay_alu instid0(VALU_DEP_1) | instskip(SKIP_2) | instid1(VALU_DEP_1)
	v_rcp_iflag_f32_e32 v2, v2
	s_waitcnt_depctr 0xfff
	v_mul_f32_e32 v2, 0x4f7ffffe, v2
	v_cvt_u32_f32_e32 v2, v2
	s_delay_alu instid0(VALU_DEP_1) | instskip(NEXT) | instid1(VALU_DEP_1)
	v_mul_lo_u32 v3, s8, v2
	v_mul_hi_u32 v3, v2, v3
	s_delay_alu instid0(VALU_DEP_1) | instskip(NEXT) | instid1(VALU_DEP_1)
	v_add_nc_u32_e32 v2, v2, v3
	v_mul_hi_u32 v2, s26, v2
	s_delay_alu instid0(VALU_DEP_1) | instskip(NEXT) | instid1(VALU_DEP_1)
	v_mul_lo_u32 v2, v2, s33
	v_sub_nc_u32_e32 v2, s26, v2
	s_delay_alu instid0(VALU_DEP_1) | instskip(SKIP_1) | instid1(VALU_DEP_2)
	v_subrev_nc_u32_e32 v3, s33, v2
	v_cmp_le_u32_e32 vcc_lo, s33, v2
	v_cndmask_b32_e32 v2, v2, v3, vcc_lo
	s_delay_alu instid0(VALU_DEP_1) | instskip(SKIP_1) | instid1(VALU_DEP_2)
	v_subrev_nc_u32_e32 v3, s33, v2
	v_cmp_le_u32_e32 vcc_lo, s33, v2
	v_cndmask_b32_e32 v12, v2, v3, vcc_lo
	s_delay_alu instid0(VALU_DEP_1)
	v_dual_mov_b32 v2, v12 :: v_dual_mov_b32 v3, v13
.LBB144_230:                            ;   in Loop: Header=BB144_6 Depth=1
	s_delay_alu instid0(VALU_DEP_1) | instskip(NEXT) | instid1(VALU_DEP_2)
	v_sub_co_u32 v6, vcc_lo, s26, v2
	v_sub_co_ci_u32_e32 v7, vcc_lo, s9, v3, vcc_lo
	s_mov_b32 s26, 0
	s_mov_b32 s8, exec_lo
                                        ; implicit-def: $vgpr3
	s_delay_alu instid0(VALU_DEP_1)
	v_cmpx_gt_u64_e64 v[6:7], v[0:1]
	s_cbranch_execz .LBB144_239
; %bb.231:                              ;   in Loop: Header=BB144_6 Depth=1
	v_dual_mov_b32 v12, v14 :: v_dual_mov_b32 v9, v1
	v_mov_b32_e32 v8, v0
	s_mov_b32 s9, 0
                                        ; implicit-def: $sgpr26
	s_set_inst_prefetch_distance 0x1
	s_branch .LBB144_233
	.p2align	6
.LBB144_232:                            ;   in Loop: Header=BB144_233 Depth=2
	s_or_b32 exec_lo, exec_lo, s100
	s_waitcnt lgkmcnt(0)
	s_barrier
	buffer_gl0_inv
	ds_load_b64 v[2:3], v13 offset:3072
	v_add_co_u32 v8, vcc_lo, v8, s33
	v_add_co_ci_u32_e32 v9, vcc_lo, 0, v9, vcc_lo
	v_add_nc_u32_e32 v12, s84, v12
	s_waitcnt lgkmcnt(0)
	s_barrier
	s_delay_alu instid0(VALU_DEP_2) | instskip(SKIP_2) | instid1(VALU_DEP_1)
	v_cmp_ge_u64_e32 vcc_lo, v[8:9], v[6:7]
	buffer_gl0_inv
	v_readfirstlane_b32 s44, v2
	s_cmp_lg_u32 s44, 0
	s_cselect_b32 s44, -1, 0
	s_delay_alu instid0(SALU_CYCLE_1) | instskip(NEXT) | instid1(SALU_CYCLE_1)
	s_or_b32 s45, vcc_lo, s44
	s_and_b32 s45, exec_lo, s45
	s_delay_alu instid0(SALU_CYCLE_1) | instskip(SKIP_2) | instid1(SALU_CYCLE_1)
	s_or_b32 s9, s45, s9
	s_and_not1_b32 s26, s26, exec_lo
	s_and_b32 s44, s44, exec_lo
	s_or_b32 s26, s26, s44
	s_and_not1_b32 exec_lo, exec_lo, s9
	s_cbranch_execz .LBB144_238
.LBB144_233:                            ;   Parent Loop BB144_6 Depth=1
                                        ; =>  This Inner Loop Header: Depth=2
	s_delay_alu instid0(VALU_DEP_1)
	v_cmp_gt_u64_e32 vcc_lo, s[18:19], v[8:9]
	v_mov_b32_e32 v24, 0
	s_and_saveexec_b32 s100, vcc_lo
	s_cbranch_execz .LBB144_235
; %bb.234:                              ;   in Loop: Header=BB144_233 Depth=2
	ds_load_b32 v24, v12
.LBB144_235:                            ;   in Loop: Header=BB144_233 Depth=2
	s_or_b32 exec_lo, exec_lo, s100
	s_and_saveexec_b32 s100, vcc_lo
	s_cbranch_execz .LBB144_232
; %bb.236:                              ;   in Loop: Header=BB144_233 Depth=2
	s_waitcnt lgkmcnt(0)
	v_xor_b32_e32 v2, 0x80000000, v24
	s_delay_alu instid0(VALU_DEP_1) | instskip(NEXT) | instid1(VALU_DEP_1)
	v_and_b32_e32 v2, v2, v31
	v_cmp_eq_u32_e32 vcc_lo, v2, v30
	s_and_b32 exec_lo, exec_lo, vcc_lo
	s_cbranch_execz .LBB144_232
; %bb.237:                              ;   in Loop: Header=BB144_233 Depth=2
	ds_store_b64 v13, v[23:24] offset:3072
	s_branch .LBB144_232
.LBB144_238:                            ;   in Loop: Header=BB144_6 Depth=1
	s_set_inst_prefetch_distance 0x2
	s_or_b32 exec_lo, exec_lo, s9
	s_delay_alu instid0(SALU_CYCLE_1)
	s_and_b32 s26, s26, exec_lo
.LBB144_239:                            ;   in Loop: Header=BB144_6 Depth=1
	s_or_b32 exec_lo, exec_lo, s8
	s_mov_b32 s9, -1
	s_mov_b32 s8, 0
.LBB144_240:                            ;   in Loop: Header=BB144_6 Depth=1
	s_delay_alu instid0(SALU_CYCLE_1)
	s_and_b32 vcc_lo, exec_lo, s8
	s_mov_b32 s18, s8
	s_cbranch_vccz .LBB144_256
; %bb.241:                              ;   in Loop: Header=BB144_6 Depth=1
	s_mov_b32 s26, s55
	s_delay_alu instid0(SALU_CYCLE_1)
	s_cmp_lg_u64 s[26:27], 0
	s_cbranch_scc0 .LBB144_243
; %bb.242:                              ;   in Loop: Header=BB144_6 Depth=1
	v_cvt_f32_u32_e32 v2, s33
	s_sub_u32 s18, 0, s33
	s_subb_u32 s19, 0, 0
	s_delay_alu instid0(VALU_DEP_1) | instskip(NEXT) | instid1(VALU_DEP_1)
	v_fmac_f32_e64 v2, 0, 0x4f800000
	v_rcp_f32_e32 v2, v2
	s_waitcnt_depctr 0xfff
	v_mul_f32_e32 v2, 0x5f7ffffc, v2
	s_delay_alu instid0(VALU_DEP_1) | instskip(NEXT) | instid1(VALU_DEP_1)
	v_mul_f32_e32 v3, 0x2f800000, v2
	v_trunc_f32_e32 v3, v3
	s_delay_alu instid0(VALU_DEP_1) | instskip(SKIP_1) | instid1(VALU_DEP_2)
	v_fmac_f32_e32 v2, 0xcf800000, v3
	v_cvt_u32_f32_e32 v3, v3
	v_cvt_u32_f32_e32 v2, v2
	s_delay_alu instid0(VALU_DEP_2) | instskip(NEXT) | instid1(VALU_DEP_2)
	v_readfirstlane_b32 s8, v3
	v_readfirstlane_b32 s9, v2
	s_delay_alu instid0(VALU_DEP_2) | instskip(NEXT) | instid1(VALU_DEP_1)
	s_mul_i32 s26, s18, s8
	s_mul_hi_u32 s45, s18, s9
	s_mul_i32 s44, s19, s9
	s_add_i32 s26, s45, s26
	s_mul_i32 s100, s18, s9
	s_add_i32 s26, s26, s44
	s_mul_hi_u32 s45, s9, s100
	s_mul_hi_u32 s101, s8, s100
	s_mul_i32 s44, s8, s100
	s_mul_hi_u32 s100, s9, s26
	s_mul_i32 s9, s9, s26
	s_mul_hi_u32 s102, s8, s26
	s_add_u32 s9, s45, s9
	s_addc_u32 s45, 0, s100
	s_add_u32 s9, s9, s44
	s_mul_i32 s26, s8, s26
	s_addc_u32 s9, s45, s101
	s_addc_u32 s44, s102, 0
	s_add_u32 s9, s9, s26
	s_addc_u32 s26, 0, s44
	v_add_co_u32 v2, s9, v2, s9
	s_delay_alu instid0(VALU_DEP_1) | instskip(SKIP_1) | instid1(VALU_DEP_1)
	s_cmp_lg_u32 s9, 0
	s_addc_u32 s8, s8, s26
	v_readfirstlane_b32 s9, v2
	s_mul_i32 s26, s18, s8
	s_delay_alu instid0(VALU_DEP_1)
	s_mul_hi_u32 s44, s18, s9
	s_mul_i32 s19, s19, s9
	s_add_i32 s26, s44, s26
	s_mul_i32 s18, s18, s9
	s_add_i32 s26, s26, s19
	s_mul_hi_u32 s44, s8, s18
	s_mul_i32 s45, s8, s18
	s_mul_hi_u32 s18, s9, s18
	s_mul_hi_u32 s100, s9, s26
	s_mul_i32 s9, s9, s26
	s_mul_hi_u32 s19, s8, s26
	s_add_u32 s9, s18, s9
	s_addc_u32 s18, 0, s100
	s_add_u32 s9, s9, s45
	s_mul_i32 s26, s8, s26
	s_addc_u32 s9, s18, s44
	s_addc_u32 s18, s19, 0
	s_add_u32 s9, s9, s26
	s_addc_u32 s18, 0, s18
	v_add_co_u32 v2, s9, v2, s9
	s_delay_alu instid0(VALU_DEP_1) | instskip(SKIP_1) | instid1(VALU_DEP_1)
	s_cmp_lg_u32 s9, 0
	s_addc_u32 s8, s8, s18
	v_readfirstlane_b32 s9, v2
	s_mul_i32 s19, s78, s8
	s_mul_hi_u32 s18, s78, s8
	s_mul_hi_u32 s26, s27, s8
	s_mul_i32 s8, s27, s8
	s_mul_hi_u32 s44, s78, s9
	s_mul_hi_u32 s45, s27, s9
	s_mul_i32 s9, s27, s9
	s_add_u32 s19, s44, s19
	s_addc_u32 s18, 0, s18
	s_add_u32 s9, s19, s9
	s_addc_u32 s9, s18, s45
	s_addc_u32 s18, s26, 0
	s_add_u32 s8, s9, s8
	s_addc_u32 s9, 0, s18
	s_mul_hi_u32 s18, s33, s8
	s_mul_i32 s8, s33, s8
	s_mul_i32 s9, s33, s9
	v_sub_co_u32 v2, s8, s78, s8
	s_add_i32 s18, s18, s9
	s_cmp_lg_u32 s8, 0
	s_delay_alu instid0(VALU_DEP_1) | instskip(SKIP_2) | instid1(VALU_DEP_1)
	v_sub_co_u32 v3, s8, v2, s33
	s_subb_u32 s9, s27, s18
	s_cmp_lg_u32 s8, 0
	v_cmp_le_u32_e32 vcc_lo, s33, v3
	v_sub_co_u32 v6, s8, v3, s33
	s_subb_u32 s18, s9, 0
	s_cmp_lg_u32 s8, 0
	v_cndmask_b32_e64 v7, 0, -1, vcc_lo
	s_subb_u32 s8, s18, 0
	s_cmp_eq_u32 s18, 0
	v_mov_b32_e32 v9, s8
	s_cselect_b32 vcc_lo, -1, 0
	s_cmp_eq_u32 s9, 0
	v_cndmask_b32_e32 v7, -1, v7, vcc_lo
	v_cmp_le_u32_e32 vcc_lo, s33, v2
	s_cselect_b32 s8, -1, 0
	v_cndmask_b32_e64 v8, 0, -1, vcc_lo
	s_delay_alu instid0(VALU_DEP_3) | instskip(NEXT) | instid1(VALU_DEP_2)
	v_cmp_ne_u32_e32 vcc_lo, 0, v7
	v_cndmask_b32_e64 v7, -1, v8, s8
	v_cndmask_b32_e32 v8, s18, v9, vcc_lo
	v_cndmask_b32_e32 v6, v3, v6, vcc_lo
	s_mov_b32 s8, 0
	s_delay_alu instid0(VALU_DEP_3) | instskip(NEXT) | instid1(VALU_DEP_3)
	v_cmp_ne_u32_e32 vcc_lo, 0, v7
	v_cndmask_b32_e32 v3, s9, v8, vcc_lo
	s_delay_alu instid0(VALU_DEP_3)
	v_cndmask_b32_e32 v2, v2, v6, vcc_lo
	s_branch .LBB144_244
.LBB144_243:                            ;   in Loop: Header=BB144_6 Depth=1
	s_mov_b32 s8, -1
                                        ; implicit-def: $vgpr2_vgpr3
.LBB144_244:                            ;   in Loop: Header=BB144_6 Depth=1
	s_delay_alu instid0(SALU_CYCLE_1)
	s_and_not1_b32 vcc_lo, exec_lo, s8
	s_cbranch_vccnz .LBB144_246
; %bb.245:                              ;   in Loop: Header=BB144_6 Depth=1
	v_cvt_f32_u32_e32 v2, s33
	s_sub_i32 s8, 0, s33
	s_delay_alu instid0(VALU_DEP_1) | instskip(SKIP_2) | instid1(VALU_DEP_1)
	v_rcp_iflag_f32_e32 v2, v2
	s_waitcnt_depctr 0xfff
	v_mul_f32_e32 v2, 0x4f7ffffe, v2
	v_cvt_u32_f32_e32 v2, v2
	s_delay_alu instid0(VALU_DEP_1) | instskip(NEXT) | instid1(VALU_DEP_1)
	v_mul_lo_u32 v3, s8, v2
	v_mul_hi_u32 v3, v2, v3
	s_delay_alu instid0(VALU_DEP_1) | instskip(NEXT) | instid1(VALU_DEP_1)
	v_add_nc_u32_e32 v2, v2, v3
	v_mul_hi_u32 v2, s78, v2
	s_delay_alu instid0(VALU_DEP_1) | instskip(NEXT) | instid1(VALU_DEP_1)
	v_mul_lo_u32 v2, v2, s33
	v_sub_nc_u32_e32 v2, s78, v2
	s_delay_alu instid0(VALU_DEP_1) | instskip(SKIP_1) | instid1(VALU_DEP_2)
	v_subrev_nc_u32_e32 v3, s33, v2
	v_cmp_le_u32_e32 vcc_lo, s33, v2
	v_cndmask_b32_e32 v2, v2, v3, vcc_lo
	s_delay_alu instid0(VALU_DEP_1) | instskip(SKIP_1) | instid1(VALU_DEP_2)
	v_subrev_nc_u32_e32 v3, s33, v2
	v_cmp_le_u32_e32 vcc_lo, s33, v2
	v_cndmask_b32_e32 v12, v2, v3, vcc_lo
	s_delay_alu instid0(VALU_DEP_1)
	v_dual_mov_b32 v2, v12 :: v_dual_mov_b32 v3, v13
.LBB144_246:                            ;   in Loop: Header=BB144_6 Depth=1
	s_delay_alu instid0(VALU_DEP_1) | instskip(NEXT) | instid1(VALU_DEP_2)
	v_sub_co_u32 v6, vcc_lo, s78, v2
	v_sub_co_ci_u32_e32 v7, vcc_lo, s27, v3, vcc_lo
	s_mov_b32 s26, 0
	s_mov_b32 s8, exec_lo
                                        ; implicit-def: $vgpr3
	s_delay_alu instid0(VALU_DEP_1)
	v_cmpx_gt_u64_e64 v[6:7], v[0:1]
	s_cbranch_execz .LBB144_255
; %bb.247:                              ;   in Loop: Header=BB144_6 Depth=1
	v_dual_mov_b32 v8, v10 :: v_dual_mov_b32 v9, v11
	v_dual_mov_b32 v29, v1 :: v_dual_mov_b32 v28, v0
	s_mov_b32 s9, 0
                                        ; implicit-def: $sgpr18
	s_set_inst_prefetch_distance 0x1
	s_branch .LBB144_249
	.p2align	6
.LBB144_248:                            ;   in Loop: Header=BB144_249 Depth=2
	s_or_b32 exec_lo, exec_lo, s19
	s_waitcnt vmcnt(0) lgkmcnt(0)
	s_barrier
	buffer_gl0_inv
	ds_load_b64 v[2:3], v13 offset:3072
	v_add_co_u32 v28, vcc_lo, v28, s33
	v_add_co_ci_u32_e32 v29, vcc_lo, 0, v29, vcc_lo
	s_waitcnt lgkmcnt(0)
	s_barrier
	buffer_gl0_inv
	v_cmp_ge_u64_e32 vcc_lo, v[28:29], v[6:7]
	v_readfirstlane_b32 s19, v2
	s_delay_alu instid0(VALU_DEP_1) | instskip(SKIP_1) | instid1(SALU_CYCLE_1)
	s_cmp_lg_u32 s19, 0
	s_cselect_b32 s19, -1, 0
	s_or_b32 s26, vcc_lo, s19
	v_add_co_u32 v8, vcc_lo, v8, s34
	s_and_b32 s26, exec_lo, s26
	v_add_co_ci_u32_e32 v9, vcc_lo, s35, v9, vcc_lo
	s_or_b32 s9, s26, s9
	s_and_not1_b32 s18, s18, exec_lo
	s_and_b32 s19, s19, exec_lo
	s_delay_alu instid0(SALU_CYCLE_1)
	s_or_b32 s18, s18, s19
	s_and_not1_b32 exec_lo, exec_lo, s9
	s_cbranch_execz .LBB144_254
.LBB144_249:                            ;   Parent Loop BB144_6 Depth=1
                                        ; =>  This Inner Loop Header: Depth=2
	s_delay_alu instid0(VALU_DEP_1)
	v_cmp_gt_u64_e32 vcc_lo, s[28:29], v[28:29]
	v_mov_b32_e32 v24, 0
	s_and_saveexec_b32 s19, vcc_lo
	s_cbranch_execz .LBB144_251
; %bb.250:                              ;   in Loop: Header=BB144_249 Depth=2
	global_load_b32 v24, v[8:9], off
.LBB144_251:                            ;   in Loop: Header=BB144_249 Depth=2
	s_or_b32 exec_lo, exec_lo, s19
	s_and_saveexec_b32 s19, vcc_lo
	s_cbranch_execz .LBB144_248
; %bb.252:                              ;   in Loop: Header=BB144_249 Depth=2
	s_waitcnt vmcnt(0)
	v_xor_b32_e32 v2, 0x80000000, v24
	s_delay_alu instid0(VALU_DEP_1) | instskip(NEXT) | instid1(VALU_DEP_1)
	v_and_b32_e32 v2, v2, v31
	v_cmp_eq_u32_e32 vcc_lo, v2, v30
	s_and_b32 exec_lo, exec_lo, vcc_lo
	s_cbranch_execz .LBB144_248
; %bb.253:                              ;   in Loop: Header=BB144_249 Depth=2
	ds_store_b64 v13, v[23:24] offset:3072
	s_branch .LBB144_248
.LBB144_254:                            ;   in Loop: Header=BB144_6 Depth=1
	s_set_inst_prefetch_distance 0x2
	s_or_b32 exec_lo, exec_lo, s9
	s_delay_alu instid0(SALU_CYCLE_1)
	s_and_b32 s26, s18, exec_lo
.LBB144_255:                            ;   in Loop: Header=BB144_6 Depth=1
	s_or_b32 exec_lo, exec_lo, s8
	s_mov_b32 s18, -1
	s_mov_b32 s8, 0
	s_mov_b32 s9, 0
.LBB144_256:                            ;   in Loop: Header=BB144_6 Depth=1
	s_or_not1_b32 s26, s26, exec_lo
.LBB144_257:                            ;   in Loop: Header=BB144_6 Depth=1
	s_or_b32 exec_lo, exec_lo, s99
	s_mov_b32 s99, 0
                                        ; implicit-def: $vgpr8
                                        ; implicit-def: $vgpr6_vgpr7
	s_and_saveexec_b32 s19, s26
	s_cbranch_execz .LBB144_269
; %bb.258:                              ;   in Loop: Header=BB144_6 Depth=1
	v_mov_b32_e32 v6, 1
	v_dual_mov_b32 v7, 0 :: v_dual_mov_b32 v8, 1
	s_xor_b32 s44, s98, -1
	s_delay_alu instid0(SALU_CYCLE_1)
	s_and_saveexec_b32 s26, s44
	s_cbranch_execz .LBB144_268
; %bb.259:                              ;   in Loop: Header=BB144_6 Depth=1
                                        ; implicit-def: $sgpr99
	s_mov_b32 s44, exec_lo
	v_cmpx_ge_u64_e64 s[16:17], v[4:5]
	s_xor_b32 s98, exec_lo, s44
	s_cbranch_execz .LBB144_265
; %bb.260:                              ;   in Loop: Header=BB144_6 Depth=1
	ds_load_b64 v[6:7], v13 offset:5120
	s_waitcnt lgkmcnt(0)
	v_cmp_ne_u64_e32 vcc_lo, 0, v[6:7]
	s_cbranch_vccnz .LBB144_264
; %bb.261:                              ;   in Loop: Header=BB144_6 Depth=1
	s_and_saveexec_b32 s99, s5
	s_cbranch_execz .LBB144_263
; %bb.262:                              ;   in Loop: Header=BB144_6 Depth=1
	v_dual_mov_b32 v6, s16 :: v_dual_mov_b32 v7, s17
	ds_store_b64 v13, v[6:7] offset:5128
.LBB144_263:                            ;   in Loop: Header=BB144_6 Depth=1
	s_or_b32 exec_lo, exec_lo, s99
	s_waitcnt lgkmcnt(0)
	s_barrier
	buffer_gl0_inv
.LBB144_264:                            ;   in Loop: Header=BB144_6 Depth=1
	v_or_b32_e32 v30, s20, v30
	v_or_b32_e32 v31, s20, v31
	s_mov_b32 s99, 8
.LBB144_265:                            ;   in Loop: Header=BB144_6 Depth=1
	s_or_saveexec_b32 s98, s98
	v_mov_b32_e32 v8, s99
	s_xor_b32 exec_lo, exec_lo, s98
; %bb.266:                              ;   in Loop: Header=BB144_6 Depth=1
	v_sub_co_u32 v4, vcc_lo, v4, s16
	v_subrev_co_ci_u32_e32 v5, vcc_lo, s17, v5, vcc_lo
	v_mov_b32_e32 v8, 8
; %bb.267:                              ;   in Loop: Header=BB144_6 Depth=1
	s_or_b32 exec_lo, exec_lo, s98
	s_delay_alu instid0(VALU_DEP_2)
	v_dual_mov_b32 v7, v5 :: v_dual_mov_b32 v6, v4
.LBB144_268:                            ;   in Loop: Header=BB144_6 Depth=1
	s_or_b32 exec_lo, exec_lo, s26
	s_delay_alu instid0(SALU_CYCLE_1)
	s_mov_b32 s99, exec_lo
.LBB144_269:                            ;   in Loop: Header=BB144_6 Depth=1
	s_or_b32 exec_lo, exec_lo, s19
	s_delay_alu instid0(VALU_DEP_1)
	v_dual_mov_b32 v4, v6 :: v_dual_mov_b32 v5, v7
	s_or_not1_b32 s19, s99, exec_lo
.LBB144_270:                            ;   in Loop: Header=BB144_6 Depth=1
	s_or_b32 exec_lo, exec_lo, s73
	s_delay_alu instid0(SALU_CYCLE_1)
	s_and_not1_b32 s26, s69, exec_lo
	s_and_b32 s8, s8, exec_lo
	v_dual_mov_b32 v7, v5 :: v_dual_mov_b32 v6, v4
	s_or_b32 s69, s26, s8
	s_and_not1_b32 s8, s71, exec_lo
	s_and_b32 s18, s18, exec_lo
	s_and_not1_b32 s26, s70, exec_lo
	s_and_b32 s9, s9, exec_lo
	s_or_b32 s71, s8, s18
	s_or_b32 s70, s26, s9
	s_and_b32 s26, s19, exec_lo
.LBB144_271:                            ;   in Loop: Header=BB144_6 Depth=1
	s_or_b32 exec_lo, exec_lo, s72
	s_delay_alu instid0(SALU_CYCLE_1)
	s_and_b32 s19, s69, exec_lo
	s_and_b32 s18, s71, exec_lo
	;; [unrolled: 1-line block ×3, first 2 shown]
	s_or_not1_b32 s8, s26, exec_lo
.LBB144_272:                            ;   in Loop: Header=BB144_6 Depth=1
	s_or_b32 exec_lo, exec_lo, s68
	s_delay_alu instid0(SALU_CYCLE_1)
	s_and_not1_b32 s25, s25, exec_lo
	s_and_b32 s19, s19, exec_lo
	v_dual_mov_b32 v4, v6 :: v_dual_mov_b32 v5, v7
	s_or_b32 s25, s25, s19
	s_and_not1_b32 s19, s66, exec_lo
	s_and_b32 s18, s18, exec_lo
	s_and_not1_b32 s26, s65, exec_lo
	s_and_b32 s9, s9, exec_lo
	s_or_b32 s66, s19, s18
	s_or_b32 s65, s26, s9
	s_and_b32 s26, s8, exec_lo
.LBB144_273:                            ;   in Loop: Header=BB144_6 Depth=1
	s_or_b32 exec_lo, exec_lo, s67
	s_delay_alu instid0(SALU_CYCLE_1)
	s_and_b32 s19, s25, exec_lo
	s_and_b32 s18, s66, exec_lo
	;; [unrolled: 1-line block ×3, first 2 shown]
	s_or_not1_b32 s25, s26, exec_lo
.LBB144_274:                            ;   in Loop: Header=BB144_6 Depth=1
	s_or_b32 exec_lo, exec_lo, s24
	s_mov_b32 s8, 0
	s_mov_b32 s24, 0
	s_and_saveexec_b32 s26, s25
	s_delay_alu instid0(SALU_CYCLE_1)
	s_xor_b32 s25, exec_lo, s26
; %bb.275:                              ;   in Loop: Header=BB144_6 Depth=1
	v_cmp_ne_u32_e32 vcc_lo, 8, v8
	v_cmp_eq_u32_e64 s8, 8, v8
	s_and_not1_b32 s19, s19, exec_lo
	s_and_not1_b32 s18, s18, exec_lo
	;; [unrolled: 1-line block ×3, first 2 shown]
	s_and_b32 s24, vcc_lo, exec_lo
	s_and_b32 s8, s8, exec_lo
; %bb.276:                              ;   in Loop: Header=BB144_6 Depth=1
	s_or_b32 exec_lo, exec_lo, s25
	s_delay_alu instid0(SALU_CYCLE_1)
	s_and_not1_b32 s23, s23, exec_lo
	s_and_b32 s19, s19, exec_lo
	s_and_b32 s18, s18, exec_lo
	s_or_b32 s23, s23, s19
	s_and_not1_b32 s19, s62, exec_lo
	s_and_not1_b32 s25, s54, exec_lo
	s_and_b32 s9, s9, exec_lo
	s_or_b32 s62, s19, s18
	s_or_b32 s54, s25, s9
	s_and_b32 s24, s24, exec_lo
	s_and_b32 s25, s8, exec_lo
.LBB144_277:                            ;   in Loop: Header=BB144_6 Depth=1
	s_or_b32 exec_lo, exec_lo, s64
	s_delay_alu instid0(SALU_CYCLE_1)
	s_and_b32 vcc_lo, exec_lo, s63
	s_cbranch_vccz .LBB144_96
.LBB144_278:                            ;   in Loop: Header=BB144_6 Depth=1
	s_cmp_eq_u64 s[16:17], 1
                                        ; implicit-def: $sgpr18
                                        ; implicit-def: $sgpr19
                                        ; implicit-def: $sgpr23
	s_cselect_b32 s8, -1, 0
	s_delay_alu instid0(SALU_CYCLE_1)
	s_and_b32 s62, s8, s7
	s_mov_b32 s7, -1
	s_and_saveexec_b32 s54, s62
	s_cbranch_execz .LBB144_310
; %bb.279:                              ;   in Loop: Header=BB144_6 Depth=1
	ds_load_b64 v[2:3], v13 offset:5120
	s_waitcnt lgkmcnt(0)
	s_barrier
	buffer_gl0_inv
	v_readfirstlane_b32 s8, v2
	v_readfirstlane_b32 s9, v3
	s_and_saveexec_b32 s7, s6
	s_cbranch_execz .LBB144_281
; %bb.280:                              ;   in Loop: Header=BB144_6 Depth=1
	ds_store_b32 v35, v13
.LBB144_281:                            ;   in Loop: Header=BB144_6 Depth=1
	s_or_b32 exec_lo, exec_lo, s7
	v_or_b32_e32 v40, s20, v40
	v_or_b32_e32 v39, s20, v39
	s_cmp_eq_u64 s[8:9], 0
	s_waitcnt lgkmcnt(0)
	s_barrier
	buffer_gl0_inv
	s_cbranch_scc1 .LBB144_293
; %bb.282:                              ;   in Loop: Header=BB144_6 Depth=1
	s_add_u32 s23, s76, s8
	s_addc_u32 s19, s77, s9
	s_mov_b32 s18, s55
	s_delay_alu instid0(SALU_CYCLE_1)
	s_cmp_lg_u64 s[18:19], 0
	s_cbranch_scc0 .LBB144_337
; %bb.283:                              ;   in Loop: Header=BB144_6 Depth=1
	v_cvt_f32_u32_e32 v2, s33
	s_sub_u32 s26, 0, s33
	s_subb_u32 s63, 0, 0
	s_delay_alu instid0(VALU_DEP_1) | instskip(NEXT) | instid1(VALU_DEP_1)
	v_fmac_f32_e64 v2, 0, 0x4f800000
	v_rcp_f32_e32 v2, v2
	s_waitcnt_depctr 0xfff
	v_mul_f32_e32 v2, 0x5f7ffffc, v2
	s_delay_alu instid0(VALU_DEP_1) | instskip(NEXT) | instid1(VALU_DEP_1)
	v_mul_f32_e32 v3, 0x2f800000, v2
	v_trunc_f32_e32 v3, v3
	s_delay_alu instid0(VALU_DEP_1) | instskip(SKIP_1) | instid1(VALU_DEP_2)
	v_fmac_f32_e32 v2, 0xcf800000, v3
	v_cvt_u32_f32_e32 v3, v3
	v_cvt_u32_f32_e32 v2, v2
	s_delay_alu instid0(VALU_DEP_2) | instskip(NEXT) | instid1(VALU_DEP_2)
	v_readfirstlane_b32 s7, v3
	v_readfirstlane_b32 s18, v2
	s_delay_alu instid0(VALU_DEP_2) | instskip(NEXT) | instid1(VALU_DEP_1)
	s_mul_i32 s64, s26, s7
	s_mul_hi_u32 s66, s26, s18
	s_mul_i32 s65, s63, s18
	s_add_i32 s64, s66, s64
	s_mul_i32 s67, s26, s18
	s_add_i32 s64, s64, s65
	s_mul_hi_u32 s66, s18, s67
	s_mul_hi_u32 s68, s7, s67
	s_mul_i32 s65, s7, s67
	s_mul_hi_u32 s67, s18, s64
	s_mul_i32 s18, s18, s64
	s_mul_hi_u32 s69, s7, s64
	s_add_u32 s18, s66, s18
	s_addc_u32 s66, 0, s67
	s_add_u32 s18, s18, s65
	s_mul_i32 s64, s7, s64
	s_addc_u32 s18, s66, s68
	s_addc_u32 s65, s69, 0
	s_add_u32 s18, s18, s64
	s_addc_u32 s64, 0, s65
	v_add_co_u32 v2, s18, v2, s18
	s_delay_alu instid0(VALU_DEP_1) | instskip(SKIP_1) | instid1(VALU_DEP_1)
	s_cmp_lg_u32 s18, 0
	s_addc_u32 s7, s7, s64
	v_readfirstlane_b32 s18, v2
	s_mul_i32 s64, s26, s7
	s_delay_alu instid0(VALU_DEP_1)
	s_mul_hi_u32 s65, s26, s18
	s_mul_i32 s63, s63, s18
	s_add_i32 s64, s65, s64
	s_mul_i32 s26, s26, s18
	s_add_i32 s64, s64, s63
	s_mul_hi_u32 s65, s7, s26
	s_mul_i32 s66, s7, s26
	s_mul_hi_u32 s26, s18, s26
	s_mul_hi_u32 s67, s18, s64
	s_mul_i32 s18, s18, s64
	s_mul_hi_u32 s63, s7, s64
	s_add_u32 s18, s26, s18
	s_addc_u32 s26, 0, s67
	s_add_u32 s18, s18, s66
	s_mul_i32 s64, s7, s64
	s_addc_u32 s18, s26, s65
	s_addc_u32 s26, s63, 0
	s_add_u32 s18, s18, s64
	s_addc_u32 s26, 0, s26
	v_add_co_u32 v2, s18, v2, s18
	s_delay_alu instid0(VALU_DEP_1) | instskip(SKIP_1) | instid1(VALU_DEP_1)
	s_cmp_lg_u32 s18, 0
	s_addc_u32 s7, s7, s26
	v_readfirstlane_b32 s18, v2
	s_mul_i32 s63, s23, s7
	s_mul_hi_u32 s26, s23, s7
	s_mul_hi_u32 s64, s19, s7
	s_mul_i32 s7, s19, s7
	s_mul_hi_u32 s65, s23, s18
	s_mul_hi_u32 s66, s19, s18
	s_mul_i32 s18, s19, s18
	s_add_u32 s63, s65, s63
	s_addc_u32 s26, 0, s26
	s_add_u32 s18, s63, s18
	s_addc_u32 s18, s26, s66
	s_addc_u32 s26, s64, 0
	s_add_u32 s7, s18, s7
	s_addc_u32 s18, 0, s26
	s_mul_hi_u32 s26, s33, s7
	s_mul_i32 s7, s33, s7
	s_mul_i32 s18, s33, s18
	v_sub_co_u32 v2, s7, s23, s7
	s_add_i32 s26, s26, s18
	s_cmp_lg_u32 s7, 0
	s_delay_alu instid0(VALU_DEP_1) | instskip(SKIP_2) | instid1(VALU_DEP_1)
	v_sub_co_u32 v3, s7, v2, s33
	s_subb_u32 s18, s19, s26
	s_cmp_lg_u32 s7, 0
	v_cmp_le_u32_e32 vcc_lo, s33, v3
	v_sub_co_u32 v4, s7, v3, s33
	s_subb_u32 s26, s18, 0
	s_cmp_lg_u32 s7, 0
	v_cndmask_b32_e64 v5, 0, -1, vcc_lo
	s_subb_u32 s7, s26, 0
	s_cmp_eq_u32 s26, 0
	v_mov_b32_e32 v7, s7
	s_cselect_b32 vcc_lo, -1, 0
	s_cmp_eq_u32 s18, 0
	v_cndmask_b32_e32 v5, -1, v5, vcc_lo
	v_cmp_le_u32_e32 vcc_lo, s33, v2
	s_cselect_b32 s7, -1, 0
	v_cndmask_b32_e64 v6, 0, -1, vcc_lo
	s_delay_alu instid0(VALU_DEP_3) | instskip(NEXT) | instid1(VALU_DEP_2)
	v_cmp_ne_u32_e32 vcc_lo, 0, v5
	v_cndmask_b32_e64 v5, -1, v6, s7
	v_cndmask_b32_e32 v6, s26, v7, vcc_lo
	v_cndmask_b32_e32 v4, v3, v4, vcc_lo
	s_delay_alu instid0(VALU_DEP_3) | instskip(NEXT) | instid1(VALU_DEP_3)
	v_cmp_ne_u32_e32 vcc_lo, 0, v5
	v_cndmask_b32_e32 v3, s18, v6, vcc_lo
	s_delay_alu instid0(VALU_DEP_3)
	v_cndmask_b32_e32 v2, v2, v4, vcc_lo
	s_cbranch_execnz .LBB144_285
.LBB144_284:                            ;   in Loop: Header=BB144_6 Depth=1
	v_cvt_f32_u32_e32 v2, s33
	s_sub_i32 s7, 0, s33
	s_delay_alu instid0(VALU_DEP_1) | instskip(SKIP_2) | instid1(VALU_DEP_1)
	v_rcp_iflag_f32_e32 v2, v2
	s_waitcnt_depctr 0xfff
	v_mul_f32_e32 v2, 0x4f7ffffe, v2
	v_cvt_u32_f32_e32 v2, v2
	s_delay_alu instid0(VALU_DEP_1) | instskip(NEXT) | instid1(VALU_DEP_1)
	v_mul_lo_u32 v3, s7, v2
	v_mul_hi_u32 v3, v2, v3
	s_delay_alu instid0(VALU_DEP_1) | instskip(NEXT) | instid1(VALU_DEP_1)
	v_add_nc_u32_e32 v2, v2, v3
	v_mul_hi_u32 v2, s23, v2
	s_delay_alu instid0(VALU_DEP_1) | instskip(NEXT) | instid1(VALU_DEP_1)
	v_mul_lo_u32 v2, v2, s33
	v_sub_nc_u32_e32 v2, s23, v2
	s_delay_alu instid0(VALU_DEP_1) | instskip(SKIP_1) | instid1(VALU_DEP_2)
	v_subrev_nc_u32_e32 v3, s33, v2
	v_cmp_le_u32_e32 vcc_lo, s33, v2
	v_cndmask_b32_e32 v2, v2, v3, vcc_lo
	s_delay_alu instid0(VALU_DEP_1) | instskip(SKIP_1) | instid1(VALU_DEP_2)
	v_subrev_nc_u32_e32 v3, s33, v2
	v_cmp_le_u32_e32 vcc_lo, s33, v2
	v_cndmask_b32_e32 v12, v2, v3, vcc_lo
	s_delay_alu instid0(VALU_DEP_1)
	v_dual_mov_b32 v2, v12 :: v_dual_mov_b32 v3, v13
.LBB144_285:                            ;   in Loop: Header=BB144_6 Depth=1
	s_delay_alu instid0(VALU_DEP_1) | instskip(NEXT) | instid1(VALU_DEP_2)
	v_sub_co_u32 v2, vcc_lo, s23, v2
	v_sub_co_ci_u32_e32 v3, vcc_lo, s19, v3, vcc_lo
	s_mov_b32 s26, 0
	s_mov_b32 s7, exec_lo
                                        ; implicit-def: $vgpr25
	s_delay_alu instid0(VALU_DEP_1)
	v_cmpx_gt_u64_e64 v[2:3], v[0:1]
	s_cbranch_execz .LBB144_295
; %bb.286:                              ;   in Loop: Header=BB144_6 Depth=1
	v_dual_mov_b32 v6, v14 :: v_dual_mov_b32 v5, v1
	v_mov_b32_e32 v4, v0
	s_mov_b32 s18, 0
                                        ; implicit-def: $sgpr19
	s_set_inst_prefetch_distance 0x1
	s_branch .LBB144_288
	.p2align	6
.LBB144_287:                            ;   in Loop: Header=BB144_288 Depth=2
	s_or_b32 exec_lo, exec_lo, s23
	s_waitcnt lgkmcnt(0)
	s_barrier
	buffer_gl0_inv
	ds_load_b64 v[24:25], v13 offset:3072
	v_add_co_u32 v4, vcc_lo, v4, s33
	v_add_co_ci_u32_e32 v5, vcc_lo, 0, v5, vcc_lo
	v_add_nc_u32_e32 v6, s84, v6
	s_waitcnt lgkmcnt(0)
	s_barrier
	s_delay_alu instid0(VALU_DEP_2) | instskip(SKIP_2) | instid1(VALU_DEP_1)
	v_cmp_ge_u64_e32 vcc_lo, v[4:5], v[2:3]
	buffer_gl0_inv
	v_readfirstlane_b32 s23, v24
	s_cmp_lg_u32 s23, 0
	s_cselect_b32 s23, -1, 0
	s_delay_alu instid0(SALU_CYCLE_1) | instskip(NEXT) | instid1(SALU_CYCLE_1)
	s_or_b32 s26, vcc_lo, s23
	s_and_b32 s26, exec_lo, s26
	s_delay_alu instid0(SALU_CYCLE_1) | instskip(SKIP_2) | instid1(SALU_CYCLE_1)
	s_or_b32 s18, s26, s18
	s_and_not1_b32 s19, s19, exec_lo
	s_and_b32 s23, s23, exec_lo
	s_or_b32 s19, s19, s23
	s_and_not1_b32 exec_lo, exec_lo, s18
	s_cbranch_execz .LBB144_294
.LBB144_288:                            ;   Parent Loop BB144_6 Depth=1
                                        ; =>  This Inner Loop Header: Depth=2
	s_delay_alu instid0(VALU_DEP_1)
	v_cmp_gt_u64_e32 vcc_lo, s[8:9], v[4:5]
	v_mov_b32_e32 v24, 0
	s_and_saveexec_b32 s23, vcc_lo
	s_cbranch_execz .LBB144_290
; %bb.289:                              ;   in Loop: Header=BB144_288 Depth=2
	ds_load_b32 v24, v6
.LBB144_290:                            ;   in Loop: Header=BB144_288 Depth=2
	s_or_b32 exec_lo, exec_lo, s23
	s_and_saveexec_b32 s23, vcc_lo
	s_cbranch_execz .LBB144_287
; %bb.291:                              ;   in Loop: Header=BB144_288 Depth=2
	s_waitcnt lgkmcnt(0)
	v_xor_b32_e32 v7, 0x80000000, v24
	s_delay_alu instid0(VALU_DEP_1) | instskip(NEXT) | instid1(VALU_DEP_1)
	v_and_b32_e32 v7, v7, v39
	v_cmp_eq_u32_e32 vcc_lo, v7, v40
	s_and_b32 exec_lo, exec_lo, vcc_lo
	s_cbranch_execz .LBB144_287
; %bb.292:                              ;   in Loop: Header=BB144_288 Depth=2
	ds_store_b64 v13, v[23:24] offset:3072
	s_branch .LBB144_287
.LBB144_293:                            ;   in Loop: Header=BB144_6 Depth=1
	s_mov_b32 s18, -1
	s_mov_b32 s26, 0
                                        ; implicit-def: $sgpr19
                                        ; implicit-def: $vgpr25
	s_mov_b32 s23, s18
	s_cbranch_execnz .LBB144_296
	s_branch .LBB144_309
.LBB144_294:                            ;   in Loop: Header=BB144_6 Depth=1
	s_set_inst_prefetch_distance 0x2
	s_or_b32 exec_lo, exec_lo, s18
	s_delay_alu instid0(SALU_CYCLE_1)
	s_and_b32 s26, s19, exec_lo
.LBB144_295:                            ;   in Loop: Header=BB144_6 Depth=1
	s_or_b32 exec_lo, exec_lo, s7
	s_mov_b32 s18, 0
	s_mov_b32 s19, -1
	s_mov_b32 s23, s18
	s_branch .LBB144_309
.LBB144_296:                            ;   in Loop: Header=BB144_6 Depth=1
	s_mov_b32 s26, s55
	s_delay_alu instid0(SALU_CYCLE_1)
	s_cmp_lg_u64 s[26:27], 0
	s_cbranch_scc0 .LBB144_338
; %bb.297:                              ;   in Loop: Header=BB144_6 Depth=1
	v_cvt_f32_u32_e32 v2, s33
	s_sub_u32 s9, 0, s33
	s_subb_u32 s18, 0, 0
	s_delay_alu instid0(VALU_DEP_1) | instskip(NEXT) | instid1(VALU_DEP_1)
	v_fmac_f32_e64 v2, 0, 0x4f800000
	v_rcp_f32_e32 v2, v2
	s_waitcnt_depctr 0xfff
	v_mul_f32_e32 v2, 0x5f7ffffc, v2
	s_delay_alu instid0(VALU_DEP_1) | instskip(NEXT) | instid1(VALU_DEP_1)
	v_mul_f32_e32 v3, 0x2f800000, v2
	v_trunc_f32_e32 v3, v3
	s_delay_alu instid0(VALU_DEP_1) | instskip(SKIP_1) | instid1(VALU_DEP_2)
	v_fmac_f32_e32 v2, 0xcf800000, v3
	v_cvt_u32_f32_e32 v3, v3
	v_cvt_u32_f32_e32 v2, v2
	s_delay_alu instid0(VALU_DEP_2) | instskip(NEXT) | instid1(VALU_DEP_2)
	v_readfirstlane_b32 s7, v3
	v_readfirstlane_b32 s8, v2
	s_delay_alu instid0(VALU_DEP_2) | instskip(NEXT) | instid1(VALU_DEP_1)
	s_mul_i32 s19, s9, s7
	s_mul_hi_u32 s26, s9, s8
	s_mul_i32 s23, s18, s8
	s_add_i32 s19, s26, s19
	s_mul_i32 s63, s9, s8
	s_add_i32 s19, s19, s23
	s_mul_hi_u32 s26, s8, s63
	s_mul_hi_u32 s64, s7, s63
	s_mul_i32 s23, s7, s63
	s_mul_hi_u32 s63, s8, s19
	s_mul_i32 s8, s8, s19
	s_mul_hi_u32 s65, s7, s19
	s_add_u32 s8, s26, s8
	s_addc_u32 s26, 0, s63
	s_add_u32 s8, s8, s23
	s_mul_i32 s19, s7, s19
	s_addc_u32 s8, s26, s64
	s_addc_u32 s23, s65, 0
	s_add_u32 s8, s8, s19
	s_addc_u32 s19, 0, s23
	v_add_co_u32 v2, s8, v2, s8
	s_delay_alu instid0(VALU_DEP_1) | instskip(SKIP_1) | instid1(VALU_DEP_1)
	s_cmp_lg_u32 s8, 0
	s_addc_u32 s7, s7, s19
	v_readfirstlane_b32 s8, v2
	s_mul_i32 s19, s9, s7
	s_delay_alu instid0(VALU_DEP_1)
	s_mul_hi_u32 s23, s9, s8
	s_mul_i32 s18, s18, s8
	s_add_i32 s19, s23, s19
	s_mul_i32 s9, s9, s8
	s_add_i32 s19, s19, s18
	s_mul_hi_u32 s23, s7, s9
	s_mul_i32 s26, s7, s9
	s_mul_hi_u32 s9, s8, s9
	s_mul_hi_u32 s63, s8, s19
	s_mul_i32 s8, s8, s19
	s_mul_hi_u32 s18, s7, s19
	s_add_u32 s8, s9, s8
	s_addc_u32 s9, 0, s63
	s_add_u32 s8, s8, s26
	s_mul_i32 s19, s7, s19
	s_addc_u32 s8, s9, s23
	s_addc_u32 s9, s18, 0
	s_add_u32 s8, s8, s19
	s_addc_u32 s9, 0, s9
	v_add_co_u32 v2, s8, v2, s8
	s_delay_alu instid0(VALU_DEP_1) | instskip(SKIP_1) | instid1(VALU_DEP_1)
	s_cmp_lg_u32 s8, 0
	s_addc_u32 s7, s7, s9
	v_readfirstlane_b32 s8, v2
	s_mul_i32 s18, s78, s7
	s_mul_hi_u32 s9, s78, s7
	s_mul_hi_u32 s19, s27, s7
	s_mul_i32 s7, s27, s7
	s_mul_hi_u32 s23, s78, s8
	s_mul_hi_u32 s26, s27, s8
	s_mul_i32 s8, s27, s8
	s_add_u32 s18, s23, s18
	s_addc_u32 s9, 0, s9
	s_add_u32 s8, s18, s8
	s_addc_u32 s8, s9, s26
	s_addc_u32 s9, s19, 0
	s_add_u32 s7, s8, s7
	s_addc_u32 s8, 0, s9
	s_mul_hi_u32 s9, s33, s7
	s_mul_i32 s7, s33, s7
	s_mul_i32 s8, s33, s8
	v_sub_co_u32 v2, s7, s78, s7
	s_add_i32 s9, s9, s8
	s_cmp_lg_u32 s7, 0
	s_delay_alu instid0(VALU_DEP_1) | instskip(SKIP_2) | instid1(VALU_DEP_1)
	v_sub_co_u32 v3, s7, v2, s33
	s_subb_u32 s8, s27, s9
	s_cmp_lg_u32 s7, 0
	v_cmp_le_u32_e32 vcc_lo, s33, v3
	v_sub_co_u32 v4, s7, v3, s33
	s_subb_u32 s9, s8, 0
	s_cmp_lg_u32 s7, 0
	v_cndmask_b32_e64 v5, 0, -1, vcc_lo
	s_subb_u32 s7, s9, 0
	s_cmp_eq_u32 s9, 0
	v_mov_b32_e32 v7, s7
	s_cselect_b32 vcc_lo, -1, 0
	s_cmp_eq_u32 s8, 0
	v_cndmask_b32_e32 v5, -1, v5, vcc_lo
	v_cmp_le_u32_e32 vcc_lo, s33, v2
	s_cselect_b32 s7, -1, 0
	v_cndmask_b32_e64 v6, 0, -1, vcc_lo
	s_delay_alu instid0(VALU_DEP_3) | instskip(NEXT) | instid1(VALU_DEP_2)
	v_cmp_ne_u32_e32 vcc_lo, 0, v5
	v_cndmask_b32_e64 v5, -1, v6, s7
	v_cndmask_b32_e32 v6, s9, v7, vcc_lo
	v_cndmask_b32_e32 v4, v3, v4, vcc_lo
	s_delay_alu instid0(VALU_DEP_3) | instskip(NEXT) | instid1(VALU_DEP_3)
	v_cmp_ne_u32_e32 vcc_lo, 0, v5
	v_cndmask_b32_e32 v3, s8, v6, vcc_lo
	s_delay_alu instid0(VALU_DEP_3)
	v_cndmask_b32_e32 v2, v2, v4, vcc_lo
	s_cbranch_execnz .LBB144_299
.LBB144_298:                            ;   in Loop: Header=BB144_6 Depth=1
	v_cvt_f32_u32_e32 v2, s33
	s_sub_i32 s7, 0, s33
	s_delay_alu instid0(VALU_DEP_1) | instskip(SKIP_2) | instid1(VALU_DEP_1)
	v_rcp_iflag_f32_e32 v2, v2
	s_waitcnt_depctr 0xfff
	v_mul_f32_e32 v2, 0x4f7ffffe, v2
	v_cvt_u32_f32_e32 v2, v2
	s_delay_alu instid0(VALU_DEP_1) | instskip(NEXT) | instid1(VALU_DEP_1)
	v_mul_lo_u32 v3, s7, v2
	v_mul_hi_u32 v3, v2, v3
	s_delay_alu instid0(VALU_DEP_1) | instskip(NEXT) | instid1(VALU_DEP_1)
	v_add_nc_u32_e32 v2, v2, v3
	v_mul_hi_u32 v2, s78, v2
	s_delay_alu instid0(VALU_DEP_1) | instskip(NEXT) | instid1(VALU_DEP_1)
	v_mul_lo_u32 v2, v2, s33
	v_sub_nc_u32_e32 v2, s78, v2
	s_delay_alu instid0(VALU_DEP_1) | instskip(SKIP_1) | instid1(VALU_DEP_2)
	v_subrev_nc_u32_e32 v3, s33, v2
	v_cmp_le_u32_e32 vcc_lo, s33, v2
	v_cndmask_b32_e32 v2, v2, v3, vcc_lo
	s_delay_alu instid0(VALU_DEP_1) | instskip(SKIP_1) | instid1(VALU_DEP_2)
	v_subrev_nc_u32_e32 v3, s33, v2
	v_cmp_le_u32_e32 vcc_lo, s33, v2
	v_cndmask_b32_e32 v12, v2, v3, vcc_lo
	s_delay_alu instid0(VALU_DEP_1)
	v_dual_mov_b32 v2, v12 :: v_dual_mov_b32 v3, v13
.LBB144_299:                            ;   in Loop: Header=BB144_6 Depth=1
	s_delay_alu instid0(VALU_DEP_1) | instskip(NEXT) | instid1(VALU_DEP_2)
	v_sub_co_u32 v2, vcc_lo, s78, v2
	v_sub_co_ci_u32_e32 v3, vcc_lo, s27, v3, vcc_lo
	s_mov_b32 s26, 0
	s_mov_b32 s7, exec_lo
                                        ; implicit-def: $vgpr25
	s_delay_alu instid0(VALU_DEP_1)
	v_cmpx_gt_u64_e64 v[2:3], v[0:1]
	s_cbranch_execz .LBB144_308
; %bb.300:                              ;   in Loop: Header=BB144_6 Depth=1
	v_dual_mov_b32 v4, v10 :: v_dual_mov_b32 v5, v11
	v_dual_mov_b32 v7, v1 :: v_dual_mov_b32 v6, v0
	s_mov_b32 s8, 0
                                        ; implicit-def: $sgpr9
	s_set_inst_prefetch_distance 0x1
	s_branch .LBB144_302
	.p2align	6
.LBB144_301:                            ;   in Loop: Header=BB144_302 Depth=2
	s_or_b32 exec_lo, exec_lo, s18
	s_waitcnt vmcnt(0) lgkmcnt(0)
	s_barrier
	buffer_gl0_inv
	ds_load_b64 v[24:25], v13 offset:3072
	v_add_co_u32 v6, vcc_lo, v6, s33
	v_add_co_ci_u32_e32 v7, vcc_lo, 0, v7, vcc_lo
	s_waitcnt lgkmcnt(0)
	s_barrier
	buffer_gl0_inv
	v_cmp_ge_u64_e32 vcc_lo, v[6:7], v[2:3]
	v_readfirstlane_b32 s18, v24
	s_delay_alu instid0(VALU_DEP_1) | instskip(SKIP_1) | instid1(SALU_CYCLE_1)
	s_cmp_lg_u32 s18, 0
	s_cselect_b32 s18, -1, 0
	s_or_b32 s19, vcc_lo, s18
	v_add_co_u32 v4, vcc_lo, v4, s34
	s_and_b32 s19, exec_lo, s19
	v_add_co_ci_u32_e32 v5, vcc_lo, s35, v5, vcc_lo
	s_or_b32 s8, s19, s8
	s_and_not1_b32 s9, s9, exec_lo
	s_and_b32 s18, s18, exec_lo
	s_delay_alu instid0(SALU_CYCLE_1)
	s_or_b32 s9, s9, s18
	s_and_not1_b32 exec_lo, exec_lo, s8
	s_cbranch_execz .LBB144_307
.LBB144_302:                            ;   Parent Loop BB144_6 Depth=1
                                        ; =>  This Inner Loop Header: Depth=2
	s_delay_alu instid0(VALU_DEP_1)
	v_cmp_gt_u64_e32 vcc_lo, s[28:29], v[6:7]
	v_mov_b32_e32 v24, 0
	s_and_saveexec_b32 s18, vcc_lo
	s_cbranch_execz .LBB144_304
; %bb.303:                              ;   in Loop: Header=BB144_302 Depth=2
	global_load_b32 v24, v[4:5], off
.LBB144_304:                            ;   in Loop: Header=BB144_302 Depth=2
	s_or_b32 exec_lo, exec_lo, s18
	s_and_saveexec_b32 s18, vcc_lo
	s_cbranch_execz .LBB144_301
; %bb.305:                              ;   in Loop: Header=BB144_302 Depth=2
	s_waitcnt vmcnt(0)
	v_xor_b32_e32 v8, 0x80000000, v24
	s_delay_alu instid0(VALU_DEP_1) | instskip(NEXT) | instid1(VALU_DEP_1)
	v_and_b32_e32 v8, v8, v39
	v_cmp_eq_u32_e32 vcc_lo, v8, v40
	s_and_b32 exec_lo, exec_lo, vcc_lo
	s_cbranch_execz .LBB144_301
; %bb.306:                              ;   in Loop: Header=BB144_302 Depth=2
	ds_store_b64 v13, v[23:24] offset:3072
	s_branch .LBB144_301
.LBB144_307:                            ;   in Loop: Header=BB144_6 Depth=1
	s_set_inst_prefetch_distance 0x2
	s_or_b32 exec_lo, exec_lo, s8
	s_delay_alu instid0(SALU_CYCLE_1)
	s_and_b32 s26, s9, exec_lo
.LBB144_308:                            ;   in Loop: Header=BB144_6 Depth=1
	s_or_b32 exec_lo, exec_lo, s7
	s_mov_b32 s19, 0
	s_mov_b32 s18, -1
	s_mov_b32 s23, 0
.LBB144_309:                            ;   in Loop: Header=BB144_6 Depth=1
	s_or_not1_b32 s7, s26, exec_lo
.LBB144_310:                            ;   in Loop: Header=BB144_6 Depth=1
	s_or_b32 exec_lo, exec_lo, s54
                                        ; implicit-def: $vgpr8
                                        ; implicit-def: $vgpr4_vgpr5
                                        ; implicit-def: $vgpr30
                                        ; implicit-def: $vgpr31
                                        ; implicit-def: $vgpr3
	s_and_saveexec_b32 s54, s7
	s_cbranch_execz .LBB144_473
; %bb.311:                              ;   in Loop: Header=BB144_6 Depth=1
	v_mov_b32_e32 v4, 1
	v_dual_mov_b32 v5, 0 :: v_dual_mov_b32 v8, 1
	s_xor_b32 s8, s62, -1
	s_mov_b32 s26, 0
	s_and_saveexec_b32 s7, s8
	s_cbranch_execz .LBB144_321
; %bb.312:                              ;   in Loop: Header=BB144_6 Depth=1
	s_mov_b32 s9, exec_lo
                                        ; implicit-def: $sgpr26
                                        ; implicit-def: $sgpr8
	v_cmpx_ge_u64_e64 s[16:17], v[26:27]
	s_xor_b32 s9, exec_lo, s9
	s_cbranch_execz .LBB144_318
; %bb.313:                              ;   in Loop: Header=BB144_6 Depth=1
	ds_load_b64 v[2:3], v13 offset:5120
	s_waitcnt lgkmcnt(0)
	v_cmp_ne_u64_e32 vcc_lo, 0, v[2:3]
	s_cbranch_vccnz .LBB144_317
; %bb.314:                              ;   in Loop: Header=BB144_6 Depth=1
	s_and_saveexec_b32 s8, s5
	s_cbranch_execz .LBB144_316
; %bb.315:                              ;   in Loop: Header=BB144_6 Depth=1
	v_dual_mov_b32 v2, s16 :: v_dual_mov_b32 v3, s17
	ds_store_b64 v13, v[2:3] offset:5128
.LBB144_316:                            ;   in Loop: Header=BB144_6 Depth=1
	s_or_b32 exec_lo, exec_lo, s8
	s_waitcnt lgkmcnt(0)
	s_barrier
	buffer_gl0_inv
.LBB144_317:                            ;   in Loop: Header=BB144_6 Depth=1
	v_or_b32_e32 v40, s20, v40
	v_or_b32_e32 v39, s20, v39
	s_mov_b32 s8, 0
	s_mov_b32 s26, 5
.LBB144_318:                            ;   in Loop: Header=BB144_6 Depth=1
	s_or_saveexec_b32 s9, s9
	v_mov_b32_e32 v8, s26
	s_xor_b32 exec_lo, exec_lo, s9
; %bb.319:                              ;   in Loop: Header=BB144_6 Depth=1
	v_sub_co_u32 v26, vcc_lo, v26, s16
	v_subrev_co_ci_u32_e32 v27, vcc_lo, s17, v27, vcc_lo
	v_mov_b32_e32 v8, 0
	s_or_b32 s8, s8, exec_lo
; %bb.320:                              ;   in Loop: Header=BB144_6 Depth=1
	s_or_b32 exec_lo, exec_lo, s9
	s_delay_alu instid0(VALU_DEP_2)
	v_dual_mov_b32 v4, v26 :: v_dual_mov_b32 v5, v27
	s_and_b32 s26, s8, exec_lo
.LBB144_321:                            ;   in Loop: Header=BB144_6 Depth=1
	s_or_b32 exec_lo, exec_lo, s7
	s_mov_b32 s17, -1
                                        ; implicit-def: $sgpr8
                                        ; implicit-def: $sgpr9
                                        ; implicit-def: $sgpr16
	s_and_saveexec_b32 s7, s26
	s_delay_alu instid0(SALU_CYCLE_1)
	s_xor_b32 s62, exec_lo, s7
	s_cbranch_execz .LBB144_470
; %bb.322:                              ;   in Loop: Header=BB144_6 Depth=1
	v_cmp_eq_u64_e32 vcc_lo, 1, v[4:5]
	s_cmp_eq_u64 s[14:15], 1
                                        ; implicit-def: $sgpr16
                                        ; implicit-def: $sgpr17
                                        ; implicit-def: $sgpr63
	s_cselect_b32 s7, -1, 0
	s_delay_alu instid0(SALU_CYCLE_1)
	s_and_b32 s65, s7, vcc_lo
	s_mov_b32 s7, -1
	s_and_saveexec_b32 s64, s65
	s_cbranch_execz .LBB144_356
; %bb.323:                              ;   in Loop: Header=BB144_6 Depth=1
	ds_load_b64 v[2:3], v13 offset:5120
	s_waitcnt lgkmcnt(0)
	s_barrier
	buffer_gl0_inv
	v_readfirstlane_b32 s8, v2
	v_readfirstlane_b32 s9, v3
	s_and_saveexec_b32 s7, s6
	s_cbranch_execz .LBB144_325
; %bb.324:                              ;   in Loop: Header=BB144_6 Depth=1
	ds_store_b32 v35, v13
.LBB144_325:                            ;   in Loop: Header=BB144_6 Depth=1
	s_or_b32 exec_lo, exec_lo, s7
	s_lshl_b32 s7, 2, s22
	v_or_b32_e32 v39, s20, v39
	v_and_or_b32 v40, v40, s21, s7
	s_cmp_eq_u64 s[8:9], 0
	s_waitcnt lgkmcnt(0)
	s_barrier
	buffer_gl0_inv
	s_cbranch_scc1 .LBB144_339
; %bb.326:                              ;   in Loop: Header=BB144_6 Depth=1
	s_add_u32 s26, s76, s8
	s_addc_u32 s17, s77, s9
	s_mov_b32 s16, s55
	s_delay_alu instid0(SALU_CYCLE_1)
	s_cmp_lg_u64 s[16:17], 0
	s_cbranch_scc0 .LBB144_383
; %bb.327:                              ;   in Loop: Header=BB144_6 Depth=1
	v_cvt_f32_u32_e32 v2, s33
	s_sub_u32 s63, 0, s33
	s_subb_u32 s66, 0, 0
	s_delay_alu instid0(VALU_DEP_1) | instskip(NEXT) | instid1(VALU_DEP_1)
	v_fmac_f32_e64 v2, 0, 0x4f800000
	v_rcp_f32_e32 v2, v2
	s_waitcnt_depctr 0xfff
	v_mul_f32_e32 v2, 0x5f7ffffc, v2
	s_delay_alu instid0(VALU_DEP_1) | instskip(NEXT) | instid1(VALU_DEP_1)
	v_mul_f32_e32 v3, 0x2f800000, v2
	v_trunc_f32_e32 v3, v3
	s_delay_alu instid0(VALU_DEP_1) | instskip(SKIP_1) | instid1(VALU_DEP_2)
	v_fmac_f32_e32 v2, 0xcf800000, v3
	v_cvt_u32_f32_e32 v3, v3
	v_cvt_u32_f32_e32 v2, v2
	s_delay_alu instid0(VALU_DEP_2) | instskip(NEXT) | instid1(VALU_DEP_2)
	v_readfirstlane_b32 s7, v3
	v_readfirstlane_b32 s16, v2
	s_delay_alu instid0(VALU_DEP_2) | instskip(NEXT) | instid1(VALU_DEP_1)
	s_mul_i32 s67, s63, s7
	s_mul_hi_u32 s69, s63, s16
	s_mul_i32 s68, s66, s16
	s_add_i32 s67, s69, s67
	s_mul_i32 s70, s63, s16
	s_add_i32 s67, s67, s68
	s_mul_hi_u32 s69, s16, s70
	s_mul_hi_u32 s71, s7, s70
	s_mul_i32 s68, s7, s70
	s_mul_hi_u32 s70, s16, s67
	s_mul_i32 s16, s16, s67
	s_mul_hi_u32 s72, s7, s67
	s_add_u32 s16, s69, s16
	s_addc_u32 s69, 0, s70
	s_add_u32 s16, s16, s68
	s_mul_i32 s67, s7, s67
	s_addc_u32 s16, s69, s71
	s_addc_u32 s68, s72, 0
	s_add_u32 s16, s16, s67
	s_addc_u32 s67, 0, s68
	v_add_co_u32 v2, s16, v2, s16
	s_delay_alu instid0(VALU_DEP_1) | instskip(SKIP_1) | instid1(VALU_DEP_1)
	s_cmp_lg_u32 s16, 0
	s_addc_u32 s7, s7, s67
	v_readfirstlane_b32 s16, v2
	s_mul_i32 s67, s63, s7
	s_delay_alu instid0(VALU_DEP_1)
	s_mul_hi_u32 s68, s63, s16
	s_mul_i32 s66, s66, s16
	s_add_i32 s67, s68, s67
	s_mul_i32 s63, s63, s16
	s_add_i32 s67, s67, s66
	s_mul_hi_u32 s68, s7, s63
	s_mul_i32 s69, s7, s63
	s_mul_hi_u32 s63, s16, s63
	s_mul_hi_u32 s70, s16, s67
	s_mul_i32 s16, s16, s67
	s_mul_hi_u32 s66, s7, s67
	s_add_u32 s16, s63, s16
	s_addc_u32 s63, 0, s70
	s_add_u32 s16, s16, s69
	s_mul_i32 s67, s7, s67
	s_addc_u32 s16, s63, s68
	s_addc_u32 s63, s66, 0
	s_add_u32 s16, s16, s67
	s_addc_u32 s63, 0, s63
	v_add_co_u32 v2, s16, v2, s16
	s_delay_alu instid0(VALU_DEP_1) | instskip(SKIP_1) | instid1(VALU_DEP_1)
	s_cmp_lg_u32 s16, 0
	s_addc_u32 s7, s7, s63
	v_readfirstlane_b32 s16, v2
	s_mul_i32 s66, s26, s7
	s_mul_hi_u32 s63, s26, s7
	s_mul_hi_u32 s67, s17, s7
	s_mul_i32 s7, s17, s7
	s_mul_hi_u32 s68, s26, s16
	s_mul_hi_u32 s69, s17, s16
	s_mul_i32 s16, s17, s16
	s_add_u32 s66, s68, s66
	s_addc_u32 s63, 0, s63
	s_add_u32 s16, s66, s16
	s_addc_u32 s16, s63, s69
	s_addc_u32 s63, s67, 0
	s_add_u32 s7, s16, s7
	s_addc_u32 s16, 0, s63
	s_mul_hi_u32 s63, s33, s7
	s_mul_i32 s7, s33, s7
	s_mul_i32 s16, s33, s16
	v_sub_co_u32 v2, s7, s26, s7
	s_add_i32 s63, s63, s16
	s_cmp_lg_u32 s7, 0
	s_delay_alu instid0(VALU_DEP_1) | instskip(SKIP_2) | instid1(VALU_DEP_1)
	v_sub_co_u32 v3, s7, v2, s33
	s_subb_u32 s16, s17, s63
	s_cmp_lg_u32 s7, 0
	v_cmp_le_u32_e32 vcc_lo, s33, v3
	v_sub_co_u32 v6, s7, v3, s33
	s_subb_u32 s63, s16, 0
	s_cmp_lg_u32 s7, 0
	v_cndmask_b32_e64 v7, 0, -1, vcc_lo
	s_subb_u32 s7, s63, 0
	s_cmp_eq_u32 s63, 0
	v_mov_b32_e32 v9, s7
	s_cselect_b32 vcc_lo, -1, 0
	s_cmp_eq_u32 s16, 0
	v_cndmask_b32_e32 v7, -1, v7, vcc_lo
	v_cmp_le_u32_e32 vcc_lo, s33, v2
	s_cselect_b32 s7, -1, 0
	v_cndmask_b32_e64 v8, 0, -1, vcc_lo
	s_delay_alu instid0(VALU_DEP_3) | instskip(NEXT) | instid1(VALU_DEP_2)
	v_cmp_ne_u32_e32 vcc_lo, 0, v7
	v_cndmask_b32_e64 v7, -1, v8, s7
	v_cndmask_b32_e32 v8, s63, v9, vcc_lo
	v_cndmask_b32_e32 v6, v3, v6, vcc_lo
	s_delay_alu instid0(VALU_DEP_3) | instskip(NEXT) | instid1(VALU_DEP_3)
	v_cmp_ne_u32_e32 vcc_lo, 0, v7
	v_cndmask_b32_e32 v3, s16, v8, vcc_lo
	s_delay_alu instid0(VALU_DEP_3)
	v_cndmask_b32_e32 v2, v2, v6, vcc_lo
	s_cbranch_execnz .LBB144_329
.LBB144_328:                            ;   in Loop: Header=BB144_6 Depth=1
	v_cvt_f32_u32_e32 v2, s33
	s_sub_i32 s7, 0, s33
	s_delay_alu instid0(VALU_DEP_1) | instskip(SKIP_2) | instid1(VALU_DEP_1)
	v_rcp_iflag_f32_e32 v2, v2
	s_waitcnt_depctr 0xfff
	v_mul_f32_e32 v2, 0x4f7ffffe, v2
	v_cvt_u32_f32_e32 v2, v2
	s_delay_alu instid0(VALU_DEP_1) | instskip(NEXT) | instid1(VALU_DEP_1)
	v_mul_lo_u32 v3, s7, v2
	v_mul_hi_u32 v3, v2, v3
	s_delay_alu instid0(VALU_DEP_1) | instskip(NEXT) | instid1(VALU_DEP_1)
	v_add_nc_u32_e32 v2, v2, v3
	v_mul_hi_u32 v2, s26, v2
	s_delay_alu instid0(VALU_DEP_1) | instskip(NEXT) | instid1(VALU_DEP_1)
	v_mul_lo_u32 v2, v2, s33
	v_sub_nc_u32_e32 v2, s26, v2
	s_delay_alu instid0(VALU_DEP_1) | instskip(SKIP_1) | instid1(VALU_DEP_2)
	v_subrev_nc_u32_e32 v3, s33, v2
	v_cmp_le_u32_e32 vcc_lo, s33, v2
	v_cndmask_b32_e32 v2, v2, v3, vcc_lo
	s_delay_alu instid0(VALU_DEP_1) | instskip(SKIP_1) | instid1(VALU_DEP_2)
	v_subrev_nc_u32_e32 v3, s33, v2
	v_cmp_le_u32_e32 vcc_lo, s33, v2
	v_cndmask_b32_e32 v12, v2, v3, vcc_lo
	s_delay_alu instid0(VALU_DEP_1)
	v_dual_mov_b32 v2, v12 :: v_dual_mov_b32 v3, v13
.LBB144_329:                            ;   in Loop: Header=BB144_6 Depth=1
	s_delay_alu instid0(VALU_DEP_1) | instskip(NEXT) | instid1(VALU_DEP_2)
	v_sub_co_u32 v2, vcc_lo, s26, v2
	v_sub_co_ci_u32_e32 v3, vcc_lo, s17, v3, vcc_lo
	s_mov_b32 s26, 0
	s_mov_b32 s7, exec_lo
                                        ; implicit-def: $vgpr25
	s_delay_alu instid0(VALU_DEP_1)
	v_cmpx_gt_u64_e64 v[2:3], v[0:1]
	s_cbranch_execz .LBB144_341
; %bb.330:                              ;   in Loop: Header=BB144_6 Depth=1
	v_dual_mov_b32 v8, v14 :: v_dual_mov_b32 v7, v1
	v_mov_b32_e32 v6, v0
	s_mov_b32 s16, 0
                                        ; implicit-def: $sgpr17
	s_set_inst_prefetch_distance 0x1
	s_branch .LBB144_332
	.p2align	6
.LBB144_331:                            ;   in Loop: Header=BB144_332 Depth=2
	s_or_b32 exec_lo, exec_lo, s26
	s_waitcnt lgkmcnt(0)
	s_barrier
	buffer_gl0_inv
	ds_load_b64 v[24:25], v13 offset:3072
	v_add_co_u32 v6, vcc_lo, v6, s33
	v_add_co_ci_u32_e32 v7, vcc_lo, 0, v7, vcc_lo
	v_add_nc_u32_e32 v8, s84, v8
	s_waitcnt lgkmcnt(0)
	s_barrier
	s_delay_alu instid0(VALU_DEP_2) | instskip(SKIP_2) | instid1(VALU_DEP_1)
	v_cmp_ge_u64_e32 vcc_lo, v[6:7], v[2:3]
	buffer_gl0_inv
	v_readfirstlane_b32 s26, v24
	s_cmp_lg_u32 s26, 0
	s_cselect_b32 s26, -1, 0
	s_delay_alu instid0(SALU_CYCLE_1) | instskip(NEXT) | instid1(SALU_CYCLE_1)
	s_or_b32 s63, vcc_lo, s26
	s_and_b32 s63, exec_lo, s63
	s_delay_alu instid0(SALU_CYCLE_1) | instskip(SKIP_2) | instid1(SALU_CYCLE_1)
	s_or_b32 s16, s63, s16
	s_and_not1_b32 s17, s17, exec_lo
	s_and_b32 s26, s26, exec_lo
	s_or_b32 s17, s17, s26
	s_and_not1_b32 exec_lo, exec_lo, s16
	s_cbranch_execz .LBB144_340
.LBB144_332:                            ;   Parent Loop BB144_6 Depth=1
                                        ; =>  This Inner Loop Header: Depth=2
	s_delay_alu instid0(VALU_DEP_1)
	v_cmp_gt_u64_e32 vcc_lo, s[8:9], v[6:7]
	v_mov_b32_e32 v24, 0
	s_and_saveexec_b32 s26, vcc_lo
	s_cbranch_execz .LBB144_334
; %bb.333:                              ;   in Loop: Header=BB144_332 Depth=2
	ds_load_b32 v24, v8
.LBB144_334:                            ;   in Loop: Header=BB144_332 Depth=2
	s_or_b32 exec_lo, exec_lo, s26
	s_and_saveexec_b32 s26, vcc_lo
	s_cbranch_execz .LBB144_331
; %bb.335:                              ;   in Loop: Header=BB144_332 Depth=2
	s_waitcnt lgkmcnt(0)
	v_xor_b32_e32 v9, 0x80000000, v24
	s_delay_alu instid0(VALU_DEP_1) | instskip(NEXT) | instid1(VALU_DEP_1)
	v_and_b32_e32 v9, v9, v39
	v_cmp_eq_u32_e32 vcc_lo, v9, v40
	s_and_b32 exec_lo, exec_lo, vcc_lo
	s_cbranch_execz .LBB144_331
; %bb.336:                              ;   in Loop: Header=BB144_332 Depth=2
	ds_store_b64 v13, v[23:24] offset:3072
	s_branch .LBB144_331
.LBB144_337:                            ;   in Loop: Header=BB144_6 Depth=1
                                        ; implicit-def: $vgpr2_vgpr3
	s_branch .LBB144_284
.LBB144_338:                            ;   in Loop: Header=BB144_6 Depth=1
                                        ; implicit-def: $vgpr2_vgpr3
	s_branch .LBB144_298
.LBB144_339:                            ;   in Loop: Header=BB144_6 Depth=1
	s_mov_b32 s16, -1
	s_mov_b32 s26, 0
                                        ; implicit-def: $sgpr17
                                        ; implicit-def: $vgpr25
	s_mov_b32 s63, s16
	s_cbranch_execnz .LBB144_342
	s_branch .LBB144_355
.LBB144_340:                            ;   in Loop: Header=BB144_6 Depth=1
	s_set_inst_prefetch_distance 0x2
	s_or_b32 exec_lo, exec_lo, s16
	s_delay_alu instid0(SALU_CYCLE_1)
	s_and_b32 s26, s17, exec_lo
.LBB144_341:                            ;   in Loop: Header=BB144_6 Depth=1
	s_or_b32 exec_lo, exec_lo, s7
	s_mov_b32 s16, 0
	s_mov_b32 s17, -1
	s_mov_b32 s63, s16
	s_branch .LBB144_355
.LBB144_342:                            ;   in Loop: Header=BB144_6 Depth=1
	s_mov_b32 s26, s55
	s_delay_alu instid0(SALU_CYCLE_1)
	s_cmp_lg_u64 s[26:27], 0
	s_cbranch_scc0 .LBB144_384
; %bb.343:                              ;   in Loop: Header=BB144_6 Depth=1
	v_cvt_f32_u32_e32 v2, s33
	s_sub_u32 s9, 0, s33
	s_subb_u32 s16, 0, 0
	s_delay_alu instid0(VALU_DEP_1) | instskip(NEXT) | instid1(VALU_DEP_1)
	v_fmac_f32_e64 v2, 0, 0x4f800000
	v_rcp_f32_e32 v2, v2
	s_waitcnt_depctr 0xfff
	v_mul_f32_e32 v2, 0x5f7ffffc, v2
	s_delay_alu instid0(VALU_DEP_1) | instskip(NEXT) | instid1(VALU_DEP_1)
	v_mul_f32_e32 v3, 0x2f800000, v2
	v_trunc_f32_e32 v3, v3
	s_delay_alu instid0(VALU_DEP_1) | instskip(SKIP_1) | instid1(VALU_DEP_2)
	v_fmac_f32_e32 v2, 0xcf800000, v3
	v_cvt_u32_f32_e32 v3, v3
	v_cvt_u32_f32_e32 v2, v2
	s_delay_alu instid0(VALU_DEP_2) | instskip(NEXT) | instid1(VALU_DEP_2)
	v_readfirstlane_b32 s7, v3
	v_readfirstlane_b32 s8, v2
	s_delay_alu instid0(VALU_DEP_2) | instskip(NEXT) | instid1(VALU_DEP_1)
	s_mul_i32 s17, s9, s7
	s_mul_hi_u32 s63, s9, s8
	s_mul_i32 s26, s16, s8
	s_add_i32 s17, s63, s17
	s_mul_i32 s66, s9, s8
	s_add_i32 s17, s17, s26
	s_mul_hi_u32 s63, s8, s66
	s_mul_hi_u32 s67, s7, s66
	s_mul_i32 s26, s7, s66
	s_mul_hi_u32 s66, s8, s17
	s_mul_i32 s8, s8, s17
	s_mul_hi_u32 s68, s7, s17
	s_add_u32 s8, s63, s8
	s_addc_u32 s63, 0, s66
	s_add_u32 s8, s8, s26
	s_mul_i32 s17, s7, s17
	s_addc_u32 s8, s63, s67
	s_addc_u32 s26, s68, 0
	s_add_u32 s8, s8, s17
	s_addc_u32 s17, 0, s26
	v_add_co_u32 v2, s8, v2, s8
	s_delay_alu instid0(VALU_DEP_1) | instskip(SKIP_1) | instid1(VALU_DEP_1)
	s_cmp_lg_u32 s8, 0
	s_addc_u32 s7, s7, s17
	v_readfirstlane_b32 s8, v2
	s_mul_i32 s17, s9, s7
	s_delay_alu instid0(VALU_DEP_1)
	s_mul_hi_u32 s26, s9, s8
	s_mul_i32 s16, s16, s8
	s_add_i32 s17, s26, s17
	s_mul_i32 s9, s9, s8
	s_add_i32 s17, s17, s16
	s_mul_hi_u32 s26, s7, s9
	s_mul_i32 s63, s7, s9
	s_mul_hi_u32 s9, s8, s9
	s_mul_hi_u32 s66, s8, s17
	s_mul_i32 s8, s8, s17
	s_mul_hi_u32 s16, s7, s17
	s_add_u32 s8, s9, s8
	s_addc_u32 s9, 0, s66
	s_add_u32 s8, s8, s63
	s_mul_i32 s17, s7, s17
	s_addc_u32 s8, s9, s26
	s_addc_u32 s9, s16, 0
	s_add_u32 s8, s8, s17
	s_addc_u32 s9, 0, s9
	v_add_co_u32 v2, s8, v2, s8
	s_delay_alu instid0(VALU_DEP_1) | instskip(SKIP_1) | instid1(VALU_DEP_1)
	s_cmp_lg_u32 s8, 0
	s_addc_u32 s7, s7, s9
	v_readfirstlane_b32 s8, v2
	s_mul_i32 s16, s78, s7
	s_mul_hi_u32 s9, s78, s7
	s_mul_hi_u32 s17, s27, s7
	s_mul_i32 s7, s27, s7
	s_mul_hi_u32 s26, s78, s8
	s_mul_hi_u32 s63, s27, s8
	s_mul_i32 s8, s27, s8
	s_add_u32 s16, s26, s16
	s_addc_u32 s9, 0, s9
	s_add_u32 s8, s16, s8
	s_addc_u32 s8, s9, s63
	s_addc_u32 s9, s17, 0
	s_add_u32 s7, s8, s7
	s_addc_u32 s8, 0, s9
	s_mul_hi_u32 s9, s33, s7
	s_mul_i32 s7, s33, s7
	s_mul_i32 s8, s33, s8
	v_sub_co_u32 v2, s7, s78, s7
	s_add_i32 s9, s9, s8
	s_cmp_lg_u32 s7, 0
	s_delay_alu instid0(VALU_DEP_1) | instskip(SKIP_2) | instid1(VALU_DEP_1)
	v_sub_co_u32 v3, s7, v2, s33
	s_subb_u32 s8, s27, s9
	s_cmp_lg_u32 s7, 0
	v_cmp_le_u32_e32 vcc_lo, s33, v3
	v_sub_co_u32 v6, s7, v3, s33
	s_subb_u32 s9, s8, 0
	s_cmp_lg_u32 s7, 0
	v_cndmask_b32_e64 v7, 0, -1, vcc_lo
	s_subb_u32 s7, s9, 0
	s_cmp_eq_u32 s9, 0
	v_mov_b32_e32 v9, s7
	s_cselect_b32 vcc_lo, -1, 0
	s_cmp_eq_u32 s8, 0
	v_cndmask_b32_e32 v7, -1, v7, vcc_lo
	v_cmp_le_u32_e32 vcc_lo, s33, v2
	s_cselect_b32 s7, -1, 0
	v_cndmask_b32_e64 v8, 0, -1, vcc_lo
	s_delay_alu instid0(VALU_DEP_3) | instskip(NEXT) | instid1(VALU_DEP_2)
	v_cmp_ne_u32_e32 vcc_lo, 0, v7
	v_cndmask_b32_e64 v7, -1, v8, s7
	v_cndmask_b32_e32 v8, s9, v9, vcc_lo
	v_cndmask_b32_e32 v6, v3, v6, vcc_lo
	s_delay_alu instid0(VALU_DEP_3) | instskip(NEXT) | instid1(VALU_DEP_3)
	v_cmp_ne_u32_e32 vcc_lo, 0, v7
	v_cndmask_b32_e32 v3, s8, v8, vcc_lo
	s_delay_alu instid0(VALU_DEP_3)
	v_cndmask_b32_e32 v2, v2, v6, vcc_lo
	s_cbranch_execnz .LBB144_345
.LBB144_344:                            ;   in Loop: Header=BB144_6 Depth=1
	v_cvt_f32_u32_e32 v2, s33
	s_sub_i32 s7, 0, s33
	s_delay_alu instid0(VALU_DEP_1) | instskip(SKIP_2) | instid1(VALU_DEP_1)
	v_rcp_iflag_f32_e32 v2, v2
	s_waitcnt_depctr 0xfff
	v_mul_f32_e32 v2, 0x4f7ffffe, v2
	v_cvt_u32_f32_e32 v2, v2
	s_delay_alu instid0(VALU_DEP_1) | instskip(NEXT) | instid1(VALU_DEP_1)
	v_mul_lo_u32 v3, s7, v2
	v_mul_hi_u32 v3, v2, v3
	s_delay_alu instid0(VALU_DEP_1) | instskip(NEXT) | instid1(VALU_DEP_1)
	v_add_nc_u32_e32 v2, v2, v3
	v_mul_hi_u32 v2, s78, v2
	s_delay_alu instid0(VALU_DEP_1) | instskip(NEXT) | instid1(VALU_DEP_1)
	v_mul_lo_u32 v2, v2, s33
	v_sub_nc_u32_e32 v2, s78, v2
	s_delay_alu instid0(VALU_DEP_1) | instskip(SKIP_1) | instid1(VALU_DEP_2)
	v_subrev_nc_u32_e32 v3, s33, v2
	v_cmp_le_u32_e32 vcc_lo, s33, v2
	v_cndmask_b32_e32 v2, v2, v3, vcc_lo
	s_delay_alu instid0(VALU_DEP_1) | instskip(SKIP_1) | instid1(VALU_DEP_2)
	v_subrev_nc_u32_e32 v3, s33, v2
	v_cmp_le_u32_e32 vcc_lo, s33, v2
	v_cndmask_b32_e32 v12, v2, v3, vcc_lo
	s_delay_alu instid0(VALU_DEP_1)
	v_dual_mov_b32 v2, v12 :: v_dual_mov_b32 v3, v13
.LBB144_345:                            ;   in Loop: Header=BB144_6 Depth=1
	s_delay_alu instid0(VALU_DEP_1) | instskip(NEXT) | instid1(VALU_DEP_2)
	v_sub_co_u32 v2, vcc_lo, s78, v2
	v_sub_co_ci_u32_e32 v3, vcc_lo, s27, v3, vcc_lo
	s_mov_b32 s26, 0
	s_mov_b32 s7, exec_lo
                                        ; implicit-def: $vgpr25
	s_delay_alu instid0(VALU_DEP_1)
	v_cmpx_gt_u64_e64 v[2:3], v[0:1]
	s_cbranch_execz .LBB144_354
; %bb.346:                              ;   in Loop: Header=BB144_6 Depth=1
	v_dual_mov_b32 v6, v10 :: v_dual_mov_b32 v7, v11
	v_dual_mov_b32 v9, v1 :: v_dual_mov_b32 v8, v0
	s_mov_b32 s8, 0
                                        ; implicit-def: $sgpr9
	s_set_inst_prefetch_distance 0x1
	s_branch .LBB144_348
	.p2align	6
.LBB144_347:                            ;   in Loop: Header=BB144_348 Depth=2
	s_or_b32 exec_lo, exec_lo, s16
	s_waitcnt vmcnt(0) lgkmcnt(0)
	s_barrier
	buffer_gl0_inv
	ds_load_b64 v[24:25], v13 offset:3072
	v_add_co_u32 v8, vcc_lo, v8, s33
	v_add_co_ci_u32_e32 v9, vcc_lo, 0, v9, vcc_lo
	s_waitcnt lgkmcnt(0)
	s_barrier
	buffer_gl0_inv
	v_cmp_ge_u64_e32 vcc_lo, v[8:9], v[2:3]
	v_readfirstlane_b32 s16, v24
	s_delay_alu instid0(VALU_DEP_1) | instskip(SKIP_1) | instid1(SALU_CYCLE_1)
	s_cmp_lg_u32 s16, 0
	s_cselect_b32 s16, -1, 0
	s_or_b32 s17, vcc_lo, s16
	v_add_co_u32 v6, vcc_lo, v6, s34
	s_and_b32 s17, exec_lo, s17
	v_add_co_ci_u32_e32 v7, vcc_lo, s35, v7, vcc_lo
	s_or_b32 s8, s17, s8
	s_and_not1_b32 s9, s9, exec_lo
	s_and_b32 s16, s16, exec_lo
	s_delay_alu instid0(SALU_CYCLE_1)
	s_or_b32 s9, s9, s16
	s_and_not1_b32 exec_lo, exec_lo, s8
	s_cbranch_execz .LBB144_353
.LBB144_348:                            ;   Parent Loop BB144_6 Depth=1
                                        ; =>  This Inner Loop Header: Depth=2
	s_delay_alu instid0(VALU_DEP_1)
	v_cmp_gt_u64_e32 vcc_lo, s[28:29], v[8:9]
	v_mov_b32_e32 v24, 0
	s_and_saveexec_b32 s16, vcc_lo
	s_cbranch_execz .LBB144_350
; %bb.349:                              ;   in Loop: Header=BB144_348 Depth=2
	global_load_b32 v24, v[6:7], off
.LBB144_350:                            ;   in Loop: Header=BB144_348 Depth=2
	s_or_b32 exec_lo, exec_lo, s16
	s_and_saveexec_b32 s16, vcc_lo
	s_cbranch_execz .LBB144_347
; %bb.351:                              ;   in Loop: Header=BB144_348 Depth=2
	s_waitcnt vmcnt(0)
	v_xor_b32_e32 v12, 0x80000000, v24
	s_delay_alu instid0(VALU_DEP_1) | instskip(NEXT) | instid1(VALU_DEP_1)
	v_and_b32_e32 v12, v12, v39
	v_cmp_eq_u32_e32 vcc_lo, v12, v40
	s_and_b32 exec_lo, exec_lo, vcc_lo
	s_cbranch_execz .LBB144_347
; %bb.352:                              ;   in Loop: Header=BB144_348 Depth=2
	ds_store_b64 v13, v[23:24] offset:3072
	s_branch .LBB144_347
.LBB144_353:                            ;   in Loop: Header=BB144_6 Depth=1
	s_set_inst_prefetch_distance 0x2
	s_or_b32 exec_lo, exec_lo, s8
	s_delay_alu instid0(SALU_CYCLE_1)
	s_and_b32 s26, s9, exec_lo
.LBB144_354:                            ;   in Loop: Header=BB144_6 Depth=1
	s_or_b32 exec_lo, exec_lo, s7
	s_mov_b32 s17, 0
	s_mov_b32 s16, -1
	s_mov_b32 s63, 0
.LBB144_355:                            ;   in Loop: Header=BB144_6 Depth=1
	s_or_not1_b32 s7, s26, exec_lo
.LBB144_356:                            ;   in Loop: Header=BB144_6 Depth=1
	s_or_b32 exec_lo, exec_lo, s64
	s_mov_b32 s26, 0
                                        ; implicit-def: $vgpr8
	s_and_saveexec_b32 s64, s7
	s_cbranch_execz .LBB144_469
; %bb.357:                              ;   in Loop: Header=BB144_6 Depth=1
	v_mov_b32_e32 v2, 1
	v_dual_mov_b32 v3, 0 :: v_dual_mov_b32 v8, 1
	s_xor_b32 s8, s65, -1
	s_delay_alu instid0(SALU_CYCLE_1)
	s_and_saveexec_b32 s7, s8
	s_cbranch_execz .LBB144_367
; %bb.358:                              ;   in Loop: Header=BB144_6 Depth=1
	s_mov_b32 s9, exec_lo
                                        ; implicit-def: $sgpr26
                                        ; implicit-def: $sgpr8
	v_cmpx_ge_u64_e64 s[14:15], v[4:5]
	s_xor_b32 s9, exec_lo, s9
	s_cbranch_execz .LBB144_364
; %bb.359:                              ;   in Loop: Header=BB144_6 Depth=1
	ds_load_b64 v[2:3], v13 offset:5120
	s_waitcnt lgkmcnt(0)
	v_cmp_ne_u64_e32 vcc_lo, 0, v[2:3]
	s_cbranch_vccnz .LBB144_363
; %bb.360:                              ;   in Loop: Header=BB144_6 Depth=1
	s_and_saveexec_b32 s8, s5
	s_cbranch_execz .LBB144_362
; %bb.361:                              ;   in Loop: Header=BB144_6 Depth=1
	v_dual_mov_b32 v2, s14 :: v_dual_mov_b32 v3, s15
	ds_store_b64 v13, v[2:3] offset:5128
.LBB144_362:                            ;   in Loop: Header=BB144_6 Depth=1
	s_or_b32 exec_lo, exec_lo, s8
	s_waitcnt lgkmcnt(0)
	s_barrier
	buffer_gl0_inv
.LBB144_363:                            ;   in Loop: Header=BB144_6 Depth=1
	s_lshl_b32 s8, 2, s22
	v_or_b32_e32 v39, s20, v39
	v_and_or_b32 v40, v40, s21, s8
	s_mov_b32 s8, 0
	s_mov_b32 s26, 5
.LBB144_364:                            ;   in Loop: Header=BB144_6 Depth=1
	s_or_saveexec_b32 s9, s9
	v_mov_b32_e32 v8, s26
	s_xor_b32 exec_lo, exec_lo, s9
; %bb.365:                              ;   in Loop: Header=BB144_6 Depth=1
	v_sub_co_u32 v4, vcc_lo, v4, s14
	v_subrev_co_ci_u32_e32 v5, vcc_lo, s15, v5, vcc_lo
	v_mov_b32_e32 v8, 0
	s_or_b32 s8, s8, exec_lo
; %bb.366:                              ;   in Loop: Header=BB144_6 Depth=1
	s_or_b32 exec_lo, exec_lo, s9
	s_delay_alu instid0(VALU_DEP_2)
	v_dual_mov_b32 v2, v4 :: v_dual_mov_b32 v3, v5
	s_and_b32 s26, s8, exec_lo
.LBB144_367:                            ;   in Loop: Header=BB144_6 Depth=1
	s_or_b32 exec_lo, exec_lo, s7
	s_mov_b32 s7, -1
                                        ; implicit-def: $sgpr8
                                        ; implicit-def: $sgpr9
                                        ; implicit-def: $sgpr14
	s_and_saveexec_b32 s65, s26
	s_cbranch_execz .LBB144_468
; %bb.368:                              ;   in Loop: Header=BB144_6 Depth=1
	v_cmp_eq_u64_e32 vcc_lo, 1, v[2:3]
	s_cmp_eq_u64 s[12:13], 1
                                        ; implicit-def: $sgpr14
                                        ; implicit-def: $sgpr15
                                        ; implicit-def: $sgpr66
	s_cselect_b32 s7, -1, 0
	s_delay_alu instid0(SALU_CYCLE_1)
	s_and_b32 s68, s7, vcc_lo
	s_mov_b32 s7, -1
	s_and_saveexec_b32 s67, s68
	s_cbranch_execz .LBB144_402
; %bb.369:                              ;   in Loop: Header=BB144_6 Depth=1
	ds_load_b64 v[4:5], v13 offset:5120
	s_waitcnt lgkmcnt(0)
	s_barrier
	buffer_gl0_inv
	v_readfirstlane_b32 s8, v4
	v_readfirstlane_b32 s9, v5
	s_and_saveexec_b32 s7, s6
	s_cbranch_execz .LBB144_371
; %bb.370:                              ;   in Loop: Header=BB144_6 Depth=1
	ds_store_b32 v35, v13
.LBB144_371:                            ;   in Loop: Header=BB144_6 Depth=1
	s_or_b32 exec_lo, exec_lo, s7
	s_lshl_b32 s7, 1, s22
	v_or_b32_e32 v39, s20, v39
	v_and_or_b32 v40, v40, s21, s7
	s_cmp_eq_u64 s[8:9], 0
	s_waitcnt lgkmcnt(0)
	s_barrier
	buffer_gl0_inv
	s_cbranch_scc1 .LBB144_385
; %bb.372:                              ;   in Loop: Header=BB144_6 Depth=1
	s_add_u32 s26, s76, s8
	s_addc_u32 s15, s77, s9
	s_mov_b32 s14, s55
	s_delay_alu instid0(SALU_CYCLE_1)
	s_cmp_lg_u64 s[14:15], 0
	s_cbranch_scc0 .LBB144_420
; %bb.373:                              ;   in Loop: Header=BB144_6 Depth=1
	v_cvt_f32_u32_e32 v4, s33
	s_sub_u32 s66, 0, s33
	s_subb_u32 s69, 0, 0
	s_delay_alu instid0(VALU_DEP_1) | instskip(NEXT) | instid1(VALU_DEP_1)
	v_fmac_f32_e64 v4, 0, 0x4f800000
	v_rcp_f32_e32 v4, v4
	s_waitcnt_depctr 0xfff
	v_mul_f32_e32 v4, 0x5f7ffffc, v4
	s_delay_alu instid0(VALU_DEP_1) | instskip(NEXT) | instid1(VALU_DEP_1)
	v_mul_f32_e32 v5, 0x2f800000, v4
	v_trunc_f32_e32 v5, v5
	s_delay_alu instid0(VALU_DEP_1) | instskip(SKIP_1) | instid1(VALU_DEP_2)
	v_fmac_f32_e32 v4, 0xcf800000, v5
	v_cvt_u32_f32_e32 v5, v5
	v_cvt_u32_f32_e32 v4, v4
	s_delay_alu instid0(VALU_DEP_2) | instskip(NEXT) | instid1(VALU_DEP_2)
	v_readfirstlane_b32 s7, v5
	v_readfirstlane_b32 s14, v4
	s_delay_alu instid0(VALU_DEP_2) | instskip(NEXT) | instid1(VALU_DEP_1)
	s_mul_i32 s70, s66, s7
	s_mul_hi_u32 s72, s66, s14
	s_mul_i32 s71, s69, s14
	s_add_i32 s70, s72, s70
	s_mul_i32 s73, s66, s14
	s_add_i32 s70, s70, s71
	s_mul_hi_u32 s72, s14, s73
	s_mul_hi_u32 s98, s7, s73
	s_mul_i32 s71, s7, s73
	s_mul_hi_u32 s73, s14, s70
	s_mul_i32 s14, s14, s70
	s_mul_hi_u32 s99, s7, s70
	s_add_u32 s14, s72, s14
	s_addc_u32 s72, 0, s73
	s_add_u32 s14, s14, s71
	s_mul_i32 s70, s7, s70
	s_addc_u32 s14, s72, s98
	s_addc_u32 s71, s99, 0
	s_add_u32 s14, s14, s70
	s_addc_u32 s70, 0, s71
	v_add_co_u32 v4, s14, v4, s14
	s_delay_alu instid0(VALU_DEP_1) | instskip(SKIP_1) | instid1(VALU_DEP_1)
	s_cmp_lg_u32 s14, 0
	s_addc_u32 s7, s7, s70
	v_readfirstlane_b32 s14, v4
	s_mul_i32 s70, s66, s7
	s_delay_alu instid0(VALU_DEP_1)
	s_mul_hi_u32 s71, s66, s14
	s_mul_i32 s69, s69, s14
	s_add_i32 s70, s71, s70
	s_mul_i32 s66, s66, s14
	s_add_i32 s70, s70, s69
	s_mul_hi_u32 s71, s7, s66
	s_mul_i32 s72, s7, s66
	s_mul_hi_u32 s66, s14, s66
	s_mul_hi_u32 s73, s14, s70
	s_mul_i32 s14, s14, s70
	s_mul_hi_u32 s69, s7, s70
	s_add_u32 s14, s66, s14
	s_addc_u32 s66, 0, s73
	s_add_u32 s14, s14, s72
	s_mul_i32 s70, s7, s70
	s_addc_u32 s14, s66, s71
	s_addc_u32 s66, s69, 0
	s_add_u32 s14, s14, s70
	s_addc_u32 s66, 0, s66
	v_add_co_u32 v4, s14, v4, s14
	s_delay_alu instid0(VALU_DEP_1) | instskip(SKIP_1) | instid1(VALU_DEP_1)
	s_cmp_lg_u32 s14, 0
	s_addc_u32 s7, s7, s66
	v_readfirstlane_b32 s14, v4
	s_mul_i32 s69, s26, s7
	s_mul_hi_u32 s66, s26, s7
	s_mul_hi_u32 s70, s15, s7
	s_mul_i32 s7, s15, s7
	s_mul_hi_u32 s71, s26, s14
	s_mul_hi_u32 s72, s15, s14
	s_mul_i32 s14, s15, s14
	s_add_u32 s69, s71, s69
	s_addc_u32 s66, 0, s66
	s_add_u32 s14, s69, s14
	s_addc_u32 s14, s66, s72
	s_addc_u32 s66, s70, 0
	s_add_u32 s7, s14, s7
	s_addc_u32 s14, 0, s66
	s_mul_hi_u32 s66, s33, s7
	s_mul_i32 s7, s33, s7
	s_mul_i32 s14, s33, s14
	v_sub_co_u32 v4, s7, s26, s7
	s_add_i32 s66, s66, s14
	s_cmp_lg_u32 s7, 0
	s_delay_alu instid0(VALU_DEP_1) | instskip(SKIP_2) | instid1(VALU_DEP_1)
	v_sub_co_u32 v5, s7, v4, s33
	s_subb_u32 s14, s15, s66
	s_cmp_lg_u32 s7, 0
	v_cmp_le_u32_e32 vcc_lo, s33, v5
	v_sub_co_u32 v6, s7, v5, s33
	s_subb_u32 s66, s14, 0
	s_cmp_lg_u32 s7, 0
	v_cndmask_b32_e64 v7, 0, -1, vcc_lo
	s_subb_u32 s7, s66, 0
	s_cmp_eq_u32 s66, 0
	v_mov_b32_e32 v9, s7
	s_cselect_b32 vcc_lo, -1, 0
	s_cmp_eq_u32 s14, 0
	v_cndmask_b32_e32 v7, -1, v7, vcc_lo
	v_cmp_le_u32_e32 vcc_lo, s33, v4
	s_cselect_b32 s7, -1, 0
	v_cndmask_b32_e64 v8, 0, -1, vcc_lo
	s_delay_alu instid0(VALU_DEP_3) | instskip(NEXT) | instid1(VALU_DEP_2)
	v_cmp_ne_u32_e32 vcc_lo, 0, v7
	v_cndmask_b32_e64 v7, -1, v8, s7
	v_cndmask_b32_e32 v8, s66, v9, vcc_lo
	v_cndmask_b32_e32 v6, v5, v6, vcc_lo
	s_delay_alu instid0(VALU_DEP_3) | instskip(NEXT) | instid1(VALU_DEP_3)
	v_cmp_ne_u32_e32 vcc_lo, 0, v7
	v_cndmask_b32_e32 v5, s14, v8, vcc_lo
	s_delay_alu instid0(VALU_DEP_3)
	v_cndmask_b32_e32 v4, v4, v6, vcc_lo
	s_cbranch_execnz .LBB144_375
.LBB144_374:                            ;   in Loop: Header=BB144_6 Depth=1
	v_cvt_f32_u32_e32 v4, s33
	s_sub_i32 s7, 0, s33
	s_delay_alu instid0(VALU_DEP_1) | instskip(SKIP_2) | instid1(VALU_DEP_1)
	v_rcp_iflag_f32_e32 v4, v4
	s_waitcnt_depctr 0xfff
	v_mul_f32_e32 v4, 0x4f7ffffe, v4
	v_cvt_u32_f32_e32 v4, v4
	s_delay_alu instid0(VALU_DEP_1) | instskip(NEXT) | instid1(VALU_DEP_1)
	v_mul_lo_u32 v5, s7, v4
	v_mul_hi_u32 v5, v4, v5
	s_delay_alu instid0(VALU_DEP_1) | instskip(NEXT) | instid1(VALU_DEP_1)
	v_add_nc_u32_e32 v4, v4, v5
	v_mul_hi_u32 v4, s26, v4
	s_delay_alu instid0(VALU_DEP_1) | instskip(NEXT) | instid1(VALU_DEP_1)
	v_mul_lo_u32 v4, v4, s33
	v_sub_nc_u32_e32 v4, s26, v4
	s_delay_alu instid0(VALU_DEP_1) | instskip(SKIP_1) | instid1(VALU_DEP_2)
	v_subrev_nc_u32_e32 v5, s33, v4
	v_cmp_le_u32_e32 vcc_lo, s33, v4
	v_cndmask_b32_e32 v4, v4, v5, vcc_lo
	s_delay_alu instid0(VALU_DEP_1) | instskip(SKIP_1) | instid1(VALU_DEP_2)
	v_subrev_nc_u32_e32 v5, s33, v4
	v_cmp_le_u32_e32 vcc_lo, s33, v4
	v_cndmask_b32_e32 v12, v4, v5, vcc_lo
	s_delay_alu instid0(VALU_DEP_1)
	v_dual_mov_b32 v4, v12 :: v_dual_mov_b32 v5, v13
.LBB144_375:                            ;   in Loop: Header=BB144_6 Depth=1
	s_delay_alu instid0(VALU_DEP_1) | instskip(NEXT) | instid1(VALU_DEP_2)
	v_sub_co_u32 v4, vcc_lo, s26, v4
	v_sub_co_ci_u32_e32 v5, vcc_lo, s15, v5, vcc_lo
	s_mov_b32 s26, 0
	s_mov_b32 s7, exec_lo
                                        ; implicit-def: $vgpr25
	s_delay_alu instid0(VALU_DEP_1)
	v_cmpx_gt_u64_e64 v[4:5], v[0:1]
	s_cbranch_execz .LBB144_387
; %bb.376:                              ;   in Loop: Header=BB144_6 Depth=1
	v_dual_mov_b32 v8, v14 :: v_dual_mov_b32 v7, v1
	v_mov_b32_e32 v6, v0
	s_mov_b32 s14, 0
                                        ; implicit-def: $sgpr15
	s_set_inst_prefetch_distance 0x1
	s_branch .LBB144_378
	.p2align	6
.LBB144_377:                            ;   in Loop: Header=BB144_378 Depth=2
	s_or_b32 exec_lo, exec_lo, s26
	s_waitcnt lgkmcnt(0)
	s_barrier
	buffer_gl0_inv
	ds_load_b64 v[24:25], v13 offset:3072
	v_add_co_u32 v6, vcc_lo, v6, s33
	v_add_co_ci_u32_e32 v7, vcc_lo, 0, v7, vcc_lo
	v_add_nc_u32_e32 v8, s84, v8
	s_waitcnt lgkmcnt(0)
	s_barrier
	s_delay_alu instid0(VALU_DEP_2) | instskip(SKIP_2) | instid1(VALU_DEP_1)
	v_cmp_ge_u64_e32 vcc_lo, v[6:7], v[4:5]
	buffer_gl0_inv
	v_readfirstlane_b32 s26, v24
	s_cmp_lg_u32 s26, 0
	s_cselect_b32 s26, -1, 0
	s_delay_alu instid0(SALU_CYCLE_1) | instskip(NEXT) | instid1(SALU_CYCLE_1)
	s_or_b32 s66, vcc_lo, s26
	s_and_b32 s66, exec_lo, s66
	s_delay_alu instid0(SALU_CYCLE_1) | instskip(SKIP_2) | instid1(SALU_CYCLE_1)
	s_or_b32 s14, s66, s14
	s_and_not1_b32 s15, s15, exec_lo
	s_and_b32 s26, s26, exec_lo
	s_or_b32 s15, s15, s26
	s_and_not1_b32 exec_lo, exec_lo, s14
	s_cbranch_execz .LBB144_386
.LBB144_378:                            ;   Parent Loop BB144_6 Depth=1
                                        ; =>  This Inner Loop Header: Depth=2
	s_delay_alu instid0(VALU_DEP_1)
	v_cmp_gt_u64_e32 vcc_lo, s[8:9], v[6:7]
	v_mov_b32_e32 v24, 0
	s_and_saveexec_b32 s26, vcc_lo
	s_cbranch_execz .LBB144_380
; %bb.379:                              ;   in Loop: Header=BB144_378 Depth=2
	ds_load_b32 v24, v8
.LBB144_380:                            ;   in Loop: Header=BB144_378 Depth=2
	s_or_b32 exec_lo, exec_lo, s26
	s_and_saveexec_b32 s26, vcc_lo
	s_cbranch_execz .LBB144_377
; %bb.381:                              ;   in Loop: Header=BB144_378 Depth=2
	s_waitcnt lgkmcnt(0)
	v_xor_b32_e32 v9, 0x80000000, v24
	s_delay_alu instid0(VALU_DEP_1) | instskip(NEXT) | instid1(VALU_DEP_1)
	v_and_b32_e32 v9, v9, v39
	v_cmp_eq_u32_e32 vcc_lo, v9, v40
	s_and_b32 exec_lo, exec_lo, vcc_lo
	s_cbranch_execz .LBB144_377
; %bb.382:                              ;   in Loop: Header=BB144_378 Depth=2
	ds_store_b64 v13, v[23:24] offset:3072
	s_branch .LBB144_377
.LBB144_383:                            ;   in Loop: Header=BB144_6 Depth=1
                                        ; implicit-def: $vgpr2_vgpr3
	s_branch .LBB144_328
.LBB144_384:                            ;   in Loop: Header=BB144_6 Depth=1
                                        ; implicit-def: $vgpr2_vgpr3
	s_branch .LBB144_344
.LBB144_385:                            ;   in Loop: Header=BB144_6 Depth=1
	s_mov_b32 s14, -1
	s_mov_b32 s26, 0
                                        ; implicit-def: $sgpr15
                                        ; implicit-def: $vgpr25
	s_mov_b32 s66, s14
	s_cbranch_execnz .LBB144_388
	s_branch .LBB144_401
.LBB144_386:                            ;   in Loop: Header=BB144_6 Depth=1
	s_set_inst_prefetch_distance 0x2
	s_or_b32 exec_lo, exec_lo, s14
	s_delay_alu instid0(SALU_CYCLE_1)
	s_and_b32 s26, s15, exec_lo
.LBB144_387:                            ;   in Loop: Header=BB144_6 Depth=1
	s_or_b32 exec_lo, exec_lo, s7
	s_mov_b32 s14, 0
	s_mov_b32 s15, -1
	s_mov_b32 s66, s14
	s_branch .LBB144_401
.LBB144_388:                            ;   in Loop: Header=BB144_6 Depth=1
	s_mov_b32 s26, s55
	s_delay_alu instid0(SALU_CYCLE_1)
	s_cmp_lg_u64 s[26:27], 0
	s_cbranch_scc0 .LBB144_421
; %bb.389:                              ;   in Loop: Header=BB144_6 Depth=1
	v_cvt_f32_u32_e32 v4, s33
	s_sub_u32 s9, 0, s33
	s_subb_u32 s14, 0, 0
	s_delay_alu instid0(VALU_DEP_1) | instskip(NEXT) | instid1(VALU_DEP_1)
	v_fmac_f32_e64 v4, 0, 0x4f800000
	v_rcp_f32_e32 v4, v4
	s_waitcnt_depctr 0xfff
	v_mul_f32_e32 v4, 0x5f7ffffc, v4
	s_delay_alu instid0(VALU_DEP_1) | instskip(NEXT) | instid1(VALU_DEP_1)
	v_mul_f32_e32 v5, 0x2f800000, v4
	v_trunc_f32_e32 v5, v5
	s_delay_alu instid0(VALU_DEP_1) | instskip(SKIP_1) | instid1(VALU_DEP_2)
	v_fmac_f32_e32 v4, 0xcf800000, v5
	v_cvt_u32_f32_e32 v5, v5
	v_cvt_u32_f32_e32 v4, v4
	s_delay_alu instid0(VALU_DEP_2) | instskip(NEXT) | instid1(VALU_DEP_2)
	v_readfirstlane_b32 s7, v5
	v_readfirstlane_b32 s8, v4
	s_delay_alu instid0(VALU_DEP_2) | instskip(NEXT) | instid1(VALU_DEP_1)
	s_mul_i32 s15, s9, s7
	s_mul_hi_u32 s66, s9, s8
	s_mul_i32 s26, s14, s8
	s_add_i32 s15, s66, s15
	s_mul_i32 s69, s9, s8
	s_add_i32 s15, s15, s26
	s_mul_hi_u32 s66, s8, s69
	s_mul_hi_u32 s70, s7, s69
	s_mul_i32 s26, s7, s69
	s_mul_hi_u32 s69, s8, s15
	s_mul_i32 s8, s8, s15
	s_mul_hi_u32 s71, s7, s15
	s_add_u32 s8, s66, s8
	s_addc_u32 s66, 0, s69
	s_add_u32 s8, s8, s26
	s_mul_i32 s15, s7, s15
	s_addc_u32 s8, s66, s70
	s_addc_u32 s26, s71, 0
	s_add_u32 s8, s8, s15
	s_addc_u32 s15, 0, s26
	v_add_co_u32 v4, s8, v4, s8
	s_delay_alu instid0(VALU_DEP_1) | instskip(SKIP_1) | instid1(VALU_DEP_1)
	s_cmp_lg_u32 s8, 0
	s_addc_u32 s7, s7, s15
	v_readfirstlane_b32 s8, v4
	s_mul_i32 s15, s9, s7
	s_delay_alu instid0(VALU_DEP_1)
	s_mul_hi_u32 s26, s9, s8
	s_mul_i32 s14, s14, s8
	s_add_i32 s15, s26, s15
	s_mul_i32 s9, s9, s8
	s_add_i32 s15, s15, s14
	s_mul_hi_u32 s26, s7, s9
	s_mul_i32 s66, s7, s9
	s_mul_hi_u32 s9, s8, s9
	s_mul_hi_u32 s69, s8, s15
	s_mul_i32 s8, s8, s15
	s_mul_hi_u32 s14, s7, s15
	s_add_u32 s8, s9, s8
	s_addc_u32 s9, 0, s69
	s_add_u32 s8, s8, s66
	s_mul_i32 s15, s7, s15
	s_addc_u32 s8, s9, s26
	s_addc_u32 s9, s14, 0
	s_add_u32 s8, s8, s15
	s_addc_u32 s9, 0, s9
	v_add_co_u32 v4, s8, v4, s8
	s_delay_alu instid0(VALU_DEP_1) | instskip(SKIP_1) | instid1(VALU_DEP_1)
	s_cmp_lg_u32 s8, 0
	s_addc_u32 s7, s7, s9
	v_readfirstlane_b32 s8, v4
	s_mul_i32 s14, s78, s7
	s_mul_hi_u32 s9, s78, s7
	s_mul_hi_u32 s15, s27, s7
	s_mul_i32 s7, s27, s7
	s_mul_hi_u32 s26, s78, s8
	s_mul_hi_u32 s66, s27, s8
	s_mul_i32 s8, s27, s8
	s_add_u32 s14, s26, s14
	s_addc_u32 s9, 0, s9
	s_add_u32 s8, s14, s8
	s_addc_u32 s8, s9, s66
	s_addc_u32 s9, s15, 0
	s_add_u32 s7, s8, s7
	s_addc_u32 s8, 0, s9
	s_mul_hi_u32 s9, s33, s7
	s_mul_i32 s7, s33, s7
	s_mul_i32 s8, s33, s8
	v_sub_co_u32 v4, s7, s78, s7
	s_add_i32 s9, s9, s8
	s_cmp_lg_u32 s7, 0
	s_delay_alu instid0(VALU_DEP_1) | instskip(SKIP_2) | instid1(VALU_DEP_1)
	v_sub_co_u32 v5, s7, v4, s33
	s_subb_u32 s8, s27, s9
	s_cmp_lg_u32 s7, 0
	v_cmp_le_u32_e32 vcc_lo, s33, v5
	v_sub_co_u32 v6, s7, v5, s33
	s_subb_u32 s9, s8, 0
	s_cmp_lg_u32 s7, 0
	v_cndmask_b32_e64 v7, 0, -1, vcc_lo
	s_subb_u32 s7, s9, 0
	s_cmp_eq_u32 s9, 0
	v_mov_b32_e32 v9, s7
	s_cselect_b32 vcc_lo, -1, 0
	s_cmp_eq_u32 s8, 0
	v_cndmask_b32_e32 v7, -1, v7, vcc_lo
	v_cmp_le_u32_e32 vcc_lo, s33, v4
	s_cselect_b32 s7, -1, 0
	v_cndmask_b32_e64 v8, 0, -1, vcc_lo
	s_delay_alu instid0(VALU_DEP_3) | instskip(NEXT) | instid1(VALU_DEP_2)
	v_cmp_ne_u32_e32 vcc_lo, 0, v7
	v_cndmask_b32_e64 v7, -1, v8, s7
	v_cndmask_b32_e32 v8, s9, v9, vcc_lo
	v_cndmask_b32_e32 v6, v5, v6, vcc_lo
	s_delay_alu instid0(VALU_DEP_3) | instskip(NEXT) | instid1(VALU_DEP_3)
	v_cmp_ne_u32_e32 vcc_lo, 0, v7
	v_cndmask_b32_e32 v5, s8, v8, vcc_lo
	s_delay_alu instid0(VALU_DEP_3)
	v_cndmask_b32_e32 v4, v4, v6, vcc_lo
	s_cbranch_execnz .LBB144_391
.LBB144_390:                            ;   in Loop: Header=BB144_6 Depth=1
	v_cvt_f32_u32_e32 v4, s33
	s_sub_i32 s7, 0, s33
	s_delay_alu instid0(VALU_DEP_1) | instskip(SKIP_2) | instid1(VALU_DEP_1)
	v_rcp_iflag_f32_e32 v4, v4
	s_waitcnt_depctr 0xfff
	v_mul_f32_e32 v4, 0x4f7ffffe, v4
	v_cvt_u32_f32_e32 v4, v4
	s_delay_alu instid0(VALU_DEP_1) | instskip(NEXT) | instid1(VALU_DEP_1)
	v_mul_lo_u32 v5, s7, v4
	v_mul_hi_u32 v5, v4, v5
	s_delay_alu instid0(VALU_DEP_1) | instskip(NEXT) | instid1(VALU_DEP_1)
	v_add_nc_u32_e32 v4, v4, v5
	v_mul_hi_u32 v4, s78, v4
	s_delay_alu instid0(VALU_DEP_1) | instskip(NEXT) | instid1(VALU_DEP_1)
	v_mul_lo_u32 v4, v4, s33
	v_sub_nc_u32_e32 v4, s78, v4
	s_delay_alu instid0(VALU_DEP_1) | instskip(SKIP_1) | instid1(VALU_DEP_2)
	v_subrev_nc_u32_e32 v5, s33, v4
	v_cmp_le_u32_e32 vcc_lo, s33, v4
	v_cndmask_b32_e32 v4, v4, v5, vcc_lo
	s_delay_alu instid0(VALU_DEP_1) | instskip(SKIP_1) | instid1(VALU_DEP_2)
	v_subrev_nc_u32_e32 v5, s33, v4
	v_cmp_le_u32_e32 vcc_lo, s33, v4
	v_cndmask_b32_e32 v12, v4, v5, vcc_lo
	s_delay_alu instid0(VALU_DEP_1)
	v_dual_mov_b32 v4, v12 :: v_dual_mov_b32 v5, v13
.LBB144_391:                            ;   in Loop: Header=BB144_6 Depth=1
	s_delay_alu instid0(VALU_DEP_1) | instskip(NEXT) | instid1(VALU_DEP_2)
	v_sub_co_u32 v4, vcc_lo, s78, v4
	v_sub_co_ci_u32_e32 v5, vcc_lo, s27, v5, vcc_lo
	s_mov_b32 s26, 0
	s_mov_b32 s7, exec_lo
                                        ; implicit-def: $vgpr25
	s_delay_alu instid0(VALU_DEP_1)
	v_cmpx_gt_u64_e64 v[4:5], v[0:1]
	s_cbranch_execz .LBB144_400
; %bb.392:                              ;   in Loop: Header=BB144_6 Depth=1
	v_dual_mov_b32 v6, v10 :: v_dual_mov_b32 v7, v11
	v_dual_mov_b32 v9, v1 :: v_dual_mov_b32 v8, v0
	s_mov_b32 s8, 0
                                        ; implicit-def: $sgpr9
	s_set_inst_prefetch_distance 0x1
	s_branch .LBB144_394
	.p2align	6
.LBB144_393:                            ;   in Loop: Header=BB144_394 Depth=2
	s_or_b32 exec_lo, exec_lo, s14
	s_waitcnt vmcnt(0) lgkmcnt(0)
	s_barrier
	buffer_gl0_inv
	ds_load_b64 v[24:25], v13 offset:3072
	v_add_co_u32 v8, vcc_lo, v8, s33
	v_add_co_ci_u32_e32 v9, vcc_lo, 0, v9, vcc_lo
	s_waitcnt lgkmcnt(0)
	s_barrier
	buffer_gl0_inv
	v_cmp_ge_u64_e32 vcc_lo, v[8:9], v[4:5]
	v_readfirstlane_b32 s14, v24
	s_delay_alu instid0(VALU_DEP_1) | instskip(SKIP_1) | instid1(SALU_CYCLE_1)
	s_cmp_lg_u32 s14, 0
	s_cselect_b32 s14, -1, 0
	s_or_b32 s15, vcc_lo, s14
	v_add_co_u32 v6, vcc_lo, v6, s34
	s_and_b32 s15, exec_lo, s15
	v_add_co_ci_u32_e32 v7, vcc_lo, s35, v7, vcc_lo
	s_or_b32 s8, s15, s8
	s_and_not1_b32 s9, s9, exec_lo
	s_and_b32 s14, s14, exec_lo
	s_delay_alu instid0(SALU_CYCLE_1)
	s_or_b32 s9, s9, s14
	s_and_not1_b32 exec_lo, exec_lo, s8
	s_cbranch_execz .LBB144_399
.LBB144_394:                            ;   Parent Loop BB144_6 Depth=1
                                        ; =>  This Inner Loop Header: Depth=2
	s_delay_alu instid0(VALU_DEP_1)
	v_cmp_gt_u64_e32 vcc_lo, s[28:29], v[8:9]
	v_mov_b32_e32 v24, 0
	s_and_saveexec_b32 s14, vcc_lo
	s_cbranch_execz .LBB144_396
; %bb.395:                              ;   in Loop: Header=BB144_394 Depth=2
	global_load_b32 v24, v[6:7], off
.LBB144_396:                            ;   in Loop: Header=BB144_394 Depth=2
	s_or_b32 exec_lo, exec_lo, s14
	s_and_saveexec_b32 s14, vcc_lo
	s_cbranch_execz .LBB144_393
; %bb.397:                              ;   in Loop: Header=BB144_394 Depth=2
	s_waitcnt vmcnt(0)
	v_xor_b32_e32 v12, 0x80000000, v24
	s_delay_alu instid0(VALU_DEP_1) | instskip(NEXT) | instid1(VALU_DEP_1)
	v_and_b32_e32 v12, v12, v39
	v_cmp_eq_u32_e32 vcc_lo, v12, v40
	s_and_b32 exec_lo, exec_lo, vcc_lo
	s_cbranch_execz .LBB144_393
; %bb.398:                              ;   in Loop: Header=BB144_394 Depth=2
	ds_store_b64 v13, v[23:24] offset:3072
	s_branch .LBB144_393
.LBB144_399:                            ;   in Loop: Header=BB144_6 Depth=1
	s_set_inst_prefetch_distance 0x2
	s_or_b32 exec_lo, exec_lo, s8
	s_delay_alu instid0(SALU_CYCLE_1)
	s_and_b32 s26, s9, exec_lo
.LBB144_400:                            ;   in Loop: Header=BB144_6 Depth=1
	s_or_b32 exec_lo, exec_lo, s7
	s_mov_b32 s15, 0
	s_mov_b32 s14, -1
	s_mov_b32 s66, 0
.LBB144_401:                            ;   in Loop: Header=BB144_6 Depth=1
	s_or_not1_b32 s7, s26, exec_lo
.LBB144_402:                            ;   in Loop: Header=BB144_6 Depth=1
	s_or_b32 exec_lo, exec_lo, s67
	s_mov_b32 s26, 0
                                        ; implicit-def: $vgpr8
	s_and_saveexec_b32 s67, s7
	s_cbranch_execz .LBB144_467
; %bb.403:                              ;   in Loop: Header=BB144_6 Depth=1
	v_mov_b32_e32 v4, 1
	v_dual_mov_b32 v5, 0 :: v_dual_mov_b32 v8, 1
	s_xor_b32 s8, s68, -1
	s_delay_alu instid0(SALU_CYCLE_1)
	s_and_saveexec_b32 s7, s8
	s_cbranch_execz .LBB144_413
; %bb.404:                              ;   in Loop: Header=BB144_6 Depth=1
	s_mov_b32 s9, exec_lo
                                        ; implicit-def: $sgpr26
                                        ; implicit-def: $sgpr8
	v_cmpx_ge_u64_e64 s[12:13], v[2:3]
	s_xor_b32 s9, exec_lo, s9
	s_cbranch_execz .LBB144_410
; %bb.405:                              ;   in Loop: Header=BB144_6 Depth=1
	ds_load_b64 v[4:5], v13 offset:5120
	s_waitcnt lgkmcnt(0)
	v_cmp_ne_u64_e32 vcc_lo, 0, v[4:5]
	s_cbranch_vccnz .LBB144_409
; %bb.406:                              ;   in Loop: Header=BB144_6 Depth=1
	s_and_saveexec_b32 s8, s5
	s_cbranch_execz .LBB144_408
; %bb.407:                              ;   in Loop: Header=BB144_6 Depth=1
	v_dual_mov_b32 v4, s12 :: v_dual_mov_b32 v5, s13
	ds_store_b64 v13, v[4:5] offset:5128
.LBB144_408:                            ;   in Loop: Header=BB144_6 Depth=1
	s_or_b32 exec_lo, exec_lo, s8
	s_waitcnt lgkmcnt(0)
	s_barrier
	buffer_gl0_inv
.LBB144_409:                            ;   in Loop: Header=BB144_6 Depth=1
	s_lshl_b32 s8, 1, s22
	v_or_b32_e32 v39, s20, v39
	v_and_or_b32 v40, v40, s21, s8
	s_mov_b32 s8, 0
	s_mov_b32 s26, 5
.LBB144_410:                            ;   in Loop: Header=BB144_6 Depth=1
	s_or_saveexec_b32 s9, s9
	v_mov_b32_e32 v8, s26
	s_xor_b32 exec_lo, exec_lo, s9
; %bb.411:                              ;   in Loop: Header=BB144_6 Depth=1
	v_sub_co_u32 v2, vcc_lo, v2, s12
	v_subrev_co_ci_u32_e32 v3, vcc_lo, s13, v3, vcc_lo
	v_mov_b32_e32 v8, 0
	s_or_b32 s8, s8, exec_lo
; %bb.412:                              ;   in Loop: Header=BB144_6 Depth=1
	s_or_b32 exec_lo, exec_lo, s9
	s_delay_alu instid0(VALU_DEP_2)
	v_dual_mov_b32 v5, v3 :: v_dual_mov_b32 v4, v2
	s_and_b32 s26, s8, exec_lo
.LBB144_413:                            ;   in Loop: Header=BB144_6 Depth=1
	s_or_b32 exec_lo, exec_lo, s7
	s_mov_b32 s12, -1
                                        ; implicit-def: $sgpr7
                                        ; implicit-def: $sgpr8
                                        ; implicit-def: $sgpr9
	s_and_saveexec_b32 s22, s26
	s_cbranch_execz .LBB144_466
; %bb.414:                              ;   in Loop: Header=BB144_6 Depth=1
	v_cmp_eq_u64_e32 vcc_lo, 1, v[4:5]
	s_cmp_eq_u64 s[10:11], 1
	s_mov_b32 s13, -1
	s_cselect_b32 s7, -1, 0
                                        ; implicit-def: $sgpr8
                                        ; implicit-def: $sgpr9
	s_delay_alu instid0(SALU_CYCLE_1) | instskip(NEXT) | instid1(SALU_CYCLE_1)
	s_and_b32 s68, s7, vcc_lo
                                        ; implicit-def: $sgpr7
	s_and_saveexec_b32 s69, s68
	s_cbranch_execz .LBB144_453
; %bb.415:                              ;   in Loop: Header=BB144_6 Depth=1
	ds_load_b64 v[2:3], v13 offset:5120
	s_waitcnt lgkmcnt(0)
	s_barrier
	buffer_gl0_inv
	v_readfirstlane_b32 s8, v2
	v_readfirstlane_b32 s9, v3
	s_and_saveexec_b32 s7, s6
	s_cbranch_execz .LBB144_417
; %bb.416:                              ;   in Loop: Header=BB144_6 Depth=1
	ds_store_b32 v35, v13
.LBB144_417:                            ;   in Loop: Header=BB144_6 Depth=1
	s_or_b32 exec_lo, exec_lo, s7
	v_and_b32_e32 v40, s21, v40
	v_or_b32_e32 v39, s20, v39
	s_cmp_eq_u64 s[8:9], 0
	s_waitcnt lgkmcnt(0)
	s_barrier
	buffer_gl0_inv
	s_cbranch_scc1 .LBB144_422
; %bb.418:                              ;   in Loop: Header=BB144_6 Depth=1
	s_add_u32 s26, s76, s8
	s_addc_u32 s13, s77, s9
	s_mov_b32 s12, s55
	s_delay_alu instid0(SALU_CYCLE_1)
	s_cmp_lg_u64 s[12:13], 0
	s_cbranch_scc0 .LBB144_423
; %bb.419:                              ;   in Loop: Header=BB144_6 Depth=1
	v_cvt_f32_u32_e32 v2, s33
	s_sub_u32 s70, 0, s33
	s_subb_u32 s71, 0, 0
	s_delay_alu instid0(VALU_DEP_1) | instskip(NEXT) | instid1(VALU_DEP_1)
	v_fmac_f32_e64 v2, 0, 0x4f800000
	v_rcp_f32_e32 v2, v2
	s_waitcnt_depctr 0xfff
	v_mul_f32_e32 v2, 0x5f7ffffc, v2
	s_delay_alu instid0(VALU_DEP_1) | instskip(NEXT) | instid1(VALU_DEP_1)
	v_mul_f32_e32 v3, 0x2f800000, v2
	v_trunc_f32_e32 v3, v3
	s_delay_alu instid0(VALU_DEP_1) | instskip(SKIP_1) | instid1(VALU_DEP_2)
	v_fmac_f32_e32 v2, 0xcf800000, v3
	v_cvt_u32_f32_e32 v3, v3
	v_cvt_u32_f32_e32 v2, v2
	s_delay_alu instid0(VALU_DEP_2) | instskip(NEXT) | instid1(VALU_DEP_2)
	v_readfirstlane_b32 s7, v3
	v_readfirstlane_b32 s12, v2
	s_delay_alu instid0(VALU_DEP_2) | instskip(NEXT) | instid1(VALU_DEP_1)
	s_mul_i32 s72, s70, s7
	s_mul_hi_u32 s98, s70, s12
	s_mul_i32 s73, s71, s12
	s_add_i32 s72, s98, s72
	s_mul_i32 s99, s70, s12
	s_add_i32 s72, s72, s73
	s_mul_hi_u32 s98, s12, s99
	s_mul_hi_u32 s100, s7, s99
	s_mul_i32 s73, s7, s99
	s_mul_hi_u32 s99, s12, s72
	s_mul_i32 s12, s12, s72
	s_mul_hi_u32 s101, s7, s72
	s_add_u32 s12, s98, s12
	s_addc_u32 s98, 0, s99
	s_add_u32 s12, s12, s73
	s_mul_i32 s72, s7, s72
	s_addc_u32 s12, s98, s100
	s_addc_u32 s73, s101, 0
	s_add_u32 s12, s12, s72
	s_addc_u32 s72, 0, s73
	v_add_co_u32 v2, s12, v2, s12
	s_delay_alu instid0(VALU_DEP_1) | instskip(SKIP_1) | instid1(VALU_DEP_1)
	s_cmp_lg_u32 s12, 0
	s_addc_u32 s7, s7, s72
	v_readfirstlane_b32 s12, v2
	s_mul_i32 s72, s70, s7
	s_delay_alu instid0(VALU_DEP_1)
	s_mul_hi_u32 s73, s70, s12
	s_mul_i32 s71, s71, s12
	s_add_i32 s72, s73, s72
	s_mul_i32 s70, s70, s12
	s_add_i32 s72, s72, s71
	s_mul_hi_u32 s73, s7, s70
	s_mul_i32 s98, s7, s70
	s_mul_hi_u32 s70, s12, s70
	s_mul_hi_u32 s99, s12, s72
	s_mul_i32 s12, s12, s72
	s_mul_hi_u32 s71, s7, s72
	s_add_u32 s12, s70, s12
	s_addc_u32 s70, 0, s99
	s_add_u32 s12, s12, s98
	s_mul_i32 s72, s7, s72
	s_addc_u32 s12, s70, s73
	s_addc_u32 s70, s71, 0
	s_add_u32 s12, s12, s72
	s_addc_u32 s70, 0, s70
	v_add_co_u32 v2, s12, v2, s12
	s_delay_alu instid0(VALU_DEP_1) | instskip(SKIP_1) | instid1(VALU_DEP_1)
	s_cmp_lg_u32 s12, 0
	s_addc_u32 s7, s7, s70
	v_readfirstlane_b32 s12, v2
	s_mul_i32 s71, s26, s7
	s_mul_hi_u32 s70, s26, s7
	s_mul_hi_u32 s72, s13, s7
	s_mul_i32 s7, s13, s7
	s_mul_hi_u32 s73, s26, s12
	s_mul_hi_u32 s98, s13, s12
	s_mul_i32 s12, s13, s12
	s_add_u32 s71, s73, s71
	s_addc_u32 s70, 0, s70
	s_add_u32 s12, s71, s12
	s_addc_u32 s12, s70, s98
	s_addc_u32 s70, s72, 0
	s_add_u32 s7, s12, s7
	s_addc_u32 s12, 0, s70
	s_mul_hi_u32 s70, s33, s7
	s_mul_i32 s7, s33, s7
	s_mul_i32 s12, s33, s12
	v_sub_co_u32 v2, s7, s26, s7
	s_add_i32 s70, s70, s12
	s_cmp_lg_u32 s7, 0
	s_delay_alu instid0(VALU_DEP_1) | instskip(SKIP_2) | instid1(VALU_DEP_1)
	v_sub_co_u32 v3, s7, v2, s33
	s_subb_u32 s12, s13, s70
	s_cmp_lg_u32 s7, 0
	v_cmp_le_u32_e32 vcc_lo, s33, v3
	v_sub_co_u32 v6, s7, v3, s33
	s_subb_u32 s70, s12, 0
	s_cmp_lg_u32 s7, 0
	v_cndmask_b32_e64 v7, 0, -1, vcc_lo
	s_subb_u32 s7, s70, 0
	s_cmp_eq_u32 s70, 0
	v_mov_b32_e32 v9, s7
	s_cselect_b32 vcc_lo, -1, 0
	s_cmp_eq_u32 s12, 0
	v_cndmask_b32_e32 v7, -1, v7, vcc_lo
	v_cmp_le_u32_e32 vcc_lo, s33, v2
	s_cselect_b32 s7, -1, 0
	v_cndmask_b32_e64 v8, 0, -1, vcc_lo
	s_delay_alu instid0(VALU_DEP_3) | instskip(NEXT) | instid1(VALU_DEP_2)
	v_cmp_ne_u32_e32 vcc_lo, 0, v7
	v_cndmask_b32_e64 v7, -1, v8, s7
	v_cndmask_b32_e32 v8, s70, v9, vcc_lo
	v_cndmask_b32_e32 v6, v3, v6, vcc_lo
	s_mov_b32 s7, 0
	s_delay_alu instid0(VALU_DEP_3) | instskip(NEXT) | instid1(VALU_DEP_3)
	v_cmp_ne_u32_e32 vcc_lo, 0, v7
	v_cndmask_b32_e32 v3, s12, v8, vcc_lo
	s_delay_alu instid0(VALU_DEP_3)
	v_cndmask_b32_e32 v2, v2, v6, vcc_lo
	s_branch .LBB144_424
.LBB144_420:                            ;   in Loop: Header=BB144_6 Depth=1
                                        ; implicit-def: $vgpr4_vgpr5
	s_branch .LBB144_374
.LBB144_421:                            ;   in Loop: Header=BB144_6 Depth=1
                                        ; implicit-def: $vgpr4_vgpr5
	s_branch .LBB144_390
.LBB144_422:                            ;   in Loop: Header=BB144_6 Depth=1
	s_mov_b32 s7, -1
	s_mov_b32 s12, 0
                                        ; implicit-def: $sgpr8
                                        ; implicit-def: $vgpr25
	s_branch .LBB144_436
.LBB144_423:                            ;   in Loop: Header=BB144_6 Depth=1
	s_mov_b32 s7, -1
                                        ; implicit-def: $vgpr2_vgpr3
.LBB144_424:                            ;   in Loop: Header=BB144_6 Depth=1
	s_delay_alu instid0(SALU_CYCLE_1)
	s_and_not1_b32 vcc_lo, exec_lo, s7
	s_cbranch_vccnz .LBB144_426
; %bb.425:                              ;   in Loop: Header=BB144_6 Depth=1
	v_cvt_f32_u32_e32 v2, s33
	s_sub_i32 s7, 0, s33
	s_delay_alu instid0(VALU_DEP_1) | instskip(SKIP_2) | instid1(VALU_DEP_1)
	v_rcp_iflag_f32_e32 v2, v2
	s_waitcnt_depctr 0xfff
	v_mul_f32_e32 v2, 0x4f7ffffe, v2
	v_cvt_u32_f32_e32 v2, v2
	s_delay_alu instid0(VALU_DEP_1) | instskip(NEXT) | instid1(VALU_DEP_1)
	v_mul_lo_u32 v3, s7, v2
	v_mul_hi_u32 v3, v2, v3
	s_delay_alu instid0(VALU_DEP_1) | instskip(NEXT) | instid1(VALU_DEP_1)
	v_add_nc_u32_e32 v2, v2, v3
	v_mul_hi_u32 v2, s26, v2
	s_delay_alu instid0(VALU_DEP_1) | instskip(NEXT) | instid1(VALU_DEP_1)
	v_mul_lo_u32 v2, v2, s33
	v_sub_nc_u32_e32 v2, s26, v2
	s_delay_alu instid0(VALU_DEP_1) | instskip(SKIP_1) | instid1(VALU_DEP_2)
	v_subrev_nc_u32_e32 v3, s33, v2
	v_cmp_le_u32_e32 vcc_lo, s33, v2
	v_cndmask_b32_e32 v2, v2, v3, vcc_lo
	s_delay_alu instid0(VALU_DEP_1) | instskip(SKIP_1) | instid1(VALU_DEP_2)
	v_subrev_nc_u32_e32 v3, s33, v2
	v_cmp_le_u32_e32 vcc_lo, s33, v2
	v_cndmask_b32_e32 v12, v2, v3, vcc_lo
	s_delay_alu instid0(VALU_DEP_1)
	v_dual_mov_b32 v2, v12 :: v_dual_mov_b32 v3, v13
.LBB144_426:                            ;   in Loop: Header=BB144_6 Depth=1
	s_delay_alu instid0(VALU_DEP_1) | instskip(NEXT) | instid1(VALU_DEP_2)
	v_sub_co_u32 v2, vcc_lo, s26, v2
	v_sub_co_ci_u32_e32 v3, vcc_lo, s13, v3, vcc_lo
	s_mov_b32 s12, 0
	s_mov_b32 s7, exec_lo
                                        ; implicit-def: $vgpr25
	s_delay_alu instid0(VALU_DEP_1)
	v_cmpx_gt_u64_e64 v[2:3], v[0:1]
	s_cbranch_execz .LBB144_435
; %bb.427:                              ;   in Loop: Header=BB144_6 Depth=1
	v_dual_mov_b32 v8, v14 :: v_dual_mov_b32 v7, v1
	v_mov_b32_e32 v6, v0
                                        ; implicit-def: $sgpr13
	s_set_inst_prefetch_distance 0x1
	s_branch .LBB144_429
	.p2align	6
.LBB144_428:                            ;   in Loop: Header=BB144_429 Depth=2
	s_or_b32 exec_lo, exec_lo, s26
	s_waitcnt lgkmcnt(0)
	s_barrier
	buffer_gl0_inv
	ds_load_b64 v[24:25], v13 offset:3072
	v_add_co_u32 v6, vcc_lo, v6, s33
	v_add_co_ci_u32_e32 v7, vcc_lo, 0, v7, vcc_lo
	v_add_nc_u32_e32 v8, s84, v8
	s_waitcnt lgkmcnt(0)
	s_barrier
	s_delay_alu instid0(VALU_DEP_2) | instskip(SKIP_2) | instid1(VALU_DEP_1)
	v_cmp_ge_u64_e32 vcc_lo, v[6:7], v[2:3]
	buffer_gl0_inv
	v_readfirstlane_b32 s26, v24
	s_cmp_lg_u32 s26, 0
	s_cselect_b32 s26, -1, 0
	s_delay_alu instid0(SALU_CYCLE_1) | instskip(NEXT) | instid1(SALU_CYCLE_1)
	s_or_b32 s70, vcc_lo, s26
	s_and_b32 s70, exec_lo, s70
	s_delay_alu instid0(SALU_CYCLE_1) | instskip(SKIP_2) | instid1(SALU_CYCLE_1)
	s_or_b32 s12, s70, s12
	s_and_not1_b32 s13, s13, exec_lo
	s_and_b32 s26, s26, exec_lo
	s_or_b32 s13, s13, s26
	s_and_not1_b32 exec_lo, exec_lo, s12
	s_cbranch_execz .LBB144_434
.LBB144_429:                            ;   Parent Loop BB144_6 Depth=1
                                        ; =>  This Inner Loop Header: Depth=2
	s_delay_alu instid0(VALU_DEP_1)
	v_cmp_gt_u64_e32 vcc_lo, s[8:9], v[6:7]
	v_mov_b32_e32 v24, 0
	s_and_saveexec_b32 s26, vcc_lo
	s_cbranch_execz .LBB144_431
; %bb.430:                              ;   in Loop: Header=BB144_429 Depth=2
	ds_load_b32 v24, v8
.LBB144_431:                            ;   in Loop: Header=BB144_429 Depth=2
	s_or_b32 exec_lo, exec_lo, s26
	s_and_saveexec_b32 s26, vcc_lo
	s_cbranch_execz .LBB144_428
; %bb.432:                              ;   in Loop: Header=BB144_429 Depth=2
	s_waitcnt lgkmcnt(0)
	v_xor_b32_e32 v9, 0x80000000, v24
	s_delay_alu instid0(VALU_DEP_1) | instskip(NEXT) | instid1(VALU_DEP_1)
	v_and_b32_e32 v9, v9, v39
	v_cmp_eq_u32_e32 vcc_lo, v9, v40
	s_and_b32 exec_lo, exec_lo, vcc_lo
	s_cbranch_execz .LBB144_428
; %bb.433:                              ;   in Loop: Header=BB144_429 Depth=2
	ds_store_b64 v13, v[23:24] offset:3072
	s_branch .LBB144_428
.LBB144_434:                            ;   in Loop: Header=BB144_6 Depth=1
	s_set_inst_prefetch_distance 0x2
	s_or_b32 exec_lo, exec_lo, s12
	s_delay_alu instid0(SALU_CYCLE_1)
	s_and_b32 s12, s13, exec_lo
.LBB144_435:                            ;   in Loop: Header=BB144_6 Depth=1
	s_or_b32 exec_lo, exec_lo, s7
	s_mov_b32 s7, 0
	s_mov_b32 s8, -1
.LBB144_436:                            ;   in Loop: Header=BB144_6 Depth=1
	s_and_b32 vcc_lo, exec_lo, s7
	s_mov_b32 s9, s7
	s_cbranch_vccz .LBB144_452
; %bb.437:                              ;   in Loop: Header=BB144_6 Depth=1
	s_mov_b32 s26, s55
	s_delay_alu instid0(SALU_CYCLE_1)
	s_cmp_lg_u64 s[26:27], 0
	s_cbranch_scc0 .LBB144_439
; %bb.438:                              ;   in Loop: Header=BB144_6 Depth=1
	v_cvt_f32_u32_e32 v2, s33
	s_sub_u32 s9, 0, s33
	s_subb_u32 s12, 0, 0
	s_delay_alu instid0(VALU_DEP_1) | instskip(NEXT) | instid1(VALU_DEP_1)
	v_fmac_f32_e64 v2, 0, 0x4f800000
	v_rcp_f32_e32 v2, v2
	s_waitcnt_depctr 0xfff
	v_mul_f32_e32 v2, 0x5f7ffffc, v2
	s_delay_alu instid0(VALU_DEP_1) | instskip(NEXT) | instid1(VALU_DEP_1)
	v_mul_f32_e32 v3, 0x2f800000, v2
	v_trunc_f32_e32 v3, v3
	s_delay_alu instid0(VALU_DEP_1) | instskip(SKIP_1) | instid1(VALU_DEP_2)
	v_fmac_f32_e32 v2, 0xcf800000, v3
	v_cvt_u32_f32_e32 v3, v3
	v_cvt_u32_f32_e32 v2, v2
	s_delay_alu instid0(VALU_DEP_2) | instskip(NEXT) | instid1(VALU_DEP_2)
	v_readfirstlane_b32 s7, v3
	v_readfirstlane_b32 s8, v2
	s_delay_alu instid0(VALU_DEP_2) | instskip(NEXT) | instid1(VALU_DEP_1)
	s_mul_i32 s13, s9, s7
	s_mul_hi_u32 s70, s9, s8
	s_mul_i32 s26, s12, s8
	s_add_i32 s13, s70, s13
	s_mul_i32 s71, s9, s8
	s_add_i32 s13, s13, s26
	s_mul_hi_u32 s70, s8, s71
	s_mul_hi_u32 s72, s7, s71
	s_mul_i32 s26, s7, s71
	s_mul_hi_u32 s71, s8, s13
	s_mul_i32 s8, s8, s13
	s_mul_hi_u32 s73, s7, s13
	s_add_u32 s8, s70, s8
	s_addc_u32 s70, 0, s71
	s_add_u32 s8, s8, s26
	s_mul_i32 s13, s7, s13
	s_addc_u32 s8, s70, s72
	s_addc_u32 s26, s73, 0
	s_add_u32 s8, s8, s13
	s_addc_u32 s13, 0, s26
	v_add_co_u32 v2, s8, v2, s8
	s_delay_alu instid0(VALU_DEP_1) | instskip(SKIP_1) | instid1(VALU_DEP_1)
	s_cmp_lg_u32 s8, 0
	s_addc_u32 s7, s7, s13
	v_readfirstlane_b32 s8, v2
	s_mul_i32 s13, s9, s7
	s_delay_alu instid0(VALU_DEP_1)
	s_mul_hi_u32 s26, s9, s8
	s_mul_i32 s12, s12, s8
	s_add_i32 s13, s26, s13
	s_mul_i32 s9, s9, s8
	s_add_i32 s13, s13, s12
	s_mul_hi_u32 s26, s7, s9
	s_mul_i32 s70, s7, s9
	s_mul_hi_u32 s9, s8, s9
	s_mul_hi_u32 s71, s8, s13
	s_mul_i32 s8, s8, s13
	s_mul_hi_u32 s12, s7, s13
	s_add_u32 s8, s9, s8
	s_addc_u32 s9, 0, s71
	s_add_u32 s8, s8, s70
	s_mul_i32 s13, s7, s13
	s_addc_u32 s8, s9, s26
	s_addc_u32 s9, s12, 0
	s_add_u32 s8, s8, s13
	s_addc_u32 s9, 0, s9
	v_add_co_u32 v2, s8, v2, s8
	s_delay_alu instid0(VALU_DEP_1) | instskip(SKIP_1) | instid1(VALU_DEP_1)
	s_cmp_lg_u32 s8, 0
	s_addc_u32 s7, s7, s9
	v_readfirstlane_b32 s8, v2
	s_mul_i32 s12, s78, s7
	s_mul_hi_u32 s9, s78, s7
	s_mul_hi_u32 s13, s27, s7
	s_mul_i32 s7, s27, s7
	s_mul_hi_u32 s26, s78, s8
	s_mul_hi_u32 s70, s27, s8
	s_mul_i32 s8, s27, s8
	s_add_u32 s12, s26, s12
	s_addc_u32 s9, 0, s9
	s_add_u32 s8, s12, s8
	s_addc_u32 s8, s9, s70
	s_addc_u32 s9, s13, 0
	s_add_u32 s7, s8, s7
	s_addc_u32 s8, 0, s9
	s_mul_hi_u32 s9, s33, s7
	s_mul_i32 s7, s33, s7
	s_mul_i32 s8, s33, s8
	v_sub_co_u32 v2, s7, s78, s7
	s_add_i32 s9, s9, s8
	s_cmp_lg_u32 s7, 0
	s_delay_alu instid0(VALU_DEP_1) | instskip(SKIP_2) | instid1(VALU_DEP_1)
	v_sub_co_u32 v3, s7, v2, s33
	s_subb_u32 s8, s27, s9
	s_cmp_lg_u32 s7, 0
	v_cmp_le_u32_e32 vcc_lo, s33, v3
	v_sub_co_u32 v6, s7, v3, s33
	s_subb_u32 s9, s8, 0
	s_cmp_lg_u32 s7, 0
	v_cndmask_b32_e64 v7, 0, -1, vcc_lo
	s_subb_u32 s7, s9, 0
	s_cmp_eq_u32 s9, 0
	v_mov_b32_e32 v9, s7
	s_cselect_b32 vcc_lo, -1, 0
	s_cmp_eq_u32 s8, 0
	v_cndmask_b32_e32 v7, -1, v7, vcc_lo
	v_cmp_le_u32_e32 vcc_lo, s33, v2
	s_cselect_b32 s7, -1, 0
	v_cndmask_b32_e64 v8, 0, -1, vcc_lo
	s_delay_alu instid0(VALU_DEP_3) | instskip(NEXT) | instid1(VALU_DEP_2)
	v_cmp_ne_u32_e32 vcc_lo, 0, v7
	v_cndmask_b32_e64 v7, -1, v8, s7
	v_cndmask_b32_e32 v8, s9, v9, vcc_lo
	v_cndmask_b32_e32 v6, v3, v6, vcc_lo
	s_mov_b32 s7, 0
	s_delay_alu instid0(VALU_DEP_3) | instskip(NEXT) | instid1(VALU_DEP_3)
	v_cmp_ne_u32_e32 vcc_lo, 0, v7
	v_cndmask_b32_e32 v3, s8, v8, vcc_lo
	s_delay_alu instid0(VALU_DEP_3)
	v_cndmask_b32_e32 v2, v2, v6, vcc_lo
	s_branch .LBB144_440
.LBB144_439:                            ;   in Loop: Header=BB144_6 Depth=1
	s_mov_b32 s7, -1
                                        ; implicit-def: $vgpr2_vgpr3
.LBB144_440:                            ;   in Loop: Header=BB144_6 Depth=1
	s_delay_alu instid0(SALU_CYCLE_1)
	s_and_not1_b32 vcc_lo, exec_lo, s7
	s_cbranch_vccnz .LBB144_442
; %bb.441:                              ;   in Loop: Header=BB144_6 Depth=1
	v_cvt_f32_u32_e32 v2, s33
	s_sub_i32 s7, 0, s33
	s_delay_alu instid0(VALU_DEP_1) | instskip(SKIP_2) | instid1(VALU_DEP_1)
	v_rcp_iflag_f32_e32 v2, v2
	s_waitcnt_depctr 0xfff
	v_mul_f32_e32 v2, 0x4f7ffffe, v2
	v_cvt_u32_f32_e32 v2, v2
	s_delay_alu instid0(VALU_DEP_1) | instskip(NEXT) | instid1(VALU_DEP_1)
	v_mul_lo_u32 v3, s7, v2
	v_mul_hi_u32 v3, v2, v3
	s_delay_alu instid0(VALU_DEP_1) | instskip(NEXT) | instid1(VALU_DEP_1)
	v_add_nc_u32_e32 v2, v2, v3
	v_mul_hi_u32 v2, s78, v2
	s_delay_alu instid0(VALU_DEP_1) | instskip(NEXT) | instid1(VALU_DEP_1)
	v_mul_lo_u32 v2, v2, s33
	v_sub_nc_u32_e32 v2, s78, v2
	s_delay_alu instid0(VALU_DEP_1) | instskip(SKIP_1) | instid1(VALU_DEP_2)
	v_subrev_nc_u32_e32 v3, s33, v2
	v_cmp_le_u32_e32 vcc_lo, s33, v2
	v_cndmask_b32_e32 v2, v2, v3, vcc_lo
	s_delay_alu instid0(VALU_DEP_1) | instskip(SKIP_1) | instid1(VALU_DEP_2)
	v_subrev_nc_u32_e32 v3, s33, v2
	v_cmp_le_u32_e32 vcc_lo, s33, v2
	v_cndmask_b32_e32 v12, v2, v3, vcc_lo
	s_delay_alu instid0(VALU_DEP_1)
	v_dual_mov_b32 v2, v12 :: v_dual_mov_b32 v3, v13
.LBB144_442:                            ;   in Loop: Header=BB144_6 Depth=1
	s_delay_alu instid0(VALU_DEP_1) | instskip(NEXT) | instid1(VALU_DEP_2)
	v_sub_co_u32 v2, vcc_lo, s78, v2
	v_sub_co_ci_u32_e32 v3, vcc_lo, s27, v3, vcc_lo
	s_mov_b32 s12, 0
	s_mov_b32 s7, exec_lo
                                        ; implicit-def: $vgpr25
	s_delay_alu instid0(VALU_DEP_1)
	v_cmpx_gt_u64_e64 v[2:3], v[0:1]
	s_cbranch_execz .LBB144_451
; %bb.443:                              ;   in Loop: Header=BB144_6 Depth=1
	v_dual_mov_b32 v6, v10 :: v_dual_mov_b32 v7, v11
	v_dual_mov_b32 v9, v1 :: v_dual_mov_b32 v8, v0
	s_mov_b32 s8, 0
                                        ; implicit-def: $sgpr9
	s_set_inst_prefetch_distance 0x1
	s_branch .LBB144_445
	.p2align	6
.LBB144_444:                            ;   in Loop: Header=BB144_445 Depth=2
	s_or_b32 exec_lo, exec_lo, s12
	s_waitcnt vmcnt(0) lgkmcnt(0)
	s_barrier
	buffer_gl0_inv
	ds_load_b64 v[24:25], v13 offset:3072
	v_add_co_u32 v8, vcc_lo, v8, s33
	v_add_co_ci_u32_e32 v9, vcc_lo, 0, v9, vcc_lo
	s_waitcnt lgkmcnt(0)
	s_barrier
	buffer_gl0_inv
	v_cmp_ge_u64_e32 vcc_lo, v[8:9], v[2:3]
	v_readfirstlane_b32 s12, v24
	s_delay_alu instid0(VALU_DEP_1) | instskip(SKIP_1) | instid1(SALU_CYCLE_1)
	s_cmp_lg_u32 s12, 0
	s_cselect_b32 s12, -1, 0
	s_or_b32 s13, vcc_lo, s12
	v_add_co_u32 v6, vcc_lo, v6, s34
	s_and_b32 s13, exec_lo, s13
	v_add_co_ci_u32_e32 v7, vcc_lo, s35, v7, vcc_lo
	s_or_b32 s8, s13, s8
	s_and_not1_b32 s9, s9, exec_lo
	s_and_b32 s12, s12, exec_lo
	s_delay_alu instid0(SALU_CYCLE_1)
	s_or_b32 s9, s9, s12
	s_and_not1_b32 exec_lo, exec_lo, s8
	s_cbranch_execz .LBB144_450
.LBB144_445:                            ;   Parent Loop BB144_6 Depth=1
                                        ; =>  This Inner Loop Header: Depth=2
	s_delay_alu instid0(VALU_DEP_1)
	v_cmp_gt_u64_e32 vcc_lo, s[28:29], v[8:9]
	v_mov_b32_e32 v24, 0
	s_and_saveexec_b32 s12, vcc_lo
	s_cbranch_execz .LBB144_447
; %bb.446:                              ;   in Loop: Header=BB144_445 Depth=2
	global_load_b32 v24, v[6:7], off
.LBB144_447:                            ;   in Loop: Header=BB144_445 Depth=2
	s_or_b32 exec_lo, exec_lo, s12
	s_and_saveexec_b32 s12, vcc_lo
	s_cbranch_execz .LBB144_444
; %bb.448:                              ;   in Loop: Header=BB144_445 Depth=2
	s_waitcnt vmcnt(0)
	v_xor_b32_e32 v12, 0x80000000, v24
	s_delay_alu instid0(VALU_DEP_1) | instskip(NEXT) | instid1(VALU_DEP_1)
	v_and_b32_e32 v12, v12, v39
	v_cmp_eq_u32_e32 vcc_lo, v12, v40
	s_and_b32 exec_lo, exec_lo, vcc_lo
	s_cbranch_execz .LBB144_444
; %bb.449:                              ;   in Loop: Header=BB144_445 Depth=2
	ds_store_b64 v13, v[23:24] offset:3072
	s_branch .LBB144_444
.LBB144_450:                            ;   in Loop: Header=BB144_6 Depth=1
	s_set_inst_prefetch_distance 0x2
	s_or_b32 exec_lo, exec_lo, s8
	s_delay_alu instid0(SALU_CYCLE_1)
	s_and_b32 s12, s9, exec_lo
.LBB144_451:                            ;   in Loop: Header=BB144_6 Depth=1
	s_or_b32 exec_lo, exec_lo, s7
	s_mov_b32 s8, 0
	s_mov_b32 s7, -1
	s_mov_b32 s9, 0
.LBB144_452:                            ;   in Loop: Header=BB144_6 Depth=1
	s_or_not1_b32 s13, s12, exec_lo
.LBB144_453:                            ;   in Loop: Header=BB144_6 Depth=1
	s_or_b32 exec_lo, exec_lo, s69
	s_mov_b32 s26, 0
                                        ; implicit-def: $vgpr8
                                        ; implicit-def: $vgpr2_vgpr3
	s_and_saveexec_b32 s12, s13
	s_cbranch_execz .LBB144_465
; %bb.454:                              ;   in Loop: Header=BB144_6 Depth=1
	v_mov_b32_e32 v2, 1
	v_dual_mov_b32 v3, 0 :: v_dual_mov_b32 v8, 1
	s_xor_b32 s26, s68, -1
	s_delay_alu instid0(SALU_CYCLE_1)
	s_and_saveexec_b32 s13, s26
	s_cbranch_execz .LBB144_464
; %bb.455:                              ;   in Loop: Header=BB144_6 Depth=1
	s_mov_b32 s26, exec_lo
                                        ; implicit-def: $sgpr68
	v_cmpx_ge_u64_e64 s[10:11], v[4:5]
	s_xor_b32 s26, exec_lo, s26
	s_cbranch_execz .LBB144_461
; %bb.456:                              ;   in Loop: Header=BB144_6 Depth=1
	ds_load_b64 v[2:3], v13 offset:5120
	s_waitcnt lgkmcnt(0)
	v_cmp_ne_u64_e32 vcc_lo, 0, v[2:3]
	s_cbranch_vccnz .LBB144_460
; %bb.457:                              ;   in Loop: Header=BB144_6 Depth=1
	s_and_saveexec_b32 s68, s5
	s_cbranch_execz .LBB144_459
; %bb.458:                              ;   in Loop: Header=BB144_6 Depth=1
	v_dual_mov_b32 v2, s10 :: v_dual_mov_b32 v3, s11
	ds_store_b64 v13, v[2:3] offset:5128
.LBB144_459:                            ;   in Loop: Header=BB144_6 Depth=1
	s_or_b32 exec_lo, exec_lo, s68
	s_waitcnt lgkmcnt(0)
	s_barrier
	buffer_gl0_inv
.LBB144_460:                            ;   in Loop: Header=BB144_6 Depth=1
	v_and_b32_e32 v40, s21, v40
	v_or_b32_e32 v39, s20, v39
	s_mov_b32 s68, 5
.LBB144_461:                            ;   in Loop: Header=BB144_6 Depth=1
	s_or_saveexec_b32 s20, s26
	v_mov_b32_e32 v8, s68
	s_xor_b32 exec_lo, exec_lo, s20
; %bb.462:                              ;   in Loop: Header=BB144_6 Depth=1
	v_sub_co_u32 v4, vcc_lo, v4, s10
	v_subrev_co_ci_u32_e32 v5, vcc_lo, s11, v5, vcc_lo
	v_mov_b32_e32 v8, 5
; %bb.463:                              ;   in Loop: Header=BB144_6 Depth=1
	s_or_b32 exec_lo, exec_lo, s20
	s_delay_alu instid0(VALU_DEP_2)
	v_dual_mov_b32 v2, v4 :: v_dual_mov_b32 v3, v5
.LBB144_464:                            ;   in Loop: Header=BB144_6 Depth=1
	s_or_b32 exec_lo, exec_lo, s13
	s_delay_alu instid0(SALU_CYCLE_1)
	s_mov_b32 s26, exec_lo
.LBB144_465:                            ;   in Loop: Header=BB144_6 Depth=1
	s_or_b32 exec_lo, exec_lo, s12
	s_delay_alu instid0(VALU_DEP_1)
	v_dual_mov_b32 v5, v3 :: v_dual_mov_b32 v4, v2
	s_or_not1_b32 s12, s26, exec_lo
.LBB144_466:                            ;   in Loop: Header=BB144_6 Depth=1
	s_or_b32 exec_lo, exec_lo, s22
	s_delay_alu instid0(SALU_CYCLE_1)
	s_and_not1_b32 s10, s14, exec_lo
	s_and_b32 s7, s7, exec_lo
	s_and_b32 s8, s8, exec_lo
	s_or_b32 s14, s10, s7
	s_and_not1_b32 s7, s15, exec_lo
	s_and_not1_b32 s10, s66, exec_lo
	s_and_b32 s9, s9, exec_lo
	v_dual_mov_b32 v2, v4 :: v_dual_mov_b32 v3, v5
	s_or_b32 s15, s7, s8
	s_or_b32 s66, s10, s9
	s_and_b32 s26, s12, exec_lo
.LBB144_467:                            ;   in Loop: Header=BB144_6 Depth=1
	s_or_b32 exec_lo, exec_lo, s67
	s_delay_alu instid0(SALU_CYCLE_1)
	s_and_b32 s14, s14, exec_lo
	s_and_b32 s9, s15, exec_lo
	;; [unrolled: 1-line block ×3, first 2 shown]
	s_or_not1_b32 s7, s26, exec_lo
.LBB144_468:                            ;   in Loop: Header=BB144_6 Depth=1
	s_or_b32 exec_lo, exec_lo, s65
	s_delay_alu instid0(SALU_CYCLE_1)
	s_and_not1_b32 s10, s16, exec_lo
	s_and_b32 s11, s14, exec_lo
	s_and_b32 s9, s9, exec_lo
	s_or_b32 s16, s10, s11
	s_and_not1_b32 s10, s17, exec_lo
	s_and_not1_b32 s11, s63, exec_lo
	s_and_b32 s8, s8, exec_lo
	v_dual_mov_b32 v5, v3 :: v_dual_mov_b32 v4, v2
	s_or_b32 s17, s10, s9
	s_or_b32 s63, s11, s8
	s_and_b32 s26, s7, exec_lo
.LBB144_469:                            ;   in Loop: Header=BB144_6 Depth=1
	s_or_b32 exec_lo, exec_lo, s64
	s_delay_alu instid0(SALU_CYCLE_1)
	s_and_b32 s16, s16, exec_lo
	s_and_b32 s9, s17, exec_lo
	;; [unrolled: 1-line block ×3, first 2 shown]
	s_or_not1_b32 s17, s26, exec_lo
.LBB144_470:                            ;   in Loop: Header=BB144_6 Depth=1
	s_or_b32 exec_lo, exec_lo, s62
	s_mov_b32 s7, s25
	s_mov_b32 s10, s24
	s_and_saveexec_b32 s11, s17
; %bb.471:                              ;   in Loop: Header=BB144_6 Depth=1
	v_cmp_eq_u32_e32 vcc_lo, 5, v8
	v_cmp_ne_u32_e64 s7, 5, v8
	s_and_not1_b32 s10, s24, exec_lo
	s_and_not1_b32 s12, s25, exec_lo
	;; [unrolled: 1-line block ×3, first 2 shown]
	s_and_b32 s13, vcc_lo, exec_lo
	s_and_b32 s7, s7, exec_lo
	s_and_not1_b32 s9, s9, exec_lo
	s_and_not1_b32 s8, s8, exec_lo
	s_or_b32 s10, s10, s7
	s_or_b32 s7, s12, s13
; %bb.472:                              ;   in Loop: Header=BB144_6 Depth=1
	s_or_b32 exec_lo, exec_lo, s11
	s_delay_alu instid0(SALU_CYCLE_1)
	s_and_not1_b32 s11, s18, exec_lo
	s_and_b32 s12, s16, exec_lo
	s_and_b32 s9, s9, exec_lo
	s_or_b32 s18, s11, s12
	s_and_not1_b32 s11, s19, exec_lo
	s_and_not1_b32 s12, s23, exec_lo
	s_and_b32 s8, s8, exec_lo
	v_dual_mov_b32 v30, v40 :: v_dual_mov_b32 v31, v39
	v_mov_b32_e32 v3, v25
	s_or_b32 s19, s11, s9
	s_or_b32 s23, s12, s8
	s_and_not1_b32 s8, s24, exec_lo
	s_and_b32 s9, s10, exec_lo
	s_and_not1_b32 s10, s25, exec_lo
	s_and_b32 s7, s7, exec_lo
	s_or_b32 s24, s8, s9
	s_or_b32 s25, s10, s7
.LBB144_473:                            ;   in Loop: Header=BB144_6 Depth=1
	s_or_b32 exec_lo, exec_lo, s54
	s_mov_b32 s62, s23
	s_mov_b32 s54, s23
	s_and_saveexec_b32 s7, s25
.LBB144_474:                            ;   in Loop: Header=BB144_6 Depth=1
	v_mov_b32_e32 v8, 0
	s_and_not1_b32 s23, s23, exec_lo
	s_and_not1_b32 s18, s18, exec_lo
	;; [unrolled: 1-line block ×5, first 2 shown]
	s_or_b32 s24, s24, exec_lo
.LBB144_475:                            ;   in Loop: Header=BB144_6 Depth=1
	s_or_b32 exec_lo, exec_lo, s7
	s_delay_alu instid0(SALU_CYCLE_1)
	s_and_not1_b32 s7, s97, exec_lo
	s_and_b32 s9, s23, exec_lo
	s_and_not1_b32 s10, s94, exec_lo
	s_or_b32 s97, s7, s9
	s_and_not1_b32 s7, s96, exec_lo
	s_and_b32 s9, s18, exec_lo
	s_and_b32 s11, s19, exec_lo
	s_or_b32 s96, s7, s9
	s_or_b32 s94, s10, s11
	s_and_not1_b32 s7, s95, exec_lo
	s_and_b32 s9, s62, exec_lo
	s_and_not1_b32 s10, s93, exec_lo
	s_and_b32 s11, s54, exec_lo
	s_mov_b32 s8, -1
	s_or_b32 s95, s7, s9
	s_or_b32 s93, s10, s11
                                        ; implicit-def: $vgpr39
                                        ; implicit-def: $vgpr40
                                        ; implicit-def: $vgpr26_vgpr27
                                        ; implicit-def: $vgpr25
	s_and_saveexec_b32 s7, s24
	s_delay_alu instid0(SALU_CYCLE_1)
	s_xor_b32 s7, exec_lo, s7
	s_cbranch_execz .LBB144_5
; %bb.476:                              ;   in Loop: Header=BB144_6 Depth=1
	s_mov_b32 s9, -1
	s_mov_b32 s10, exec_lo
	v_cmpx_eq_u32_e32 0, v8
	s_cbranch_execz .LBB144_4
; %bb.477:                              ;   in Loop: Header=BB144_6 Depth=1
	s_xor_b32 s87, s87, 1
	s_add_i32 s11, s91, -2
	s_cmp_eq_u32 s91, 0
	s_mov_b32 s91, s11
	s_cselect_b32 s8, -1, 0
	s_xor_b32 s9, exec_lo, -1
	s_or_not1_b32 s8, s8, exec_lo
	s_branch .LBB144_4
.LBB144_478:
	s_or_b32 exec_lo, exec_lo, s85
	s_xor_b32 s7, s92, -1
	s_xor_b32 s9, s89, -1
	;; [unrolled: 1-line block ×5, first 2 shown]
	s_mov_b32 s8, 0
	s_and_saveexec_b32 s12, s11
	s_delay_alu instid0(SALU_CYCLE_1)
	s_xor_b32 s12, exec_lo, s12
	s_cbranch_execz .LBB144_535
; %bb.479:
	s_and_saveexec_b32 s11, s10
	s_delay_alu instid0(SALU_CYCLE_1)
	s_xor_b32 s13, exec_lo, s11
	s_cbranch_execz .LBB144_533
; %bb.480:
	;; [unrolled: 5-line block ×4, first 2 shown]
	s_and_saveexec_b32 s7, s6
	s_delay_alu instid0(SALU_CYCLE_1)
	s_xor_b32 s6, exec_lo, s7
; %bb.483:
	v_xor_b32_e32 v3, 0x80000000, v30
; %bb.484:
	s_or_b32 exec_lo, exec_lo, s6
	s_and_saveexec_b32 s6, s5
	s_cbranch_execz .LBB144_486
; %bb.485:
	v_mov_b32_e32 v4, 0
	s_delay_alu instid0(VALU_DEP_1)
	v_mov_b32_e32 v5, v4
	ds_store_b64 v4, v[4:5] offset:5136
.LBB144_486:
	s_or_b32 exec_lo, exec_lo, s6
	v_mov_b32_e32 v18, 0
	s_waitcnt lgkmcnt(0)
	s_barrier
	buffer_gl0_inv
	s_and_saveexec_b32 s5, s3
	s_cbranch_execz .LBB144_488
; %bb.487:
	global_load_b32 v18, v[10:11], off
.LBB144_488:
	s_or_b32 exec_lo, exec_lo, s5
	s_clause 0x1
	s_load_b64 s[8:9], s[0:1], 0x368
	s_load_b64 s[10:11], s[0:1], 0x510
	s_add_u32 s5, s28, 31
	s_addc_u32 s7, s29, 0
	s_and_b32 s6, s5, 0xffffffe0
	s_mul_i32 s5, s51, s42
	s_mul_hi_u32 s16, s50, s42
	s_mul_i32 s0, s50, s42
	s_add_i32 s1, s16, s5
	s_mul_i32 s5, s47, s42
	s_mul_hi_u32 s16, s46, s42
	s_lshl_b64 s[18:19], s[0:1], 2
	s_add_i32 s17, s16, s5
	s_add_u32 s1, s48, s18
	s_addc_u32 s5, s49, s19
	v_readlane_b32 s18, v45, 0
	s_mul_i32 s16, s46, s42
	v_readlane_b32 s19, v45, 1
	s_lshl_b64 s[16:17], s[16:17], 3
	v_add_nc_u32_e32 v2, s33, v0
	s_add_u32 s16, s18, s16
	s_mov_b32 s0, -1
	s_addc_u32 s17, s19, s17
	s_mov_b32 s19, 0
	s_mov_b32 s18, 0
	s_mov_b32 s20, exec_lo
	v_cmpx_gt_u64_e64 s[6:7], v[0:1]
	s_cbranch_execz .LBB144_504
; %bb.489:
	v_mad_u64_u32 v[4:5], null, s38, v2, 0
	v_mov_b32_e32 v15, v1
	s_add_u32 s0, s36, s40
	s_addc_u32 s18, s37, s41
	v_xor_b32_e32 v19, 0x80000000, v3
                                        ; implicit-def: $sgpr21
                                        ; implicit-def: $vgpr12_vgpr13
	v_mov_b32_e32 v14, v0
	s_delay_alu instid0(VALU_DEP_4) | instskip(NEXT) | instid1(VALU_DEP_1)
	v_mad_u64_u32 v[6:7], null, s39, v2, v[5:6]
	v_mov_b32_e32 v5, v6
	s_delay_alu instid0(VALU_DEP_1) | instskip(SKIP_1) | instid1(VALU_DEP_2)
	v_lshlrev_b64 v[6:7], 2, v[4:5]
	v_mov_b32_e32 v5, 0
	v_add_co_u32 v6, vcc_lo, s0, v6
	s_delay_alu instid0(VALU_DEP_3)
	v_add_co_ci_u32_e32 v7, vcc_lo, s18, v7, vcc_lo
	s_mov_b32 s18, 0
	s_branch .LBB144_491
.LBB144_490:                            ;   in Loop: Header=BB144_491 Depth=1
	s_or_b32 exec_lo, exec_lo, s22
	s_xor_b32 s22, s24, -1
	s_and_b32 s0, exec_lo, s0
	v_dual_mov_b32 v18, v20 :: v_dual_mov_b32 v15, v9
	s_or_b32 s18, s0, s18
	v_mov_b32_e32 v14, v8
	s_and_not1_b32 s0, s21, exec_lo
	s_and_b32 s21, s22, exec_lo
	s_delay_alu instid0(SALU_CYCLE_1)
	s_or_b32 s21, s0, s21
	s_and_not1_b32 exec_lo, exec_lo, s18
	s_cbranch_execz .LBB144_503
.LBB144_491:                            ; =>This Inner Loop Header: Depth=1
	v_add_co_u32 v8, vcc_lo, v14, s33
	v_add_co_ci_u32_e32 v9, vcc_lo, 0, v15, vcc_lo
	v_mov_b32_e32 v20, 0
	s_mov_b32 s0, exec_lo
	s_delay_alu instid0(VALU_DEP_2)
	v_cmpx_gt_u64_e64 s[28:29], v[8:9]
	s_cbranch_execz .LBB144_493
; %bb.492:                              ;   in Loop: Header=BB144_491 Depth=1
	global_load_b32 v20, v[6:7], off
.LBB144_493:                            ;   in Loop: Header=BB144_491 Depth=1
	s_or_b32 exec_lo, exec_lo, s0
	s_waitcnt vmcnt(0)
	v_xor_b32_e32 v4, 0x80000000, v18
	s_delay_alu instid0(VALU_DEP_1) | instskip(SKIP_4) | instid1(VALU_DEP_2)
	v_cmp_gt_u32_e32 vcc_lo, v4, v19
	v_cndmask_b32_e64 v16, 0, 1, vcc_lo
	v_cmp_lt_u32_e32 vcc_lo, v4, v19
	v_cndmask_b32_e64 v4, 0, 1, vcc_lo
	v_cmp_gt_u64_e32 vcc_lo, s[28:29], v[14:15]
	v_cndmask_b32_e64 v4, v4, v16, s4
	s_delay_alu instid0(VALU_DEP_1) | instskip(NEXT) | instid1(VALU_DEP_1)
	v_and_b32_e32 v4, 1, v4
	v_cmp_eq_u32_e64 s0, 1, v4
	s_delay_alu instid0(VALU_DEP_1) | instskip(NEXT) | instid1(SALU_CYCLE_1)
	s_and_b32 s23, vcc_lo, s0
	v_cndmask_b32_e64 v4, 0, 1, s23
	s_delay_alu instid0(VALU_DEP_1) | instskip(SKIP_2) | instid1(SALU_CYCLE_1)
	v_cmp_ne_u32_e32 vcc_lo, 0, v4
	s_cmp_lg_u32 vcc_lo, 0
	s_cselect_b32 s0, -1, 0
	s_and_b32 s0, s2, s0
	s_delay_alu instid0(SALU_CYCLE_1)
	s_and_saveexec_b32 s22, s0
	s_cbranch_execz .LBB144_497
; %bb.494:                              ;   in Loop: Header=BB144_491 Depth=1
	s_mov_b32 s26, exec_lo
	s_bcnt1_i32_b32 s24, vcc_lo
	v_mbcnt_lo_u32_b32 v16, s26, 0
	s_mov_b32 s25, exec_lo
                                        ; implicit-def: $vgpr12_vgpr13
	s_delay_alu instid0(VALU_DEP_1)
	v_cmpx_eq_u32_e32 0, v16
	s_cbranch_execz .LBB144_496
; %bb.495:                              ;   in Loop: Header=BB144_491 Depth=1
	s_bcnt1_i32_b32 s0, s26
	s_delay_alu instid0(SALU_CYCLE_1) | instskip(NEXT) | instid1(SALU_CYCLE_1)
	s_mul_i32 s0, s24, s0
	v_mov_b32_e32 v4, s0
	s_waitcnt lgkmcnt(0)
	ds_add_rtn_u64 v[12:13], v5, v[4:5] offset:5136
.LBB144_496:                            ;   in Loop: Header=BB144_491 Depth=1
	s_or_b32 exec_lo, exec_lo, s25
	s_waitcnt lgkmcnt(0)
	v_readfirstlane_b32 s27, v13
	v_readfirstlane_b32 s26, v12
	s_delay_alu instid0(VALU_DEP_1)
	v_mad_u64_u32 v[12:13], null, s24, v16, s[26:27]
.LBB144_497:                            ;   in Loop: Header=BB144_491 Depth=1
	s_or_b32 exec_lo, exec_lo, s22
	s_waitcnt lgkmcnt(0)
	ds_bpermute_b32 v12, v5, v12
	ds_bpermute_b32 v13, v5, v13
	s_mov_b32 s0, -1
	s_mov_b32 s25, -1
                                        ; implicit-def: $sgpr24
	s_and_saveexec_b32 s22, s23
	s_cbranch_execz .LBB144_501
; %bb.498:                              ;   in Loop: Header=BB144_491 Depth=1
	v_and_b32_e32 v4, vcc_lo, v32
	s_mov_b32 s23, 0
	s_mov_b32 s24, exec_lo
	s_delay_alu instid0(VALU_DEP_1) | instskip(SKIP_1) | instid1(VALU_DEP_1)
	v_bcnt_u32_b32 v4, v4, 0
	s_waitcnt lgkmcnt(0)
	v_add_co_u32 v16, vcc_lo, v12, v4
	v_add_co_ci_u32_e32 v17, vcc_lo, 0, v13, vcc_lo
	s_delay_alu instid0(VALU_DEP_1)
	v_cmpx_gt_u64_e64 s[30:31], v[16:17]
	s_cbranch_execz .LBB144_500
; %bb.499:                              ;   in Loop: Header=BB144_491 Depth=1
	v_mul_lo_u32 v4, v17, s8
	v_mul_lo_u32 v25, v16, s9
	v_mad_u64_u32 v[21:22], null, v16, s8, 0
	v_mul_lo_u32 v17, v17, s10
	v_mul_lo_u32 v26, v16, s11
	v_mad_u64_u32 v[23:24], null, v16, s10, 0
	s_mov_b32 s23, exec_lo
	s_delay_alu instid0(VALU_DEP_4) | instskip(NEXT) | instid1(VALU_DEP_2)
	v_add3_u32 v22, v22, v25, v4
	v_add3_u32 v24, v24, v26, v17
	s_delay_alu instid0(VALU_DEP_2) | instskip(NEXT) | instid1(VALU_DEP_2)
	v_lshlrev_b64 v[16:17], 2, v[21:22]
	v_lshlrev_b64 v[21:22], 3, v[23:24]
	s_delay_alu instid0(VALU_DEP_2) | instskip(NEXT) | instid1(VALU_DEP_3)
	v_add_co_u32 v16, vcc_lo, s1, v16
	v_add_co_ci_u32_e32 v17, vcc_lo, s5, v17, vcc_lo
	s_delay_alu instid0(VALU_DEP_3) | instskip(NEXT) | instid1(VALU_DEP_4)
	v_add_co_u32 v21, vcc_lo, s16, v21
	v_add_co_ci_u32_e32 v22, vcc_lo, s17, v22, vcc_lo
	global_store_b32 v[16:17], v18, off
	global_store_b64 v[21:22], v[14:15], off
.LBB144_500:                            ;   in Loop: Header=BB144_491 Depth=1
	s_or_b32 exec_lo, exec_lo, s24
	s_mov_b32 s24, -1
	s_or_not1_b32 s25, s23, exec_lo
.LBB144_501:                            ;   in Loop: Header=BB144_491 Depth=1
	s_or_b32 exec_lo, exec_lo, s22
	s_and_saveexec_b32 s22, s25
	s_cbranch_execz .LBB144_490
; %bb.502:                              ;   in Loop: Header=BB144_491 Depth=1
	v_cmp_le_u64_e32 vcc_lo, s[6:7], v[8:9]
	v_add_co_u32 v6, s0, v6, s34
	s_delay_alu instid0(VALU_DEP_1)
	v_add_co_ci_u32_e64 v7, s0, s35, v7, s0
	s_and_not1_b32 s24, s24, exec_lo
	s_or_not1_b32 s0, vcc_lo, exec_lo
	s_branch .LBB144_490
.LBB144_503:
	s_or_b32 exec_lo, exec_lo, s18
	s_delay_alu instid0(SALU_CYCLE_1)
	s_mov_b32 s18, exec_lo
	s_or_not1_b32 s0, s21, exec_lo
.LBB144_504:
	s_or_b32 exec_lo, exec_lo, s20
	s_and_saveexec_b32 s4, s0
	s_cbranch_execz .LBB144_527
; %bb.505:
	s_waitcnt lgkmcnt(0)
	v_dual_mov_b32 v5, 0 :: v_dual_mov_b32 v12, 0
	s_waitcnt vmcnt(0)
	s_waitcnt_vscnt null, 0x0
	s_barrier
	buffer_gl0_inv
	s_and_saveexec_b32 s0, s3
	s_cbranch_execz .LBB144_507
; %bb.506:
	global_load_b32 v12, v[10:11], off
.LBB144_507:
	s_or_b32 exec_lo, exec_lo, s0
	v_mad_u64_u32 v[6:7], null, s38, v2, 0
	s_add_u32 s0, s36, s40
	s_addc_u32 s3, s37, s41
	s_mov_b32 s19, 0
                                        ; implicit-def: $sgpr20
                                        ; implicit-def: $sgpr21
	s_delay_alu instid0(VALU_DEP_1) | instskip(NEXT) | instid1(VALU_DEP_1)
	v_mov_b32_e32 v4, v7
	v_mad_u64_u32 v[7:8], null, s39, v2, v[4:5]
                                        ; implicit-def: $vgpr8_vgpr9
	s_delay_alu instid0(VALU_DEP_1) | instskip(NEXT) | instid1(VALU_DEP_1)
	v_lshlrev_b64 v[6:7], 2, v[6:7]
	v_add_co_u32 v6, vcc_lo, s0, v6
	s_delay_alu instid0(VALU_DEP_2)
	v_add_co_ci_u32_e32 v7, vcc_lo, s3, v7, vcc_lo
                                        ; implicit-def: $sgpr3
	s_branch .LBB144_510
.LBB144_508:                            ;   in Loop: Header=BB144_510 Depth=1
	s_or_b32 exec_lo, exec_lo, s24
	v_dual_mov_b32 v0, v10 :: v_dual_mov_b32 v1, v11
	s_and_not1_b32 s0, s21, exec_lo
	s_and_b32 s21, s26, exec_lo
	s_and_not1_b32 s20, s20, exec_lo
	s_and_b32 s23, s23, exec_lo
	s_or_b32 s21, s0, s21
	s_or_b32 s20, s20, s23
.LBB144_509:                            ;   in Loop: Header=BB144_510 Depth=1
	s_or_b32 exec_lo, exec_lo, s22
	s_xor_b32 s0, s21, -1
	s_and_b32 s22, exec_lo, s20
	s_delay_alu instid0(SALU_CYCLE_1) | instskip(SKIP_2) | instid1(SALU_CYCLE_1)
	s_or_b32 s19, s22, s19
	s_and_not1_b32 s3, s3, exec_lo
	s_and_b32 s0, s0, exec_lo
	s_or_b32 s3, s3, s0
	s_and_not1_b32 exec_lo, exec_lo, s19
	s_cbranch_execz .LBB144_525
.LBB144_510:                            ; =>This Inner Loop Header: Depth=1
	s_or_b32 s21, s21, exec_lo
	s_or_b32 s20, s20, exec_lo
	s_mov_b32 s22, exec_lo
	v_cmpx_gt_u64_e64 s[6:7], v[0:1]
	s_cbranch_execz .LBB144_509
; %bb.511:                              ;   in Loop: Header=BB144_510 Depth=1
	v_add_co_u32 v10, vcc_lo, v0, s33
	v_add_co_ci_u32_e32 v11, vcc_lo, 0, v1, vcc_lo
	v_mov_b32_e32 v2, 0
	s_mov_b32 s0, exec_lo
	s_delay_alu instid0(VALU_DEP_2)
	v_cmpx_gt_u64_e64 s[28:29], v[10:11]
	s_cbranch_execz .LBB144_513
; %bb.512:                              ;   in Loop: Header=BB144_510 Depth=1
	global_load_b32 v2, v[6:7], off
.LBB144_513:                            ;   in Loop: Header=BB144_510 Depth=1
	s_or_b32 exec_lo, exec_lo, s0
	v_cmp_gt_u64_e32 vcc_lo, s[28:29], v[0:1]
	s_waitcnt vmcnt(0)
	v_cmp_eq_u32_e64 s0, v12, v3
	s_delay_alu instid0(VALU_DEP_1) | instskip(NEXT) | instid1(SALU_CYCLE_1)
	s_and_b32 s24, vcc_lo, s0
	v_cndmask_b32_e64 v4, 0, 1, s24
	s_delay_alu instid0(VALU_DEP_1) | instskip(SKIP_2) | instid1(SALU_CYCLE_1)
	v_cmp_ne_u32_e32 vcc_lo, 0, v4
	s_cmp_lg_u32 vcc_lo, 0
	s_cselect_b32 s0, -1, 0
	s_and_b32 s0, s2, s0
	s_delay_alu instid0(SALU_CYCLE_1)
	s_and_saveexec_b32 s23, s0
	s_cbranch_execz .LBB144_517
; %bb.514:                              ;   in Loop: Header=BB144_510 Depth=1
	s_mov_b32 s27, exec_lo
	s_bcnt1_i32_b32 s25, vcc_lo
	v_mbcnt_lo_u32_b32 v13, s27, 0
	s_mov_b32 s26, exec_lo
                                        ; implicit-def: $vgpr8_vgpr9
	s_delay_alu instid0(VALU_DEP_1)
	v_cmpx_eq_u32_e32 0, v13
	s_cbranch_execz .LBB144_516
; %bb.515:                              ;   in Loop: Header=BB144_510 Depth=1
	s_bcnt1_i32_b32 s0, s27
	s_delay_alu instid0(SALU_CYCLE_1) | instskip(NEXT) | instid1(SALU_CYCLE_1)
	s_mul_i32 s0, s25, s0
	v_mov_b32_e32 v4, s0
	ds_add_rtn_u64 v[8:9], v5, v[4:5] offset:5136
.LBB144_516:                            ;   in Loop: Header=BB144_510 Depth=1
	s_or_b32 exec_lo, exec_lo, s26
	s_waitcnt lgkmcnt(0)
	v_readfirstlane_b32 s27, v9
	v_readfirstlane_b32 s26, v8
	s_delay_alu instid0(VALU_DEP_1)
	v_mad_u64_u32 v[8:9], null, s25, v13, s[26:27]
.LBB144_517:                            ;   in Loop: Header=BB144_510 Depth=1
	s_or_b32 exec_lo, exec_lo, s23
	ds_bpermute_b32 v8, v5, v8
	ds_bpermute_b32 v9, v5, v9
	s_cmp_eq_u32 vcc_lo, 0
	s_mov_b32 s23, -1
	s_cselect_b32 s25, -1, 0
	s_mov_b32 s26, -1
	s_waitcnt lgkmcnt(0)
	v_cmp_gt_u64_e64 s0, s[30:31], v[8:9]
	s_delay_alu instid0(VALU_DEP_1) | instskip(SKIP_3) | instid1(SALU_CYCLE_1)
	s_or_b32 s0, s25, s0
	s_mov_b32 s25, -1
	v_cndmask_b32_e64 v12, v12, v2, s0
	s_and_b32 s27, s24, s0
	s_and_saveexec_b32 s24, s27
	s_cbranch_execz .LBB144_523
; %bb.518:                              ;   in Loop: Header=BB144_510 Depth=1
	v_and_b32_e32 v4, vcc_lo, v32
	v_sub_co_u32 v12, vcc_lo, s30, v8
	v_sub_co_ci_u32_e32 v13, vcc_lo, s31, v9, vcc_lo
	s_delay_alu instid0(VALU_DEP_3) | instskip(SKIP_2) | instid1(VALU_DEP_1)
	v_bcnt_u32_b32 v4, v4, 0
	s_mov_b32 s27, -1
	s_mov_b32 s26, exec_lo
	v_cmp_le_u64_e64 s25, v[12:13], v[4:5]
	v_cmpx_gt_u64_e64 v[12:13], v[4:5]
	s_cbranch_execz .LBB144_522
; %bb.519:                              ;   in Loop: Header=BB144_510 Depth=1
	v_add_co_u32 v12, vcc_lo, v8, v4
	v_add_co_ci_u32_e32 v13, vcc_lo, 0, v9, vcc_lo
	s_delay_alu instid0(VALU_DEP_4) | instskip(SKIP_1) | instid1(VALU_DEP_1)
	s_mov_b32 s36, s25
	s_mov_b32 s27, exec_lo
	v_cmpx_gt_u64_e64 s[30:31], v[12:13]
	s_cbranch_execz .LBB144_521
; %bb.520:                              ;   in Loop: Header=BB144_510 Depth=1
	v_mul_lo_u32 v4, v13, s8
	v_mul_lo_u32 v18, v12, s9
	v_mad_u64_u32 v[14:15], null, v12, s8, 0
	v_mul_lo_u32 v13, v13, s10
	v_mul_lo_u32 v19, v12, s11
	v_mad_u64_u32 v[16:17], null, v12, s10, 0
	s_or_b32 s36, s25, exec_lo
	s_delay_alu instid0(VALU_DEP_4) | instskip(NEXT) | instid1(VALU_DEP_2)
	v_add3_u32 v15, v15, v18, v4
	v_add3_u32 v17, v17, v19, v13
	s_delay_alu instid0(VALU_DEP_2) | instskip(NEXT) | instid1(VALU_DEP_2)
	v_lshlrev_b64 v[12:13], 2, v[14:15]
	v_lshlrev_b64 v[14:15], 3, v[16:17]
	s_delay_alu instid0(VALU_DEP_2) | instskip(NEXT) | instid1(VALU_DEP_3)
	v_add_co_u32 v12, vcc_lo, s1, v12
	v_add_co_ci_u32_e32 v13, vcc_lo, s5, v13, vcc_lo
	s_delay_alu instid0(VALU_DEP_3) | instskip(NEXT) | instid1(VALU_DEP_4)
	v_add_co_u32 v14, vcc_lo, s16, v14
	v_add_co_ci_u32_e32 v15, vcc_lo, s17, v15, vcc_lo
	global_store_b32 v[12:13], v3, off
	global_store_b64 v[14:15], v[0:1], off
.LBB144_521:                            ;   in Loop: Header=BB144_510 Depth=1
	s_or_b32 exec_lo, exec_lo, s27
	s_delay_alu instid0(SALU_CYCLE_1)
	s_and_not1_b32 s25, s25, exec_lo
	s_and_b32 s36, s36, exec_lo
	s_xor_b32 s27, exec_lo, -1
	s_or_b32 s25, s25, s36
.LBB144_522:                            ;   in Loop: Header=BB144_510 Depth=1
	s_or_b32 exec_lo, exec_lo, s26
	v_mov_b32_e32 v12, v2
	s_or_not1_b32 s26, s27, exec_lo
	s_or_b32 s0, s0, exec_lo
	s_or_not1_b32 s25, s25, exec_lo
.LBB144_523:                            ;   in Loop: Header=BB144_510 Depth=1
	s_or_b32 exec_lo, exec_lo, s24
	s_and_saveexec_b32 s24, s25
	s_cbranch_execz .LBB144_508
; %bb.524:                              ;   in Loop: Header=BB144_510 Depth=1
	v_add_co_u32 v6, vcc_lo, v6, s34
	v_add_co_ci_u32_e32 v7, vcc_lo, s35, v7, vcc_lo
	s_xor_b32 s0, s0, -1
	s_or_b32 s26, s26, exec_lo
	s_or_not1_b32 s23, s0, exec_lo
	s_branch .LBB144_508
.LBB144_525:
	s_or_b32 exec_lo, exec_lo, s19
	s_mov_b32 s0, 0
	s_and_saveexec_b32 s1, s3
	s_delay_alu instid0(SALU_CYCLE_1)
	s_xor_b32 s1, exec_lo, s1
	s_cbranch_execnz .LBB144_557
.LBB144_526:
	s_or_b32 exec_lo, exec_lo, s1
	s_delay_alu instid0(SALU_CYCLE_1)
	s_and_b32 s19, s0, exec_lo
	s_and_not1_b32 s18, s18, exec_lo
.LBB144_527:
	s_or_b32 exec_lo, exec_lo, s4
	s_and_saveexec_b32 s0, s18
	s_delay_alu instid0(SALU_CYCLE_1)
	s_xor_b32 s0, exec_lo, s0
	s_cbranch_execnz .LBB144_553
.LBB144_528:
	s_or_b32 exec_lo, exec_lo, s0
	s_waitcnt lgkmcnt(0)
	s_and_b32 s8, s19, exec_lo
.LBB144_529:
	s_and_not1_saveexec_b32 s0, s15
	s_cbranch_execnz .LBB144_549
.LBB144_530:
	s_or_b32 exec_lo, exec_lo, s0
	s_delay_alu instid0(SALU_CYCLE_1)
	s_and_b32 s8, s8, exec_lo
.LBB144_531:
	s_and_not1_saveexec_b32 s0, s14
	s_cbranch_execnz .LBB144_545
.LBB144_532:
	s_or_b32 exec_lo, exec_lo, s0
	s_delay_alu instid0(SALU_CYCLE_1)
	s_and_b32 s8, s8, exec_lo
.LBB144_533:
	s_and_not1_saveexec_b32 s0, s13
	s_cbranch_execnz .LBB144_541
.LBB144_534:
	s_or_b32 exec_lo, exec_lo, s0
	s_delay_alu instid0(SALU_CYCLE_1)
	s_and_b32 s8, s8, exec_lo
.LBB144_535:
	s_and_not1_saveexec_b32 s0, s12
	s_cbranch_execnz .LBB144_539
; %bb.536:
	s_or_b32 exec_lo, exec_lo, s0
	s_and_saveexec_b32 s0, s8
.LBB144_537:
	; divergent unreachable
.LBB144_538:
	s_nop 0
	s_sendmsg sendmsg(MSG_DEALLOC_VGPRS)
	s_endpgm
.LBB144_539:
	s_cbranch_execnz .LBB144_543
; %bb.540:
	s_or_b32 s8, s8, exec_lo
	s_or_b32 exec_lo, exec_lo, s0
	s_and_saveexec_b32 s0, s8
	s_cbranch_execnz .LBB144_537
	s_branch .LBB144_538
.LBB144_541:
	s_cbranch_execnz .LBB144_547
; %bb.542:
	s_or_b32 s8, s8, exec_lo
	s_branch .LBB144_534
.LBB144_543:
	s_trap 2
	s_sendmsg_rtn_b32 s0, sendmsg(MSG_RTN_GET_DOORBELL)
	s_mov_b32 ttmp2, m0
	s_waitcnt lgkmcnt(0)
	s_and_b32 s0, s0, 0x3ff
	s_delay_alu instid0(SALU_CYCLE_1) | instskip(NEXT) | instid1(SALU_CYCLE_1)
	s_bitset1_b32 s0, 10
	s_mov_b32 m0, s0
	s_sendmsg sendmsg(MSG_INTERRUPT)
	s_mov_b32 m0, ttmp2
.LBB144_544:                            ; =>This Inner Loop Header: Depth=1
	s_sethalt 5
	s_branch .LBB144_544
.LBB144_545:
	s_cbranch_execnz .LBB144_551
; %bb.546:
	s_or_b32 s8, s8, exec_lo
	s_branch .LBB144_532
.LBB144_547:
	s_trap 2
	s_sendmsg_rtn_b32 s0, sendmsg(MSG_RTN_GET_DOORBELL)
	s_mov_b32 ttmp2, m0
	s_waitcnt lgkmcnt(0)
	s_and_b32 s0, s0, 0x3ff
	s_delay_alu instid0(SALU_CYCLE_1) | instskip(NEXT) | instid1(SALU_CYCLE_1)
	s_bitset1_b32 s0, 10
	s_mov_b32 m0, s0
	s_sendmsg sendmsg(MSG_INTERRUPT)
	s_mov_b32 m0, ttmp2
.LBB144_548:                            ; =>This Inner Loop Header: Depth=1
	s_sethalt 5
	s_branch .LBB144_548
.LBB144_549:
	s_cbranch_execnz .LBB144_555
; %bb.550:
	s_or_b32 s8, s8, exec_lo
	s_branch .LBB144_530
.LBB144_551:
	s_trap 2
	s_sendmsg_rtn_b32 s0, sendmsg(MSG_RTN_GET_DOORBELL)
	s_mov_b32 ttmp2, m0
	s_waitcnt lgkmcnt(0)
	s_and_b32 s0, s0, 0x3ff
	s_delay_alu instid0(SALU_CYCLE_1) | instskip(NEXT) | instid1(SALU_CYCLE_1)
	s_bitset1_b32 s0, 10
	s_mov_b32 m0, s0
	s_sendmsg sendmsg(MSG_INTERRUPT)
	s_mov_b32 m0, ttmp2
.LBB144_552:                            ; =>This Inner Loop Header: Depth=1
	s_sethalt 5
	s_branch .LBB144_552
.LBB144_553:
	s_cbranch_execnz .LBB144_559
; %bb.554:
	s_or_b32 s19, s19, exec_lo
	s_branch .LBB144_528
.LBB144_555:
	s_trap 2
	s_sendmsg_rtn_b32 s0, sendmsg(MSG_RTN_GET_DOORBELL)
	s_mov_b32 ttmp2, m0
	s_waitcnt lgkmcnt(0)
	s_and_b32 s0, s0, 0x3ff
	s_delay_alu instid0(SALU_CYCLE_1) | instskip(NEXT) | instid1(SALU_CYCLE_1)
	s_bitset1_b32 s0, 10
	s_mov_b32 m0, s0
	s_sendmsg sendmsg(MSG_INTERRUPT)
	s_mov_b32 m0, ttmp2
.LBB144_556:                            ; =>This Inner Loop Header: Depth=1
	s_sethalt 5
	s_branch .LBB144_556
.LBB144_557:
	s_cbranch_execnz .LBB144_561
; %bb.558:
	s_mov_b32 s0, exec_lo
	s_branch .LBB144_526
.LBB144_559:
	s_trap 2
	s_sendmsg_rtn_b32 s0, sendmsg(MSG_RTN_GET_DOORBELL)
	s_mov_b32 ttmp2, m0
	s_waitcnt lgkmcnt(0)
	s_and_b32 s0, s0, 0x3ff
	s_delay_alu instid0(SALU_CYCLE_1) | instskip(NEXT) | instid1(SALU_CYCLE_1)
	s_bitset1_b32 s0, 10
	s_mov_b32 m0, s0
	s_sendmsg sendmsg(MSG_INTERRUPT)
	s_mov_b32 m0, ttmp2
.LBB144_560:                            ; =>This Inner Loop Header: Depth=1
	s_sethalt 5
	s_branch .LBB144_560
.LBB144_561:
	s_trap 2
	s_sendmsg_rtn_b32 s0, sendmsg(MSG_RTN_GET_DOORBELL)
	s_mov_b32 ttmp2, m0
	s_waitcnt lgkmcnt(0)
	s_and_b32 s0, s0, 0x3ff
	s_delay_alu instid0(SALU_CYCLE_1) | instskip(NEXT) | instid1(SALU_CYCLE_1)
	s_bitset1_b32 s0, 10
	s_mov_b32 m0, s0
	s_sendmsg sendmsg(MSG_INTERRUPT)
	s_mov_b32 m0, ttmp2
.LBB144_562:                            ; =>This Inner Loop Header: Depth=1
	s_sethalt 5
	s_branch .LBB144_562
	.section	.rodata,"a",@progbits
	.p2align	6, 0x0
	.amdhsa_kernel _ZN2at6native6sbtopk10gatherTopKIimLi1ELb0EEEvNS_4cuda6detail10TensorInfoIKT_T0_EES8_S8_bS8_S8_NS5_IS6_S8_EES8_NS5_IlS8_EES8_PS6_
		.amdhsa_group_segment_fixed_size 5152
		.amdhsa_private_segment_fixed_size 0
		.amdhsa_kernarg_size 1568
		.amdhsa_user_sgpr_count 13
		.amdhsa_user_sgpr_dispatch_ptr 0
		.amdhsa_user_sgpr_queue_ptr 0
		.amdhsa_user_sgpr_kernarg_segment_ptr 1
		.amdhsa_user_sgpr_dispatch_id 0
		.amdhsa_user_sgpr_private_segment_size 0
		.amdhsa_wavefront_size32 1
		.amdhsa_uses_dynamic_stack 0
		.amdhsa_enable_private_segment 0
		.amdhsa_system_sgpr_workgroup_id_x 1
		.amdhsa_system_sgpr_workgroup_id_y 1
		.amdhsa_system_sgpr_workgroup_id_z 1
		.amdhsa_system_sgpr_workgroup_info 0
		.amdhsa_system_vgpr_workitem_id 0
		.amdhsa_next_free_vgpr 46
		.amdhsa_next_free_sgpr 105
		.amdhsa_reserve_vcc 1
		.amdhsa_float_round_mode_32 0
		.amdhsa_float_round_mode_16_64 0
		.amdhsa_float_denorm_mode_32 3
		.amdhsa_float_denorm_mode_16_64 3
		.amdhsa_dx10_clamp 1
		.amdhsa_ieee_mode 1
		.amdhsa_fp16_overflow 0
		.amdhsa_workgroup_processor_mode 1
		.amdhsa_memory_ordered 1
		.amdhsa_forward_progress 0
		.amdhsa_shared_vgpr_count 0
		.amdhsa_exception_fp_ieee_invalid_op 0
		.amdhsa_exception_fp_denorm_src 0
		.amdhsa_exception_fp_ieee_div_zero 0
		.amdhsa_exception_fp_ieee_overflow 0
		.amdhsa_exception_fp_ieee_underflow 0
		.amdhsa_exception_fp_ieee_inexact 0
		.amdhsa_exception_int_div_zero 0
	.end_amdhsa_kernel
	.section	.text._ZN2at6native6sbtopk10gatherTopKIimLi1ELb0EEEvNS_4cuda6detail10TensorInfoIKT_T0_EES8_S8_bS8_S8_NS5_IS6_S8_EES8_NS5_IlS8_EES8_PS6_,"axG",@progbits,_ZN2at6native6sbtopk10gatherTopKIimLi1ELb0EEEvNS_4cuda6detail10TensorInfoIKT_T0_EES8_S8_bS8_S8_NS5_IS6_S8_EES8_NS5_IlS8_EES8_PS6_,comdat
.Lfunc_end144:
	.size	_ZN2at6native6sbtopk10gatherTopKIimLi1ELb0EEEvNS_4cuda6detail10TensorInfoIKT_T0_EES8_S8_bS8_S8_NS5_IS6_S8_EES8_NS5_IlS8_EES8_PS6_, .Lfunc_end144-_ZN2at6native6sbtopk10gatherTopKIimLi1ELb0EEEvNS_4cuda6detail10TensorInfoIKT_T0_EES8_S8_bS8_S8_NS5_IS6_S8_EES8_NS5_IlS8_EES8_PS6_
                                        ; -- End function
	.section	.AMDGPU.csdata,"",@progbits
; Kernel info:
; codeLenInByte = 28116
; NumSgprs: 107
; NumVgprs: 46
; ScratchSize: 0
; MemoryBound: 0
; FloatMode: 240
; IeeeMode: 1
; LDSByteSize: 5152 bytes/workgroup (compile time only)
; SGPRBlocks: 13
; VGPRBlocks: 5
; NumSGPRsForWavesPerEU: 107
; NumVGPRsForWavesPerEU: 46
; Occupancy: 16
; WaveLimiterHint : 1
; COMPUTE_PGM_RSRC2:SCRATCH_EN: 0
; COMPUTE_PGM_RSRC2:USER_SGPR: 13
; COMPUTE_PGM_RSRC2:TRAP_HANDLER: 0
; COMPUTE_PGM_RSRC2:TGID_X_EN: 1
; COMPUTE_PGM_RSRC2:TGID_Y_EN: 1
; COMPUTE_PGM_RSRC2:TGID_Z_EN: 1
; COMPUTE_PGM_RSRC2:TIDIG_COMP_CNT: 0
	.section	.text._ZN2at6native6mbtopk23computeBlockDigitCountsIimjLi2EEEvNS_4cuda6detail10TensorInfoIKT_T0_EEjPjjS8_iijT1_PSB_Ps,"axG",@progbits,_ZN2at6native6mbtopk23computeBlockDigitCountsIimjLi2EEEvNS_4cuda6detail10TensorInfoIKT_T0_EEjPjjS8_iijT1_PSB_Ps,comdat
	.protected	_ZN2at6native6mbtopk23computeBlockDigitCountsIimjLi2EEEvNS_4cuda6detail10TensorInfoIKT_T0_EEjPjjS8_iijT1_PSB_Ps ; -- Begin function _ZN2at6native6mbtopk23computeBlockDigitCountsIimjLi2EEEvNS_4cuda6detail10TensorInfoIKT_T0_EEjPjjS8_iijT1_PSB_Ps
	.globl	_ZN2at6native6mbtopk23computeBlockDigitCountsIimjLi2EEEvNS_4cuda6detail10TensorInfoIKT_T0_EEjPjjS8_iijT1_PSB_Ps
	.p2align	8
	.type	_ZN2at6native6mbtopk23computeBlockDigitCountsIimjLi2EEEvNS_4cuda6detail10TensorInfoIKT_T0_EEjPjjS8_iijT1_PSB_Ps,@function
_ZN2at6native6mbtopk23computeBlockDigitCountsIimjLi2EEEvNS_4cuda6detail10TensorInfoIKT_T0_EEjPjjS8_iijT1_PSB_Ps: ; @_ZN2at6native6mbtopk23computeBlockDigitCountsIimjLi2EEEvNS_4cuda6detail10TensorInfoIKT_T0_EEjPjjS8_iijT1_PSB_Ps
; %bb.0:
	s_clause 0x2
	s_load_b128 s[8:11], s[0:1], 0x1c0
	s_load_b32 s5, s[0:1], 0x1b0
	s_load_b64 s[2:3], s[0:1], 0x1e0
	s_waitcnt lgkmcnt(0)
	v_cvt_f32_u32_e32 v1, s10
	s_sub_i32 s6, 0, s10
	s_mul_i32 s3, s3, s15
	s_delay_alu instid0(SALU_CYCLE_1) | instskip(NEXT) | instid1(VALU_DEP_1)
	s_add_i32 s3, s3, s14
	v_rcp_iflag_f32_e32 v1, v1
	s_mul_i32 s16, s3, s2
	s_delay_alu instid0(SALU_CYCLE_1) | instskip(SKIP_3) | instid1(VALU_DEP_1)
	s_add_i32 s16, s16, s13
	s_mov_b32 s13, 0
	s_waitcnt_depctr 0xfff
	v_mul_f32_e32 v1, 0x4f7ffffe, v1
	v_cvt_u32_f32_e32 v1, v1
	s_delay_alu instid0(VALU_DEP_1) | instskip(NEXT) | instid1(VALU_DEP_1)
	v_readfirstlane_b32 s4, v1
	s_mul_i32 s6, s6, s4
	s_delay_alu instid0(SALU_CYCLE_1) | instskip(NEXT) | instid1(SALU_CYCLE_1)
	s_mul_hi_u32 s2, s4, s6
	s_add_i32 s4, s4, s2
	s_delay_alu instid0(SALU_CYCLE_1) | instskip(NEXT) | instid1(SALU_CYCLE_1)
	s_mul_hi_u32 s2, s16, s4
	s_mul_i32 s3, s2, s10
	s_add_i32 s4, s2, 1
	s_sub_i32 s3, s16, s3
	s_delay_alu instid0(SALU_CYCLE_1)
	s_sub_i32 s6, s3, s10
	s_cmp_ge_u32 s3, s10
	s_cselect_b32 s2, s4, s2
	s_cselect_b32 s3, s6, s3
	s_add_i32 s4, s2, 1
	s_cmp_ge_u32 s3, s10
	s_cselect_b32 s12, s4, s2
	s_delay_alu instid0(SALU_CYCLE_1)
	s_cmp_ge_u32 s12, s5
	s_cbranch_scc1 .LBB145_25
; %bb.1:
	s_clause 0x1
	s_load_b64 s[2:3], s[0:1], 0x10
	s_load_b128 s[4:7], s[0:1], 0x1d0
	s_lshl_b64 s[14:15], s[12:13], 2
	s_waitcnt lgkmcnt(0)
	v_cmp_lt_u64_e64 s17, s[12:13], s[2:3]
	s_add_u32 s14, s4, s14
	s_addc_u32 s15, s5, s15
	s_mov_b64 s[4:5], 0
	s_delay_alu instid0(VALU_DEP_1)
	s_and_b32 vcc_lo, exec_lo, s17
	s_cbranch_vccnz .LBB145_3
; %bb.2:
	v_cvt_f32_u32_e32 v1, s2
	s_sub_i32 s5, 0, s2
	s_delay_alu instid0(VALU_DEP_1) | instskip(SKIP_2) | instid1(VALU_DEP_1)
	v_rcp_iflag_f32_e32 v1, v1
	s_waitcnt_depctr 0xfff
	v_mul_f32_e32 v1, 0x4f7ffffe, v1
	v_cvt_u32_f32_e32 v1, v1
	s_delay_alu instid0(VALU_DEP_1) | instskip(NEXT) | instid1(VALU_DEP_1)
	v_readfirstlane_b32 s4, v1
	s_mul_i32 s5, s5, s4
	s_delay_alu instid0(SALU_CYCLE_1) | instskip(NEXT) | instid1(SALU_CYCLE_1)
	s_mul_hi_u32 s5, s4, s5
	s_add_i32 s4, s4, s5
	s_delay_alu instid0(SALU_CYCLE_1) | instskip(NEXT) | instid1(SALU_CYCLE_1)
	s_mul_hi_u32 s4, s12, s4
	s_mul_i32 s5, s4, s2
	s_add_i32 s13, s4, 1
	s_sub_i32 s5, s12, s5
	s_delay_alu instid0(SALU_CYCLE_1)
	s_sub_i32 s17, s5, s2
	s_cmp_ge_u32 s5, s2
	s_cselect_b32 s4, s13, s4
	s_cselect_b32 s5, s17, s5
	s_add_i32 s13, s4, 1
	s_cmp_ge_u32 s5, s2
	s_cselect_b32 s4, s13, s4
.LBB145_3:
	v_cmp_gt_u32_e32 vcc_lo, 0x100, v0
	v_lshlrev_b32_e32 v1, 2, v0
	s_and_saveexec_b32 s5, vcc_lo
	s_cbranch_execz .LBB145_5
; %bb.4:
	v_mov_b32_e32 v2, 0
	ds_store_b32 v1, v2
.LBB145_5:
	s_or_b32 exec_lo, exec_lo, s5
	s_load_b32 s5, s[0:1], 0x1a0
	s_mul_i32 s13, s12, s10
	s_waitcnt lgkmcnt(0)
	s_sub_i32 s13, s16, s13
	s_barrier
	s_mul_i32 s17, s9, s13
	s_add_i32 s13, s13, 1
	s_lshl_b32 s17, s17, 8
	buffer_gl0_inv
	s_sub_i32 s18, s5, s17
	s_delay_alu instid0(SALU_CYCLE_1) | instskip(SKIP_4) | instid1(VALU_DEP_1)
	s_add_u32 s18, s18, 0xff
	s_addc_u32 s19, 0, 0
	s_cmp_lt_u32 s13, s10
	v_alignbit_b32 v2, s19, s18, 8
	s_mov_b32 s13, 0
	v_readfirstlane_b32 s18, v2
	s_delay_alu instid0(VALU_DEP_1) | instskip(NEXT) | instid1(SALU_CYCLE_1)
	s_cselect_b32 s10, s9, s18
	s_cmp_lt_i32 s10, 1
	s_cbranch_scc1 .LBB145_21
; %bb.6:
	s_clause 0x1
	s_load_b128 s[20:23], s[0:1], 0xd0
	s_load_b64 s[18:19], s[0:1], 0x0
	s_load_b32 s9, s[14:15], 0x0
	s_mul_i32 s14, s4, s3
	s_mul_hi_u32 s15, s4, s2
	s_mul_i32 s24, s4, s2
	s_load_b64 s[2:3], s[0:1], 0x1b8
	s_add_i32 s15, s15, s14
	s_sub_u32 s0, s12, s24
	s_subb_u32 s1, 0, s15
	v_add_nc_u32_e32 v2, s17, v0
	s_waitcnt lgkmcnt(0)
	s_mul_i32 s15, s4, s21
	s_mul_hi_u32 s21, s4, s20
	s_mul_i32 s12, s0, s23
	s_mul_hi_u32 s23, s0, s22
	s_mul_i32 s14, s4, s20
	s_add_i32 s15, s21, s15
	s_mul_i32 s1, s1, s22
	s_add_i32 s4, s23, s12
	s_lshl_b64 s[14:15], s[14:15], 2
	s_mul_i32 s0, s0, s22
	s_add_i32 s1, s4, s1
	s_add_u32 s4, s18, s14
	s_addc_u32 s12, s19, s15
	s_lshl_b64 s[0:1], s[0:1], 2
	s_delay_alu instid0(SALU_CYCLE_1)
	s_add_u32 s4, s4, s0
	s_addc_u32 s12, s12, s1
	s_and_b32 s1, s8, 0xff
	s_cmp_eq_u32 s10, 1
	s_cbranch_scc1 .LBB145_16
; %bb.7:
	v_dual_mov_b32 v3, 1 :: v_dual_mov_b32 v4, v2
	s_and_b32 s8, s10, 0x7ffffffe
	s_branch .LBB145_9
.LBB145_8:                              ;   in Loop: Header=BB145_9 Depth=1
	s_or_b32 exec_lo, exec_lo, s14
	v_add_nc_u32_e32 v4, 0x200, v4
	s_add_i32 s13, s13, 2
	s_delay_alu instid0(SALU_CYCLE_1)
	s_cmp_eq_u32 s8, s13
	s_cbranch_scc1 .LBB145_15
.LBB145_9:                              ; =>This Inner Loop Header: Depth=1
	s_mov_b32 s14, exec_lo
	s_delay_alu instid0(VALU_DEP_1)
	v_cmpx_gt_u32_e64 s5, v4
	s_cbranch_execz .LBB145_12
; %bb.10:                               ;   in Loop: Header=BB145_9 Depth=1
	v_mad_u64_u32 v[5:6], null, v4, s2, 0
	s_delay_alu instid0(VALU_DEP_1) | instskip(NEXT) | instid1(VALU_DEP_1)
	v_mad_u64_u32 v[7:8], null, v4, s3, v[6:7]
	v_mov_b32_e32 v6, v7
	s_delay_alu instid0(VALU_DEP_1) | instskip(NEXT) | instid1(VALU_DEP_1)
	v_lshlrev_b64 v[5:6], 2, v[5:6]
	v_add_co_u32 v5, s0, s4, v5
	s_delay_alu instid0(VALU_DEP_1) | instskip(SKIP_3) | instid1(VALU_DEP_1)
	v_add_co_ci_u32_e64 v6, s0, s12, v6, s0
	global_load_b32 v5, v[5:6], off
	s_waitcnt vmcnt(0)
	v_xor_b32_e32 v5, 0x80000000, v5
	v_xor_b32_e32 v6, s9, v5
	s_delay_alu instid0(VALU_DEP_1) | instskip(NEXT) | instid1(VALU_DEP_1)
	v_and_b32_e32 v6, s11, v6
	v_cmp_eq_u32_e64 s0, 0, v6
	s_delay_alu instid0(VALU_DEP_1)
	s_and_b32 exec_lo, exec_lo, s0
	s_cbranch_execz .LBB145_12
; %bb.11:                               ;   in Loop: Header=BB145_9 Depth=1
	v_bfe_u32 v5, v5, s1, 8
	s_delay_alu instid0(VALU_DEP_1)
	v_lshlrev_b32_e32 v5, 2, v5
	ds_add_u32 v5, v3
.LBB145_12:                             ;   in Loop: Header=BB145_9 Depth=1
	s_or_b32 exec_lo, exec_lo, s14
	v_add_nc_u32_e32 v5, 0x100, v4
	s_mov_b32 s14, exec_lo
	s_delay_alu instid0(VALU_DEP_1)
	v_cmpx_gt_u32_e64 s5, v5
	s_cbranch_execz .LBB145_8
; %bb.13:                               ;   in Loop: Header=BB145_9 Depth=1
	v_mad_u64_u32 v[6:7], null, v5, s2, 0
	s_delay_alu instid0(VALU_DEP_1) | instskip(NEXT) | instid1(VALU_DEP_1)
	v_mad_u64_u32 v[8:9], null, v5, s3, v[7:8]
	v_mov_b32_e32 v7, v8
	s_delay_alu instid0(VALU_DEP_1) | instskip(NEXT) | instid1(VALU_DEP_1)
	v_lshlrev_b64 v[5:6], 2, v[6:7]
	v_add_co_u32 v5, s0, s4, v5
	s_delay_alu instid0(VALU_DEP_1) | instskip(SKIP_3) | instid1(VALU_DEP_1)
	v_add_co_ci_u32_e64 v6, s0, s12, v6, s0
	global_load_b32 v5, v[5:6], off
	s_waitcnt vmcnt(0)
	v_xor_b32_e32 v5, 0x80000000, v5
	v_xor_b32_e32 v6, s9, v5
	s_delay_alu instid0(VALU_DEP_1) | instskip(NEXT) | instid1(VALU_DEP_1)
	v_and_b32_e32 v6, s11, v6
	v_cmp_eq_u32_e64 s0, 0, v6
	s_delay_alu instid0(VALU_DEP_1)
	s_and_b32 exec_lo, exec_lo, s0
	s_cbranch_execz .LBB145_8
; %bb.14:                               ;   in Loop: Header=BB145_9 Depth=1
	v_bfe_u32 v5, v5, s1, 8
	s_delay_alu instid0(VALU_DEP_1)
	v_lshlrev_b32_e32 v5, 2, v5
	ds_add_u32 v5, v3
	s_branch .LBB145_8
.LBB145_15:
	s_lshl_b32 s13, s8, 8
.LBB145_16:
	s_bitcmp0_b32 s10, 0
	s_cbranch_scc1 .LBB145_21
; %bb.17:
	v_add_nc_u32_e32 v2, s13, v2
	s_delay_alu instid0(VALU_DEP_1) | instskip(NEXT) | instid1(VALU_DEP_1)
	v_cmp_gt_u32_e64 s0, s5, v2
	s_and_saveexec_b32 s5, s0
	s_cbranch_execz .LBB145_20
; %bb.18:
	v_mad_u64_u32 v[3:4], null, v2, s2, 0
	s_delay_alu instid0(VALU_DEP_1) | instskip(NEXT) | instid1(VALU_DEP_1)
	v_mad_u64_u32 v[5:6], null, v2, s3, v[4:5]
	v_mov_b32_e32 v4, v5
	s_delay_alu instid0(VALU_DEP_1) | instskip(NEXT) | instid1(VALU_DEP_1)
	v_lshlrev_b64 v[2:3], 2, v[3:4]
	v_add_co_u32 v2, s0, s4, v2
	s_delay_alu instid0(VALU_DEP_1) | instskip(SKIP_3) | instid1(VALU_DEP_1)
	v_add_co_ci_u32_e64 v3, s0, s12, v3, s0
	global_load_b32 v2, v[2:3], off
	s_waitcnt vmcnt(0)
	v_xor_b32_e32 v2, 0x80000000, v2
	v_xor_b32_e32 v3, s9, v2
	s_delay_alu instid0(VALU_DEP_1) | instskip(NEXT) | instid1(VALU_DEP_1)
	v_and_b32_e32 v3, s11, v3
	v_cmp_eq_u32_e64 s0, 0, v3
	s_delay_alu instid0(VALU_DEP_1)
	s_and_b32 exec_lo, exec_lo, s0
	s_cbranch_execz .LBB145_20
; %bb.19:
	v_bfe_u32 v2, v2, s1, 8
	s_delay_alu instid0(VALU_DEP_1)
	v_dual_mov_b32 v3, 1 :: v_dual_lshlrev_b32 v2, 2, v2
	ds_add_u32 v2, v3
.LBB145_20:
	s_or_b32 exec_lo, exec_lo, s5
.LBB145_21:
	v_mov_b32_e32 v2, 0
	s_waitcnt lgkmcnt(0)
	s_barrier
	buffer_gl0_inv
	s_and_saveexec_b32 s0, vcc_lo
	s_cbranch_execz .LBB145_23
; %bb.22:
	ds_load_b32 v2, v1
.LBB145_23:
	s_or_b32 exec_lo, exec_lo, s0
	s_and_saveexec_b32 s0, vcc_lo
	s_cbranch_execz .LBB145_25
; %bb.24:
	v_lshl_or_b32 v0, s16, 8, v0
	v_mov_b32_e32 v1, 0
	s_delay_alu instid0(VALU_DEP_1) | instskip(NEXT) | instid1(VALU_DEP_1)
	v_lshlrev_b64 v[0:1], 1, v[0:1]
	v_add_co_u32 v0, vcc_lo, s6, v0
	s_delay_alu instid0(VALU_DEP_2)
	v_add_co_ci_u32_e32 v1, vcc_lo, s7, v1, vcc_lo
	s_waitcnt lgkmcnt(0)
	global_store_b16 v[0:1], v2, off
.LBB145_25:
	s_nop 0
	s_sendmsg sendmsg(MSG_DEALLOC_VGPRS)
	s_endpgm
	.section	.rodata,"a",@progbits
	.p2align	6, 0x0
	.amdhsa_kernel _ZN2at6native6mbtopk23computeBlockDigitCountsIimjLi2EEEvNS_4cuda6detail10TensorInfoIKT_T0_EEjPjjS8_iijT1_PSB_Ps
		.amdhsa_group_segment_fixed_size 1024
		.amdhsa_private_segment_fixed_size 0
		.amdhsa_kernarg_size 736
		.amdhsa_user_sgpr_count 13
		.amdhsa_user_sgpr_dispatch_ptr 0
		.amdhsa_user_sgpr_queue_ptr 0
		.amdhsa_user_sgpr_kernarg_segment_ptr 1
		.amdhsa_user_sgpr_dispatch_id 0
		.amdhsa_user_sgpr_private_segment_size 0
		.amdhsa_wavefront_size32 1
		.amdhsa_uses_dynamic_stack 0
		.amdhsa_enable_private_segment 0
		.amdhsa_system_sgpr_workgroup_id_x 1
		.amdhsa_system_sgpr_workgroup_id_y 1
		.amdhsa_system_sgpr_workgroup_id_z 1
		.amdhsa_system_sgpr_workgroup_info 0
		.amdhsa_system_vgpr_workitem_id 0
		.amdhsa_next_free_vgpr 10
		.amdhsa_next_free_sgpr 25
		.amdhsa_reserve_vcc 1
		.amdhsa_float_round_mode_32 0
		.amdhsa_float_round_mode_16_64 0
		.amdhsa_float_denorm_mode_32 3
		.amdhsa_float_denorm_mode_16_64 3
		.amdhsa_dx10_clamp 1
		.amdhsa_ieee_mode 1
		.amdhsa_fp16_overflow 0
		.amdhsa_workgroup_processor_mode 1
		.amdhsa_memory_ordered 1
		.amdhsa_forward_progress 0
		.amdhsa_shared_vgpr_count 0
		.amdhsa_exception_fp_ieee_invalid_op 0
		.amdhsa_exception_fp_denorm_src 0
		.amdhsa_exception_fp_ieee_div_zero 0
		.amdhsa_exception_fp_ieee_overflow 0
		.amdhsa_exception_fp_ieee_underflow 0
		.amdhsa_exception_fp_ieee_inexact 0
		.amdhsa_exception_int_div_zero 0
	.end_amdhsa_kernel
	.section	.text._ZN2at6native6mbtopk23computeBlockDigitCountsIimjLi2EEEvNS_4cuda6detail10TensorInfoIKT_T0_EEjPjjS8_iijT1_PSB_Ps,"axG",@progbits,_ZN2at6native6mbtopk23computeBlockDigitCountsIimjLi2EEEvNS_4cuda6detail10TensorInfoIKT_T0_EEjPjjS8_iijT1_PSB_Ps,comdat
.Lfunc_end145:
	.size	_ZN2at6native6mbtopk23computeBlockDigitCountsIimjLi2EEEvNS_4cuda6detail10TensorInfoIKT_T0_EEjPjjS8_iijT1_PSB_Ps, .Lfunc_end145-_ZN2at6native6mbtopk23computeBlockDigitCountsIimjLi2EEEvNS_4cuda6detail10TensorInfoIKT_T0_EEjPjjS8_iijT1_PSB_Ps
                                        ; -- End function
	.section	.AMDGPU.csdata,"",@progbits
; Kernel info:
; codeLenInByte = 1288
; NumSgprs: 27
; NumVgprs: 10
; ScratchSize: 0
; MemoryBound: 0
; FloatMode: 240
; IeeeMode: 1
; LDSByteSize: 1024 bytes/workgroup (compile time only)
; SGPRBlocks: 3
; VGPRBlocks: 1
; NumSGPRsForWavesPerEU: 27
; NumVGPRsForWavesPerEU: 10
; Occupancy: 16
; WaveLimiterHint : 1
; COMPUTE_PGM_RSRC2:SCRATCH_EN: 0
; COMPUTE_PGM_RSRC2:USER_SGPR: 13
; COMPUTE_PGM_RSRC2:TRAP_HANDLER: 0
; COMPUTE_PGM_RSRC2:TGID_X_EN: 1
; COMPUTE_PGM_RSRC2:TGID_Y_EN: 1
; COMPUTE_PGM_RSRC2:TGID_Z_EN: 1
; COMPUTE_PGM_RSRC2:TIDIG_COMP_CNT: 0
	.section	.text._ZN2at6native6mbtopk10gatherTopKIimLi2EEEvNS_4cuda6detail10TensorInfoIKT_T0_EES8_S8_bjS8_NS5_IS6_S8_EES8_NS5_IlS8_EES8_jjPS6_PjSD_j,"axG",@progbits,_ZN2at6native6mbtopk10gatherTopKIimLi2EEEvNS_4cuda6detail10TensorInfoIKT_T0_EES8_S8_bjS8_NS5_IS6_S8_EES8_NS5_IlS8_EES8_jjPS6_PjSD_j,comdat
	.protected	_ZN2at6native6mbtopk10gatherTopKIimLi2EEEvNS_4cuda6detail10TensorInfoIKT_T0_EES8_S8_bjS8_NS5_IS6_S8_EES8_NS5_IlS8_EES8_jjPS6_PjSD_j ; -- Begin function _ZN2at6native6mbtopk10gatherTopKIimLi2EEEvNS_4cuda6detail10TensorInfoIKT_T0_EES8_S8_bjS8_NS5_IS6_S8_EES8_NS5_IlS8_EES8_jjPS6_PjSD_j
	.globl	_ZN2at6native6mbtopk10gatherTopKIimLi2EEEvNS_4cuda6detail10TensorInfoIKT_T0_EES8_S8_bjS8_NS5_IS6_S8_EES8_NS5_IlS8_EES8_jjPS6_PjSD_j
	.p2align	8
	.type	_ZN2at6native6mbtopk10gatherTopKIimLi2EEEvNS_4cuda6detail10TensorInfoIKT_T0_EES8_S8_bjS8_NS5_IS6_S8_EES8_NS5_IlS8_EES8_jjPS6_PjSD_j,@function
_ZN2at6native6mbtopk10gatherTopKIimLi2EEEvNS_4cuda6detail10TensorInfoIKT_T0_EES8_S8_bjS8_NS5_IS6_S8_EES8_NS5_IlS8_EES8_jjPS6_PjSD_j: ; @_ZN2at6native6mbtopk10gatherTopKIimLi2EEEvNS_4cuda6detail10TensorInfoIKT_T0_EES8_S8_bjS8_NS5_IS6_S8_EES8_NS5_IlS8_EES8_jjPS6_PjSD_j
; %bb.0:
	s_clause 0x1
	s_load_b64 s[2:3], s[0:1], 0x538
	s_load_b32 s4, s[0:1], 0x530
	s_waitcnt lgkmcnt(0)
	s_mul_i32 s3, s3, s15
	s_delay_alu instid0(SALU_CYCLE_1) | instskip(NEXT) | instid1(SALU_CYCLE_1)
	s_add_i32 s3, s3, s14
	s_mul_i32 s2, s3, s2
	s_delay_alu instid0(SALU_CYCLE_1) | instskip(NEXT) | instid1(SALU_CYCLE_1)
	s_add_i32 s2, s2, s13
	s_cmp_ge_u32 s2, s4
	s_cbranch_scc1 .LBB146_48
; %bb.1:
	s_clause 0x1
	s_load_b64 s[28:29], s[0:1], 0x510
	s_load_b64 s[38:39], s[0:1], 0x1d0
	s_mov_b32 s35, 0
	s_waitcnt lgkmcnt(0)
	v_cvt_f32_u32_e32 v1, s29
	s_sub_i32 s4, 0, s29
	s_lshl_b32 s33, s28, 8
	s_delay_alu instid0(VALU_DEP_1) | instskip(SKIP_2) | instid1(VALU_DEP_1)
	v_rcp_iflag_f32_e32 v1, v1
	s_waitcnt_depctr 0xfff
	v_mul_f32_e32 v1, 0x4f7ffffe, v1
	v_cvt_u32_f32_e32 v1, v1
	s_delay_alu instid0(VALU_DEP_1) | instskip(NEXT) | instid1(VALU_DEP_1)
	v_readfirstlane_b32 s3, v1
	s_mul_i32 s4, s4, s3
	s_delay_alu instid0(SALU_CYCLE_1) | instskip(NEXT) | instid1(SALU_CYCLE_1)
	s_mul_hi_u32 s4, s3, s4
	s_add_i32 s3, s3, s4
	s_clause 0x1
	s_load_b128 s[4:7], s[0:1], 0x1a0
	s_load_b64 s[36:37], s[0:1], 0x10
	s_mul_hi_u32 s3, s2, s3
	s_delay_alu instid0(SALU_CYCLE_1) | instskip(SKIP_2) | instid1(SALU_CYCLE_1)
	s_mul_i32 s8, s3, s29
	s_add_i32 s9, s3, 1
	s_sub_i32 s8, s2, s8
	s_sub_i32 s10, s8, s29
	s_cmp_ge_u32 s8, s29
	s_cselect_b32 s3, s9, s3
	s_cselect_b32 s8, s10, s8
	s_add_i32 s9, s3, 1
	s_cmp_ge_u32 s8, s29
	s_cselect_b32 s34, s9, s3
	s_delay_alu instid0(SALU_CYCLE_1) | instskip(NEXT) | instid1(SALU_CYCLE_1)
	s_mul_i32 s16, s34, s29
	s_sub_i32 s48, s2, s16
	s_delay_alu instid0(SALU_CYCLE_1) | instskip(NEXT) | instid1(SALU_CYCLE_1)
	s_add_i32 s2, s48, 1
	s_cmp_lt_u32 s2, s29
	s_cbranch_scc1 .LBB146_3
; %bb.2:
	s_mul_i32 s2, s48, s33
	s_waitcnt lgkmcnt(0)
	s_sub_u32 s2, s4, s2
	s_subb_u32 s3, s5, 0
	s_add_u32 s2, s2, 0xff
	s_addc_u32 s3, s3, 0
	s_delay_alu instid0(SALU_CYCLE_1) | instskip(NEXT) | instid1(SALU_CYCLE_1)
	s_ashr_i32 s8, s3, 31
	s_lshr_b32 s8, s8, 24
	s_delay_alu instid0(SALU_CYCLE_1) | instskip(SKIP_1) | instid1(SALU_CYCLE_1)
	s_add_u32 s2, s2, s8
	s_addc_u32 s3, s3, 0
	v_alignbit_b32 v1, s3, s2, 8
	s_delay_alu instid0(VALU_DEP_1)
	v_readfirstlane_b32 s28, v1
.LBB146_3:
	s_load_b64 s[40:41], s[0:1], 0x378
	s_waitcnt lgkmcnt(0)
	v_cmp_lt_u64_e64 s2, s[34:35], s[36:37]
	s_mov_b64 s[30:31], 0
	s_mov_b64 s[42:43], 0
	s_delay_alu instid0(VALU_DEP_1)
	s_and_b32 vcc_lo, exec_lo, s2
	s_cbranch_vccz .LBB146_20
; %bb.4:
	v_cmp_lt_u64_e64 s2, s[34:35], s[38:39]
	s_delay_alu instid0(VALU_DEP_1)
	s_and_b32 vcc_lo, exec_lo, s2
	s_cbranch_vccz .LBB146_21
.LBB146_5:
	v_cmp_lt_u64_e64 s2, s[34:35], s[40:41]
	s_mov_b64 s[44:45], 0
	s_delay_alu instid0(VALU_DEP_1)
	s_and_b32 vcc_lo, exec_lo, s2
	s_cbranch_vccnz .LBB146_7
.LBB146_6:
	v_cvt_f32_u32_e32 v1, s40
	s_sub_i32 s3, 0, s40
	s_waitcnt_depctr 0xfff
	v_rcp_iflag_f32_e32 v1, v1
	s_waitcnt_depctr 0xfff
	v_mul_f32_e32 v1, 0x4f7ffffe, v1
	s_delay_alu instid0(VALU_DEP_1) | instskip(NEXT) | instid1(VALU_DEP_1)
	v_cvt_u32_f32_e32 v1, v1
	v_readfirstlane_b32 s2, v1
	s_delay_alu instid0(VALU_DEP_1) | instskip(NEXT) | instid1(SALU_CYCLE_1)
	s_mul_i32 s3, s3, s2
	s_mul_hi_u32 s3, s2, s3
	s_delay_alu instid0(SALU_CYCLE_1) | instskip(NEXT) | instid1(SALU_CYCLE_1)
	s_add_i32 s2, s2, s3
	s_mul_hi_u32 s2, s34, s2
	s_delay_alu instid0(SALU_CYCLE_1) | instskip(SKIP_2) | instid1(SALU_CYCLE_1)
	s_mul_i32 s3, s2, s40
	s_add_i32 s8, s2, 1
	s_sub_i32 s3, s34, s3
	s_sub_i32 s9, s3, s40
	s_cmp_ge_u32 s3, s40
	s_cselect_b32 s2, s8, s2
	s_cselect_b32 s3, s9, s3
	s_add_i32 s8, s2, 1
	s_cmp_ge_u32 s3, s40
	s_cselect_b32 s44, s8, s2
.LBB146_7:
	s_load_b128 s[8:11], s[0:1], 0x518
	s_lshl_b64 s[2:3], s[34:35], 2
	s_mov_b32 s17, 0
	s_waitcnt lgkmcnt(0)
	s_add_u32 s2, s8, s2
	s_addc_u32 s3, s9, s3
	s_load_b64 s[46:47], s[0:1], 0x0
	s_load_b32 s31, s[2:3], 0x0
	v_cmp_ne_u32_e64 s2, 0, v0
	v_cmp_eq_u32_e64 s3, 0, v0
	s_delay_alu instid0(VALU_DEP_1)
	s_and_saveexec_b32 s22, s3
	s_cbranch_execz .LBB146_25
; %bb.8:
	s_load_b64 s[8:9], s[0:1], 0x528
	s_lshl_b64 s[18:19], s[16:17], 2
	s_mov_b32 s16, 0
	s_add_u32 s12, s10, s18
	s_addc_u32 s13, s11, s19
	s_mov_b32 s23, 0
	s_waitcnt lgkmcnt(0)
	s_add_u32 s14, s8, s18
	s_addc_u32 s15, s9, s19
	s_cmp_lt_u32 s29, 4
	s_cbranch_scc1 .LBB146_22
; %bb.9:
	s_mov_b32 s24, 0
.LBB146_10:                             ; =>This Inner Loop Header: Depth=1
	s_add_u32 s12, s10, s18
	s_addc_u32 s13, s11, s19
	s_add_u32 s20, s8, s18
	s_load_b128 s[12:15], s[12:13], 0x0
	s_addc_u32 s21, s9, s19
	s_cmp_ge_u32 s24, s48
	s_cbranch_scc0 .LBB146_17
; %bb.11:                               ;   in Loop: Header=BB146_10 Depth=1
	s_add_i32 s25, s24, 1
	s_delay_alu instid0(SALU_CYCLE_1)
	s_cmp_ge_u32 s25, s48
	s_cbranch_scc0 .LBB146_18
.LBB146_12:                             ;   in Loop: Header=BB146_10 Depth=1
	s_add_i32 s25, s25, 1
	s_delay_alu instid0(SALU_CYCLE_1)
	s_cmp_ge_u32 s25, s48
	s_cbranch_scc0 .LBB146_19
.LBB146_13:                             ;   in Loop: Header=BB146_10 Depth=1
	s_add_i32 s25, s25, 1
	s_delay_alu instid0(SALU_CYCLE_1)
	s_cmp_ge_u32 s25, s48
	s_cbranch_scc1 .LBB146_15
.LBB146_14:                             ;   in Loop: Header=BB146_10 Depth=1
	s_load_b32 s20, s[20:21], 0xc
	s_waitcnt lgkmcnt(0)
	s_add_i32 s17, s17, s15
	s_add_i32 s16, s20, s16
.LBB146_15:                             ;   in Loop: Header=BB146_10 Depth=1
	s_waitcnt lgkmcnt(0)
	s_add_i32 s12, s12, s23
	s_delay_alu instid0(SALU_CYCLE_1) | instskip(NEXT) | instid1(SALU_CYCLE_1)
	s_add_i32 s12, s12, s13
	s_add_i32 s12, s12, s14
	s_delay_alu instid0(SALU_CYCLE_1)
	s_add_i32 s23, s12, s15
	s_add_u32 s10, s10, 16
	s_addc_u32 s11, s11, 0
	s_add_u32 s8, s8, 16
	s_addc_u32 s9, s9, 0
	s_add_i32 s21, s25, 4
	s_add_u32 s14, s8, s18
	s_addc_u32 s15, s9, s19
	s_add_u32 s12, s10, s18
	s_addc_u32 s13, s11, s19
	s_add_i32 s20, s25, 1
	s_cmp_ge_u32 s21, s29
	s_cbranch_scc1 .LBB146_23
; %bb.16:                               ;   in Loop: Header=BB146_10 Depth=1
	s_mov_b32 s24, s20
	s_branch .LBB146_10
.LBB146_17:                             ;   in Loop: Header=BB146_10 Depth=1
	s_load_b32 s25, s[20:21], 0x0
	s_waitcnt lgkmcnt(0)
	s_add_i32 s17, s12, s17
	s_add_i32 s16, s25, s16
	;; [unrolled: 1-line block ×3, first 2 shown]
	s_delay_alu instid0(SALU_CYCLE_1)
	s_cmp_ge_u32 s25, s48
	s_cbranch_scc1 .LBB146_12
.LBB146_18:                             ;   in Loop: Header=BB146_10 Depth=1
	s_load_b32 s26, s[20:21], 0x4
	s_waitcnt lgkmcnt(0)
	s_add_i32 s17, s17, s13
	s_add_i32 s16, s26, s16
	;; [unrolled: 1-line block ×3, first 2 shown]
	s_delay_alu instid0(SALU_CYCLE_1)
	s_cmp_ge_u32 s25, s48
	s_cbranch_scc1 .LBB146_13
.LBB146_19:                             ;   in Loop: Header=BB146_10 Depth=1
	s_load_b32 s26, s[20:21], 0x8
	s_waitcnt lgkmcnt(0)
	s_add_i32 s17, s17, s14
	s_add_i32 s16, s26, s16
	;; [unrolled: 1-line block ×3, first 2 shown]
	s_delay_alu instid0(SALU_CYCLE_1)
	s_cmp_ge_u32 s25, s48
	s_cbranch_scc0 .LBB146_14
	s_branch .LBB146_15
.LBB146_20:
	v_cvt_f32_u32_e32 v1, s36
	s_sub_i32 s3, 0, s36
	s_delay_alu instid0(VALU_DEP_1) | instskip(SKIP_2) | instid1(VALU_DEP_1)
	v_rcp_iflag_f32_e32 v1, v1
	s_waitcnt_depctr 0xfff
	v_mul_f32_e32 v1, 0x4f7ffffe, v1
	v_cvt_u32_f32_e32 v1, v1
	s_delay_alu instid0(VALU_DEP_1) | instskip(NEXT) | instid1(VALU_DEP_1)
	v_readfirstlane_b32 s2, v1
	s_mul_i32 s3, s3, s2
	s_delay_alu instid0(SALU_CYCLE_1) | instskip(NEXT) | instid1(SALU_CYCLE_1)
	s_mul_hi_u32 s3, s2, s3
	s_add_i32 s2, s2, s3
	s_delay_alu instid0(SALU_CYCLE_1) | instskip(NEXT) | instid1(SALU_CYCLE_1)
	s_mul_hi_u32 s2, s34, s2
	s_mul_i32 s3, s2, s36
	s_add_i32 s8, s2, 1
	s_sub_i32 s3, s34, s3
	s_delay_alu instid0(SALU_CYCLE_1)
	s_sub_i32 s9, s3, s36
	s_cmp_ge_u32 s3, s36
	s_cselect_b32 s2, s8, s2
	s_cselect_b32 s3, s9, s3
	s_add_i32 s8, s2, 1
	s_cmp_ge_u32 s3, s36
	s_cselect_b32 s42, s8, s2
	v_cmp_lt_u64_e64 s2, s[34:35], s[38:39]
	s_delay_alu instid0(VALU_DEP_1)
	s_and_b32 vcc_lo, exec_lo, s2
	s_cbranch_vccnz .LBB146_5
.LBB146_21:
	v_cvt_f32_u32_e32 v1, s38
	s_sub_i32 s3, 0, s38
	s_delay_alu instid0(VALU_DEP_1) | instskip(SKIP_2) | instid1(VALU_DEP_1)
	v_rcp_iflag_f32_e32 v1, v1
	s_waitcnt_depctr 0xfff
	v_mul_f32_e32 v1, 0x4f7ffffe, v1
	v_cvt_u32_f32_e32 v1, v1
	s_delay_alu instid0(VALU_DEP_1) | instskip(NEXT) | instid1(VALU_DEP_1)
	v_readfirstlane_b32 s2, v1
	s_mul_i32 s3, s3, s2
	s_delay_alu instid0(SALU_CYCLE_1) | instskip(NEXT) | instid1(SALU_CYCLE_1)
	s_mul_hi_u32 s3, s2, s3
	s_add_i32 s2, s2, s3
	s_delay_alu instid0(SALU_CYCLE_1) | instskip(NEXT) | instid1(SALU_CYCLE_1)
	s_mul_hi_u32 s2, s34, s2
	s_mul_i32 s3, s2, s38
	s_add_i32 s8, s2, 1
	s_sub_i32 s3, s34, s3
	s_delay_alu instid0(SALU_CYCLE_1)
	s_sub_i32 s9, s3, s38
	s_cmp_ge_u32 s3, s38
	s_cselect_b32 s2, s8, s2
	s_cselect_b32 s3, s9, s3
	s_add_i32 s8, s2, 1
	s_cmp_ge_u32 s3, s38
	s_cselect_b32 s30, s8, s2
	v_cmp_lt_u64_e64 s2, s[34:35], s[40:41]
	s_mov_b64 s[44:45], 0
	s_delay_alu instid0(VALU_DEP_1)
	s_and_b32 vcc_lo, exec_lo, s2
	s_cbranch_vccz .LBB146_6
	s_branch .LBB146_7
.LBB146_22:
	s_mov_b32 s8, 0
	s_delay_alu instid0(SALU_CYCLE_1)
	s_cmp_ge_u32 s8, s29
	s_cbranch_scc0 .LBB146_46
	s_branch .LBB146_24
.LBB146_23:
	s_add_i32 s8, s24, 4
	s_delay_alu instid0(SALU_CYCLE_1)
	s_cmp_ge_u32 s8, s29
	s_cbranch_scc0 .LBB146_46
.LBB146_24:
	v_dual_mov_b32 v1, s16 :: v_dual_mov_b32 v2, s23
	v_dual_mov_b32 v3, s17 :: v_dual_mov_b32 v4, 0
	ds_store_b96 v4, v[1:3] offset:1056
.LBB146_25:
	s_or_b32 exec_lo, exec_lo, s22
	s_clause 0x4
	s_load_b128 s[8:11], s[0:1], 0x1b8
	s_load_b128 s[24:27], s[0:1], 0xd0
	;; [unrolled: 1-line block ×5, first 2 shown]
	s_cmp_eq_u32 s28, 0
	s_waitcnt lgkmcnt(0)
	s_barrier
	buffer_gl0_inv
	s_cbranch_scc1 .LBB146_48
; %bb.26:
	s_mul_i32 s29, s30, s39
	s_mul_hi_u32 s35, s30, s38
	s_mul_i32 s38, s30, s38
	s_add_i32 s35, s35, s29
	s_sub_u32 s29, s34, s38
	s_subb_u32 s35, 0, s35
	s_mul_i32 s23, s29, s23
	s_mul_hi_u32 s38, s29, s22
	s_mul_i32 s35, s35, s22
	s_add_i32 s23, s38, s23
	s_mul_i32 s38, s30, s21
	s_mul_hi_u32 s39, s30, s20
	s_add_i32 s21, s23, s35
	s_mul_i32 s23, s42, s37
	s_mul_hi_u32 s37, s42, s36
	s_mul_i32 s36, s42, s36
	s_add_i32 s35, s39, s38
	s_add_i32 s37, s37, s23
	s_sub_u32 s23, s34, s36
	s_subb_u32 s37, 0, s37
	s_mul_i32 s27, s23, s27
	s_mul_hi_u32 s36, s23, s26
	s_mul_i32 s37, s37, s26
	s_add_i32 s27, s36, s27
	s_mul_i32 s25, s42, s25
	s_mul_hi_u32 s36, s42, s24
	s_add_i32 s27, s27, s37
	s_add_i32 s25, s36, s25
	s_mul_i32 s36, s44, s41
	s_mul_hi_u32 s37, s44, s40
	s_mul_i32 s38, s44, s40
	s_add_i32 s37, s37, s36
	s_sub_u32 s38, s34, s38
	s_mul_i32 s26, s23, s26
	s_mul_i32 s19, s38, s19
	s_mul_hi_u32 s23, s38, s18
	s_subb_u32 s34, 0, s37
	v_dual_mov_b32 v5, 0 :: v_dual_add_nc_u32 v4, -1, v0
	s_add_i32 s19, s23, s19
	s_mul_i32 s34, s34, s18
	s_mul_i32 s24, s42, s24
	s_add_i32 s23, s19, s34
	s_mul_i32 s17, s44, s17
	s_mul_hi_u32 s19, s44, s16
	s_lshl_b64 s[24:25], s[24:25], 2
	ds_load_b96 v[1:3], v5 offset:1056
	s_add_i32 s37, s19, s17
	s_add_u32 s17, s46, s24
	s_addc_u32 s19, s47, s25
	s_lshl_b64 s[24:25], s[26:27], 2
	s_mul_i32 s34, s30, s20
	s_add_u32 s17, s17, s24
	s_addc_u32 s19, s19, s25
	s_lshl_b64 s[24:25], s[34:35], 2
	s_mul_i32 s20, s29, s22
	;; [unrolled: 4-line block ×4, first 2 shown]
	s_add_u32 s14, s14, s10
	s_load_b32 s21, s[0:1], 0x1b0
	s_addc_u32 s15, s15, s11
	s_lshl_b64 s[10:11], s[22:23], 3
	s_waitcnt lgkmcnt(0)
	v_add_nc_u32_e32 v1, v1, v2
	s_add_u32 s14, s14, s10
	s_addc_u32 s15, s15, s11
	s_load_b64 s[10:11], s[0:1], 0x508
	v_lshrrev_b32_e32 v2, 5, v0
	v_mad_u64_u32 v[6:7], null, s48, s33, v[0:1]
	v_lshlrev_b32_e32 v10, 3, v0
	v_lshrrev_b32_e32 v11, 2, v0
	v_lshrrev_b32_e32 v12, 5, v4
	v_mbcnt_lo_u32_b32 v8, -1, 0
	s_xor_b32 s18, s31, 0x80000000
	v_add_lshl_u32 v9, v2, v0, 2
	v_cmp_gt_u32_e64 s0, 32, v0
	v_add_lshl_u32 v0, v11, v10, 2
	v_add_lshl_u32 v10, v12, v4, 2
	v_dual_mov_b32 v4, v6 :: v_dual_and_b32 v11, 15, v8
	v_bfe_i32 v12, v8, 4, 1
	v_add_nc_u32_e32 v13, -1, v8
	s_bitcmp1_b32 s21, 0
                                        ; implicit-def: $vgpr14
	s_cselect_b32 s1, -1, 0
	s_branch .LBB146_29
.LBB146_27:                             ;   in Loop: Header=BB146_29 Depth=1
	s_or_b32 exec_lo, exec_lo, s21
	v_add_nc_u32_e32 v1, v2, v1
.LBB146_28:                             ;   in Loop: Header=BB146_29 Depth=1
	v_add_nc_u32_e32 v3, v15, v3
	v_add_nc_u32_e32 v4, 0x100, v4
	s_add_i32 s28, s28, -1
	s_delay_alu instid0(SALU_CYCLE_1)
	s_cmp_lg_u32 s28, 0
	s_cbranch_scc0 .LBB146_48
.LBB146_29:                             ; =>This Inner Loop Header: Depth=1
	v_mov_b32_e32 v2, v5
	v_mov_b32_e32 v6, v5
	s_mov_b32 s21, exec_lo
	v_cmpx_gt_u64_e64 s[4:5], v[4:5]
	s_cbranch_execz .LBB146_31
; %bb.30:                               ;   in Loop: Header=BB146_29 Depth=1
	v_mad_u64_u32 v[6:7], null, v4, s8, 0
	s_delay_alu instid0(VALU_DEP_1) | instskip(NEXT) | instid1(VALU_DEP_1)
	v_mov_b32_e32 v2, v7
	v_mad_u64_u32 v[14:15], null, v4, s9, v[2:3]
	s_delay_alu instid0(VALU_DEP_1) | instskip(NEXT) | instid1(VALU_DEP_1)
	v_mov_b32_e32 v7, v14
	v_lshlrev_b64 v[6:7], 2, v[6:7]
	s_delay_alu instid0(VALU_DEP_1) | instskip(NEXT) | instid1(VALU_DEP_2)
	v_add_co_u32 v6, vcc_lo, s17, v6
	v_add_co_ci_u32_e32 v7, vcc_lo, s19, v7, vcc_lo
	global_load_b32 v14, v[6:7], off
	s_waitcnt vmcnt(0)
	v_xor_b32_e32 v2, 0x80000000, v14
	s_delay_alu instid0(VALU_DEP_1) | instskip(SKIP_4) | instid1(VALU_DEP_2)
	v_cmp_lt_u32_e32 vcc_lo, s18, v2
	v_cndmask_b32_e64 v6, 0, 1, vcc_lo
	v_cmp_gt_u32_e32 vcc_lo, s18, v2
	v_cndmask_b32_e64 v2, 0, 1, vcc_lo
	v_cmp_eq_u32_e32 vcc_lo, s31, v14
	v_cndmask_b32_e64 v2, v2, v6, s1
	v_cndmask_b32_e64 v6, 0, 1, vcc_lo
	s_delay_alu instid0(VALU_DEP_2)
	v_and_b32_e32 v2, 1, v2
.LBB146_31:                             ;   in Loop: Header=BB146_29 Depth=1
	s_or_b32 exec_lo, exec_lo, s21
	ds_store_b32 v9, v2
	s_waitcnt lgkmcnt(0)
	s_waitcnt_vscnt null, 0x0
	s_barrier
	buffer_gl0_inv
	s_and_saveexec_b32 s21, s0
	s_cbranch_execz .LBB146_33
; %bb.32:                               ;   in Loop: Header=BB146_29 Depth=1
	ds_load_2addr_b32 v[15:16], v0 offset1:1
	ds_load_2addr_b32 v[17:18], v0 offset0:2 offset1:3
	ds_load_2addr_b32 v[19:20], v0 offset0:4 offset1:5
	;; [unrolled: 1-line block ×3, first 2 shown]
	v_cmp_ne_u32_e32 vcc_lo, 0, v11
	; wave barrier
	s_waitcnt lgkmcnt(3)
	v_add_nc_u32_e32 v7, v16, v15
	s_waitcnt lgkmcnt(2)
	s_delay_alu instid0(VALU_DEP_1) | instskip(SKIP_1) | instid1(VALU_DEP_1)
	v_add3_u32 v7, v7, v17, v18
	s_waitcnt lgkmcnt(1)
	v_add3_u32 v7, v7, v19, v20
	s_waitcnt lgkmcnt(0)
	s_delay_alu instid0(VALU_DEP_1) | instskip(NEXT) | instid1(VALU_DEP_1)
	v_add3_u32 v7, v7, v21, v22
	v_mov_b32_dpp v16, v7 row_shr:1 row_mask:0xf bank_mask:0xf
	s_delay_alu instid0(VALU_DEP_1) | instskip(SKIP_1) | instid1(VALU_DEP_2)
	v_cndmask_b32_e32 v16, 0, v16, vcc_lo
	v_cmp_lt_u32_e32 vcc_lo, 1, v11
	v_add_nc_u32_e32 v7, v16, v7
	s_delay_alu instid0(VALU_DEP_1) | instskip(NEXT) | instid1(VALU_DEP_1)
	v_mov_b32_dpp v16, v7 row_shr:2 row_mask:0xf bank_mask:0xf
	v_cndmask_b32_e32 v16, 0, v16, vcc_lo
	v_cmp_lt_u32_e32 vcc_lo, 3, v11
	s_delay_alu instid0(VALU_DEP_2) | instskip(NEXT) | instid1(VALU_DEP_1)
	v_add_nc_u32_e32 v7, v7, v16
	v_mov_b32_dpp v16, v7 row_shr:4 row_mask:0xf bank_mask:0xf
	s_delay_alu instid0(VALU_DEP_1) | instskip(SKIP_1) | instid1(VALU_DEP_2)
	v_cndmask_b32_e32 v16, 0, v16, vcc_lo
	v_cmp_lt_u32_e32 vcc_lo, 7, v11
	v_add_nc_u32_e32 v7, v7, v16
	s_delay_alu instid0(VALU_DEP_1) | instskip(NEXT) | instid1(VALU_DEP_1)
	v_mov_b32_dpp v16, v7 row_shr:8 row_mask:0xf bank_mask:0xf
	v_cndmask_b32_e32 v16, 0, v16, vcc_lo
	v_cmp_gt_i32_e32 vcc_lo, 0, v13
	s_delay_alu instid0(VALU_DEP_2)
	v_add_nc_u32_e32 v7, v7, v16
	v_cndmask_b32_e32 v17, v13, v8, vcc_lo
	ds_swizzle_b32 v16, v7 offset:swizzle(BROADCAST,32,15)
	v_lshlrev_b32_e32 v17, 2, v17
	s_waitcnt lgkmcnt(0)
	v_and_b32_e32 v16, v12, v16
	s_delay_alu instid0(VALU_DEP_1) | instskip(SKIP_3) | instid1(VALU_DEP_1)
	v_add_nc_u32_e32 v7, v7, v16
	ds_bpermute_b32 v7, v17, v7
	s_waitcnt lgkmcnt(0)
	v_add_nc_u32_e32 v7, v7, v15
	v_cndmask_b32_e64 v7, v7, v2, s3
	ds_store_b32 v0, v7
	; wave barrier
	ds_load_2addr_b32 v[15:16], v0 offset0:1 offset1:2
	ds_load_2addr_b32 v[17:18], v0 offset0:3 offset1:4
	ds_load_2addr_b32 v[19:20], v0 offset0:5 offset1:6
	ds_load_b32 v21, v0 offset:28
	s_waitcnt lgkmcnt(3)
	v_add_nc_u32_e32 v7, v15, v7
	s_delay_alu instid0(VALU_DEP_1) | instskip(SKIP_1) | instid1(VALU_DEP_1)
	v_add_nc_u32_e32 v15, v16, v7
	s_waitcnt lgkmcnt(2)
	v_add_nc_u32_e32 v16, v17, v15
	s_delay_alu instid0(VALU_DEP_1) | instskip(SKIP_1) | instid1(VALU_DEP_1)
	v_add_nc_u32_e32 v17, v18, v16
	;; [unrolled: 4-line block ×3, first 2 shown]
	s_waitcnt lgkmcnt(0)
	v_add_nc_u32_e32 v20, v21, v19
	ds_store_2addr_b32 v0, v7, v15 offset0:1 offset1:2
	ds_store_2addr_b32 v0, v16, v17 offset0:3 offset1:4
	;; [unrolled: 1-line block ×3, first 2 shown]
	ds_store_b32 v0, v20 offset:28
.LBB146_33:                             ;   in Loop: Header=BB146_29 Depth=1
	s_or_b32 exec_lo, exec_lo, s21
	v_mov_b32_e32 v7, 0
	s_waitcnt lgkmcnt(0)
	s_barrier
	buffer_gl0_inv
	s_and_saveexec_b32 s21, s2
	s_cbranch_execz .LBB146_35
; %bb.34:                               ;   in Loop: Header=BB146_29 Depth=1
	ds_load_b32 v7, v10
.LBB146_35:                             ;   in Loop: Header=BB146_29 Depth=1
	s_or_b32 exec_lo, exec_lo, s21
	ds_load_b32 v15, v5 offset:1048
	s_mov_b32 s21, exec_lo
	s_waitcnt lgkmcnt(0)
	s_barrier
	buffer_gl0_inv
	v_cmpx_ne_u32_e32 0, v2
	s_cbranch_execz .LBB146_37
; %bb.36:                               ;   in Loop: Header=BB146_29 Depth=1
	v_add_nc_u32_e32 v22, v7, v3
	s_delay_alu instid0(VALU_DEP_1) | instskip(SKIP_1) | instid1(VALU_DEP_1)
	v_mad_u64_u32 v[16:17], null, v22, s12, 0
	v_mad_u64_u32 v[18:19], null, v22, s10, 0
	v_dual_mov_b32 v2, v17 :: v_dual_mov_b32 v7, v19
	s_delay_alu instid0(VALU_DEP_1) | instskip(NEXT) | instid1(VALU_DEP_2)
	v_mad_u64_u32 v[19:20], null, v22, s13, v[2:3]
	v_mad_u64_u32 v[20:21], null, v22, s11, v[7:8]
	s_delay_alu instid0(VALU_DEP_2) | instskip(NEXT) | instid1(VALU_DEP_2)
	v_mov_b32_e32 v17, v19
	v_mov_b32_e32 v19, v20
	s_delay_alu instid0(VALU_DEP_2) | instskip(NEXT) | instid1(VALU_DEP_2)
	v_lshlrev_b64 v[16:17], 2, v[16:17]
	v_lshlrev_b64 v[18:19], 3, v[18:19]
	s_delay_alu instid0(VALU_DEP_2) | instskip(NEXT) | instid1(VALU_DEP_3)
	v_add_co_u32 v16, vcc_lo, s16, v16
	v_add_co_ci_u32_e32 v17, vcc_lo, s20, v17, vcc_lo
	s_delay_alu instid0(VALU_DEP_3) | instskip(NEXT) | instid1(VALU_DEP_4)
	v_add_co_u32 v18, vcc_lo, s14, v18
	v_add_co_ci_u32_e32 v19, vcc_lo, s15, v19, vcc_lo
	global_store_b32 v[16:17], v14, off
	global_store_b64 v[18:19], v[4:5], off
.LBB146_37:                             ;   in Loop: Header=BB146_29 Depth=1
	s_or_b32 exec_lo, exec_lo, s21
	v_mov_b32_e32 v2, v5
	s_delay_alu instid0(VALU_DEP_1)
	v_cmp_le_u64_e32 vcc_lo, s[6:7], v[1:2]
	s_cbranch_vccnz .LBB146_28
; %bb.38:                               ;   in Loop: Header=BB146_29 Depth=1
	ds_store_b32 v9, v6
	s_waitcnt lgkmcnt(0)
	s_waitcnt_vscnt null, 0x0
	s_barrier
	buffer_gl0_inv
	s_and_saveexec_b32 s21, s0
	s_cbranch_execz .LBB146_40
; %bb.39:                               ;   in Loop: Header=BB146_29 Depth=1
	ds_load_2addr_b32 v[16:17], v0 offset1:1
	ds_load_2addr_b32 v[18:19], v0 offset0:2 offset1:3
	ds_load_2addr_b32 v[20:21], v0 offset0:4 offset1:5
	;; [unrolled: 1-line block ×3, first 2 shown]
	v_cmp_ne_u32_e32 vcc_lo, 0, v11
	; wave barrier
	s_waitcnt lgkmcnt(3)
	v_add_nc_u32_e32 v2, v17, v16
	s_waitcnt lgkmcnt(2)
	s_delay_alu instid0(VALU_DEP_1) | instskip(SKIP_1) | instid1(VALU_DEP_1)
	v_add3_u32 v2, v2, v18, v19
	s_waitcnt lgkmcnt(1)
	v_add3_u32 v2, v2, v20, v21
	s_waitcnt lgkmcnt(0)
	s_delay_alu instid0(VALU_DEP_1) | instskip(NEXT) | instid1(VALU_DEP_1)
	v_add3_u32 v2, v2, v22, v23
	v_mov_b32_dpp v7, v2 row_shr:1 row_mask:0xf bank_mask:0xf
	s_delay_alu instid0(VALU_DEP_1) | instskip(SKIP_1) | instid1(VALU_DEP_2)
	v_cndmask_b32_e32 v7, 0, v7, vcc_lo
	v_cmp_lt_u32_e32 vcc_lo, 1, v11
	v_add_nc_u32_e32 v2, v7, v2
	s_delay_alu instid0(VALU_DEP_1) | instskip(NEXT) | instid1(VALU_DEP_1)
	v_mov_b32_dpp v7, v2 row_shr:2 row_mask:0xf bank_mask:0xf
	v_cndmask_b32_e32 v7, 0, v7, vcc_lo
	v_cmp_lt_u32_e32 vcc_lo, 3, v11
	s_delay_alu instid0(VALU_DEP_2) | instskip(NEXT) | instid1(VALU_DEP_1)
	v_add_nc_u32_e32 v2, v2, v7
	v_mov_b32_dpp v7, v2 row_shr:4 row_mask:0xf bank_mask:0xf
	s_delay_alu instid0(VALU_DEP_1) | instskip(SKIP_1) | instid1(VALU_DEP_2)
	v_cndmask_b32_e32 v7, 0, v7, vcc_lo
	v_cmp_lt_u32_e32 vcc_lo, 7, v11
	v_add_nc_u32_e32 v2, v2, v7
	s_delay_alu instid0(VALU_DEP_1) | instskip(NEXT) | instid1(VALU_DEP_1)
	v_mov_b32_dpp v7, v2 row_shr:8 row_mask:0xf bank_mask:0xf
	v_cndmask_b32_e32 v7, 0, v7, vcc_lo
	v_cmp_gt_i32_e32 vcc_lo, 0, v13
	s_delay_alu instid0(VALU_DEP_2) | instskip(SKIP_4) | instid1(VALU_DEP_1)
	v_dual_cndmask_b32 v17, v13, v8 :: v_dual_add_nc_u32 v2, v2, v7
	ds_swizzle_b32 v7, v2 offset:swizzle(BROADCAST,32,15)
	v_lshlrev_b32_e32 v17, 2, v17
	s_waitcnt lgkmcnt(0)
	v_and_b32_e32 v7, v12, v7
	v_add_nc_u32_e32 v2, v2, v7
	ds_bpermute_b32 v2, v17, v2
	s_waitcnt lgkmcnt(0)
	v_add_nc_u32_e32 v2, v2, v16
	s_delay_alu instid0(VALU_DEP_1)
	v_cndmask_b32_e64 v2, v2, v6, s3
	ds_store_b32 v0, v2
	; wave barrier
	ds_load_2addr_b32 v[16:17], v0 offset0:1 offset1:2
	ds_load_2addr_b32 v[18:19], v0 offset0:3 offset1:4
	;; [unrolled: 1-line block ×3, first 2 shown]
	ds_load_b32 v7, v0 offset:28
	s_waitcnt lgkmcnt(3)
	v_add_nc_u32_e32 v2, v16, v2
	s_delay_alu instid0(VALU_DEP_1) | instskip(SKIP_1) | instid1(VALU_DEP_1)
	v_add_nc_u32_e32 v16, v17, v2
	s_waitcnt lgkmcnt(2)
	v_add_nc_u32_e32 v17, v18, v16
	s_delay_alu instid0(VALU_DEP_1) | instskip(SKIP_1) | instid1(VALU_DEP_1)
	v_add_nc_u32_e32 v18, v19, v17
	;; [unrolled: 4-line block ×3, first 2 shown]
	s_waitcnt lgkmcnt(0)
	v_add_nc_u32_e32 v7, v7, v20
	ds_store_2addr_b32 v0, v2, v16 offset0:1 offset1:2
	ds_store_2addr_b32 v0, v17, v18 offset0:3 offset1:4
	;; [unrolled: 1-line block ×3, first 2 shown]
	ds_store_b32 v0, v7 offset:28
.LBB146_40:                             ;   in Loop: Header=BB146_29 Depth=1
	s_or_b32 exec_lo, exec_lo, s21
	v_mov_b32_e32 v7, 0
	s_waitcnt lgkmcnt(0)
	s_barrier
	buffer_gl0_inv
	s_and_saveexec_b32 s21, s2
	s_cbranch_execz .LBB146_42
; %bb.41:                               ;   in Loop: Header=BB146_29 Depth=1
	ds_load_b32 v7, v10
.LBB146_42:                             ;   in Loop: Header=BB146_29 Depth=1
	s_or_b32 exec_lo, exec_lo, s21
	ds_load_b32 v2, v5 offset:1048
	s_mov_b32 s21, exec_lo
	s_waitcnt lgkmcnt(0)
	s_barrier
	buffer_gl0_inv
	v_cmpx_ne_u32_e32 0, v6
	s_cbranch_execz .LBB146_27
; %bb.43:                               ;   in Loop: Header=BB146_29 Depth=1
	v_dual_mov_b32 v7, v5 :: v_dual_add_nc_u32 v6, v7, v1
	s_delay_alu instid0(VALU_DEP_1)
	v_cmp_gt_u64_e32 vcc_lo, s[6:7], v[6:7]
	s_and_b32 exec_lo, exec_lo, vcc_lo
	s_cbranch_execz .LBB146_27
; %bb.44:                               ;   in Loop: Header=BB146_29 Depth=1
	v_mad_u64_u32 v[16:17], null, v6, s12, 0
	v_mad_u64_u32 v[18:19], null, v6, s10, 0
	s_delay_alu instid0(VALU_DEP_2) | instskip(NEXT) | instid1(VALU_DEP_2)
	v_mov_b32_e32 v7, v17
	v_mov_b32_e32 v17, v19
	s_delay_alu instid0(VALU_DEP_2) | instskip(NEXT) | instid1(VALU_DEP_2)
	v_mad_u64_u32 v[19:20], null, v6, s13, v[7:8]
	v_mad_u64_u32 v[20:21], null, v6, s11, v[17:18]
	s_delay_alu instid0(VALU_DEP_2) | instskip(NEXT) | instid1(VALU_DEP_2)
	v_mov_b32_e32 v17, v19
	v_mov_b32_e32 v19, v20
	s_delay_alu instid0(VALU_DEP_2) | instskip(NEXT) | instid1(VALU_DEP_2)
	v_lshlrev_b64 v[6:7], 2, v[16:17]
	v_lshlrev_b64 v[16:17], 3, v[18:19]
	s_delay_alu instid0(VALU_DEP_2) | instskip(NEXT) | instid1(VALU_DEP_3)
	v_add_co_u32 v6, vcc_lo, s16, v6
	v_add_co_ci_u32_e32 v7, vcc_lo, s20, v7, vcc_lo
	s_delay_alu instid0(VALU_DEP_3) | instskip(NEXT) | instid1(VALU_DEP_4)
	v_add_co_u32 v16, vcc_lo, s14, v16
	v_add_co_ci_u32_e32 v17, vcc_lo, s15, v17, vcc_lo
	global_store_b32 v[6:7], v14, off
	global_store_b64 v[16:17], v[4:5], off
	s_branch .LBB146_27
	.p2align	6
.LBB146_45:                             ;   in Loop: Header=BB146_46 Depth=1
	s_add_u32 s12, s12, 4
	s_addc_u32 s13, s13, 0
	s_waitcnt lgkmcnt(0)
	s_add_i32 s23, s9, s23
	s_add_u32 s14, s14, 4
	s_addc_u32 s15, s15, 0
	s_add_i32 s8, s8, 1
	s_delay_alu instid0(SALU_CYCLE_1)
	s_cmp_lt_u32 s8, s29
	s_cbranch_scc0 .LBB146_24
.LBB146_46:                             ; =>This Inner Loop Header: Depth=1
	s_load_b32 s9, s[12:13], 0x0
	s_cmp_ge_u32 s8, s48
	s_cbranch_scc1 .LBB146_45
; %bb.47:                               ;   in Loop: Header=BB146_46 Depth=1
	s_load_b32 s10, s[14:15], 0x0
	s_waitcnt lgkmcnt(0)
	s_add_i32 s17, s9, s17
	s_add_i32 s16, s10, s16
	s_branch .LBB146_45
.LBB146_48:
	s_nop 0
	s_sendmsg sendmsg(MSG_DEALLOC_VGPRS)
	s_endpgm
	.section	.rodata,"a",@progbits
	.p2align	6, 0x0
	.amdhsa_kernel _ZN2at6native6mbtopk10gatherTopKIimLi2EEEvNS_4cuda6detail10TensorInfoIKT_T0_EES8_S8_bjS8_NS5_IS6_S8_EES8_NS5_IlS8_EES8_jjPS6_PjSD_j
		.amdhsa_group_segment_fixed_size 1068
		.amdhsa_private_segment_fixed_size 0
		.amdhsa_kernarg_size 1592
		.amdhsa_user_sgpr_count 13
		.amdhsa_user_sgpr_dispatch_ptr 0
		.amdhsa_user_sgpr_queue_ptr 0
		.amdhsa_user_sgpr_kernarg_segment_ptr 1
		.amdhsa_user_sgpr_dispatch_id 0
		.amdhsa_user_sgpr_private_segment_size 0
		.amdhsa_wavefront_size32 1
		.amdhsa_uses_dynamic_stack 0
		.amdhsa_enable_private_segment 0
		.amdhsa_system_sgpr_workgroup_id_x 1
		.amdhsa_system_sgpr_workgroup_id_y 1
		.amdhsa_system_sgpr_workgroup_id_z 1
		.amdhsa_system_sgpr_workgroup_info 0
		.amdhsa_system_vgpr_workitem_id 0
		.amdhsa_next_free_vgpr 24
		.amdhsa_next_free_sgpr 49
		.amdhsa_reserve_vcc 1
		.amdhsa_float_round_mode_32 0
		.amdhsa_float_round_mode_16_64 0
		.amdhsa_float_denorm_mode_32 3
		.amdhsa_float_denorm_mode_16_64 3
		.amdhsa_dx10_clamp 1
		.amdhsa_ieee_mode 1
		.amdhsa_fp16_overflow 0
		.amdhsa_workgroup_processor_mode 1
		.amdhsa_memory_ordered 1
		.amdhsa_forward_progress 0
		.amdhsa_shared_vgpr_count 0
		.amdhsa_exception_fp_ieee_invalid_op 0
		.amdhsa_exception_fp_denorm_src 0
		.amdhsa_exception_fp_ieee_div_zero 0
		.amdhsa_exception_fp_ieee_overflow 0
		.amdhsa_exception_fp_ieee_underflow 0
		.amdhsa_exception_fp_ieee_inexact 0
		.amdhsa_exception_int_div_zero 0
	.end_amdhsa_kernel
	.section	.text._ZN2at6native6mbtopk10gatherTopKIimLi2EEEvNS_4cuda6detail10TensorInfoIKT_T0_EES8_S8_bjS8_NS5_IS6_S8_EES8_NS5_IlS8_EES8_jjPS6_PjSD_j,"axG",@progbits,_ZN2at6native6mbtopk10gatherTopKIimLi2EEEvNS_4cuda6detail10TensorInfoIKT_T0_EES8_S8_bjS8_NS5_IS6_S8_EES8_NS5_IlS8_EES8_jjPS6_PjSD_j,comdat
.Lfunc_end146:
	.size	_ZN2at6native6mbtopk10gatherTopKIimLi2EEEvNS_4cuda6detail10TensorInfoIKT_T0_EES8_S8_bjS8_NS5_IS6_S8_EES8_NS5_IlS8_EES8_jjPS6_PjSD_j, .Lfunc_end146-_ZN2at6native6mbtopk10gatherTopKIimLi2EEEvNS_4cuda6detail10TensorInfoIKT_T0_EES8_S8_bjS8_NS5_IS6_S8_EES8_NS5_IlS8_EES8_jjPS6_PjSD_j
                                        ; -- End function
	.section	.AMDGPU.csdata,"",@progbits
; Kernel info:
; codeLenInByte = 3304
; NumSgprs: 51
; NumVgprs: 24
; ScratchSize: 0
; MemoryBound: 0
; FloatMode: 240
; IeeeMode: 1
; LDSByteSize: 1068 bytes/workgroup (compile time only)
; SGPRBlocks: 6
; VGPRBlocks: 2
; NumSGPRsForWavesPerEU: 51
; NumVGPRsForWavesPerEU: 24
; Occupancy: 16
; WaveLimiterHint : 1
; COMPUTE_PGM_RSRC2:SCRATCH_EN: 0
; COMPUTE_PGM_RSRC2:USER_SGPR: 13
; COMPUTE_PGM_RSRC2:TRAP_HANDLER: 0
; COMPUTE_PGM_RSRC2:TGID_X_EN: 1
; COMPUTE_PGM_RSRC2:TGID_Y_EN: 1
; COMPUTE_PGM_RSRC2:TGID_Z_EN: 1
; COMPUTE_PGM_RSRC2:TIDIG_COMP_CNT: 0
	.section	.text._ZN2at6native6sbtopk10gatherTopKIimLi2ELb0EEEvNS_4cuda6detail10TensorInfoIKT_T0_EES8_S8_bS8_S8_NS5_IS6_S8_EES8_NS5_IlS8_EES8_PS6_,"axG",@progbits,_ZN2at6native6sbtopk10gatherTopKIimLi2ELb0EEEvNS_4cuda6detail10TensorInfoIKT_T0_EES8_S8_bS8_S8_NS5_IS6_S8_EES8_NS5_IlS8_EES8_PS6_,comdat
	.protected	_ZN2at6native6sbtopk10gatherTopKIimLi2ELb0EEEvNS_4cuda6detail10TensorInfoIKT_T0_EES8_S8_bS8_S8_NS5_IS6_S8_EES8_NS5_IlS8_EES8_PS6_ ; -- Begin function _ZN2at6native6sbtopk10gatherTopKIimLi2ELb0EEEvNS_4cuda6detail10TensorInfoIKT_T0_EES8_S8_bS8_S8_NS5_IS6_S8_EES8_NS5_IlS8_EES8_PS6_
	.globl	_ZN2at6native6sbtopk10gatherTopKIimLi2ELb0EEEvNS_4cuda6detail10TensorInfoIKT_T0_EES8_S8_bS8_S8_NS5_IS6_S8_EES8_NS5_IlS8_EES8_PS6_
	.p2align	8
	.type	_ZN2at6native6sbtopk10gatherTopKIimLi2ELb0EEEvNS_4cuda6detail10TensorInfoIKT_T0_EES8_S8_bS8_S8_NS5_IS6_S8_EES8_NS5_IlS8_EES8_PS6_,@function
_ZN2at6native6sbtopk10gatherTopKIimLi2ELb0EEEvNS_4cuda6detail10TensorInfoIKT_T0_EES8_S8_bS8_S8_NS5_IS6_S8_EES8_NS5_IlS8_EES8_PS6_: ; @_ZN2at6native6sbtopk10gatherTopKIimLi2ELb0EEEvNS_4cuda6detail10TensorInfoIKT_T0_EES8_S8_bS8_S8_NS5_IS6_S8_EES8_NS5_IlS8_EES8_PS6_
; %bb.0:
	s_clause 0x1
	s_load_b64 s[18:19], s[0:1], 0x520
	s_load_b128 s[28:31], s[0:1], 0x1b8
	s_add_u32 s16, s0, 0x520
	s_addc_u32 s17, s1, 0
	s_mov_b32 s35, 0
	s_waitcnt lgkmcnt(0)
	s_mul_i32 s2, s19, s15
	s_delay_alu instid0(SALU_CYCLE_1) | instskip(NEXT) | instid1(SALU_CYCLE_1)
	s_add_i32 s2, s2, s14
	s_mul_i32 s2, s2, s18
	s_delay_alu instid0(SALU_CYCLE_1) | instskip(NEXT) | instid1(SALU_CYCLE_1)
	s_add_i32 s34, s2, s13
	v_cmp_ge_u64_e64 s2, s[34:35], s[28:29]
	s_delay_alu instid0(VALU_DEP_1)
	s_and_b32 vcc_lo, exec_lo, s2
	s_cbranch_vccnz .LBB147_544
; %bb.1:
	s_clause 0x2
	s_load_b64 s[6:7], s[0:1], 0x10
	s_load_b64 s[28:29], s[0:1], 0x380
	;; [unrolled: 1-line block ×3, first 2 shown]
	s_mov_b64 s[48:49], 0
	s_waitcnt lgkmcnt(0)
	v_cmp_lt_u64_e64 s2, s[34:35], s[6:7]
	s_delay_alu instid0(VALU_DEP_1)
	s_and_b32 vcc_lo, exec_lo, s2
	s_mov_b64 s[2:3], 0
	s_cbranch_vccnz .LBB147_3
; %bb.2:
	v_cvt_f32_u32_e32 v1, s6
	s_sub_i32 s3, 0, s6
	s_delay_alu instid0(VALU_DEP_1) | instskip(SKIP_2) | instid1(VALU_DEP_1)
	v_rcp_iflag_f32_e32 v1, v1
	s_waitcnt_depctr 0xfff
	v_mul_f32_e32 v1, 0x4f7ffffe, v1
	v_cvt_u32_f32_e32 v1, v1
	s_delay_alu instid0(VALU_DEP_1) | instskip(NEXT) | instid1(VALU_DEP_1)
	v_readfirstlane_b32 s2, v1
	s_mul_i32 s3, s3, s2
	s_delay_alu instid0(SALU_CYCLE_1) | instskip(NEXT) | instid1(SALU_CYCLE_1)
	s_mul_hi_u32 s3, s2, s3
	s_add_i32 s2, s2, s3
	s_delay_alu instid0(SALU_CYCLE_1) | instskip(NEXT) | instid1(SALU_CYCLE_1)
	s_mul_hi_u32 s2, s34, s2
	s_mul_i32 s3, s2, s6
	s_add_i32 s4, s2, 1
	s_sub_i32 s3, s34, s3
	s_delay_alu instid0(SALU_CYCLE_1)
	s_sub_i32 s5, s3, s6
	s_cmp_ge_u32 s3, s6
	s_cselect_b32 s2, s4, s2
	s_cselect_b32 s3, s5, s3
	s_add_i32 s4, s2, 1
	s_cmp_ge_u32 s3, s6
	s_cselect_b32 s2, s4, s2
.LBB147_3:
	v_cmp_lt_u64_e64 s3, s[34:35], s[50:51]
	s_delay_alu instid0(VALU_DEP_1)
	s_and_b32 vcc_lo, exec_lo, s3
	s_cbranch_vccnz .LBB147_5
; %bb.4:
	v_cvt_f32_u32_e32 v1, s50
	s_sub_i32 s4, 0, s50
	s_delay_alu instid0(VALU_DEP_1) | instskip(SKIP_2) | instid1(VALU_DEP_1)
	v_rcp_iflag_f32_e32 v1, v1
	s_waitcnt_depctr 0xfff
	v_mul_f32_e32 v1, 0x4f7ffffe, v1
	v_cvt_u32_f32_e32 v1, v1
	s_delay_alu instid0(VALU_DEP_1) | instskip(NEXT) | instid1(VALU_DEP_1)
	v_readfirstlane_b32 s3, v1
	s_mul_i32 s4, s4, s3
	s_delay_alu instid0(SALU_CYCLE_1) | instskip(NEXT) | instid1(SALU_CYCLE_1)
	s_mul_hi_u32 s4, s3, s4
	s_add_i32 s3, s3, s4
	s_delay_alu instid0(SALU_CYCLE_1) | instskip(NEXT) | instid1(SALU_CYCLE_1)
	s_mul_hi_u32 s3, s34, s3
	s_mul_i32 s4, s3, s50
	s_add_i32 s5, s3, 1
	s_sub_i32 s4, s34, s4
	s_delay_alu instid0(SALU_CYCLE_1)
	s_sub_i32 s8, s4, s50
	s_cmp_ge_u32 s4, s50
	s_cselect_b32 s3, s5, s3
	s_cselect_b32 s4, s8, s4
	s_add_i32 s5, s3, 1
	s_cmp_ge_u32 s4, s50
	s_cselect_b32 s48, s5, s3
.LBB147_5:
	s_load_b64 s[14:15], s[0:1], 0x0
	v_cmp_lt_u64_e64 s3, s[34:35], s[28:29]
	s_mov_b64 s[52:53], 0
	s_delay_alu instid0(VALU_DEP_1)
	s_and_b32 vcc_lo, exec_lo, s3
	s_cbranch_vccnz .LBB147_7
; %bb.6:
	v_cvt_f32_u32_e32 v1, s28
	s_sub_i32 s4, 0, s28
	s_delay_alu instid0(VALU_DEP_1) | instskip(SKIP_2) | instid1(VALU_DEP_1)
	v_rcp_iflag_f32_e32 v1, v1
	s_waitcnt_depctr 0xfff
	v_mul_f32_e32 v1, 0x4f7ffffe, v1
	v_cvt_u32_f32_e32 v1, v1
	s_delay_alu instid0(VALU_DEP_1) | instskip(NEXT) | instid1(VALU_DEP_1)
	v_readfirstlane_b32 s3, v1
	s_mul_i32 s4, s4, s3
	s_delay_alu instid0(SALU_CYCLE_1) | instskip(NEXT) | instid1(SALU_CYCLE_1)
	s_mul_hi_u32 s4, s3, s4
	s_add_i32 s3, s3, s4
	s_delay_alu instid0(SALU_CYCLE_1) | instskip(NEXT) | instid1(SALU_CYCLE_1)
	s_mul_hi_u32 s3, s34, s3
	s_mul_i32 s4, s3, s28
	s_add_i32 s5, s3, 1
	s_sub_i32 s4, s34, s4
	s_delay_alu instid0(SALU_CYCLE_1)
	s_sub_i32 s8, s4, s28
	s_cmp_ge_u32 s4, s28
	s_cselect_b32 s3, s5, s3
	s_cselect_b32 s4, s8, s4
	s_add_i32 s5, s3, 1
	s_cmp_ge_u32 s4, s28
	s_cselect_b32 s52, s5, s3
.LBB147_7:
	s_clause 0x3
	s_load_b64 s[102:103], s[0:1], 0x370
	s_load_b64 s[56:57], s[0:1], 0x1c8
	s_load_b128 s[8:11], s[0:1], 0xd0
	s_load_b128 s[36:39], s[0:1], 0x1a0
	v_cmp_eq_u32_e64 s5, 0, v0
	s_mov_b32 s59, 0
	s_delay_alu instid0(VALU_DEP_1)
	s_and_saveexec_b32 s3, s5
	s_cbranch_execz .LBB147_9
; %bb.8:
	s_waitcnt lgkmcnt(0)
	v_dual_mov_b32 v1, 0 :: v_dual_mov_b32 v4, s37
	s_delay_alu instid0(VALU_DEP_1)
	v_dual_mov_b32 v3, s36 :: v_dual_mov_b32 v2, v1
	ds_store_b32 v1, v1 offset:5144
	ds_store_b128 v1, v[1:4] offset:5120
.LBB147_9:
	s_or_b32 exec_lo, exec_lo, s3
	s_mul_i32 s3, s2, s7
	s_mul_hi_u32 s4, s2, s6
	s_mul_i32 s6, s2, s6
	s_add_i32 s4, s4, s3
	s_sub_u32 s6, s34, s6
	s_subb_u32 s4, 0, s4
	s_waitcnt lgkmcnt(0)
	s_mul_i32 s3, s6, s11
	s_mul_hi_u32 s7, s6, s10
	s_mul_i32 s4, s4, s10
	s_add_i32 s7, s7, s3
	s_mul_i32 s3, s2, s9
	s_mul_hi_u32 s9, s2, s8
	s_mul_i32 s2, s2, s8
	s_add_i32 s3, s9, s3
	s_clause 0x1
	s_load_b32 s11, s[0:1], 0x1b0
	s_load_b128 s[44:47], s[0:1], 0x298
	s_lshl_b64 s[2:3], s[2:3], 2
	s_add_i32 s7, s7, s4
	s_mul_i32 s6, s6, s10
	s_add_u32 s4, s14, s2
	v_mad_u64_u32 v[2:3], null, v0, s30, 0
	s_addc_u32 s8, s15, s3
	s_lshl_b64 s[2:3], s[6:7], 2
	s_waitcnt lgkmcnt(0)
	s_barrier
	buffer_gl0_inv
	s_load_b32 s7, s[16:17], 0xc
	v_dual_mov_b32 v1, v3 :: v_dual_lshlrev_b32 v14, 2, v0
	v_mbcnt_lo_u32_b32 v26, -1, 0
	s_add_u32 s33, s4, s2
	s_addc_u32 s35, s8, s3
	s_delay_alu instid0(VALU_DEP_2)
	v_mad_u64_u32 v[3:4], null, v0, s31, v[1:2]
	v_cmp_gt_u32_e32 vcc_lo, 32, v0
	v_cmp_gt_i32_e64 s4, 4, v26
	s_bitcmp1_b32 s11, 0
	s_load_b128 s[40:43], s[0:1], 0x440
	s_cselect_b32 s3, -1, 0
	v_dual_mov_b32 v13, 0 :: v_dual_add_nc_u32 v28, 0xc00, v14
	s_xor_b32 s53, s3, -1
	v_lshlrev_b64 v[2:3], 2, v[2:3]
	s_and_b32 s72, vcc_lo, s4
	s_delay_alu instid0(VALU_DEP_2)
	v_mov_b32_e32 v1, v13
	v_lshrrev_b32_e32 v4, 3, v0
	s_waitcnt lgkmcnt(0)
	s_and_b32 s49, s7, 0xffff
	s_bfe_u32 s8, s7, 0xb0005
	s_add_u32 s74, s49, -1
	s_addc_u32 s75, 0, -1
	s_add_u32 s76, s74, s36
	s_addc_u32 s27, s75, s37
	s_cmp_lt_u32 s13, s18
	v_add_co_u32 v10, vcc_lo, s33, v2
	s_cselect_b32 s9, 12, 18
	v_add_co_ci_u32_e32 v11, vcc_lo, s35, v3, vcc_lo
	v_lshlrev_b64 v[2:3], v26, -1
	s_add_u32 s60, s16, s9
	s_addc_u32 s61, s17, 0
	s_add_i32 s9, s8, -1
	s_bfe_u32 s77, s49, 0x30005
	s_cmp_gt_u32 s9, 6
	v_dual_mov_b32 v19, s38 :: v_dual_mov_b32 v20, s39
	v_cmp_lt_u64_e64 s73, 0x300, s[36:37]
	v_cmp_gt_u64_e64 s4, s[36:37], v[0:1]
	v_cmp_eq_u32_e64 s2, 0, v26
	v_dual_mov_b32 v15, v13 :: v_dual_mov_b32 v16, 1
	v_dual_mov_b32 v18, 0 :: v_dual_and_b32 v27, 0x7c, v4
	v_cmp_gt_u32_e64 s6, 2, v0
	v_not_b32_e32 v25, v2
	s_cselect_b32 s78, -1, 0
	s_and_b32 s79, s8, 0x7f8
	v_cmp_gt_u16_e64 s80, s7, 31
	v_dual_mov_b32 v32, 0 :: v_dual_lshlrev_b32 v29, 4, v0
	v_lshl_or_b32 v30, v26, 3, 0xc00
	v_mov_b32_e32 v31, 0
	s_cmp_lg_u32 s77, 0
	s_mov_b32 s89, 30
	s_cselect_b32 s81, -1, 0
	s_lshl_b32 s82, s49, 2
	s_mov_b32 s83, 0
	s_mov_b32 s85, 0
                                        ; implicit-def: $sgpr84
                                        ; implicit-def: $sgpr88
                                        ; implicit-def: $sgpr87
                                        ; implicit-def: $sgpr90
                                        ; implicit-def: $sgpr86
                                        ; implicit-def: $sgpr91
                                        ; implicit-def: $sgpr93
                                        ; implicit-def: $sgpr92
                                        ; implicit-def: $sgpr94
                                        ; implicit-def: $sgpr95
	s_branch .LBB147_12
.LBB147_10:                             ;   in Loop: Header=BB147_12 Depth=1
	s_or_b32 exec_lo, exec_lo, s10
	v_dual_mov_b32 v31, v22 :: v_dual_mov_b32 v32, v21
	v_dual_mov_b32 v20, v5 :: v_dual_mov_b32 v19, v4
	v_mov_b32_e32 v18, v3
	s_and_not1_b32 s10, s95, exec_lo
	s_and_b32 s9, s9, exec_lo
	s_and_not1_b32 s94, s94, exec_lo
	s_or_b32 s95, s10, s9
	s_and_not1_b32 s92, s92, exec_lo
	s_and_not1_b32 s93, s93, exec_lo
	;; [unrolled: 1-line block ×3, first 2 shown]
	s_or_not1_b32 s8, s8, exec_lo
.LBB147_11:                             ;   in Loop: Header=BB147_12 Depth=1
	s_or_b32 exec_lo, exec_lo, s7
	s_delay_alu instid0(SALU_CYCLE_1) | instskip(NEXT) | instid1(SALU_CYCLE_1)
	s_and_b32 s7, exec_lo, s8
	s_or_b32 s83, s7, s83
	s_and_not1_b32 s7, s86, exec_lo
	s_and_b32 s8, s95, exec_lo
	s_and_not1_b32 s9, s90, exec_lo
	s_or_b32 s86, s7, s8
	s_and_b32 s7, s94, exec_lo
	s_and_not1_b32 s8, s87, exec_lo
	s_and_b32 s10, s92, exec_lo
	s_or_b32 s90, s9, s7
	s_or_b32 s87, s8, s10
	s_and_not1_b32 s7, s88, exec_lo
	s_and_b32 s8, s93, exec_lo
	s_and_not1_b32 s9, s84, exec_lo
	s_and_b32 s10, s91, exec_lo
	s_or_b32 s88, s7, s8
	s_or_b32 s84, s9, s10
	s_and_not1_b32 exec_lo, exec_lo, s83
	s_cbranch_execz .LBB147_484
.LBB147_12:                             ; =>This Loop Header: Depth=1
                                        ;     Child Loop BB147_20 Depth 2
                                        ;     Child Loop BB147_38 Depth 2
	;; [unrolled: 1-line block ×24, first 2 shown]
	ds_load_b128 v[2:5], v13 offset:5120
	s_waitcnt lgkmcnt(0)
	v_readfirstlane_b32 s63, v3
	v_readfirstlane_b32 s62, v2
	s_delay_alu instid0(VALU_DEP_1)
	s_cmp_lg_u64 s[62:63], 0
	s_cbranch_scc1 .LBB147_45
; %bb.13:                               ;   in Loop: Header=BB147_12 Depth=1
	s_and_b32 vcc_lo, exec_lo, s73
	s_cbranch_vccz .LBB147_28
; %bb.14:                               ;   in Loop: Header=BB147_12 Depth=1
	v_cmp_gt_u64_e32 vcc_lo, 0x301, v[4:5]
	s_mov_b32 s9, 0
	s_mov_b32 s7, 0
	s_cbranch_vccz .LBB147_29
; %bb.15:                               ;   in Loop: Header=BB147_12 Depth=1
	v_mov_b32_e32 v4, 0
	s_and_saveexec_b32 s7, s4
	s_cbranch_execz .LBB147_17
; %bb.16:                               ;   in Loop: Header=BB147_12 Depth=1
	global_load_b32 v4, v[10:11], off
.LBB147_17:                             ;   in Loop: Header=BB147_12 Depth=1
	s_or_b32 exec_lo, exec_lo, s7
	s_and_saveexec_b32 s10, s4
	s_cbranch_execz .LBB147_30
; %bb.18:                               ;   in Loop: Header=BB147_12 Depth=1
	global_load_u16 v2, v13, s[60:61]
	s_mov_b32 s11, 0
	s_waitcnt vmcnt(0)
	v_and_b32_e32 v5, 0xffff, v2
	v_dual_mov_b32 v3, v1 :: v_dual_mov_b32 v2, v0
	s_branch .LBB147_20
.LBB147_19:                             ;   in Loop: Header=BB147_20 Depth=2
	s_or_b32 exec_lo, exec_lo, s8
	s_waitcnt vmcnt(0)
	v_mov_b32_e32 v4, v6
	s_and_not1_b32 exec_lo, exec_lo, s11
	s_cbranch_execz .LBB147_30
.LBB147_20:                             ;   Parent Loop BB147_12 Depth=1
                                        ; =>  This Inner Loop Header: Depth=2
	s_delay_alu instid0(VALU_DEP_1) | instskip(NEXT) | instid1(VALU_DEP_2)
	v_add_co_u32 v2, vcc_lo, v2, v5
	v_add_co_ci_u32_e32 v3, vcc_lo, 0, v3, vcc_lo
	s_waitcnt lgkmcnt(0)
	v_dual_mov_b32 v7, 0 :: v_dual_mov_b32 v6, 0
	s_mov_b32 s8, exec_lo
	s_delay_alu instid0(VALU_DEP_2)
	v_cmp_le_u64_e32 vcc_lo, s[36:37], v[2:3]
	v_cmpx_gt_u64_e64 s[36:37], v[2:3]
	s_cbranch_execz .LBB147_22
; %bb.21:                               ;   in Loop: Header=BB147_20 Depth=2
	v_mul_lo_u32 v6, v3, s30
	v_mul_lo_u32 v12, v2, s31
	v_mad_u64_u32 v[8:9], null, v2, s30, 0
	s_delay_alu instid0(VALU_DEP_1) | instskip(NEXT) | instid1(VALU_DEP_1)
	v_add3_u32 v9, v9, v12, v6
	v_lshlrev_b64 v[8:9], 2, v[8:9]
	s_delay_alu instid0(VALU_DEP_1) | instskip(NEXT) | instid1(VALU_DEP_1)
	v_add_co_u32 v8, s7, s33, v8
	v_add_co_ci_u32_e64 v9, s7, s35, v9, s7
	global_load_b32 v6, v[8:9], off
.LBB147_22:                             ;   in Loop: Header=BB147_20 Depth=2
	s_or_b32 exec_lo, exec_lo, s8
	v_xor_b32_e32 v8, 0x80000000, v4
	s_delay_alu instid0(VALU_DEP_1) | instskip(NEXT) | instid1(VALU_DEP_1)
	v_and_b32_e32 v8, v8, v31
	v_cmp_eq_u32_e64 s7, v8, v32
	s_delay_alu instid0(VALU_DEP_1) | instskip(SKIP_1) | instid1(SALU_CYCLE_1)
	s_cmp_lg_u32 s7, 0
	s_cselect_b32 s8, -1, 0
	s_and_b32 s8, s2, s8
	s_delay_alu instid0(SALU_CYCLE_1)
	s_and_saveexec_b32 s12, s8
	s_cbranch_execz .LBB147_26
; %bb.23:                               ;   in Loop: Header=BB147_20 Depth=2
	s_mov_b32 s15, exec_lo
	s_bcnt1_i32_b32 s13, s7
	v_mbcnt_lo_u32_b32 v7, s15, 0
	s_mov_b32 s14, exec_lo
                                        ; implicit-def: $vgpr8
	s_delay_alu instid0(VALU_DEP_1)
	v_cmpx_eq_u32_e32 0, v7
	s_cbranch_execz .LBB147_25
; %bb.24:                               ;   in Loop: Header=BB147_20 Depth=2
	s_bcnt1_i32_b32 s8, s15
	s_delay_alu instid0(SALU_CYCLE_1) | instskip(NEXT) | instid1(SALU_CYCLE_1)
	s_mul_i32 s8, s13, s8
	v_mov_b32_e32 v8, s8
	ds_add_rtn_u32 v8, v13, v8 offset:5144
.LBB147_25:                             ;   in Loop: Header=BB147_20 Depth=2
	s_or_b32 exec_lo, exec_lo, s14
	s_waitcnt lgkmcnt(0)
	v_readfirstlane_b32 s8, v8
	s_delay_alu instid0(VALU_DEP_1)
	v_mad_u32_u24 v7, s13, v7, s8
.LBB147_26:                             ;   in Loop: Header=BB147_20 Depth=2
	s_or_b32 exec_lo, exec_lo, s12
	ds_bpermute_b32 v7, v13, v7
	s_and_b32 s8, exec_lo, vcc_lo
	s_delay_alu instid0(SALU_CYCLE_1)
	s_or_b32 s11, s8, s11
	s_and_saveexec_b32 s8, s7
	s_cbranch_execz .LBB147_19
; %bb.27:                               ;   in Loop: Header=BB147_20 Depth=2
	v_and_b32_e32 v8, s7, v25
	s_delay_alu instid0(VALU_DEP_1) | instskip(NEXT) | instid1(VALU_DEP_1)
	v_bcnt_u32_b32 v8, v8, 0
	v_lshlrev_b32_e32 v8, 2, v8
	s_waitcnt lgkmcnt(0)
	s_delay_alu instid0(VALU_DEP_1)
	v_lshl_add_u32 v7, v7, 2, v8
	ds_store_b32 v7, v4
	s_branch .LBB147_19
.LBB147_28:                             ;   in Loop: Header=BB147_12 Depth=1
	s_mov_b32 s7, 0
                                        ; implicit-def: $sgpr62_sgpr63
	s_cbranch_execnz .LBB147_33
	s_branch .LBB147_43
.LBB147_29:                             ;   in Loop: Header=BB147_12 Depth=1
	s_mov_b64 s[62:63], 0
	s_and_b32 vcc_lo, exec_lo, s9
	s_cbranch_vccnz .LBB147_33
	s_branch .LBB147_43
.LBB147_30:                             ;   in Loop: Header=BB147_12 Depth=1
	s_or_b32 exec_lo, exec_lo, s10
	s_waitcnt vmcnt(0) lgkmcnt(0)
	s_barrier
	buffer_gl0_inv
	s_and_saveexec_b32 s7, s5
	s_cbranch_execz .LBB147_32
; %bb.31:                               ;   in Loop: Header=BB147_12 Depth=1
	ds_load_b32 v2, v13 offset:5144
	s_waitcnt lgkmcnt(0)
	v_ashrrev_i32_e32 v3, 31, v2
	ds_store_b64 v13, v[2:3] offset:5120
.LBB147_32:                             ;   in Loop: Header=BB147_12 Depth=1
	s_or_b32 exec_lo, exec_lo, s7
	s_waitcnt lgkmcnt(0)
	s_mov_b32 s7, -1
	s_barrier
	s_mov_b64 s[62:63], 0
	s_and_b32 vcc_lo, exec_lo, s9
	s_cbranch_vccz .LBB147_43
.LBB147_33:                             ;   in Loop: Header=BB147_12 Depth=1
	v_mov_b32_e32 v4, 0
	s_and_saveexec_b32 s7, s4
	s_cbranch_execz .LBB147_35
; %bb.34:                               ;   in Loop: Header=BB147_12 Depth=1
	global_load_b32 v4, v[10:11], off
.LBB147_35:                             ;   in Loop: Header=BB147_12 Depth=1
	s_or_b32 exec_lo, exec_lo, s7
	s_and_saveexec_b32 s8, s4
	s_cbranch_execz .LBB147_40
; %bb.36:                               ;   in Loop: Header=BB147_12 Depth=1
	global_load_u16 v2, v13, s[60:61]
	s_mov_b32 s9, 0
	s_waitcnt vmcnt(0)
	v_dual_mov_b32 v6, v14 :: v_dual_and_b32 v5, 0xffff, v2
	v_dual_mov_b32 v3, v1 :: v_dual_mov_b32 v2, v0
	s_delay_alu instid0(VALU_DEP_2)
	v_lshlrev_b32_e32 v7, 2, v5
	s_set_inst_prefetch_distance 0x1
	s_branch .LBB147_38
	.p2align	6
.LBB147_37:                             ;   in Loop: Header=BB147_38 Depth=2
	s_or_b32 exec_lo, exec_lo, s10
	ds_store_b32 v6, v4
	v_add_nc_u32_e32 v6, v6, v7
	s_waitcnt vmcnt(0)
	v_mov_b32_e32 v4, v8
	s_and_b32 s7, exec_lo, vcc_lo
	s_delay_alu instid0(SALU_CYCLE_1) | instskip(NEXT) | instid1(SALU_CYCLE_1)
	s_or_b32 s9, s7, s9
	s_and_not1_b32 exec_lo, exec_lo, s9
	s_cbranch_execz .LBB147_40
.LBB147_38:                             ;   Parent Loop BB147_12 Depth=1
                                        ; =>  This Inner Loop Header: Depth=2
	s_delay_alu instid0(VALU_DEP_2) | instskip(SKIP_3) | instid1(VALU_DEP_2)
	v_add_co_u32 v2, vcc_lo, v2, v5
	v_add_co_ci_u32_e32 v3, vcc_lo, 0, v3, vcc_lo
	v_mov_b32_e32 v8, 0
	s_mov_b32 s10, exec_lo
	v_cmp_le_u64_e32 vcc_lo, s[36:37], v[2:3]
	v_cmpx_gt_u64_e64 s[36:37], v[2:3]
	s_cbranch_execz .LBB147_37
; %bb.39:                               ;   in Loop: Header=BB147_38 Depth=2
	v_mul_lo_u32 v12, v3, s30
	v_mul_lo_u32 v17, v2, s31
	v_mad_u64_u32 v[8:9], null, v2, s30, 0
	s_delay_alu instid0(VALU_DEP_1) | instskip(NEXT) | instid1(VALU_DEP_1)
	v_add3_u32 v9, v9, v17, v12
	v_lshlrev_b64 v[8:9], 2, v[8:9]
	s_delay_alu instid0(VALU_DEP_1) | instskip(NEXT) | instid1(VALU_DEP_1)
	v_add_co_u32 v8, s7, s33, v8
	v_add_co_ci_u32_e64 v9, s7, s35, v9, s7
	global_load_b32 v8, v[8:9], off
	s_branch .LBB147_37
.LBB147_40:                             ;   in Loop: Header=BB147_12 Depth=1
	s_set_inst_prefetch_distance 0x2
	s_or_b32 exec_lo, exec_lo, s8
	s_waitcnt vmcnt(0) lgkmcnt(0)
	s_barrier
	buffer_gl0_inv
	s_and_saveexec_b32 s7, s5
	s_cbranch_execz .LBB147_42
; %bb.41:                               ;   in Loop: Header=BB147_12 Depth=1
	v_dual_mov_b32 v2, s36 :: v_dual_mov_b32 v3, s37
	ds_store_b64 v13, v[2:3] offset:5120
.LBB147_42:                             ;   in Loop: Header=BB147_12 Depth=1
	s_or_b32 exec_lo, exec_lo, s7
	s_mov_b32 s7, -1
	s_waitcnt lgkmcnt(0)
	s_barrier
                                        ; implicit-def: $sgpr62_sgpr63
.LBB147_43:                             ;   in Loop: Header=BB147_12 Depth=1
	s_and_b32 vcc_lo, exec_lo, s7
	s_cbranch_vccz .LBB147_45
; %bb.44:                               ;   in Loop: Header=BB147_12 Depth=1
	buffer_gl0_inv
	ds_load_b64 v[2:3], v13 offset:5120
	s_waitcnt lgkmcnt(0)
	v_readfirstlane_b32 s62, v2
.LBB147_45:                             ;   in Loop: Header=BB147_12 Depth=1
	s_delay_alu instid0(VALU_DEP_1)
	s_cmp_lt_i32 s62, 1
	s_cbranch_scc0 .LBB147_60
; %bb.46:                               ;   in Loop: Header=BB147_12 Depth=1
	global_load_u16 v17, v13, s[60:61]
	s_mov_b32 s8, s59
	s_mov_b32 s9, s37
	s_waitcnt vmcnt(0)
	v_readfirstlane_b32 s7, v17
	s_delay_alu instid0(VALU_DEP_1) | instskip(NEXT) | instid1(SALU_CYCLE_1)
	s_and_b32 s7, 0xffff, s7
	s_lshl_b32 s25, s7, 2
	s_cmp_lg_u64 s[8:9], 0
	s_cbranch_scc0 .LBB147_80
; %bb.47:                               ;   in Loop: Header=BB147_12 Depth=1
	v_cvt_f32_u32_e32 v2, s25
	s_sub_u32 s9, 0, s25
	s_subb_u32 s10, 0, 0
	s_delay_alu instid0(VALU_DEP_1) | instskip(NEXT) | instid1(VALU_DEP_1)
	v_fmac_f32_e64 v2, 0, 0x4f800000
	v_rcp_f32_e32 v2, v2
	s_waitcnt_depctr 0xfff
	v_mul_f32_e32 v2, 0x5f7ffffc, v2
	s_delay_alu instid0(VALU_DEP_1) | instskip(NEXT) | instid1(VALU_DEP_1)
	v_mul_f32_e32 v3, 0x2f800000, v2
	v_trunc_f32_e32 v3, v3
	s_delay_alu instid0(VALU_DEP_1) | instskip(SKIP_1) | instid1(VALU_DEP_2)
	v_fmac_f32_e32 v2, 0xcf800000, v3
	v_cvt_u32_f32_e32 v3, v3
	v_cvt_u32_f32_e32 v2, v2
	s_delay_alu instid0(VALU_DEP_2) | instskip(NEXT) | instid1(VALU_DEP_2)
	v_readfirstlane_b32 s7, v3
	v_readfirstlane_b32 s8, v2
	s_delay_alu instid0(VALU_DEP_2) | instskip(NEXT) | instid1(VALU_DEP_1)
	s_mul_i32 s11, s9, s7
	s_mul_hi_u32 s13, s9, s8
	s_mul_i32 s12, s10, s8
	s_add_i32 s11, s13, s11
	s_mul_i32 s14, s9, s8
	s_add_i32 s11, s11, s12
	s_mul_hi_u32 s13, s8, s14
	s_mul_hi_u32 s15, s7, s14
	s_mul_i32 s12, s7, s14
	s_mul_hi_u32 s14, s8, s11
	s_mul_i32 s8, s8, s11
	s_mul_hi_u32 s16, s7, s11
	s_add_u32 s8, s13, s8
	s_addc_u32 s13, 0, s14
	s_add_u32 s8, s8, s12
	s_mul_i32 s11, s7, s11
	s_addc_u32 s8, s13, s15
	s_addc_u32 s12, s16, 0
	s_add_u32 s8, s8, s11
	s_addc_u32 s11, 0, s12
	v_add_co_u32 v2, s8, v2, s8
	s_delay_alu instid0(VALU_DEP_1) | instskip(SKIP_1) | instid1(VALU_DEP_1)
	s_cmp_lg_u32 s8, 0
	s_addc_u32 s7, s7, s11
	v_readfirstlane_b32 s8, v2
	s_mul_i32 s11, s9, s7
	s_delay_alu instid0(VALU_DEP_1)
	s_mul_hi_u32 s12, s9, s8
	s_mul_i32 s10, s10, s8
	s_add_i32 s11, s12, s11
	s_mul_i32 s9, s9, s8
	s_add_i32 s11, s11, s10
	s_mul_hi_u32 s12, s7, s9
	s_mul_i32 s13, s7, s9
	s_mul_hi_u32 s9, s8, s9
	s_mul_hi_u32 s14, s8, s11
	s_mul_i32 s8, s8, s11
	s_mul_hi_u32 s10, s7, s11
	s_add_u32 s8, s9, s8
	s_addc_u32 s9, 0, s14
	s_add_u32 s8, s8, s13
	s_mul_i32 s11, s7, s11
	s_addc_u32 s8, s9, s12
	s_addc_u32 s9, s10, 0
	s_add_u32 s8, s8, s11
	s_addc_u32 s9, 0, s9
	v_add_co_u32 v2, s8, v2, s8
	s_delay_alu instid0(VALU_DEP_1) | instskip(SKIP_1) | instid1(VALU_DEP_1)
	s_cmp_lg_u32 s8, 0
	s_addc_u32 s7, s7, s9
	v_readfirstlane_b32 s8, v2
	s_mul_i32 s10, s36, s7
	s_mul_hi_u32 s9, s36, s7
	s_mul_hi_u32 s11, s37, s7
	s_mul_i32 s7, s37, s7
	s_mul_hi_u32 s12, s36, s8
	s_mul_hi_u32 s13, s37, s8
	s_mul_i32 s8, s37, s8
	s_add_u32 s10, s12, s10
	s_addc_u32 s9, 0, s9
	s_add_u32 s8, s10, s8
	s_addc_u32 s8, s9, s13
	s_addc_u32 s9, s11, 0
	s_add_u32 s7, s8, s7
	s_addc_u32 s8, 0, s9
	s_mul_hi_u32 s9, s25, s7
	s_mul_i32 s7, s25, s7
	s_mul_i32 s8, s25, s8
	v_sub_co_u32 v2, s7, s36, s7
	s_add_i32 s9, s9, s8
	s_cmp_lg_u32 s7, 0
	s_delay_alu instid0(VALU_DEP_1) | instskip(SKIP_2) | instid1(VALU_DEP_1)
	v_sub_co_u32 v3, s7, v2, s25
	s_subb_u32 s8, s37, s9
	s_cmp_lg_u32 s7, 0
	v_cmp_le_u32_e32 vcc_lo, s25, v3
	v_sub_co_u32 v4, s7, v3, s25
	s_subb_u32 s9, s8, 0
	s_cmp_lg_u32 s7, 0
	v_cndmask_b32_e64 v5, 0, -1, vcc_lo
	s_subb_u32 s7, s9, 0
	s_cmp_eq_u32 s9, 0
	v_mov_b32_e32 v7, s7
	s_cselect_b32 vcc_lo, -1, 0
	s_cmp_eq_u32 s8, 0
	v_cndmask_b32_e32 v5, -1, v5, vcc_lo
	v_cmp_le_u32_e32 vcc_lo, s25, v2
	s_cselect_b32 s7, -1, 0
	v_cndmask_b32_e64 v6, 0, -1, vcc_lo
	s_delay_alu instid0(VALU_DEP_3) | instskip(NEXT) | instid1(VALU_DEP_2)
	v_cmp_ne_u32_e32 vcc_lo, 0, v5
	v_cndmask_b32_e64 v5, -1, v6, s7
	v_cndmask_b32_e32 v6, s9, v7, vcc_lo
	v_cndmask_b32_e32 v4, v3, v4, vcc_lo
	s_delay_alu instid0(VALU_DEP_3) | instskip(NEXT) | instid1(VALU_DEP_3)
	v_cmp_ne_u32_e32 vcc_lo, 0, v5
	v_cndmask_b32_e32 v3, s8, v6, vcc_lo
	s_delay_alu instid0(VALU_DEP_3)
	v_cndmask_b32_e32 v2, v2, v4, vcc_lo
	s_cbranch_execnz .LBB147_49
.LBB147_48:                             ;   in Loop: Header=BB147_12 Depth=1
	v_cvt_f32_u32_e32 v2, s25
	s_sub_i32 s7, 0, s25
	s_delay_alu instid0(VALU_DEP_1) | instskip(SKIP_2) | instid1(VALU_DEP_1)
	v_rcp_iflag_f32_e32 v2, v2
	s_waitcnt_depctr 0xfff
	v_mul_f32_e32 v2, 0x4f7ffffe, v2
	v_cvt_u32_f32_e32 v2, v2
	s_delay_alu instid0(VALU_DEP_1) | instskip(NEXT) | instid1(VALU_DEP_1)
	v_mul_lo_u32 v3, s7, v2
	v_mul_hi_u32 v3, v2, v3
	s_delay_alu instid0(VALU_DEP_1) | instskip(NEXT) | instid1(VALU_DEP_1)
	v_add_nc_u32_e32 v2, v2, v3
	v_mul_hi_u32 v2, s36, v2
	s_delay_alu instid0(VALU_DEP_1) | instskip(NEXT) | instid1(VALU_DEP_1)
	v_mul_lo_u32 v2, v2, s25
	v_sub_nc_u32_e32 v2, s36, v2
	s_delay_alu instid0(VALU_DEP_1) | instskip(SKIP_1) | instid1(VALU_DEP_2)
	v_subrev_nc_u32_e32 v3, s25, v2
	v_cmp_le_u32_e32 vcc_lo, s25, v2
	v_cndmask_b32_e32 v2, v2, v3, vcc_lo
	s_delay_alu instid0(VALU_DEP_1) | instskip(SKIP_1) | instid1(VALU_DEP_2)
	v_subrev_nc_u32_e32 v3, s25, v2
	v_cmp_le_u32_e32 vcc_lo, s25, v2
	v_cndmask_b32_e32 v12, v2, v3, vcc_lo
	s_delay_alu instid0(VALU_DEP_1)
	v_dual_mov_b32 v2, v12 :: v_dual_mov_b32 v3, v13
.LBB147_49:                             ;   in Loop: Header=BB147_12 Depth=1
	s_delay_alu instid0(VALU_DEP_1) | instskip(NEXT) | instid1(VALU_DEP_2)
	v_sub_co_u32 v21, vcc_lo, s36, v2
	v_sub_co_ci_u32_e32 v22, vcc_lo, s37, v3, vcc_lo
	v_mov_b32_e32 v2, 0
	v_mov_b32_e32 v3, 0
	s_mov_b64 s[64:65], 0
	s_mov_b32 s26, exec_lo
	s_delay_alu instid0(VALU_DEP_1)
	v_dual_mov_b32 v5, v3 :: v_dual_mov_b32 v4, v2
	v_dual_mov_b32 v7, v3 :: v_dual_mov_b32 v6, v2
	;; [unrolled: 1-line block ×3, first 2 shown]
	v_cmpx_gt_u64_e64 v[21:22], v[14:15]
	s_cbranch_execz .LBB147_53
; %bb.50:                               ;   in Loop: Header=BB147_12 Depth=1
	v_dual_mov_b32 v24, v15 :: v_dual_mov_b32 v23, v14
	s_and_b32 s63, s89, 0xfe
	s_mov_b32 s58, 0
	s_mov_b64 s[66:67], 0
	s_mov_b64 s[68:69], 0
	;; [unrolled: 1-line block ×3, first 2 shown]
.LBB147_51:                             ;   Parent Loop BB147_12 Depth=1
                                        ; =>  This Inner Loop Header: Depth=2
	v_mul_lo_u32 v4, v24, s30
	v_mul_lo_u32 v5, v23, s31
	v_mad_u64_u32 v[2:3], null, v23, s30, 0
	s_lshl_b64 s[8:9], s[30:31], 2
	s_delay_alu instid0(VALU_DEP_1) | instskip(NEXT) | instid1(VALU_DEP_1)
	v_add3_u32 v3, v3, v5, v4
	v_lshlrev_b64 v[2:3], 2, v[2:3]
	s_delay_alu instid0(VALU_DEP_1) | instskip(NEXT) | instid1(VALU_DEP_2)
	v_add_co_u32 v2, vcc_lo, s33, v2
	v_add_co_ci_u32_e32 v3, vcc_lo, s35, v3, vcc_lo
	s_delay_alu instid0(VALU_DEP_2) | instskip(NEXT) | instid1(VALU_DEP_2)
	v_add_co_u32 v4, vcc_lo, v2, s8
	v_add_co_ci_u32_e32 v5, vcc_lo, s9, v3, vcc_lo
	global_load_b32 v6, v[2:3], off
	v_add_co_u32 v2, vcc_lo, v4, s8
	v_add_co_ci_u32_e32 v3, vcc_lo, s9, v5, vcc_lo
	s_clause 0x1
	global_load_b32 v4, v[4:5], off
	global_load_b32 v5, v[2:3], off
	v_add_co_u32 v2, vcc_lo, v2, s8
	v_add_co_ci_u32_e32 v3, vcc_lo, s9, v3, vcc_lo
	v_add_co_u32 v23, vcc_lo, v23, s25
	v_add_co_ci_u32_e32 v24, vcc_lo, 0, v24, vcc_lo
	global_load_b32 v2, v[2:3], off
	v_cmp_ge_u64_e32 vcc_lo, v[23:24], v[21:22]
	s_waitcnt vmcnt(3)
	v_xor_b32_e32 v3, 0x80000000, v6
	s_delay_alu instid0(VALU_DEP_1)
	v_and_b32_e32 v6, v3, v31
	s_waitcnt vmcnt(2)
	v_xor_b32_e32 v4, 0x80000000, v4
	v_bfe_u32 v3, v3, s63, 2
	s_waitcnt vmcnt(1)
	v_xor_b32_e32 v5, 0x80000000, v5
	v_cmp_eq_u32_e64 s7, v6, v32
	v_and_b32_e32 v6, v4, v31
	v_bfe_u32 v4, v4, s63, 2
	v_cmp_eq_u32_e64 s8, 0, v3
	v_cmp_eq_u32_e64 s9, 1, v3
	;; [unrolled: 1-line block ×4, first 2 shown]
	s_waitcnt vmcnt(0)
	v_xor_b32_e32 v2, 0x80000000, v2
	v_and_b32_e32 v3, v5, v31
	v_cmp_eq_u32_e64 s12, v6, v32
	v_bfe_u32 v5, v5, s63, 2
	v_cmp_eq_u32_e64 s13, 0, v4
	s_and_b32 s8, s7, s8
	v_cmp_eq_u32_e64 s16, v3, v32
	v_cndmask_b32_e64 v6, 0, 1, s8
	v_and_b32_e32 v3, v2, v31
	v_bfe_u32 v2, v2, s63, 2
	v_cmp_eq_u32_e64 s17, 0, v5
	s_and_b32 s13, s12, s13
	v_cmp_eq_u32_e64 s8, 1, v4
	v_cmp_eq_u32_e64 s14, 2, v4
	;; [unrolled: 1-line block ×3, first 2 shown]
	v_cmp_ne_u32_e64 s18, 0, v6
	v_cndmask_b32_e64 v4, 0, 1, s13
	v_cmp_eq_u32_e64 s21, v3, v32
	v_cmp_eq_u32_e64 s22, 0, v2
	s_and_b32 s17, s16, s17
	s_bcnt1_i32_b32 s96, s18
	v_cmp_ne_u32_e64 s18, 0, v4
	v_cndmask_b32_e64 v3, 0, 1, s17
	s_and_b32 s22, s21, s22
	v_cmp_eq_u32_e64 s17, 1, v2
	v_cmp_eq_u32_e64 s23, 2, v2
	;; [unrolled: 1-line block ×3, first 2 shown]
	v_cndmask_b32_e64 v2, 0, 1, s22
	s_bcnt1_i32_b32 s22, s18
	v_cmp_ne_u32_e64 s18, 0, v3
	s_add_i32 s96, s22, s96
	v_cmp_eq_u32_e64 s13, 1, v5
	v_cmp_ne_u32_e64 s22, 0, v2
	v_cmp_eq_u32_e64 s19, 2, v5
	s_bcnt1_i32_b32 s18, s18
	v_cmp_eq_u32_e64 s20, 3, v5
	s_add_i32 s18, s96, s18
	s_bcnt1_i32_b32 s22, s22
	s_delay_alu instid0(SALU_CYCLE_1) | instskip(NEXT) | instid1(SALU_CYCLE_1)
	s_add_i32 s18, s18, s22
	s_add_u32 s70, s70, s18
	s_addc_u32 s71, s71, 0
	s_and_b32 s9, s7, s9
	s_and_b32 s8, s12, s8
	v_cndmask_b32_e64 v2, 0, 1, s9
	v_cndmask_b32_e64 v3, 0, 1, s8
	s_and_b32 s8, s16, s13
	s_delay_alu instid0(SALU_CYCLE_1) | instskip(SKIP_1) | instid1(VALU_DEP_2)
	v_cndmask_b32_e64 v4, 0, 1, s8
	s_and_b32 s8, s21, s17
	v_cmp_ne_u32_e64 s9, 0, v3
	v_cndmask_b32_e64 v5, 0, 1, s8
	v_cmp_ne_u32_e64 s8, 0, v2
	v_cmp_ne_u32_e64 s13, 0, v4
	s_delay_alu instid0(VALU_DEP_4) | instskip(NEXT) | instid1(VALU_DEP_3)
	s_bcnt1_i32_b32 s9, s9
	v_cmp_ne_u32_e64 s17, 0, v5
	s_delay_alu instid0(VALU_DEP_3) | instskip(NEXT) | instid1(VALU_DEP_2)
	s_bcnt1_i32_b32 s8, s8
	s_bcnt1_i32_b32 s13, s13
	s_add_i32 s8, s9, s8
	s_delay_alu instid0(VALU_DEP_1) | instskip(SKIP_1) | instid1(SALU_CYCLE_1)
	s_bcnt1_i32_b32 s17, s17
	s_add_i32 s8, s8, s13
	s_add_i32 s8, s8, s17
	s_delay_alu instid0(SALU_CYCLE_1) | instskip(SKIP_2) | instid1(SALU_CYCLE_1)
	s_add_u32 s68, s68, s8
	s_addc_u32 s69, s69, 0
	s_and_b32 s8, s7, s10
	v_cndmask_b32_e64 v2, 0, 1, s8
	s_and_b32 s8, s12, s14
	s_delay_alu instid0(SALU_CYCLE_1) | instskip(SKIP_1) | instid1(SALU_CYCLE_1)
	v_cndmask_b32_e64 v3, 0, 1, s8
	s_and_b32 s8, s16, s19
	v_cndmask_b32_e64 v4, 0, 1, s8
	s_and_b32 s8, s21, s23
	s_delay_alu instid0(VALU_DEP_2) | instskip(SKIP_3) | instid1(VALU_DEP_4)
	v_cmp_ne_u32_e64 s9, 0, v3
	v_cndmask_b32_e64 v5, 0, 1, s8
	v_cmp_ne_u32_e64 s8, 0, v2
	v_cmp_ne_u32_e64 s10, 0, v4
	s_bcnt1_i32_b32 s9, s9
	s_delay_alu instid0(VALU_DEP_3) | instskip(NEXT) | instid1(VALU_DEP_3)
	v_cmp_ne_u32_e64 s13, 0, v5
	s_bcnt1_i32_b32 s8, s8
	s_delay_alu instid0(VALU_DEP_2) | instskip(SKIP_1) | instid1(VALU_DEP_1)
	s_bcnt1_i32_b32 s10, s10
	s_add_i32 s8, s9, s8
	s_bcnt1_i32_b32 s13, s13
	s_add_i32 s8, s8, s10
	s_delay_alu instid0(SALU_CYCLE_1) | instskip(NEXT) | instid1(SALU_CYCLE_1)
	s_add_i32 s8, s8, s13
	s_add_u32 s66, s66, s8
	s_addc_u32 s67, s67, 0
	v_mov_b32_e32 v6, s66
	s_and_b32 s7, s7, s11
	v_mov_b32_e32 v7, s67
	v_cndmask_b32_e64 v2, 0, 1, s7
	s_and_b32 s7, s12, s15
	s_delay_alu instid0(SALU_CYCLE_1) | instskip(SKIP_1) | instid1(SALU_CYCLE_1)
	v_cndmask_b32_e64 v3, 0, 1, s7
	s_and_b32 s7, s16, s20
	v_cndmask_b32_e64 v4, 0, 1, s7
	s_and_b32 s7, s21, s24
	s_delay_alu instid0(VALU_DEP_2)
	v_cmp_ne_u32_e64 s8, 0, v3
	v_cndmask_b32_e64 v5, 0, 1, s7
	v_cmp_ne_u32_e64 s7, 0, v2
	v_cmp_ne_u32_e64 s9, 0, v4
	v_mov_b32_e32 v2, s70
	s_bcnt1_i32_b32 s8, s8
	v_cmp_ne_u32_e64 s10, 0, v5
	s_bcnt1_i32_b32 s7, s7
	s_bcnt1_i32_b32 s9, s9
	s_add_i32 s7, s8, s7
	v_mov_b32_e32 v4, s68
	s_bcnt1_i32_b32 s8, s10
	s_add_i32 s7, s7, s9
	v_mov_b32_e32 v3, s71
	s_add_i32 s7, s7, s8
	v_mov_b32_e32 v5, s69
	s_add_u32 s64, s64, s7
	s_addc_u32 s65, s65, 0
	s_delay_alu instid0(SALU_CYCLE_1) | instskip(SKIP_1) | instid1(SALU_CYCLE_1)
	v_dual_mov_b32 v8, s64 :: v_dual_mov_b32 v9, s65
	s_or_b32 s58, vcc_lo, s58
	s_and_not1_b32 exec_lo, exec_lo, s58
	s_cbranch_execnz .LBB147_51
; %bb.52:                               ;   in Loop: Header=BB147_12 Depth=1
	s_or_b32 exec_lo, exec_lo, s58
.LBB147_53:                             ;   in Loop: Header=BB147_12 Depth=1
	s_delay_alu instid0(SALU_CYCLE_1) | instskip(SKIP_3) | instid1(VALU_DEP_2)
	s_or_b32 exec_lo, exec_lo, s26
	v_add_co_u32 v21, vcc_lo, v21, v0
	v_add_co_ci_u32_e32 v22, vcc_lo, 0, v22, vcc_lo
	v_dual_mov_b32 v23, 0 :: v_dual_and_b32 v12, 0xffff, v17
	v_cmp_gt_u64_e32 vcc_lo, s[36:37], v[21:22]
	s_and_saveexec_b32 s8, vcc_lo
	s_cbranch_execz .LBB147_55
; %bb.54:                               ;   in Loop: Header=BB147_12 Depth=1
	v_mul_lo_u32 v17, v22, s30
	v_mul_lo_u32 v33, v21, s31
	v_mad_u64_u32 v[23:24], null, v21, s30, 0
	s_delay_alu instid0(VALU_DEP_1) | instskip(NEXT) | instid1(VALU_DEP_1)
	v_add3_u32 v24, v24, v33, v17
	v_lshlrev_b64 v[23:24], 2, v[23:24]
	s_delay_alu instid0(VALU_DEP_1) | instskip(NEXT) | instid1(VALU_DEP_1)
	v_add_co_u32 v23, s7, s33, v23
	v_add_co_ci_u32_e64 v24, s7, s35, v24, s7
	global_load_b32 v23, v[23:24], off
.LBB147_55:                             ;   in Loop: Header=BB147_12 Depth=1
	s_or_b32 exec_lo, exec_lo, s8
	s_and_saveexec_b32 s10, vcc_lo
	s_cbranch_execz .LBB147_62
; %bb.56:                               ;   in Loop: Header=BB147_12 Depth=1
	s_and_b32 s12, s89, 0xfe
	s_mov_b32 s11, 0
	s_branch .LBB147_58
.LBB147_57:                             ;   in Loop: Header=BB147_58 Depth=2
	s_or_b32 exec_lo, exec_lo, s8
	s_waitcnt vmcnt(0)
	v_xor_b32_e32 v23, 0x80000000, v23
	s_and_b32 s9, exec_lo, vcc_lo
	s_delay_alu instid0(SALU_CYCLE_1) | instskip(NEXT) | instid1(VALU_DEP_1)
	s_or_b32 s11, s9, s11
	v_and_b32_e32 v24, v23, v31
	v_bfe_u32 v23, v23, s12, 2
	s_delay_alu instid0(VALU_DEP_2) | instskip(NEXT) | instid1(VALU_DEP_2)
	v_cmp_eq_u32_e64 s7, v24, v32
	v_cmp_eq_u32_e64 s8, 0, v23
	v_cmp_eq_u32_e32 vcc_lo, 1, v23
	v_cmp_eq_u32_e64 s9, 2, v23
	s_delay_alu instid0(VALU_DEP_3) | instskip(NEXT) | instid1(SALU_CYCLE_1)
	s_and_b32 s8, s7, s8
	v_cndmask_b32_e64 v24, 0, 1, s8
	s_and_b32 s8, s7, vcc_lo
	v_cmp_eq_u32_e32 vcc_lo, 3, v23
	v_cndmask_b32_e64 v33, 0, 1, s8
	s_and_b32 s8, s7, s9
	s_delay_alu instid0(SALU_CYCLE_1) | instskip(SKIP_1) | instid1(VALU_DEP_3)
	v_cndmask_b32_e64 v23, 0, 1, s8
	v_cmp_ne_u32_e64 s8, 0, v24
	v_cmp_ne_u32_e64 s9, 0, v33
	s_and_b32 s7, s7, vcc_lo
	s_delay_alu instid0(SALU_CYCLE_1) | instskip(NEXT) | instid1(VALU_DEP_3)
	v_cndmask_b32_e64 v24, 0, 1, s7
	s_bcnt1_i32_b32 s7, s8
	v_cmp_ne_u32_e32 vcc_lo, 0, v23
	v_mov_b32_e32 v23, v17
	v_add_co_u32 v2, s7, v2, s7
	s_bcnt1_i32_b32 s8, s9
	v_add_co_ci_u32_e64 v3, s7, 0, v3, s7
	v_add_co_u32 v4, s7, v4, s8
	s_delay_alu instid0(VALU_DEP_1) | instskip(SKIP_3) | instid1(VALU_DEP_1)
	v_add_co_ci_u32_e64 v5, s7, 0, v5, s7
	s_bcnt1_i32_b32 s7, vcc_lo
	v_cmp_ne_u32_e32 vcc_lo, 0, v24
	v_add_co_u32 v6, s7, v6, s7
	v_add_co_ci_u32_e64 v7, s7, 0, v7, s7
	s_bcnt1_i32_b32 s7, vcc_lo
	s_delay_alu instid0(SALU_CYCLE_1)
	v_add_co_u32 v8, vcc_lo, v8, s7
	v_add_co_ci_u32_e32 v9, vcc_lo, 0, v9, vcc_lo
	s_and_not1_b32 exec_lo, exec_lo, s11
	s_cbranch_execz .LBB147_61
.LBB147_58:                             ;   Parent Loop BB147_12 Depth=1
                                        ; =>  This Inner Loop Header: Depth=2
	v_add_co_u32 v21, vcc_lo, v21, v12
	v_add_co_ci_u32_e32 v22, vcc_lo, 0, v22, vcc_lo
	v_mov_b32_e32 v17, 0
	s_mov_b32 s8, exec_lo
	s_delay_alu instid0(VALU_DEP_2)
	v_cmp_le_u64_e32 vcc_lo, s[36:37], v[21:22]
	v_cmpx_gt_u64_e64 s[36:37], v[21:22]
	s_cbranch_execz .LBB147_57
; %bb.59:                               ;   in Loop: Header=BB147_58 Depth=2
	v_mul_lo_u32 v17, v22, s30
	v_mul_lo_u32 v24, v21, s31
	v_mad_u64_u32 v[33:34], null, v21, s30, 0
	s_delay_alu instid0(VALU_DEP_1) | instskip(NEXT) | instid1(VALU_DEP_1)
	v_add3_u32 v34, v34, v24, v17
	v_lshlrev_b64 v[33:34], 2, v[33:34]
	s_delay_alu instid0(VALU_DEP_1) | instskip(NEXT) | instid1(VALU_DEP_1)
	v_add_co_u32 v33, s7, s33, v33
	v_add_co_ci_u32_e64 v34, s7, s35, v34, s7
	global_load_b32 v17, v[33:34], off
	s_branch .LBB147_57
.LBB147_60:                             ;   in Loop: Header=BB147_12 Depth=1
                                        ; implicit-def: $vgpr8_vgpr9
                                        ; implicit-def: $vgpr4_vgpr5
	s_cbranch_execnz .LBB147_63
	s_branch .LBB147_72
.LBB147_61:                             ;   in Loop: Header=BB147_12 Depth=1
	s_or_b32 exec_lo, exec_lo, s11
.LBB147_62:                             ;   in Loop: Header=BB147_12 Depth=1
	s_delay_alu instid0(SALU_CYCLE_1)
	s_or_b32 exec_lo, exec_lo, s10
	s_branch .LBB147_72
.LBB147_63:                             ;   in Loop: Header=BB147_12 Depth=1
	global_load_u16 v8, v13, s[60:61]
	s_mov_b64 s[64:65], 0
	s_mov_b32 s96, exec_lo
	s_waitcnt vmcnt(0)
	v_readfirstlane_b32 s7, v8
	v_and_b32_e32 v17, 0xffff, v8
	s_delay_alu instid0(VALU_DEP_2) | instskip(NEXT) | instid1(SALU_CYCLE_1)
	s_and_b32 s7, 0xffff, s7
	s_lshl_b32 s63, s7, 2
	s_delay_alu instid0(SALU_CYCLE_1) | instskip(SKIP_1) | instid1(VALU_DEP_1)
	v_cvt_f32_u32_e32 v2, s63
	s_sub_i32 s8, 0, s63
	v_rcp_iflag_f32_e32 v2, v2
	s_waitcnt_depctr 0xfff
	v_mul_f32_e32 v2, 0x4f7ffffe, v2
	s_delay_alu instid0(VALU_DEP_1) | instskip(NEXT) | instid1(VALU_DEP_1)
	v_cvt_u32_f32_e32 v2, v2
	v_readfirstlane_b32 s7, v2
	v_mov_b32_e32 v2, 0
	v_mov_b32_e32 v3, 0
	s_delay_alu instid0(VALU_DEP_3) | instskip(NEXT) | instid1(VALU_DEP_1)
	s_mul_i32 s8, s8, s7
	v_dual_mov_b32 v5, v3 :: v_dual_mov_b32 v4, v2
	s_mul_hi_u32 s8, s7, s8
	v_dual_mov_b32 v7, v3 :: v_dual_mov_b32 v6, v2
	s_add_i32 s7, s7, s8
	v_dual_mov_b32 v9, v3 :: v_dual_mov_b32 v8, v2
	s_mul_hi_u32 s7, s62, s7
	s_delay_alu instid0(SALU_CYCLE_1) | instskip(NEXT) | instid1(SALU_CYCLE_1)
	s_mul_i32 s7, s7, s63
	s_sub_i32 s7, s62, s7
	s_delay_alu instid0(SALU_CYCLE_1) | instskip(SKIP_2) | instid1(SALU_CYCLE_1)
	s_sub_i32 s8, s7, s63
	s_cmp_ge_u32 s7, s63
	s_cselect_b32 s7, s8, s7
	s_sub_i32 s8, s7, s63
	s_cmp_ge_u32 s7, s63
	s_cselect_b32 s7, s8, s7
	s_delay_alu instid0(SALU_CYCLE_1) | instskip(NEXT) | instid1(SALU_CYCLE_1)
	s_sub_i32 s58, s62, s7
	v_cmpx_gt_u32_e64 s58, v14
	s_cbranch_execz .LBB147_67
; %bb.64:                               ;   in Loop: Header=BB147_12 Depth=1
	v_dual_mov_b32 v23, v29 :: v_dual_lshlrev_b32 v12, 4, v17
	v_dual_mov_b32 v22, v15 :: v_dual_mov_b32 v21, v14
	s_and_b32 s97, s89, 0xfe
	s_mov_b32 s98, 0
	s_mov_b64 s[66:67], 0
	s_mov_b64 s[68:69], 0
	s_mov_b64 s[70:71], 0
.LBB147_65:                             ;   Parent Loop BB147_12 Depth=1
                                        ; =>  This Inner Loop Header: Depth=2
	ds_load_b128 v[2:5], v23
	v_add_co_u32 v21, vcc_lo, v21, s63
	v_add_co_ci_u32_e32 v22, vcc_lo, 0, v22, vcc_lo
	s_delay_alu instid0(VALU_DEP_1)
	v_cmp_le_u64_e32 vcc_lo, s[58:59], v[21:22]
	s_waitcnt lgkmcnt(0)
	v_xor_b32_e32 v2, 0x80000000, v2
	v_xor_b32_e32 v3, 0x80000000, v3
	;; [unrolled: 1-line block ×4, first 2 shown]
	s_delay_alu instid0(VALU_DEP_4)
	v_and_b32_e32 v6, v2, v31
	v_bfe_u32 v2, v2, s97, 2
	v_and_b32_e32 v7, v3, v31
	v_bfe_u32 v3, v3, s97, 2
	;; [unrolled: 2-line block ×3, first 2 shown]
	v_cmp_eq_u32_e64 s7, v6, v32
	v_cmp_eq_u32_e64 s11, 0, v2
	v_and_b32_e32 v9, v5, v31
	v_bfe_u32 v5, v5, s97, 2
	v_cmp_eq_u32_e64 s8, v7, v32
	v_cmp_eq_u32_e64 s12, 0, v3
	;; [unrolled: 1-line block ×4, first 2 shown]
	s_and_b32 s11, s7, s11
	v_cmp_eq_u32_e64 s10, v9, v32
	v_cmp_eq_u32_e64 s14, 0, v5
	;; [unrolled: 1-line block ×5, first 2 shown]
	v_cndmask_b32_e64 v2, 0, 1, s11
	s_and_b32 s11, s8, s12
	v_cmp_eq_u32_e64 s16, 1, v3
	v_cmp_eq_u32_e64 s20, 2, v3
	v_cmp_eq_u32_e64 s24, 3, v3
	v_cndmask_b32_e64 v3, 0, 1, s11
	s_and_b32 s11, s9, s13
	v_cmp_eq_u32_e64 s17, 1, v4
	v_cmp_eq_u32_e64 s21, 2, v4
	v_cmp_eq_u32_e64 s25, 3, v4
	;; [unrolled: 5-line block ×3, first 2 shown]
	v_cndmask_b32_e64 v5, 0, 1, s11
	v_cmp_ne_u32_e64 s11, 0, v2
	v_cmp_ne_u32_e64 s12, 0, v3
	;; [unrolled: 1-line block ×3, first 2 shown]
	s_delay_alu instid0(VALU_DEP_4) | instskip(NEXT) | instid1(VALU_DEP_4)
	v_cmp_ne_u32_e64 s14, 0, v5
	s_bcnt1_i32_b32 s11, s11
	s_delay_alu instid0(VALU_DEP_3) | instskip(NEXT) | instid1(VALU_DEP_2)
	s_bcnt1_i32_b32 s12, s12
	s_bcnt1_i32_b32 s13, s13
	s_add_i32 s11, s12, s11
	s_bcnt1_i32_b32 s14, s14
	s_add_i32 s11, s11, s13
	s_delay_alu instid0(SALU_CYCLE_1) | instskip(NEXT) | instid1(SALU_CYCLE_1)
	s_add_i32 s11, s11, s14
	s_add_u32 s70, s70, s11
	s_addc_u32 s71, s71, 0
	s_and_b32 s11, s7, s15
	v_add_nc_u32_e32 v23, v23, v12
	v_cndmask_b32_e64 v2, 0, 1, s11
	s_and_b32 s11, s8, s16
	s_delay_alu instid0(SALU_CYCLE_1) | instskip(SKIP_1) | instid1(SALU_CYCLE_1)
	v_cndmask_b32_e64 v3, 0, 1, s11
	s_and_b32 s11, s9, s17
	v_cndmask_b32_e64 v4, 0, 1, s11
	s_and_b32 s11, s10, s18
	s_delay_alu instid0(VALU_DEP_2) | instskip(SKIP_3) | instid1(VALU_DEP_4)
	v_cmp_ne_u32_e64 s12, 0, v3
	v_cndmask_b32_e64 v5, 0, 1, s11
	v_cmp_ne_u32_e64 s11, 0, v2
	v_cmp_ne_u32_e64 s13, 0, v4
	s_bcnt1_i32_b32 s12, s12
	s_delay_alu instid0(VALU_DEP_3) | instskip(NEXT) | instid1(VALU_DEP_3)
	v_cmp_ne_u32_e64 s14, 0, v5
	s_bcnt1_i32_b32 s11, s11
	s_delay_alu instid0(VALU_DEP_2) | instskip(SKIP_1) | instid1(VALU_DEP_1)
	s_bcnt1_i32_b32 s13, s13
	s_add_i32 s11, s12, s11
	s_bcnt1_i32_b32 s14, s14
	s_add_i32 s11, s11, s13
	s_delay_alu instid0(SALU_CYCLE_1) | instskip(NEXT) | instid1(SALU_CYCLE_1)
	s_add_i32 s11, s11, s14
	s_add_u32 s68, s68, s11
	s_addc_u32 s69, s69, 0
	s_and_b32 s11, s7, s19
	s_delay_alu instid0(SALU_CYCLE_1) | instskip(SKIP_1) | instid1(SALU_CYCLE_1)
	v_cndmask_b32_e64 v2, 0, 1, s11
	s_and_b32 s11, s8, s20
	v_cndmask_b32_e64 v3, 0, 1, s11
	s_and_b32 s11, s9, s21
	s_delay_alu instid0(SALU_CYCLE_1) | instskip(SKIP_1) | instid1(VALU_DEP_2)
	v_cndmask_b32_e64 v4, 0, 1, s11
	s_and_b32 s11, s10, s22
	v_cmp_ne_u32_e64 s12, 0, v3
	v_cndmask_b32_e64 v5, 0, 1, s11
	v_cmp_ne_u32_e64 s11, 0, v2
	v_cmp_ne_u32_e64 s13, 0, v4
	s_delay_alu instid0(VALU_DEP_4) | instskip(NEXT) | instid1(VALU_DEP_3)
	s_bcnt1_i32_b32 s12, s12
	v_cmp_ne_u32_e64 s14, 0, v5
	s_delay_alu instid0(VALU_DEP_3) | instskip(NEXT) | instid1(VALU_DEP_2)
	s_bcnt1_i32_b32 s11, s11
	s_bcnt1_i32_b32 s13, s13
	s_add_i32 s11, s12, s11
	s_delay_alu instid0(VALU_DEP_1) | instskip(SKIP_1) | instid1(SALU_CYCLE_1)
	s_bcnt1_i32_b32 s14, s14
	s_add_i32 s11, s11, s13
	s_add_i32 s11, s11, s14
	s_delay_alu instid0(SALU_CYCLE_1)
	s_add_u32 s66, s66, s11
	s_addc_u32 s67, s67, 0
	s_and_b32 s7, s7, s23
	v_mov_b32_e32 v6, s66
	v_cndmask_b32_e64 v2, 0, 1, s7
	s_and_b32 s7, s8, s24
	s_delay_alu instid0(SALU_CYCLE_1) | instskip(SKIP_1) | instid1(SALU_CYCLE_1)
	v_cndmask_b32_e64 v3, 0, 1, s7
	s_and_b32 s7, s9, s25
	v_cndmask_b32_e64 v4, 0, 1, s7
	s_and_b32 s7, s10, s26
	s_delay_alu instid0(VALU_DEP_2)
	v_cmp_ne_u32_e64 s8, 0, v3
	v_cndmask_b32_e64 v5, 0, 1, s7
	v_cmp_ne_u32_e64 s7, 0, v2
	v_mov_b32_e32 v2, s70
	v_cmp_ne_u32_e64 s9, 0, v4
	s_bcnt1_i32_b32 s8, s8
	v_cmp_ne_u32_e64 s10, 0, v5
	s_bcnt1_i32_b32 s7, s7
	v_mov_b32_e32 v4, s68
	s_bcnt1_i32_b32 s9, s9
	s_add_i32 s7, s8, s7
	s_bcnt1_i32_b32 s8, s10
	s_add_i32 s7, s7, s9
	v_mov_b32_e32 v3, s71
	s_add_i32 s7, s7, s8
	v_mov_b32_e32 v5, s69
	s_add_u32 s64, s64, s7
	s_addc_u32 s65, s65, 0
	v_dual_mov_b32 v7, s67 :: v_dual_mov_b32 v8, s64
	v_mov_b32_e32 v9, s65
	s_or_b32 s98, vcc_lo, s98
	s_delay_alu instid0(SALU_CYCLE_1)
	s_and_not1_b32 exec_lo, exec_lo, s98
	s_cbranch_execnz .LBB147_65
; %bb.66:                               ;   in Loop: Header=BB147_12 Depth=1
	s_or_b32 exec_lo, exec_lo, s98
.LBB147_67:                             ;   in Loop: Header=BB147_12 Depth=1
	s_delay_alu instid0(SALU_CYCLE_1) | instskip(SKIP_2) | instid1(VALU_DEP_1)
	s_or_b32 exec_lo, exec_lo, s96
	v_add_nc_u32_e32 v12, s58, v0
	s_mov_b32 s14, exec_lo
	v_cmpx_gt_u32_e64 s62, v12
	s_cbranch_execz .LBB147_71
; %bb.68:                               ;   in Loop: Header=BB147_12 Depth=1
	v_dual_mov_b32 v22, v13 :: v_dual_lshlrev_b32 v23, 2, v12
	v_mov_b32_e32 v21, v12
	s_mov_b32 s13, 0
	s_and_b32 s12, s62, 0x7fffffff
	s_and_b32 s16, s89, 0xfe
	s_mov_b32 s15, s13
.LBB147_69:                             ;   Parent Loop BB147_12 Depth=1
                                        ; =>  This Inner Loop Header: Depth=2
	ds_load_b32 v12, v23
	v_add_co_u32 v21, vcc_lo, v21, v17
	v_add_co_ci_u32_e32 v22, vcc_lo, 0, v22, vcc_lo
	v_add_nc_u32_e32 v23, s63, v23
	s_delay_alu instid0(VALU_DEP_2) | instskip(SKIP_2) | instid1(VALU_DEP_1)
	v_cmp_le_u64_e32 vcc_lo, s[12:13], v[21:22]
	s_waitcnt lgkmcnt(0)
	v_xor_b32_e32 v12, 0x80000000, v12
	v_and_b32_e32 v24, v12, v31
	v_bfe_u32 v12, v12, s16, 2
	s_delay_alu instid0(VALU_DEP_2) | instskip(NEXT) | instid1(VALU_DEP_2)
	v_cmp_eq_u32_e64 s7, v24, v32
	v_cmp_eq_u32_e64 s8, 0, v12
	;; [unrolled: 1-line block ×5, first 2 shown]
	s_delay_alu instid0(VALU_DEP_4) | instskip(NEXT) | instid1(SALU_CYCLE_1)
	s_and_b32 s8, s7, s8
	v_cndmask_b32_e64 v12, 0, 1, s8
	s_and_b32 s8, s7, s9
	s_delay_alu instid0(SALU_CYCLE_1)
	v_cndmask_b32_e64 v24, 0, 1, s8
	s_and_b32 s8, s7, s10
	s_and_b32 s7, s7, s11
	v_cndmask_b32_e64 v33, 0, 1, s8
	v_cndmask_b32_e64 v34, 0, 1, s7
	v_cmp_ne_u32_e64 s7, 0, v12
	v_cmp_ne_u32_e64 s8, 0, v24
	s_delay_alu instid0(VALU_DEP_4) | instskip(NEXT) | instid1(VALU_DEP_4)
	v_cmp_ne_u32_e64 s9, 0, v33
	v_cmp_ne_u32_e64 s10, 0, v34
	s_delay_alu instid0(VALU_DEP_4) | instskip(NEXT) | instid1(VALU_DEP_3)
	s_bcnt1_i32_b32 s7, s7
	s_bcnt1_i32_b32 s8, s8
	v_add_co_u32 v2, s7, v2, s7
	s_delay_alu instid0(VALU_DEP_1)
	v_add_co_ci_u32_e64 v3, s7, 0, v3, s7
	v_add_co_u32 v4, s7, v4, s8
	s_bcnt1_i32_b32 s9, s9
	v_add_co_ci_u32_e64 v5, s7, 0, v5, s7
	v_add_co_u32 v6, s7, v6, s9
	s_bcnt1_i32_b32 s10, s10
	v_add_co_ci_u32_e64 v7, s7, 0, v7, s7
	v_add_co_u32 v8, s7, v8, s10
	s_delay_alu instid0(VALU_DEP_1) | instskip(SKIP_1) | instid1(SALU_CYCLE_1)
	v_add_co_ci_u32_e64 v9, s7, 0, v9, s7
	s_or_b32 s15, vcc_lo, s15
	s_and_not1_b32 exec_lo, exec_lo, s15
	s_cbranch_execnz .LBB147_69
; %bb.70:                               ;   in Loop: Header=BB147_12 Depth=1
	s_or_b32 exec_lo, exec_lo, s15
.LBB147_71:                             ;   in Loop: Header=BB147_12 Depth=1
	s_delay_alu instid0(SALU_CYCLE_1)
	s_or_b32 exec_lo, exec_lo, s14
.LBB147_72:                             ;   in Loop: Header=BB147_12 Depth=1
	s_lshl_b32 s7, s85, 7
	s_and_saveexec_b32 s8, s2
	s_cbranch_execz .LBB147_74
; %bb.73:                               ;   in Loop: Header=BB147_12 Depth=1
	v_or_b32_e32 v12, s7, v27
	s_delay_alu instid0(VALU_DEP_1)
	v_lshlrev_b32_e32 v12, 3, v12
	ds_store_b128 v12, v[2:5] offset:3072
	ds_store_b128 v12, v[6:9] offset:3088
.LBB147_74:                             ;   in Loop: Header=BB147_12 Depth=1
	s_or_b32 exec_lo, exec_lo, s8
	s_waitcnt vmcnt(0) lgkmcnt(0)
	s_barrier
	buffer_gl0_inv
	s_and_saveexec_b32 s8, s72
	s_cbranch_execz .LBB147_85
; %bb.75:                               ;   in Loop: Header=BB147_12 Depth=1
	v_mov_b32_e32 v2, 0
	v_mov_b32_e32 v3, 0
	s_and_not1_b32 vcc_lo, exec_lo, s80
	s_cbranch_vccnz .LBB147_84
; %bb.76:                               ;   in Loop: Header=BB147_12 Depth=1
	v_mov_b32_e32 v2, 0
	v_mov_b32_e32 v3, 0
	s_and_not1_b32 vcc_lo, exec_lo, s78
	s_cbranch_vccnz .LBB147_81
; %bb.77:                               ;   in Loop: Header=BB147_12 Depth=1
	v_lshl_add_u32 v4, s85, 10, v30
	s_mov_b32 s9, 0
	s_set_inst_prefetch_distance 0x1
	.p2align	6
.LBB147_78:                             ;   Parent Loop BB147_12 Depth=1
                                        ; =>  This Inner Loop Header: Depth=2
	ds_load_2addr_b64 v[5:8], v4 offset1:4
	ds_load_2addr_b64 v[21:24], v4 offset0:8 offset1:12
	ds_load_2addr_b64 v[33:36], v4 offset0:16 offset1:20
	s_add_i32 s9, s9, 8
	s_delay_alu instid0(SALU_CYCLE_1) | instskip(SKIP_3) | instid1(VALU_DEP_2)
	s_cmp_eq_u32 s79, s9
	s_waitcnt lgkmcnt(2)
	v_add_co_u32 v2, vcc_lo, v5, v2
	v_add_co_ci_u32_e32 v3, vcc_lo, v6, v3, vcc_lo
	v_add_co_u32 v2, vcc_lo, v7, v2
	s_delay_alu instid0(VALU_DEP_2)
	v_add_co_ci_u32_e32 v3, vcc_lo, v8, v3, vcc_lo
	ds_load_2addr_b64 v[5:8], v4 offset0:24 offset1:28
	s_waitcnt lgkmcnt(2)
	v_add_co_u32 v2, vcc_lo, v21, v2
	v_add_co_ci_u32_e32 v3, vcc_lo, v22, v3, vcc_lo
	v_add_nc_u32_e32 v4, 0x100, v4
	s_delay_alu instid0(VALU_DEP_3) | instskip(NEXT) | instid1(VALU_DEP_3)
	v_add_co_u32 v2, vcc_lo, v23, v2
	v_add_co_ci_u32_e32 v3, vcc_lo, v24, v3, vcc_lo
	s_waitcnt lgkmcnt(1)
	s_delay_alu instid0(VALU_DEP_2) | instskip(NEXT) | instid1(VALU_DEP_2)
	v_add_co_u32 v2, vcc_lo, v33, v2
	v_add_co_ci_u32_e32 v3, vcc_lo, v34, v3, vcc_lo
	s_delay_alu instid0(VALU_DEP_2) | instskip(NEXT) | instid1(VALU_DEP_2)
	v_add_co_u32 v2, vcc_lo, v35, v2
	v_add_co_ci_u32_e32 v3, vcc_lo, v36, v3, vcc_lo
	s_waitcnt lgkmcnt(0)
	s_delay_alu instid0(VALU_DEP_2) | instskip(NEXT) | instid1(VALU_DEP_2)
	v_add_co_u32 v2, vcc_lo, v5, v2
	v_add_co_ci_u32_e32 v3, vcc_lo, v6, v3, vcc_lo
	s_delay_alu instid0(VALU_DEP_2) | instskip(NEXT) | instid1(VALU_DEP_2)
	v_add_co_u32 v2, vcc_lo, v7, v2
	v_add_co_ci_u32_e32 v3, vcc_lo, v8, v3, vcc_lo
	s_cbranch_scc0 .LBB147_78
; %bb.79:                               ;   in Loop: Header=BB147_12 Depth=1
	s_set_inst_prefetch_distance 0x2
	s_mov_b32 s9, s79
	s_and_not1_b32 vcc_lo, exec_lo, s81
	s_cbranch_vccz .LBB147_82
	s_branch .LBB147_84
.LBB147_80:                             ;   in Loop: Header=BB147_12 Depth=1
                                        ; implicit-def: $vgpr2_vgpr3
	s_branch .LBB147_48
.LBB147_81:                             ;   in Loop: Header=BB147_12 Depth=1
	s_mov_b32 s9, 0
	s_and_not1_b32 vcc_lo, exec_lo, s81
	s_cbranch_vccnz .LBB147_84
.LBB147_82:                             ;   in Loop: Header=BB147_12 Depth=1
	s_lshl_b32 s10, s85, 10
	s_lshl_b32 s9, s9, 5
	s_delay_alu instid0(SALU_CYCLE_1)
	v_add3_u32 v4, s10, s9, v30
	s_mov_b32 s9, s77
.LBB147_83:                             ;   Parent Loop BB147_12 Depth=1
                                        ; =>  This Inner Loop Header: Depth=2
	ds_load_b64 v[5:6], v4
	v_add_nc_u32_e32 v4, 32, v4
	s_add_i32 s9, s9, -1
	s_delay_alu instid0(SALU_CYCLE_1)
	s_cmp_lg_u32 s9, 0
	s_waitcnt lgkmcnt(0)
	v_add_co_u32 v2, vcc_lo, v5, v2
	v_add_co_ci_u32_e32 v3, vcc_lo, v6, v3, vcc_lo
	s_cbranch_scc1 .LBB147_83
.LBB147_84:                             ;   in Loop: Header=BB147_12 Depth=1
	v_add_lshl_u32 v4, s7, v26, 3
	ds_store_b64 v4, v[2:3] offset:3072
.LBB147_85:                             ;   in Loop: Header=BB147_12 Depth=1
	s_or_b32 exec_lo, exec_lo, s8
	s_lshl_b32 s7, s7, 3
	s_waitcnt lgkmcnt(0)
	v_mov_b32_e32 v6, s7
	s_barrier
	buffer_gl0_inv
	s_and_b32 s22, s89, 0xfe
	v_cmp_eq_u64_e64 s7, 1, v[19:20]
	ds_load_b128 v[2:5], v6 offset:3072
	ds_load_b128 v[6:9], v6 offset:3088
	s_lshl_b32 s20, 3, s22
	s_and_not1_b32 vcc_lo, exec_lo, s53
	s_not_b32 s21, s20
	s_waitcnt lgkmcnt(1)
	v_readfirstlane_b32 s11, v3
	v_readfirstlane_b32 s10, v2
	v_readfirstlane_b32 s13, v5
	v_readfirstlane_b32 s12, v4
	s_waitcnt lgkmcnt(0)
	v_readfirstlane_b32 s15, v7
	v_readfirstlane_b32 s14, v6
	;; [unrolled: 1-line block ×4, first 2 shown]
	s_cbranch_vccnz .LBB147_101
; %bb.86:                               ;   in Loop: Header=BB147_12 Depth=1
	s_cmp_eq_u64 s[10:11], 1
	v_dual_mov_b32 v21, v32 :: v_dual_mov_b32 v22, v31
	v_mov_b32_e32 v3, v18
	s_cselect_b32 s8, -1, 0
                                        ; implicit-def: $sgpr23
                                        ; implicit-def: $sgpr62
                                        ; implicit-def: $sgpr58
	s_delay_alu instid0(SALU_CYCLE_1)
	s_and_b32 s65, s8, s7
	s_mov_b32 s8, -1
	s_and_saveexec_b32 s24, s65
	s_cbranch_execz .LBB147_120
; %bb.87:                               ;   in Loop: Header=BB147_12 Depth=1
	ds_load_b64 v[2:3], v13 offset:5120
	s_waitcnt lgkmcnt(0)
	s_barrier
	buffer_gl0_inv
	v_readfirstlane_b32 s18, v2
	v_readfirstlane_b32 s19, v3
	s_and_saveexec_b32 s8, s6
	s_cbranch_execz .LBB147_89
; %bb.88:                               ;   in Loop: Header=BB147_12 Depth=1
	ds_store_b32 v28, v13
.LBB147_89:                             ;   in Loop: Header=BB147_12 Depth=1
	s_or_b32 exec_lo, exec_lo, s8
	v_and_b32_e32 v21, s21, v32
	v_or_b32_e32 v22, s20, v31
	s_cmp_eq_u64 s[18:19], 0
	s_waitcnt lgkmcnt(0)
	s_barrier
	buffer_gl0_inv
	s_cbranch_scc1 .LBB147_103
; %bb.90:                               ;   in Loop: Header=BB147_12 Depth=1
	s_add_u32 s23, s74, s18
	s_addc_u32 s9, s75, s19
	s_mov_b32 s8, s59
	s_delay_alu instid0(SALU_CYCLE_1)
	s_cmp_lg_u64 s[8:9], 0
	s_cbranch_scc0 .LBB147_147
; %bb.91:                               ;   in Loop: Header=BB147_12 Depth=1
	v_cvt_f32_u32_e32 v2, s49
	s_sub_u32 s26, 0, s49
	s_subb_u32 s54, 0, 0
	s_delay_alu instid0(VALU_DEP_1) | instskip(NEXT) | instid1(VALU_DEP_1)
	v_fmac_f32_e64 v2, 0, 0x4f800000
	v_rcp_f32_e32 v2, v2
	s_waitcnt_depctr 0xfff
	v_mul_f32_e32 v2, 0x5f7ffffc, v2
	s_delay_alu instid0(VALU_DEP_1) | instskip(NEXT) | instid1(VALU_DEP_1)
	v_mul_f32_e32 v3, 0x2f800000, v2
	v_trunc_f32_e32 v3, v3
	s_delay_alu instid0(VALU_DEP_1) | instskip(SKIP_1) | instid1(VALU_DEP_2)
	v_fmac_f32_e32 v2, 0xcf800000, v3
	v_cvt_u32_f32_e32 v3, v3
	v_cvt_u32_f32_e32 v2, v2
	s_delay_alu instid0(VALU_DEP_2) | instskip(NEXT) | instid1(VALU_DEP_2)
	v_readfirstlane_b32 s8, v3
	v_readfirstlane_b32 s25, v2
	s_delay_alu instid0(VALU_DEP_2) | instskip(NEXT) | instid1(VALU_DEP_1)
	s_mul_i32 s55, s26, s8
	s_mul_hi_u32 s62, s26, s25
	s_mul_i32 s58, s54, s25
	s_add_i32 s55, s62, s55
	s_mul_i32 s63, s26, s25
	s_add_i32 s55, s55, s58
	s_mul_hi_u32 s62, s25, s63
	s_mul_hi_u32 s64, s8, s63
	s_mul_i32 s58, s8, s63
	s_mul_hi_u32 s63, s25, s55
	s_mul_i32 s25, s25, s55
	s_mul_hi_u32 s66, s8, s55
	s_add_u32 s25, s62, s25
	s_addc_u32 s62, 0, s63
	s_add_u32 s25, s25, s58
	s_mul_i32 s55, s8, s55
	s_addc_u32 s25, s62, s64
	s_addc_u32 s58, s66, 0
	s_add_u32 s25, s25, s55
	s_addc_u32 s55, 0, s58
	v_add_co_u32 v2, s25, v2, s25
	s_delay_alu instid0(VALU_DEP_1) | instskip(SKIP_1) | instid1(VALU_DEP_1)
	s_cmp_lg_u32 s25, 0
	s_addc_u32 s8, s8, s55
	v_readfirstlane_b32 s25, v2
	s_mul_i32 s55, s26, s8
	s_delay_alu instid0(VALU_DEP_1)
	s_mul_hi_u32 s58, s26, s25
	s_mul_i32 s54, s54, s25
	s_add_i32 s55, s58, s55
	s_mul_i32 s26, s26, s25
	s_add_i32 s55, s55, s54
	s_mul_hi_u32 s58, s8, s26
	s_mul_i32 s62, s8, s26
	s_mul_hi_u32 s26, s25, s26
	s_mul_hi_u32 s63, s25, s55
	s_mul_i32 s25, s25, s55
	s_mul_hi_u32 s54, s8, s55
	s_add_u32 s25, s26, s25
	s_addc_u32 s26, 0, s63
	s_add_u32 s25, s25, s62
	s_mul_i32 s55, s8, s55
	s_addc_u32 s25, s26, s58
	s_addc_u32 s26, s54, 0
	s_add_u32 s25, s25, s55
	s_addc_u32 s26, 0, s26
	v_add_co_u32 v2, s25, v2, s25
	s_delay_alu instid0(VALU_DEP_1) | instskip(SKIP_1) | instid1(VALU_DEP_1)
	s_cmp_lg_u32 s25, 0
	s_addc_u32 s8, s8, s26
	v_readfirstlane_b32 s25, v2
	s_mul_i32 s54, s23, s8
	s_mul_hi_u32 s26, s23, s8
	s_mul_hi_u32 s55, s9, s8
	s_mul_i32 s8, s9, s8
	s_mul_hi_u32 s58, s23, s25
	s_mul_hi_u32 s62, s9, s25
	s_mul_i32 s25, s9, s25
	s_add_u32 s54, s58, s54
	s_addc_u32 s26, 0, s26
	s_add_u32 s25, s54, s25
	s_addc_u32 s25, s26, s62
	s_addc_u32 s26, s55, 0
	s_add_u32 s8, s25, s8
	s_addc_u32 s25, 0, s26
	s_mul_hi_u32 s26, s49, s8
	s_mul_i32 s8, s49, s8
	s_mul_i32 s25, s49, s25
	v_sub_co_u32 v2, s8, s23, s8
	s_add_i32 s26, s26, s25
	s_cmp_lg_u32 s8, 0
	s_delay_alu instid0(VALU_DEP_1) | instskip(SKIP_2) | instid1(VALU_DEP_1)
	v_sub_co_u32 v3, s8, v2, s49
	s_subb_u32 s25, s9, s26
	s_cmp_lg_u32 s8, 0
	v_cmp_le_u32_e32 vcc_lo, s49, v3
	v_sub_co_u32 v4, s8, v3, s49
	s_subb_u32 s26, s25, 0
	s_cmp_lg_u32 s8, 0
	v_cndmask_b32_e64 v5, 0, -1, vcc_lo
	s_subb_u32 s8, s26, 0
	s_cmp_eq_u32 s26, 0
	v_mov_b32_e32 v7, s8
	s_cselect_b32 vcc_lo, -1, 0
	s_cmp_eq_u32 s25, 0
	v_cndmask_b32_e32 v5, -1, v5, vcc_lo
	v_cmp_le_u32_e32 vcc_lo, s49, v2
	s_cselect_b32 s8, -1, 0
	v_cndmask_b32_e64 v6, 0, -1, vcc_lo
	s_delay_alu instid0(VALU_DEP_3) | instskip(NEXT) | instid1(VALU_DEP_2)
	v_cmp_ne_u32_e32 vcc_lo, 0, v5
	v_cndmask_b32_e64 v5, -1, v6, s8
	v_cndmask_b32_e32 v6, s26, v7, vcc_lo
	v_cndmask_b32_e32 v4, v3, v4, vcc_lo
	s_delay_alu instid0(VALU_DEP_3) | instskip(NEXT) | instid1(VALU_DEP_3)
	v_cmp_ne_u32_e32 vcc_lo, 0, v5
	v_cndmask_b32_e32 v3, s25, v6, vcc_lo
	s_delay_alu instid0(VALU_DEP_3)
	v_cndmask_b32_e32 v2, v2, v4, vcc_lo
	s_cbranch_execnz .LBB147_93
.LBB147_92:                             ;   in Loop: Header=BB147_12 Depth=1
	v_cvt_f32_u32_e32 v2, s49
	s_sub_i32 s8, 0, s49
	s_delay_alu instid0(VALU_DEP_1) | instskip(SKIP_2) | instid1(VALU_DEP_1)
	v_rcp_iflag_f32_e32 v2, v2
	s_waitcnt_depctr 0xfff
	v_mul_f32_e32 v2, 0x4f7ffffe, v2
	v_cvt_u32_f32_e32 v2, v2
	s_delay_alu instid0(VALU_DEP_1) | instskip(NEXT) | instid1(VALU_DEP_1)
	v_mul_lo_u32 v3, s8, v2
	v_mul_hi_u32 v3, v2, v3
	s_delay_alu instid0(VALU_DEP_1) | instskip(NEXT) | instid1(VALU_DEP_1)
	v_add_nc_u32_e32 v2, v2, v3
	v_mul_hi_u32 v2, s23, v2
	s_delay_alu instid0(VALU_DEP_1) | instskip(NEXT) | instid1(VALU_DEP_1)
	v_mul_lo_u32 v2, v2, s49
	v_sub_nc_u32_e32 v2, s23, v2
	s_delay_alu instid0(VALU_DEP_1) | instskip(SKIP_1) | instid1(VALU_DEP_2)
	v_subrev_nc_u32_e32 v3, s49, v2
	v_cmp_le_u32_e32 vcc_lo, s49, v2
	v_cndmask_b32_e32 v2, v2, v3, vcc_lo
	s_delay_alu instid0(VALU_DEP_1) | instskip(SKIP_1) | instid1(VALU_DEP_2)
	v_subrev_nc_u32_e32 v3, s49, v2
	v_cmp_le_u32_e32 vcc_lo, s49, v2
	v_cndmask_b32_e32 v12, v2, v3, vcc_lo
	s_delay_alu instid0(VALU_DEP_1)
	v_dual_mov_b32 v2, v12 :: v_dual_mov_b32 v3, v13
.LBB147_93:                             ;   in Loop: Header=BB147_12 Depth=1
	s_delay_alu instid0(VALU_DEP_1) | instskip(NEXT) | instid1(VALU_DEP_2)
	v_sub_co_u32 v4, vcc_lo, s23, v2
	v_sub_co_ci_u32_e32 v5, vcc_lo, s9, v3, vcc_lo
	s_mov_b32 s25, 0
	s_mov_b32 s8, exec_lo
                                        ; implicit-def: $vgpr3
	s_delay_alu instid0(VALU_DEP_1)
	v_cmpx_gt_u64_e64 v[4:5], v[0:1]
	s_cbranch_execz .LBB147_105
; %bb.94:                               ;   in Loop: Header=BB147_12 Depth=1
	v_dual_mov_b32 v8, v14 :: v_dual_mov_b32 v7, v1
	v_mov_b32_e32 v6, v0
	s_mov_b32 s9, 0
                                        ; implicit-def: $sgpr23
	s_set_inst_prefetch_distance 0x1
	s_branch .LBB147_96
	.p2align	6
.LBB147_95:                             ;   in Loop: Header=BB147_96 Depth=2
	s_or_b32 exec_lo, exec_lo, s25
	s_waitcnt lgkmcnt(0)
	s_barrier
	buffer_gl0_inv
	ds_load_b64 v[2:3], v13 offset:3072
	v_add_co_u32 v6, vcc_lo, v6, s49
	v_add_co_ci_u32_e32 v7, vcc_lo, 0, v7, vcc_lo
	v_add_nc_u32_e32 v8, s82, v8
	s_waitcnt lgkmcnt(0)
	s_barrier
	s_delay_alu instid0(VALU_DEP_2) | instskip(SKIP_2) | instid1(VALU_DEP_1)
	v_cmp_ge_u64_e32 vcc_lo, v[6:7], v[4:5]
	buffer_gl0_inv
	v_readfirstlane_b32 s25, v2
	s_cmp_lg_u32 s25, 0
	s_cselect_b32 s25, -1, 0
	s_delay_alu instid0(SALU_CYCLE_1) | instskip(NEXT) | instid1(SALU_CYCLE_1)
	s_or_b32 s26, vcc_lo, s25
	s_and_b32 s26, exec_lo, s26
	s_delay_alu instid0(SALU_CYCLE_1) | instskip(SKIP_2) | instid1(SALU_CYCLE_1)
	s_or_b32 s9, s26, s9
	s_and_not1_b32 s23, s23, exec_lo
	s_and_b32 s25, s25, exec_lo
	s_or_b32 s23, s23, s25
	s_and_not1_b32 exec_lo, exec_lo, s9
	s_cbranch_execz .LBB147_104
.LBB147_96:                             ;   Parent Loop BB147_12 Depth=1
                                        ; =>  This Inner Loop Header: Depth=2
	s_delay_alu instid0(VALU_DEP_1)
	v_cmp_gt_u64_e32 vcc_lo, s[18:19], v[6:7]
	v_mov_b32_e32 v17, 0
	s_and_saveexec_b32 s25, vcc_lo
	s_cbranch_execz .LBB147_98
; %bb.97:                               ;   in Loop: Header=BB147_96 Depth=2
	ds_load_b32 v17, v8
.LBB147_98:                             ;   in Loop: Header=BB147_96 Depth=2
	s_or_b32 exec_lo, exec_lo, s25
	s_and_saveexec_b32 s25, vcc_lo
	s_cbranch_execz .LBB147_95
; %bb.99:                               ;   in Loop: Header=BB147_96 Depth=2
	s_waitcnt lgkmcnt(0)
	v_xor_b32_e32 v2, 0x80000000, v17
	s_delay_alu instid0(VALU_DEP_1) | instskip(NEXT) | instid1(VALU_DEP_1)
	v_and_b32_e32 v2, v2, v22
	v_cmp_eq_u32_e32 vcc_lo, v2, v21
	s_and_b32 exec_lo, exec_lo, vcc_lo
	s_cbranch_execz .LBB147_95
; %bb.100:                              ;   in Loop: Header=BB147_96 Depth=2
	ds_store_b64 v13, v[16:17] offset:3072
	s_branch .LBB147_95
.LBB147_101:                            ;   in Loop: Header=BB147_12 Depth=1
	s_mov_b32 s25, 0
	s_mov_b32 s24, 0
                                        ; implicit-def: $sgpr58
                                        ; implicit-def: $sgpr62
                                        ; implicit-def: $sgpr23
                                        ; implicit-def: $vgpr8
                                        ; implicit-def: $vgpr4_vgpr5
                                        ; implicit-def: $vgpr21
                                        ; implicit-def: $vgpr22
                                        ; implicit-def: $vgpr3
	s_cbranch_execnz .LBB147_284
.LBB147_102:                            ;   in Loop: Header=BB147_12 Depth=1
	s_mov_b32 s18, s23
	s_mov_b32 s19, s23
	s_and_saveexec_b32 s7, s25
	s_cbranch_execnz .LBB147_480
	s_branch .LBB147_481
.LBB147_103:                            ;   in Loop: Header=BB147_12 Depth=1
	s_mov_b32 s23, -1
	s_mov_b32 s25, 0
                                        ; implicit-def: $sgpr58
                                        ; implicit-def: $vgpr3
	s_mov_b32 s62, s23
	s_cbranch_execnz .LBB147_106
	s_branch .LBB147_119
.LBB147_104:                            ;   in Loop: Header=BB147_12 Depth=1
	s_set_inst_prefetch_distance 0x2
	s_or_b32 exec_lo, exec_lo, s9
	s_delay_alu instid0(SALU_CYCLE_1)
	s_and_b32 s25, s23, exec_lo
.LBB147_105:                            ;   in Loop: Header=BB147_12 Depth=1
	s_or_b32 exec_lo, exec_lo, s8
	s_mov_b32 s58, -1
	s_mov_b32 s23, 0
	s_delay_alu instid0(SALU_CYCLE_1)
	s_mov_b32 s62, s23
	s_branch .LBB147_119
.LBB147_106:                            ;   in Loop: Header=BB147_12 Depth=1
	s_mov_b32 s26, s59
	s_delay_alu instid0(SALU_CYCLE_1)
	s_cmp_lg_u64 s[26:27], 0
	s_cbranch_scc0 .LBB147_148
; %bb.107:                              ;   in Loop: Header=BB147_12 Depth=1
	v_cvt_f32_u32_e32 v2, s49
	s_sub_u32 s18, 0, s49
	s_subb_u32 s19, 0, 0
	s_delay_alu instid0(VALU_DEP_1) | instskip(NEXT) | instid1(VALU_DEP_1)
	v_fmac_f32_e64 v2, 0, 0x4f800000
	v_rcp_f32_e32 v2, v2
	s_waitcnt_depctr 0xfff
	v_mul_f32_e32 v2, 0x5f7ffffc, v2
	s_delay_alu instid0(VALU_DEP_1) | instskip(NEXT) | instid1(VALU_DEP_1)
	v_mul_f32_e32 v3, 0x2f800000, v2
	v_trunc_f32_e32 v3, v3
	s_delay_alu instid0(VALU_DEP_1) | instskip(SKIP_1) | instid1(VALU_DEP_2)
	v_fmac_f32_e32 v2, 0xcf800000, v3
	v_cvt_u32_f32_e32 v3, v3
	v_cvt_u32_f32_e32 v2, v2
	s_delay_alu instid0(VALU_DEP_2) | instskip(NEXT) | instid1(VALU_DEP_2)
	v_readfirstlane_b32 s8, v3
	v_readfirstlane_b32 s9, v2
	s_delay_alu instid0(VALU_DEP_2) | instskip(NEXT) | instid1(VALU_DEP_1)
	s_mul_i32 s23, s18, s8
	s_mul_hi_u32 s26, s18, s9
	s_mul_i32 s25, s19, s9
	s_add_i32 s23, s26, s23
	s_mul_i32 s54, s18, s9
	s_add_i32 s23, s23, s25
	s_mul_hi_u32 s26, s9, s54
	s_mul_hi_u32 s55, s8, s54
	s_mul_i32 s25, s8, s54
	s_mul_hi_u32 s54, s9, s23
	s_mul_i32 s9, s9, s23
	s_mul_hi_u32 s58, s8, s23
	s_add_u32 s9, s26, s9
	s_addc_u32 s26, 0, s54
	s_add_u32 s9, s9, s25
	s_mul_i32 s23, s8, s23
	s_addc_u32 s9, s26, s55
	s_addc_u32 s25, s58, 0
	s_add_u32 s9, s9, s23
	s_addc_u32 s23, 0, s25
	v_add_co_u32 v2, s9, v2, s9
	s_delay_alu instid0(VALU_DEP_1) | instskip(SKIP_1) | instid1(VALU_DEP_1)
	s_cmp_lg_u32 s9, 0
	s_addc_u32 s8, s8, s23
	v_readfirstlane_b32 s9, v2
	s_mul_i32 s23, s18, s8
	s_delay_alu instid0(VALU_DEP_1)
	s_mul_hi_u32 s25, s18, s9
	s_mul_i32 s19, s19, s9
	s_add_i32 s23, s25, s23
	s_mul_i32 s18, s18, s9
	s_add_i32 s23, s23, s19
	s_mul_hi_u32 s25, s8, s18
	s_mul_i32 s26, s8, s18
	s_mul_hi_u32 s18, s9, s18
	s_mul_hi_u32 s54, s9, s23
	s_mul_i32 s9, s9, s23
	s_mul_hi_u32 s19, s8, s23
	s_add_u32 s9, s18, s9
	s_addc_u32 s18, 0, s54
	s_add_u32 s9, s9, s26
	s_mul_i32 s23, s8, s23
	s_addc_u32 s9, s18, s25
	s_addc_u32 s18, s19, 0
	s_add_u32 s9, s9, s23
	s_addc_u32 s18, 0, s18
	v_add_co_u32 v2, s9, v2, s9
	s_delay_alu instid0(VALU_DEP_1) | instskip(SKIP_1) | instid1(VALU_DEP_1)
	s_cmp_lg_u32 s9, 0
	s_addc_u32 s8, s8, s18
	v_readfirstlane_b32 s9, v2
	s_mul_i32 s19, s76, s8
	s_mul_hi_u32 s18, s76, s8
	s_mul_hi_u32 s23, s27, s8
	s_mul_i32 s8, s27, s8
	s_mul_hi_u32 s25, s76, s9
	s_mul_hi_u32 s26, s27, s9
	s_mul_i32 s9, s27, s9
	s_add_u32 s19, s25, s19
	s_addc_u32 s18, 0, s18
	s_add_u32 s9, s19, s9
	s_addc_u32 s9, s18, s26
	s_addc_u32 s18, s23, 0
	s_add_u32 s8, s9, s8
	s_addc_u32 s9, 0, s18
	s_mul_hi_u32 s18, s49, s8
	s_mul_i32 s8, s49, s8
	s_mul_i32 s9, s49, s9
	v_sub_co_u32 v2, s8, s76, s8
	s_add_i32 s18, s18, s9
	s_cmp_lg_u32 s8, 0
	s_delay_alu instid0(VALU_DEP_1) | instskip(SKIP_2) | instid1(VALU_DEP_1)
	v_sub_co_u32 v3, s8, v2, s49
	s_subb_u32 s9, s27, s18
	s_cmp_lg_u32 s8, 0
	v_cmp_le_u32_e32 vcc_lo, s49, v3
	v_sub_co_u32 v4, s8, v3, s49
	s_subb_u32 s18, s9, 0
	s_cmp_lg_u32 s8, 0
	v_cndmask_b32_e64 v5, 0, -1, vcc_lo
	s_subb_u32 s8, s18, 0
	s_cmp_eq_u32 s18, 0
	v_mov_b32_e32 v7, s8
	s_cselect_b32 vcc_lo, -1, 0
	s_cmp_eq_u32 s9, 0
	v_cndmask_b32_e32 v5, -1, v5, vcc_lo
	v_cmp_le_u32_e32 vcc_lo, s49, v2
	s_cselect_b32 s8, -1, 0
	v_cndmask_b32_e64 v6, 0, -1, vcc_lo
	s_delay_alu instid0(VALU_DEP_3) | instskip(NEXT) | instid1(VALU_DEP_2)
	v_cmp_ne_u32_e32 vcc_lo, 0, v5
	v_cndmask_b32_e64 v5, -1, v6, s8
	v_cndmask_b32_e32 v6, s18, v7, vcc_lo
	v_cndmask_b32_e32 v4, v3, v4, vcc_lo
	s_delay_alu instid0(VALU_DEP_3) | instskip(NEXT) | instid1(VALU_DEP_3)
	v_cmp_ne_u32_e32 vcc_lo, 0, v5
	v_cndmask_b32_e32 v3, s9, v6, vcc_lo
	s_delay_alu instid0(VALU_DEP_3)
	v_cndmask_b32_e32 v2, v2, v4, vcc_lo
	s_cbranch_execnz .LBB147_109
.LBB147_108:                            ;   in Loop: Header=BB147_12 Depth=1
	v_cvt_f32_u32_e32 v2, s49
	s_sub_i32 s8, 0, s49
	s_delay_alu instid0(VALU_DEP_1) | instskip(SKIP_2) | instid1(VALU_DEP_1)
	v_rcp_iflag_f32_e32 v2, v2
	s_waitcnt_depctr 0xfff
	v_mul_f32_e32 v2, 0x4f7ffffe, v2
	v_cvt_u32_f32_e32 v2, v2
	s_delay_alu instid0(VALU_DEP_1) | instskip(NEXT) | instid1(VALU_DEP_1)
	v_mul_lo_u32 v3, s8, v2
	v_mul_hi_u32 v3, v2, v3
	s_delay_alu instid0(VALU_DEP_1) | instskip(NEXT) | instid1(VALU_DEP_1)
	v_add_nc_u32_e32 v2, v2, v3
	v_mul_hi_u32 v2, s76, v2
	s_delay_alu instid0(VALU_DEP_1) | instskip(NEXT) | instid1(VALU_DEP_1)
	v_mul_lo_u32 v2, v2, s49
	v_sub_nc_u32_e32 v2, s76, v2
	s_delay_alu instid0(VALU_DEP_1) | instskip(SKIP_1) | instid1(VALU_DEP_2)
	v_subrev_nc_u32_e32 v3, s49, v2
	v_cmp_le_u32_e32 vcc_lo, s49, v2
	v_cndmask_b32_e32 v2, v2, v3, vcc_lo
	s_delay_alu instid0(VALU_DEP_1) | instskip(SKIP_1) | instid1(VALU_DEP_2)
	v_subrev_nc_u32_e32 v3, s49, v2
	v_cmp_le_u32_e32 vcc_lo, s49, v2
	v_cndmask_b32_e32 v12, v2, v3, vcc_lo
	s_delay_alu instid0(VALU_DEP_1)
	v_dual_mov_b32 v2, v12 :: v_dual_mov_b32 v3, v13
.LBB147_109:                            ;   in Loop: Header=BB147_12 Depth=1
	s_delay_alu instid0(VALU_DEP_1) | instskip(NEXT) | instid1(VALU_DEP_2)
	v_sub_co_u32 v4, vcc_lo, s76, v2
	v_sub_co_ci_u32_e32 v5, vcc_lo, s27, v3, vcc_lo
	s_mov_b32 s25, 0
	s_mov_b32 s9, exec_lo
                                        ; implicit-def: $vgpr3
	s_delay_alu instid0(VALU_DEP_1)
	v_cmpx_gt_u64_e64 v[4:5], v[0:1]
	s_cbranch_execz .LBB147_118
; %bb.110:                              ;   in Loop: Header=BB147_12 Depth=1
	v_dual_mov_b32 v7, v1 :: v_dual_mov_b32 v6, v0
	s_mov_b32 s18, 0
                                        ; implicit-def: $sgpr19
	s_branch .LBB147_112
.LBB147_111:                            ;   in Loop: Header=BB147_112 Depth=2
	s_or_b32 exec_lo, exec_lo, s8
	s_waitcnt vmcnt(0) lgkmcnt(0)
	s_barrier
	buffer_gl0_inv
	ds_load_b64 v[2:3], v13 offset:3072
	v_add_co_u32 v6, vcc_lo, v6, s49
	v_add_co_ci_u32_e32 v7, vcc_lo, 0, v7, vcc_lo
	s_waitcnt lgkmcnt(0)
	s_barrier
	buffer_gl0_inv
	v_cmp_ge_u64_e32 vcc_lo, v[6:7], v[4:5]
	v_readfirstlane_b32 s8, v2
	s_delay_alu instid0(VALU_DEP_1) | instskip(SKIP_1) | instid1(SALU_CYCLE_1)
	s_cmp_lg_u32 s8, 0
	s_cselect_b32 s8, -1, 0
	s_or_b32 s23, vcc_lo, s8
	s_delay_alu instid0(SALU_CYCLE_1) | instskip(NEXT) | instid1(SALU_CYCLE_1)
	s_and_b32 s23, exec_lo, s23
	s_or_b32 s18, s23, s18
	s_and_not1_b32 s19, s19, exec_lo
	s_and_b32 s8, s8, exec_lo
	s_delay_alu instid0(SALU_CYCLE_1)
	s_or_b32 s19, s19, s8
	s_and_not1_b32 exec_lo, exec_lo, s18
	s_cbranch_execz .LBB147_117
.LBB147_112:                            ;   Parent Loop BB147_12 Depth=1
                                        ; =>  This Inner Loop Header: Depth=2
	s_delay_alu instid0(VALU_DEP_1)
	v_cmp_gt_u64_e32 vcc_lo, s[36:37], v[6:7]
	v_mov_b32_e32 v17, 0
	s_and_saveexec_b32 s23, vcc_lo
	s_cbranch_execz .LBB147_114
; %bb.113:                              ;   in Loop: Header=BB147_112 Depth=2
	v_mul_lo_u32 v8, v7, s30
	v_mul_lo_u32 v9, v6, s31
	v_mad_u64_u32 v[2:3], null, v6, s30, 0
	s_delay_alu instid0(VALU_DEP_1) | instskip(NEXT) | instid1(VALU_DEP_1)
	v_add3_u32 v3, v3, v9, v8
	v_lshlrev_b64 v[2:3], 2, v[2:3]
	s_delay_alu instid0(VALU_DEP_1) | instskip(NEXT) | instid1(VALU_DEP_1)
	v_add_co_u32 v2, s8, s33, v2
	v_add_co_ci_u32_e64 v3, s8, s35, v3, s8
	global_load_b32 v17, v[2:3], off
.LBB147_114:                            ;   in Loop: Header=BB147_112 Depth=2
	s_or_b32 exec_lo, exec_lo, s23
	s_and_saveexec_b32 s8, vcc_lo
	s_cbranch_execz .LBB147_111
; %bb.115:                              ;   in Loop: Header=BB147_112 Depth=2
	s_waitcnt vmcnt(0)
	v_xor_b32_e32 v2, 0x80000000, v17
	s_delay_alu instid0(VALU_DEP_1) | instskip(NEXT) | instid1(VALU_DEP_1)
	v_and_b32_e32 v2, v2, v22
	v_cmp_eq_u32_e32 vcc_lo, v2, v21
	s_and_b32 exec_lo, exec_lo, vcc_lo
	s_cbranch_execz .LBB147_111
; %bb.116:                              ;   in Loop: Header=BB147_112 Depth=2
	ds_store_b64 v13, v[16:17] offset:3072
	s_branch .LBB147_111
.LBB147_117:                            ;   in Loop: Header=BB147_12 Depth=1
	s_or_b32 exec_lo, exec_lo, s18
	s_delay_alu instid0(SALU_CYCLE_1)
	s_and_b32 s25, s19, exec_lo
.LBB147_118:                            ;   in Loop: Header=BB147_12 Depth=1
	s_or_b32 exec_lo, exec_lo, s9
	s_mov_b32 s62, -1
	s_mov_b32 s23, 0
	s_mov_b32 s58, 0
.LBB147_119:                            ;   in Loop: Header=BB147_12 Depth=1
	s_or_not1_b32 s8, s25, exec_lo
.LBB147_120:                            ;   in Loop: Header=BB147_12 Depth=1
	s_or_b32 exec_lo, exec_lo, s24
	s_mov_b32 s63, 0
	s_mov_b32 s25, 0
	;; [unrolled: 1-line block ×3, first 2 shown]
                                        ; implicit-def: $vgpr8
                                        ; implicit-def: $vgpr4_vgpr5
	s_and_saveexec_b32 s64, s8
	s_cbranch_execz .LBB147_283
; %bb.121:                              ;   in Loop: Header=BB147_12 Depth=1
	v_mov_b32_e32 v4, 1
	v_dual_mov_b32 v5, 0 :: v_dual_mov_b32 v8, 1
	s_xor_b32 s9, s65, -1
	s_delay_alu instid0(SALU_CYCLE_1)
	s_and_saveexec_b32 s8, s9
	s_cbranch_execz .LBB147_131
; %bb.122:                              ;   in Loop: Header=BB147_12 Depth=1
	s_mov_b32 s18, exec_lo
                                        ; implicit-def: $sgpr19
                                        ; implicit-def: $sgpr9
	v_cmpx_ge_u64_e64 s[10:11], v[19:20]
	s_xor_b32 s18, exec_lo, s18
	s_cbranch_execz .LBB147_128
; %bb.123:                              ;   in Loop: Header=BB147_12 Depth=1
	ds_load_b64 v[4:5], v13 offset:5120
	s_waitcnt lgkmcnt(0)
	v_cmp_ne_u64_e32 vcc_lo, 0, v[4:5]
	s_cbranch_vccnz .LBB147_127
; %bb.124:                              ;   in Loop: Header=BB147_12 Depth=1
	s_and_saveexec_b32 s9, s5
	s_cbranch_execz .LBB147_126
; %bb.125:                              ;   in Loop: Header=BB147_12 Depth=1
	v_dual_mov_b32 v4, s10 :: v_dual_mov_b32 v5, s11
	ds_store_b64 v13, v[4:5] offset:5128
.LBB147_126:                            ;   in Loop: Header=BB147_12 Depth=1
	s_or_b32 exec_lo, exec_lo, s9
	s_waitcnt lgkmcnt(0)
	s_barrier
	buffer_gl0_inv
.LBB147_127:                            ;   in Loop: Header=BB147_12 Depth=1
	v_and_b32_e32 v21, s21, v21
	v_or_b32_e32 v22, s20, v22
	s_mov_b32 s9, 0
	s_mov_b32 s19, 8
.LBB147_128:                            ;   in Loop: Header=BB147_12 Depth=1
	s_or_saveexec_b32 s18, s18
	v_mov_b32_e32 v4, v19
	v_dual_mov_b32 v8, s19 :: v_dual_mov_b32 v5, v20
	s_xor_b32 exec_lo, exec_lo, s18
; %bb.129:                              ;   in Loop: Header=BB147_12 Depth=1
	v_sub_co_u32 v4, vcc_lo, v19, s10
	v_subrev_co_ci_u32_e32 v5, vcc_lo, s11, v20, vcc_lo
	v_mov_b32_e32 v8, 0
	s_or_b32 s9, s9, exec_lo
; %bb.130:                              ;   in Loop: Header=BB147_12 Depth=1
	s_or_b32 exec_lo, exec_lo, s18
	s_delay_alu instid0(SALU_CYCLE_1)
	s_and_b32 s24, s9, exec_lo
.LBB147_131:                            ;   in Loop: Header=BB147_12 Depth=1
	s_or_b32 exec_lo, exec_lo, s8
	s_mov_b32 s25, -1
                                        ; implicit-def: $sgpr9
                                        ; implicit-def: $sgpr18
                                        ; implicit-def: $sgpr19
	s_and_saveexec_b32 s8, s24
	s_delay_alu instid0(SALU_CYCLE_1)
	s_xor_b32 s24, exec_lo, s8
	s_cbranch_execz .LBB147_280
; %bb.132:                              ;   in Loop: Header=BB147_12 Depth=1
	v_cmp_eq_u64_e32 vcc_lo, 1, v[4:5]
	s_cmp_eq_u64 s[12:13], 1
                                        ; implicit-def: $sgpr25
                                        ; implicit-def: $sgpr66
                                        ; implicit-def: $sgpr65
	s_cselect_b32 s8, -1, 0
	s_delay_alu instid0(SALU_CYCLE_1)
	s_and_b32 s68, s8, vcc_lo
	s_mov_b32 s8, -1
	s_and_saveexec_b32 s67, s68
	s_cbranch_execz .LBB147_166
; %bb.133:                              ;   in Loop: Header=BB147_12 Depth=1
	ds_load_b64 v[2:3], v13 offset:5120
	s_waitcnt lgkmcnt(0)
	s_barrier
	buffer_gl0_inv
	v_readfirstlane_b32 s18, v2
	v_readfirstlane_b32 s19, v3
	s_and_saveexec_b32 s8, s6
	s_cbranch_execz .LBB147_135
; %bb.134:                              ;   in Loop: Header=BB147_12 Depth=1
	ds_store_b32 v28, v13
.LBB147_135:                            ;   in Loop: Header=BB147_12 Depth=1
	s_or_b32 exec_lo, exec_lo, s8
	s_lshl_b32 s8, 1, s22
	v_or_b32_e32 v22, s20, v22
	v_and_or_b32 v21, v21, s21, s8
	s_cmp_eq_u64 s[18:19], 0
	s_waitcnt lgkmcnt(0)
	s_barrier
	buffer_gl0_inv
	s_cbranch_scc1 .LBB147_149
; %bb.136:                              ;   in Loop: Header=BB147_12 Depth=1
	s_add_u32 s25, s74, s18
	s_addc_u32 s9, s75, s19
	s_mov_b32 s8, s59
	s_delay_alu instid0(SALU_CYCLE_1)
	s_cmp_lg_u64 s[8:9], 0
	s_cbranch_scc0 .LBB147_193
; %bb.137:                              ;   in Loop: Header=BB147_12 Depth=1
	v_cvt_f32_u32_e32 v2, s49
	s_sub_u32 s65, 0, s49
	s_subb_u32 s66, 0, 0
	s_delay_alu instid0(VALU_DEP_1) | instskip(NEXT) | instid1(VALU_DEP_1)
	v_fmac_f32_e64 v2, 0, 0x4f800000
	v_rcp_f32_e32 v2, v2
	s_waitcnt_depctr 0xfff
	v_mul_f32_e32 v2, 0x5f7ffffc, v2
	s_delay_alu instid0(VALU_DEP_1) | instskip(NEXT) | instid1(VALU_DEP_1)
	v_mul_f32_e32 v3, 0x2f800000, v2
	v_trunc_f32_e32 v3, v3
	s_delay_alu instid0(VALU_DEP_1) | instskip(SKIP_1) | instid1(VALU_DEP_2)
	v_fmac_f32_e32 v2, 0xcf800000, v3
	v_cvt_u32_f32_e32 v3, v3
	v_cvt_u32_f32_e32 v2, v2
	s_delay_alu instid0(VALU_DEP_2) | instskip(NEXT) | instid1(VALU_DEP_2)
	v_readfirstlane_b32 s8, v3
	v_readfirstlane_b32 s26, v2
	s_delay_alu instid0(VALU_DEP_2) | instskip(NEXT) | instid1(VALU_DEP_1)
	s_mul_i32 s69, s65, s8
	s_mul_hi_u32 s71, s65, s26
	s_mul_i32 s70, s66, s26
	s_add_i32 s69, s71, s69
	s_mul_i32 s96, s65, s26
	s_add_i32 s69, s69, s70
	s_mul_hi_u32 s71, s26, s96
	s_mul_hi_u32 s97, s8, s96
	s_mul_i32 s70, s8, s96
	s_mul_hi_u32 s96, s26, s69
	s_mul_i32 s26, s26, s69
	s_mul_hi_u32 s98, s8, s69
	s_add_u32 s26, s71, s26
	s_addc_u32 s71, 0, s96
	s_add_u32 s26, s26, s70
	s_mul_i32 s69, s8, s69
	s_addc_u32 s26, s71, s97
	s_addc_u32 s70, s98, 0
	s_add_u32 s26, s26, s69
	s_addc_u32 s69, 0, s70
	v_add_co_u32 v2, s26, v2, s26
	s_delay_alu instid0(VALU_DEP_1) | instskip(SKIP_1) | instid1(VALU_DEP_1)
	s_cmp_lg_u32 s26, 0
	s_addc_u32 s8, s8, s69
	v_readfirstlane_b32 s26, v2
	s_mul_i32 s69, s65, s8
	s_delay_alu instid0(VALU_DEP_1)
	s_mul_hi_u32 s70, s65, s26
	s_mul_i32 s66, s66, s26
	s_add_i32 s69, s70, s69
	s_mul_i32 s65, s65, s26
	s_add_i32 s69, s69, s66
	s_mul_hi_u32 s70, s8, s65
	s_mul_i32 s71, s8, s65
	s_mul_hi_u32 s65, s26, s65
	s_mul_hi_u32 s96, s26, s69
	s_mul_i32 s26, s26, s69
	s_mul_hi_u32 s66, s8, s69
	s_add_u32 s26, s65, s26
	s_addc_u32 s65, 0, s96
	s_add_u32 s26, s26, s71
	s_mul_i32 s69, s8, s69
	s_addc_u32 s26, s65, s70
	s_addc_u32 s65, s66, 0
	s_add_u32 s26, s26, s69
	s_addc_u32 s65, 0, s65
	v_add_co_u32 v2, s26, v2, s26
	s_delay_alu instid0(VALU_DEP_1) | instskip(SKIP_1) | instid1(VALU_DEP_1)
	s_cmp_lg_u32 s26, 0
	s_addc_u32 s8, s8, s65
	v_readfirstlane_b32 s26, v2
	s_mul_i32 s66, s25, s8
	s_mul_hi_u32 s65, s25, s8
	s_mul_hi_u32 s69, s9, s8
	s_mul_i32 s8, s9, s8
	s_mul_hi_u32 s70, s25, s26
	s_mul_hi_u32 s71, s9, s26
	s_mul_i32 s26, s9, s26
	s_add_u32 s66, s70, s66
	s_addc_u32 s65, 0, s65
	s_add_u32 s26, s66, s26
	s_addc_u32 s26, s65, s71
	s_addc_u32 s65, s69, 0
	s_add_u32 s8, s26, s8
	s_addc_u32 s26, 0, s65
	s_mul_hi_u32 s65, s49, s8
	s_mul_i32 s8, s49, s8
	s_mul_i32 s26, s49, s26
	v_sub_co_u32 v2, s8, s25, s8
	s_add_i32 s65, s65, s26
	s_cmp_lg_u32 s8, 0
	s_delay_alu instid0(VALU_DEP_1) | instskip(SKIP_2) | instid1(VALU_DEP_1)
	v_sub_co_u32 v3, s8, v2, s49
	s_subb_u32 s26, s9, s65
	s_cmp_lg_u32 s8, 0
	v_cmp_le_u32_e32 vcc_lo, s49, v3
	v_sub_co_u32 v6, s8, v3, s49
	s_subb_u32 s65, s26, 0
	s_cmp_lg_u32 s8, 0
	v_cndmask_b32_e64 v7, 0, -1, vcc_lo
	s_subb_u32 s8, s65, 0
	s_cmp_eq_u32 s65, 0
	v_mov_b32_e32 v9, s8
	s_cselect_b32 vcc_lo, -1, 0
	s_cmp_eq_u32 s26, 0
	v_cndmask_b32_e32 v7, -1, v7, vcc_lo
	v_cmp_le_u32_e32 vcc_lo, s49, v2
	s_cselect_b32 s8, -1, 0
	v_cndmask_b32_e64 v8, 0, -1, vcc_lo
	s_delay_alu instid0(VALU_DEP_3) | instskip(NEXT) | instid1(VALU_DEP_2)
	v_cmp_ne_u32_e32 vcc_lo, 0, v7
	v_cndmask_b32_e64 v7, -1, v8, s8
	v_cndmask_b32_e32 v8, s65, v9, vcc_lo
	v_cndmask_b32_e32 v6, v3, v6, vcc_lo
	s_delay_alu instid0(VALU_DEP_3) | instskip(NEXT) | instid1(VALU_DEP_3)
	v_cmp_ne_u32_e32 vcc_lo, 0, v7
	v_cndmask_b32_e32 v3, s26, v8, vcc_lo
	s_delay_alu instid0(VALU_DEP_3)
	v_cndmask_b32_e32 v2, v2, v6, vcc_lo
	s_cbranch_execnz .LBB147_139
.LBB147_138:                            ;   in Loop: Header=BB147_12 Depth=1
	v_cvt_f32_u32_e32 v2, s49
	s_sub_i32 s8, 0, s49
	s_delay_alu instid0(VALU_DEP_1) | instskip(SKIP_2) | instid1(VALU_DEP_1)
	v_rcp_iflag_f32_e32 v2, v2
	s_waitcnt_depctr 0xfff
	v_mul_f32_e32 v2, 0x4f7ffffe, v2
	v_cvt_u32_f32_e32 v2, v2
	s_delay_alu instid0(VALU_DEP_1) | instskip(NEXT) | instid1(VALU_DEP_1)
	v_mul_lo_u32 v3, s8, v2
	v_mul_hi_u32 v3, v2, v3
	s_delay_alu instid0(VALU_DEP_1) | instskip(NEXT) | instid1(VALU_DEP_1)
	v_add_nc_u32_e32 v2, v2, v3
	v_mul_hi_u32 v2, s25, v2
	s_delay_alu instid0(VALU_DEP_1) | instskip(NEXT) | instid1(VALU_DEP_1)
	v_mul_lo_u32 v2, v2, s49
	v_sub_nc_u32_e32 v2, s25, v2
	s_delay_alu instid0(VALU_DEP_1) | instskip(SKIP_1) | instid1(VALU_DEP_2)
	v_subrev_nc_u32_e32 v3, s49, v2
	v_cmp_le_u32_e32 vcc_lo, s49, v2
	v_cndmask_b32_e32 v2, v2, v3, vcc_lo
	s_delay_alu instid0(VALU_DEP_1) | instskip(SKIP_1) | instid1(VALU_DEP_2)
	v_subrev_nc_u32_e32 v3, s49, v2
	v_cmp_le_u32_e32 vcc_lo, s49, v2
	v_cndmask_b32_e32 v12, v2, v3, vcc_lo
	s_delay_alu instid0(VALU_DEP_1)
	v_dual_mov_b32 v2, v12 :: v_dual_mov_b32 v3, v13
.LBB147_139:                            ;   in Loop: Header=BB147_12 Depth=1
	s_delay_alu instid0(VALU_DEP_1) | instskip(NEXT) | instid1(VALU_DEP_2)
	v_sub_co_u32 v6, vcc_lo, s25, v2
	v_sub_co_ci_u32_e32 v7, vcc_lo, s9, v3, vcc_lo
	s_mov_b32 s26, 0
	s_mov_b32 s8, exec_lo
                                        ; implicit-def: $vgpr3
	s_delay_alu instid0(VALU_DEP_1)
	v_cmpx_gt_u64_e64 v[6:7], v[0:1]
	s_cbranch_execz .LBB147_151
; %bb.140:                              ;   in Loop: Header=BB147_12 Depth=1
	v_dual_mov_b32 v12, v14 :: v_dual_mov_b32 v9, v1
	v_mov_b32_e32 v8, v0
	s_mov_b32 s9, 0
                                        ; implicit-def: $sgpr25
	s_set_inst_prefetch_distance 0x1
	s_branch .LBB147_142
	.p2align	6
.LBB147_141:                            ;   in Loop: Header=BB147_142 Depth=2
	s_or_b32 exec_lo, exec_lo, s26
	s_waitcnt lgkmcnt(0)
	s_barrier
	buffer_gl0_inv
	ds_load_b64 v[2:3], v13 offset:3072
	v_add_co_u32 v8, vcc_lo, v8, s49
	v_add_co_ci_u32_e32 v9, vcc_lo, 0, v9, vcc_lo
	v_add_nc_u32_e32 v12, s82, v12
	s_waitcnt lgkmcnt(0)
	s_barrier
	s_delay_alu instid0(VALU_DEP_2) | instskip(SKIP_2) | instid1(VALU_DEP_1)
	v_cmp_ge_u64_e32 vcc_lo, v[8:9], v[6:7]
	buffer_gl0_inv
	v_readfirstlane_b32 s26, v2
	s_cmp_lg_u32 s26, 0
	s_cselect_b32 s26, -1, 0
	s_delay_alu instid0(SALU_CYCLE_1) | instskip(NEXT) | instid1(SALU_CYCLE_1)
	s_or_b32 s65, vcc_lo, s26
	s_and_b32 s65, exec_lo, s65
	s_delay_alu instid0(SALU_CYCLE_1) | instskip(SKIP_2) | instid1(SALU_CYCLE_1)
	s_or_b32 s9, s65, s9
	s_and_not1_b32 s25, s25, exec_lo
	s_and_b32 s26, s26, exec_lo
	s_or_b32 s25, s25, s26
	s_and_not1_b32 exec_lo, exec_lo, s9
	s_cbranch_execz .LBB147_150
.LBB147_142:                            ;   Parent Loop BB147_12 Depth=1
                                        ; =>  This Inner Loop Header: Depth=2
	s_delay_alu instid0(VALU_DEP_1)
	v_cmp_gt_u64_e32 vcc_lo, s[18:19], v[8:9]
	v_mov_b32_e32 v17, 0
	s_and_saveexec_b32 s26, vcc_lo
	s_cbranch_execz .LBB147_144
; %bb.143:                              ;   in Loop: Header=BB147_142 Depth=2
	ds_load_b32 v17, v12
.LBB147_144:                            ;   in Loop: Header=BB147_142 Depth=2
	s_or_b32 exec_lo, exec_lo, s26
	s_and_saveexec_b32 s26, vcc_lo
	s_cbranch_execz .LBB147_141
; %bb.145:                              ;   in Loop: Header=BB147_142 Depth=2
	s_waitcnt lgkmcnt(0)
	v_xor_b32_e32 v2, 0x80000000, v17
	s_delay_alu instid0(VALU_DEP_1) | instskip(NEXT) | instid1(VALU_DEP_1)
	v_and_b32_e32 v2, v2, v22
	v_cmp_eq_u32_e32 vcc_lo, v2, v21
	s_and_b32 exec_lo, exec_lo, vcc_lo
	s_cbranch_execz .LBB147_141
; %bb.146:                              ;   in Loop: Header=BB147_142 Depth=2
	ds_store_b64 v13, v[16:17] offset:3072
	s_branch .LBB147_141
.LBB147_147:                            ;   in Loop: Header=BB147_12 Depth=1
                                        ; implicit-def: $vgpr2_vgpr3
	s_branch .LBB147_92
.LBB147_148:                            ;   in Loop: Header=BB147_12 Depth=1
                                        ; implicit-def: $vgpr2_vgpr3
	s_branch .LBB147_108
.LBB147_149:                            ;   in Loop: Header=BB147_12 Depth=1
	s_mov_b32 s25, -1
	s_mov_b32 s26, 0
                                        ; implicit-def: $sgpr65
                                        ; implicit-def: $vgpr3
	s_mov_b32 s66, s25
	s_cbranch_execnz .LBB147_152
	s_branch .LBB147_165
.LBB147_150:                            ;   in Loop: Header=BB147_12 Depth=1
	s_set_inst_prefetch_distance 0x2
	s_or_b32 exec_lo, exec_lo, s9
	s_delay_alu instid0(SALU_CYCLE_1)
	s_and_b32 s26, s25, exec_lo
.LBB147_151:                            ;   in Loop: Header=BB147_12 Depth=1
	s_or_b32 exec_lo, exec_lo, s8
	s_mov_b32 s65, -1
	s_mov_b32 s25, 0
	s_delay_alu instid0(SALU_CYCLE_1)
	s_mov_b32 s66, s25
	s_branch .LBB147_165
.LBB147_152:                            ;   in Loop: Header=BB147_12 Depth=1
	s_mov_b32 s26, s59
	s_delay_alu instid0(SALU_CYCLE_1)
	s_cmp_lg_u64 s[26:27], 0
	s_cbranch_scc0 .LBB147_194
; %bb.153:                              ;   in Loop: Header=BB147_12 Depth=1
	v_cvt_f32_u32_e32 v2, s49
	s_sub_u32 s18, 0, s49
	s_subb_u32 s19, 0, 0
	s_delay_alu instid0(VALU_DEP_1) | instskip(NEXT) | instid1(VALU_DEP_1)
	v_fmac_f32_e64 v2, 0, 0x4f800000
	v_rcp_f32_e32 v2, v2
	s_waitcnt_depctr 0xfff
	v_mul_f32_e32 v2, 0x5f7ffffc, v2
	s_delay_alu instid0(VALU_DEP_1) | instskip(NEXT) | instid1(VALU_DEP_1)
	v_mul_f32_e32 v3, 0x2f800000, v2
	v_trunc_f32_e32 v3, v3
	s_delay_alu instid0(VALU_DEP_1) | instskip(SKIP_1) | instid1(VALU_DEP_2)
	v_fmac_f32_e32 v2, 0xcf800000, v3
	v_cvt_u32_f32_e32 v3, v3
	v_cvt_u32_f32_e32 v2, v2
	s_delay_alu instid0(VALU_DEP_2) | instskip(NEXT) | instid1(VALU_DEP_2)
	v_readfirstlane_b32 s8, v3
	v_readfirstlane_b32 s9, v2
	s_delay_alu instid0(VALU_DEP_2) | instskip(NEXT) | instid1(VALU_DEP_1)
	s_mul_i32 s25, s18, s8
	s_mul_hi_u32 s65, s18, s9
	s_mul_i32 s26, s19, s9
	s_add_i32 s25, s65, s25
	s_mul_i32 s66, s18, s9
	s_add_i32 s25, s25, s26
	s_mul_hi_u32 s65, s9, s66
	s_mul_hi_u32 s69, s8, s66
	s_mul_i32 s26, s8, s66
	s_mul_hi_u32 s66, s9, s25
	s_mul_i32 s9, s9, s25
	s_mul_hi_u32 s70, s8, s25
	s_add_u32 s9, s65, s9
	s_addc_u32 s65, 0, s66
	s_add_u32 s9, s9, s26
	s_mul_i32 s25, s8, s25
	s_addc_u32 s9, s65, s69
	s_addc_u32 s26, s70, 0
	s_add_u32 s9, s9, s25
	s_addc_u32 s25, 0, s26
	v_add_co_u32 v2, s9, v2, s9
	s_delay_alu instid0(VALU_DEP_1) | instskip(SKIP_1) | instid1(VALU_DEP_1)
	s_cmp_lg_u32 s9, 0
	s_addc_u32 s8, s8, s25
	v_readfirstlane_b32 s9, v2
	s_mul_i32 s25, s18, s8
	s_delay_alu instid0(VALU_DEP_1)
	s_mul_hi_u32 s26, s18, s9
	s_mul_i32 s19, s19, s9
	s_add_i32 s25, s26, s25
	s_mul_i32 s18, s18, s9
	s_add_i32 s25, s25, s19
	s_mul_hi_u32 s26, s8, s18
	s_mul_i32 s65, s8, s18
	s_mul_hi_u32 s18, s9, s18
	s_mul_hi_u32 s66, s9, s25
	s_mul_i32 s9, s9, s25
	s_mul_hi_u32 s19, s8, s25
	s_add_u32 s9, s18, s9
	s_addc_u32 s18, 0, s66
	s_add_u32 s9, s9, s65
	s_mul_i32 s25, s8, s25
	s_addc_u32 s9, s18, s26
	s_addc_u32 s18, s19, 0
	s_add_u32 s9, s9, s25
	s_addc_u32 s18, 0, s18
	v_add_co_u32 v2, s9, v2, s9
	s_delay_alu instid0(VALU_DEP_1) | instskip(SKIP_1) | instid1(VALU_DEP_1)
	s_cmp_lg_u32 s9, 0
	s_addc_u32 s8, s8, s18
	v_readfirstlane_b32 s9, v2
	s_mul_i32 s19, s76, s8
	s_mul_hi_u32 s18, s76, s8
	s_mul_hi_u32 s25, s27, s8
	s_mul_i32 s8, s27, s8
	s_mul_hi_u32 s26, s76, s9
	s_mul_hi_u32 s65, s27, s9
	s_mul_i32 s9, s27, s9
	s_add_u32 s19, s26, s19
	s_addc_u32 s18, 0, s18
	s_add_u32 s9, s19, s9
	s_addc_u32 s9, s18, s65
	s_addc_u32 s18, s25, 0
	s_add_u32 s8, s9, s8
	s_addc_u32 s9, 0, s18
	s_mul_hi_u32 s18, s49, s8
	s_mul_i32 s8, s49, s8
	s_mul_i32 s9, s49, s9
	v_sub_co_u32 v2, s8, s76, s8
	s_add_i32 s18, s18, s9
	s_cmp_lg_u32 s8, 0
	s_delay_alu instid0(VALU_DEP_1) | instskip(SKIP_2) | instid1(VALU_DEP_1)
	v_sub_co_u32 v3, s8, v2, s49
	s_subb_u32 s9, s27, s18
	s_cmp_lg_u32 s8, 0
	v_cmp_le_u32_e32 vcc_lo, s49, v3
	v_sub_co_u32 v6, s8, v3, s49
	s_subb_u32 s18, s9, 0
	s_cmp_lg_u32 s8, 0
	v_cndmask_b32_e64 v7, 0, -1, vcc_lo
	s_subb_u32 s8, s18, 0
	s_cmp_eq_u32 s18, 0
	v_mov_b32_e32 v9, s8
	s_cselect_b32 vcc_lo, -1, 0
	s_cmp_eq_u32 s9, 0
	v_cndmask_b32_e32 v7, -1, v7, vcc_lo
	v_cmp_le_u32_e32 vcc_lo, s49, v2
	s_cselect_b32 s8, -1, 0
	v_cndmask_b32_e64 v8, 0, -1, vcc_lo
	s_delay_alu instid0(VALU_DEP_3) | instskip(NEXT) | instid1(VALU_DEP_2)
	v_cmp_ne_u32_e32 vcc_lo, 0, v7
	v_cndmask_b32_e64 v7, -1, v8, s8
	v_cndmask_b32_e32 v8, s18, v9, vcc_lo
	v_cndmask_b32_e32 v6, v3, v6, vcc_lo
	s_delay_alu instid0(VALU_DEP_3) | instskip(NEXT) | instid1(VALU_DEP_3)
	v_cmp_ne_u32_e32 vcc_lo, 0, v7
	v_cndmask_b32_e32 v3, s9, v8, vcc_lo
	s_delay_alu instid0(VALU_DEP_3)
	v_cndmask_b32_e32 v2, v2, v6, vcc_lo
	s_cbranch_execnz .LBB147_155
.LBB147_154:                            ;   in Loop: Header=BB147_12 Depth=1
	v_cvt_f32_u32_e32 v2, s49
	s_sub_i32 s8, 0, s49
	s_delay_alu instid0(VALU_DEP_1) | instskip(SKIP_2) | instid1(VALU_DEP_1)
	v_rcp_iflag_f32_e32 v2, v2
	s_waitcnt_depctr 0xfff
	v_mul_f32_e32 v2, 0x4f7ffffe, v2
	v_cvt_u32_f32_e32 v2, v2
	s_delay_alu instid0(VALU_DEP_1) | instskip(NEXT) | instid1(VALU_DEP_1)
	v_mul_lo_u32 v3, s8, v2
	v_mul_hi_u32 v3, v2, v3
	s_delay_alu instid0(VALU_DEP_1) | instskip(NEXT) | instid1(VALU_DEP_1)
	v_add_nc_u32_e32 v2, v2, v3
	v_mul_hi_u32 v2, s76, v2
	s_delay_alu instid0(VALU_DEP_1) | instskip(NEXT) | instid1(VALU_DEP_1)
	v_mul_lo_u32 v2, v2, s49
	v_sub_nc_u32_e32 v2, s76, v2
	s_delay_alu instid0(VALU_DEP_1) | instskip(SKIP_1) | instid1(VALU_DEP_2)
	v_subrev_nc_u32_e32 v3, s49, v2
	v_cmp_le_u32_e32 vcc_lo, s49, v2
	v_cndmask_b32_e32 v2, v2, v3, vcc_lo
	s_delay_alu instid0(VALU_DEP_1) | instskip(SKIP_1) | instid1(VALU_DEP_2)
	v_subrev_nc_u32_e32 v3, s49, v2
	v_cmp_le_u32_e32 vcc_lo, s49, v2
	v_cndmask_b32_e32 v12, v2, v3, vcc_lo
	s_delay_alu instid0(VALU_DEP_1)
	v_dual_mov_b32 v2, v12 :: v_dual_mov_b32 v3, v13
.LBB147_155:                            ;   in Loop: Header=BB147_12 Depth=1
	s_delay_alu instid0(VALU_DEP_1) | instskip(NEXT) | instid1(VALU_DEP_2)
	v_sub_co_u32 v6, vcc_lo, s76, v2
	v_sub_co_ci_u32_e32 v7, vcc_lo, s27, v3, vcc_lo
	s_mov_b32 s26, 0
	s_mov_b32 s9, exec_lo
                                        ; implicit-def: $vgpr3
	s_delay_alu instid0(VALU_DEP_1)
	v_cmpx_gt_u64_e64 v[6:7], v[0:1]
	s_cbranch_execz .LBB147_164
; %bb.156:                              ;   in Loop: Header=BB147_12 Depth=1
	v_dual_mov_b32 v9, v1 :: v_dual_mov_b32 v8, v0
	s_mov_b32 s18, 0
                                        ; implicit-def: $sgpr19
	s_branch .LBB147_158
.LBB147_157:                            ;   in Loop: Header=BB147_158 Depth=2
	s_or_b32 exec_lo, exec_lo, s8
	s_waitcnt vmcnt(0) lgkmcnt(0)
	s_barrier
	buffer_gl0_inv
	ds_load_b64 v[2:3], v13 offset:3072
	v_add_co_u32 v8, vcc_lo, v8, s49
	v_add_co_ci_u32_e32 v9, vcc_lo, 0, v9, vcc_lo
	s_waitcnt lgkmcnt(0)
	s_barrier
	buffer_gl0_inv
	v_cmp_ge_u64_e32 vcc_lo, v[8:9], v[6:7]
	v_readfirstlane_b32 s8, v2
	s_delay_alu instid0(VALU_DEP_1) | instskip(SKIP_1) | instid1(SALU_CYCLE_1)
	s_cmp_lg_u32 s8, 0
	s_cselect_b32 s8, -1, 0
	s_or_b32 s25, vcc_lo, s8
	s_delay_alu instid0(SALU_CYCLE_1) | instskip(NEXT) | instid1(SALU_CYCLE_1)
	s_and_b32 s25, exec_lo, s25
	s_or_b32 s18, s25, s18
	s_and_not1_b32 s19, s19, exec_lo
	s_and_b32 s8, s8, exec_lo
	s_delay_alu instid0(SALU_CYCLE_1)
	s_or_b32 s19, s19, s8
	s_and_not1_b32 exec_lo, exec_lo, s18
	s_cbranch_execz .LBB147_163
.LBB147_158:                            ;   Parent Loop BB147_12 Depth=1
                                        ; =>  This Inner Loop Header: Depth=2
	s_delay_alu instid0(VALU_DEP_1)
	v_cmp_gt_u64_e32 vcc_lo, s[36:37], v[8:9]
	v_mov_b32_e32 v17, 0
	s_and_saveexec_b32 s25, vcc_lo
	s_cbranch_execz .LBB147_160
; %bb.159:                              ;   in Loop: Header=BB147_158 Depth=2
	v_mul_lo_u32 v12, v9, s30
	v_mul_lo_u32 v17, v8, s31
	v_mad_u64_u32 v[2:3], null, v8, s30, 0
	s_delay_alu instid0(VALU_DEP_1) | instskip(NEXT) | instid1(VALU_DEP_1)
	v_add3_u32 v3, v3, v17, v12
	v_lshlrev_b64 v[2:3], 2, v[2:3]
	s_delay_alu instid0(VALU_DEP_1) | instskip(NEXT) | instid1(VALU_DEP_1)
	v_add_co_u32 v2, s8, s33, v2
	v_add_co_ci_u32_e64 v3, s8, s35, v3, s8
	global_load_b32 v17, v[2:3], off
.LBB147_160:                            ;   in Loop: Header=BB147_158 Depth=2
	s_or_b32 exec_lo, exec_lo, s25
	s_and_saveexec_b32 s8, vcc_lo
	s_cbranch_execz .LBB147_157
; %bb.161:                              ;   in Loop: Header=BB147_158 Depth=2
	s_waitcnt vmcnt(0)
	v_xor_b32_e32 v2, 0x80000000, v17
	s_delay_alu instid0(VALU_DEP_1) | instskip(NEXT) | instid1(VALU_DEP_1)
	v_and_b32_e32 v2, v2, v22
	v_cmp_eq_u32_e32 vcc_lo, v2, v21
	s_and_b32 exec_lo, exec_lo, vcc_lo
	s_cbranch_execz .LBB147_157
; %bb.162:                              ;   in Loop: Header=BB147_158 Depth=2
	ds_store_b64 v13, v[16:17] offset:3072
	s_branch .LBB147_157
.LBB147_163:                            ;   in Loop: Header=BB147_12 Depth=1
	s_or_b32 exec_lo, exec_lo, s18
	s_delay_alu instid0(SALU_CYCLE_1)
	s_and_b32 s26, s19, exec_lo
.LBB147_164:                            ;   in Loop: Header=BB147_12 Depth=1
	s_or_b32 exec_lo, exec_lo, s9
	s_mov_b32 s66, -1
	s_mov_b32 s25, 0
	s_mov_b32 s65, 0
.LBB147_165:                            ;   in Loop: Header=BB147_12 Depth=1
	s_or_not1_b32 s8, s26, exec_lo
.LBB147_166:                            ;   in Loop: Header=BB147_12 Depth=1
	s_or_b32 exec_lo, exec_lo, s67
	s_mov_b32 s26, 0
                                        ; implicit-def: $vgpr8
	s_and_saveexec_b32 s67, s8
	s_cbranch_execz .LBB147_279
; %bb.167:                              ;   in Loop: Header=BB147_12 Depth=1
	v_mov_b32_e32 v6, 1
	v_dual_mov_b32 v7, 0 :: v_dual_mov_b32 v8, 1
	s_xor_b32 s9, s68, -1
	s_delay_alu instid0(SALU_CYCLE_1)
	s_and_saveexec_b32 s8, s9
	s_cbranch_execz .LBB147_177
; %bb.168:                              ;   in Loop: Header=BB147_12 Depth=1
	s_mov_b32 s18, exec_lo
                                        ; implicit-def: $sgpr19
                                        ; implicit-def: $sgpr9
	v_cmpx_ge_u64_e64 s[12:13], v[4:5]
	s_xor_b32 s18, exec_lo, s18
	s_cbranch_execz .LBB147_174
; %bb.169:                              ;   in Loop: Header=BB147_12 Depth=1
	ds_load_b64 v[6:7], v13 offset:5120
	s_waitcnt lgkmcnt(0)
	v_cmp_ne_u64_e32 vcc_lo, 0, v[6:7]
	s_cbranch_vccnz .LBB147_173
; %bb.170:                              ;   in Loop: Header=BB147_12 Depth=1
	s_and_saveexec_b32 s9, s5
	s_cbranch_execz .LBB147_172
; %bb.171:                              ;   in Loop: Header=BB147_12 Depth=1
	v_dual_mov_b32 v6, s12 :: v_dual_mov_b32 v7, s13
	ds_store_b64 v13, v[6:7] offset:5128
.LBB147_172:                            ;   in Loop: Header=BB147_12 Depth=1
	s_or_b32 exec_lo, exec_lo, s9
	s_waitcnt lgkmcnt(0)
	s_barrier
	buffer_gl0_inv
.LBB147_173:                            ;   in Loop: Header=BB147_12 Depth=1
	s_lshl_b32 s9, 1, s22
	v_or_b32_e32 v22, s20, v22
	v_and_or_b32 v21, v21, s21, s9
	s_mov_b32 s9, 0
	s_mov_b32 s19, 8
.LBB147_174:                            ;   in Loop: Header=BB147_12 Depth=1
	s_or_saveexec_b32 s18, s18
	v_mov_b32_e32 v8, s19
	s_xor_b32 exec_lo, exec_lo, s18
; %bb.175:                              ;   in Loop: Header=BB147_12 Depth=1
	v_sub_co_u32 v4, vcc_lo, v4, s12
	v_subrev_co_ci_u32_e32 v5, vcc_lo, s13, v5, vcc_lo
	v_mov_b32_e32 v8, 0
	s_or_b32 s9, s9, exec_lo
; %bb.176:                              ;   in Loop: Header=BB147_12 Depth=1
	s_or_b32 exec_lo, exec_lo, s18
	s_delay_alu instid0(VALU_DEP_2)
	v_dual_mov_b32 v7, v5 :: v_dual_mov_b32 v6, v4
	s_and_b32 s26, s9, exec_lo
.LBB147_177:                            ;   in Loop: Header=BB147_12 Depth=1
	s_or_b32 exec_lo, exec_lo, s8
	s_mov_b32 s8, -1
                                        ; implicit-def: $sgpr9
                                        ; implicit-def: $sgpr18
                                        ; implicit-def: $sgpr19
	s_and_saveexec_b32 s68, s26
	s_cbranch_execz .LBB147_278
; %bb.178:                              ;   in Loop: Header=BB147_12 Depth=1
	v_cmp_eq_u64_e32 vcc_lo, 1, v[6:7]
	s_cmp_eq_u64 s[14:15], 1
                                        ; implicit-def: $sgpr69
                                        ; implicit-def: $sgpr71
                                        ; implicit-def: $sgpr70
	s_cselect_b32 s8, -1, 0
	s_delay_alu instid0(SALU_CYCLE_1)
	s_and_b32 s97, s8, vcc_lo
	s_mov_b32 s8, -1
	s_and_saveexec_b32 s96, s97
	s_cbranch_execz .LBB147_212
; %bb.179:                              ;   in Loop: Header=BB147_12 Depth=1
	ds_load_b64 v[2:3], v13 offset:5120
	s_waitcnt lgkmcnt(0)
	s_barrier
	buffer_gl0_inv
	v_readfirstlane_b32 s18, v2
	v_readfirstlane_b32 s19, v3
	s_and_saveexec_b32 s8, s6
	s_cbranch_execz .LBB147_181
; %bb.180:                              ;   in Loop: Header=BB147_12 Depth=1
	ds_store_b32 v28, v13
.LBB147_181:                            ;   in Loop: Header=BB147_12 Depth=1
	s_or_b32 exec_lo, exec_lo, s8
	s_lshl_b32 s8, 2, s22
	v_or_b32_e32 v22, s20, v22
	v_and_or_b32 v21, v21, s21, s8
	s_cmp_eq_u64 s[18:19], 0
	s_waitcnt lgkmcnt(0)
	s_barrier
	buffer_gl0_inv
	s_cbranch_scc1 .LBB147_195
; %bb.182:                              ;   in Loop: Header=BB147_12 Depth=1
	s_add_u32 s26, s74, s18
	s_addc_u32 s9, s75, s19
	s_mov_b32 s8, s59
	s_mov_b64 s[54:55], s[102:103]
	s_cmp_lg_u64 s[8:9], 0
	s_cbranch_scc0 .LBB147_230
; %bb.183:                              ;   in Loop: Header=BB147_12 Depth=1
	v_cvt_f32_u32_e32 v2, s49
	s_sub_u32 s70, 0, s49
	s_subb_u32 s71, 0, 0
	s_delay_alu instid0(VALU_DEP_1) | instskip(NEXT) | instid1(VALU_DEP_1)
	v_fmac_f32_e64 v2, 0, 0x4f800000
	v_rcp_f32_e32 v2, v2
	s_waitcnt_depctr 0xfff
	v_mul_f32_e32 v2, 0x5f7ffffc, v2
	s_delay_alu instid0(VALU_DEP_1) | instskip(NEXT) | instid1(VALU_DEP_1)
	v_mul_f32_e32 v3, 0x2f800000, v2
	v_trunc_f32_e32 v3, v3
	s_delay_alu instid0(VALU_DEP_1) | instskip(SKIP_1) | instid1(VALU_DEP_2)
	v_fmac_f32_e32 v2, 0xcf800000, v3
	v_cvt_u32_f32_e32 v3, v3
	v_cvt_u32_f32_e32 v2, v2
	s_delay_alu instid0(VALU_DEP_2) | instskip(NEXT) | instid1(VALU_DEP_2)
	v_readfirstlane_b32 s8, v3
	v_readfirstlane_b32 s69, v2
	s_delay_alu instid0(VALU_DEP_2) | instskip(NEXT) | instid1(VALU_DEP_1)
	s_mul_i32 s98, s70, s8
	s_mul_hi_u32 s100, s70, s69
	s_mul_i32 s99, s71, s69
	s_add_i32 s98, s100, s98
	s_mul_i32 s101, s70, s69
	s_add_i32 s98, s98, s99
	s_mul_hi_u32 s100, s69, s101
	s_mul_hi_u32 s102, s8, s101
	s_mul_i32 s99, s8, s101
	s_mul_hi_u32 s101, s69, s98
	s_mul_i32 s69, s69, s98
	s_mul_hi_u32 s103, s8, s98
	s_add_u32 s69, s100, s69
	s_addc_u32 s100, 0, s101
	s_add_u32 s69, s69, s99
	s_mul_i32 s98, s8, s98
	s_addc_u32 s69, s100, s102
	s_addc_u32 s99, s103, 0
	s_add_u32 s69, s69, s98
	s_addc_u32 s98, 0, s99
	v_add_co_u32 v2, s69, v2, s69
	s_delay_alu instid0(VALU_DEP_1) | instskip(SKIP_1) | instid1(VALU_DEP_1)
	s_cmp_lg_u32 s69, 0
	s_addc_u32 s8, s8, s98
	v_readfirstlane_b32 s69, v2
	s_mul_i32 s98, s70, s8
	s_delay_alu instid0(VALU_DEP_1)
	s_mul_hi_u32 s99, s70, s69
	s_mul_i32 s71, s71, s69
	s_add_i32 s98, s99, s98
	s_mul_i32 s70, s70, s69
	s_add_i32 s98, s98, s71
	s_mul_hi_u32 s99, s8, s70
	s_mul_i32 s100, s8, s70
	s_mul_hi_u32 s70, s69, s70
	s_mul_hi_u32 s101, s69, s98
	s_mul_i32 s69, s69, s98
	s_mul_hi_u32 s71, s8, s98
	s_add_u32 s69, s70, s69
	s_addc_u32 s70, 0, s101
	s_add_u32 s69, s69, s100
	s_mul_i32 s98, s8, s98
	s_addc_u32 s69, s70, s99
	s_addc_u32 s70, s71, 0
	s_add_u32 s69, s69, s98
	s_addc_u32 s70, 0, s70
	v_add_co_u32 v2, s69, v2, s69
	s_delay_alu instid0(VALU_DEP_1) | instskip(SKIP_1) | instid1(VALU_DEP_1)
	s_cmp_lg_u32 s69, 0
	s_addc_u32 s8, s8, s70
	v_readfirstlane_b32 s69, v2
	s_mul_i32 s71, s26, s8
	s_mul_hi_u32 s70, s26, s8
	s_mul_hi_u32 s98, s9, s8
	s_mul_i32 s8, s9, s8
	s_mul_hi_u32 s99, s26, s69
	s_mul_hi_u32 s100, s9, s69
	s_mul_i32 s69, s9, s69
	s_add_u32 s71, s99, s71
	s_addc_u32 s70, 0, s70
	s_add_u32 s69, s71, s69
	s_addc_u32 s69, s70, s100
	s_addc_u32 s70, s98, 0
	s_add_u32 s8, s69, s8
	s_addc_u32 s69, 0, s70
	s_mul_hi_u32 s70, s49, s8
	s_mul_i32 s8, s49, s8
	s_mul_i32 s69, s49, s69
	v_sub_co_u32 v2, s8, s26, s8
	s_add_i32 s70, s70, s69
	s_cmp_lg_u32 s8, 0
	s_delay_alu instid0(VALU_DEP_1) | instskip(SKIP_2) | instid1(VALU_DEP_1)
	v_sub_co_u32 v3, s8, v2, s49
	s_subb_u32 s69, s9, s70
	s_cmp_lg_u32 s8, 0
	v_cmp_le_u32_e32 vcc_lo, s49, v3
	v_sub_co_u32 v4, s8, v3, s49
	s_subb_u32 s70, s69, 0
	s_cmp_lg_u32 s8, 0
	v_cndmask_b32_e64 v5, 0, -1, vcc_lo
	s_subb_u32 s8, s70, 0
	s_cmp_eq_u32 s70, 0
	v_mov_b32_e32 v9, s8
	s_cselect_b32 vcc_lo, -1, 0
	s_cmp_eq_u32 s69, 0
	v_cndmask_b32_e32 v5, -1, v5, vcc_lo
	v_cmp_le_u32_e32 vcc_lo, s49, v2
	s_cselect_b32 s8, -1, 0
	v_cndmask_b32_e64 v8, 0, -1, vcc_lo
	s_delay_alu instid0(VALU_DEP_3) | instskip(NEXT) | instid1(VALU_DEP_2)
	v_cmp_ne_u32_e32 vcc_lo, 0, v5
	v_cndmask_b32_e64 v5, -1, v8, s8
	v_cndmask_b32_e32 v8, s70, v9, vcc_lo
	v_cndmask_b32_e32 v4, v3, v4, vcc_lo
	s_delay_alu instid0(VALU_DEP_3) | instskip(NEXT) | instid1(VALU_DEP_3)
	v_cmp_ne_u32_e32 vcc_lo, 0, v5
	v_cndmask_b32_e32 v3, s69, v8, vcc_lo
	s_delay_alu instid0(VALU_DEP_3)
	v_cndmask_b32_e32 v2, v2, v4, vcc_lo
	s_cbranch_execnz .LBB147_185
.LBB147_184:                            ;   in Loop: Header=BB147_12 Depth=1
	v_cvt_f32_u32_e32 v2, s49
	s_sub_i32 s8, 0, s49
	s_delay_alu instid0(VALU_DEP_1) | instskip(SKIP_2) | instid1(VALU_DEP_1)
	v_rcp_iflag_f32_e32 v2, v2
	s_waitcnt_depctr 0xfff
	v_mul_f32_e32 v2, 0x4f7ffffe, v2
	v_cvt_u32_f32_e32 v2, v2
	s_delay_alu instid0(VALU_DEP_1) | instskip(NEXT) | instid1(VALU_DEP_1)
	v_mul_lo_u32 v3, s8, v2
	v_mul_hi_u32 v3, v2, v3
	s_delay_alu instid0(VALU_DEP_1) | instskip(NEXT) | instid1(VALU_DEP_1)
	v_add_nc_u32_e32 v2, v2, v3
	v_mul_hi_u32 v2, s26, v2
	s_delay_alu instid0(VALU_DEP_1) | instskip(NEXT) | instid1(VALU_DEP_1)
	v_mul_lo_u32 v2, v2, s49
	v_sub_nc_u32_e32 v2, s26, v2
	s_delay_alu instid0(VALU_DEP_1) | instskip(SKIP_1) | instid1(VALU_DEP_2)
	v_subrev_nc_u32_e32 v3, s49, v2
	v_cmp_le_u32_e32 vcc_lo, s49, v2
	v_cndmask_b32_e32 v2, v2, v3, vcc_lo
	s_delay_alu instid0(VALU_DEP_1) | instskip(SKIP_1) | instid1(VALU_DEP_2)
	v_subrev_nc_u32_e32 v3, s49, v2
	v_cmp_le_u32_e32 vcc_lo, s49, v2
	v_cndmask_b32_e32 v12, v2, v3, vcc_lo
	s_delay_alu instid0(VALU_DEP_1)
	v_dual_mov_b32 v2, v12 :: v_dual_mov_b32 v3, v13
.LBB147_185:                            ;   in Loop: Header=BB147_12 Depth=1
	s_delay_alu instid0(VALU_DEP_1) | instskip(NEXT) | instid1(VALU_DEP_2)
	v_sub_co_u32 v4, vcc_lo, s26, v2
	v_sub_co_ci_u32_e32 v5, vcc_lo, s9, v3, vcc_lo
	s_mov_b32 s26, 0
	s_mov_b32 s8, exec_lo
                                        ; implicit-def: $vgpr3
	s_delay_alu instid0(VALU_DEP_1)
	v_cmpx_gt_u64_e64 v[4:5], v[0:1]
	s_mov_b64 s[102:103], s[54:55]
	s_cbranch_execz .LBB147_197
; %bb.186:                              ;   in Loop: Header=BB147_12 Depth=1
	v_dual_mov_b32 v12, v14 :: v_dual_mov_b32 v9, v1
	v_mov_b32_e32 v8, v0
	s_mov_b32 s9, 0
                                        ; implicit-def: $sgpr26
	s_set_inst_prefetch_distance 0x1
	s_branch .LBB147_188
	.p2align	6
.LBB147_187:                            ;   in Loop: Header=BB147_188 Depth=2
	s_or_b32 exec_lo, exec_lo, s69
	s_waitcnt lgkmcnt(0)
	s_barrier
	buffer_gl0_inv
	ds_load_b64 v[2:3], v13 offset:3072
	v_add_co_u32 v8, vcc_lo, v8, s49
	v_add_co_ci_u32_e32 v9, vcc_lo, 0, v9, vcc_lo
	v_add_nc_u32_e32 v12, s82, v12
	s_waitcnt lgkmcnt(0)
	s_barrier
	s_delay_alu instid0(VALU_DEP_2) | instskip(SKIP_2) | instid1(VALU_DEP_1)
	v_cmp_ge_u64_e32 vcc_lo, v[8:9], v[4:5]
	buffer_gl0_inv
	v_readfirstlane_b32 s69, v2
	s_cmp_lg_u32 s69, 0
	s_cselect_b32 s69, -1, 0
	s_delay_alu instid0(SALU_CYCLE_1) | instskip(NEXT) | instid1(SALU_CYCLE_1)
	s_or_b32 s70, vcc_lo, s69
	s_and_b32 s70, exec_lo, s70
	s_delay_alu instid0(SALU_CYCLE_1) | instskip(SKIP_2) | instid1(SALU_CYCLE_1)
	s_or_b32 s9, s70, s9
	s_and_not1_b32 s26, s26, exec_lo
	s_and_b32 s69, s69, exec_lo
	s_or_b32 s26, s26, s69
	s_and_not1_b32 exec_lo, exec_lo, s9
	s_cbranch_execz .LBB147_196
.LBB147_188:                            ;   Parent Loop BB147_12 Depth=1
                                        ; =>  This Inner Loop Header: Depth=2
	s_delay_alu instid0(VALU_DEP_1)
	v_cmp_gt_u64_e32 vcc_lo, s[18:19], v[8:9]
	v_mov_b32_e32 v17, 0
	s_and_saveexec_b32 s69, vcc_lo
	s_cbranch_execz .LBB147_190
; %bb.189:                              ;   in Loop: Header=BB147_188 Depth=2
	ds_load_b32 v17, v12
.LBB147_190:                            ;   in Loop: Header=BB147_188 Depth=2
	s_or_b32 exec_lo, exec_lo, s69
	s_and_saveexec_b32 s69, vcc_lo
	s_cbranch_execz .LBB147_187
; %bb.191:                              ;   in Loop: Header=BB147_188 Depth=2
	s_waitcnt lgkmcnt(0)
	v_xor_b32_e32 v2, 0x80000000, v17
	s_delay_alu instid0(VALU_DEP_1) | instskip(NEXT) | instid1(VALU_DEP_1)
	v_and_b32_e32 v2, v2, v22
	v_cmp_eq_u32_e32 vcc_lo, v2, v21
	s_and_b32 exec_lo, exec_lo, vcc_lo
	s_cbranch_execz .LBB147_187
; %bb.192:                              ;   in Loop: Header=BB147_188 Depth=2
	ds_store_b64 v13, v[16:17] offset:3072
	s_branch .LBB147_187
.LBB147_193:                            ;   in Loop: Header=BB147_12 Depth=1
                                        ; implicit-def: $vgpr2_vgpr3
	s_branch .LBB147_138
.LBB147_194:                            ;   in Loop: Header=BB147_12 Depth=1
                                        ; implicit-def: $vgpr2_vgpr3
	s_branch .LBB147_154
.LBB147_195:                            ;   in Loop: Header=BB147_12 Depth=1
	s_mov_b32 s69, -1
	s_mov_b32 s26, 0
                                        ; implicit-def: $sgpr70
                                        ; implicit-def: $vgpr3
	s_mov_b32 s71, s69
	s_cbranch_execnz .LBB147_198
	s_branch .LBB147_211
.LBB147_196:                            ;   in Loop: Header=BB147_12 Depth=1
	s_set_inst_prefetch_distance 0x2
	s_or_b32 exec_lo, exec_lo, s9
	s_delay_alu instid0(SALU_CYCLE_1)
	s_and_b32 s26, s26, exec_lo
.LBB147_197:                            ;   in Loop: Header=BB147_12 Depth=1
	s_or_b32 exec_lo, exec_lo, s8
	s_mov_b32 s70, -1
	s_mov_b32 s69, 0
	s_delay_alu instid0(SALU_CYCLE_1)
	s_mov_b32 s71, s69
	s_branch .LBB147_211
.LBB147_198:                            ;   in Loop: Header=BB147_12 Depth=1
	s_mov_b32 s26, s59
	s_delay_alu instid0(SALU_CYCLE_1)
	s_cmp_lg_u64 s[26:27], 0
	s_cbranch_scc0 .LBB147_231
; %bb.199:                              ;   in Loop: Header=BB147_12 Depth=1
	v_cvt_f32_u32_e32 v2, s49
	s_sub_u32 s18, 0, s49
	s_subb_u32 s19, 0, 0
	s_delay_alu instid0(VALU_DEP_1) | instskip(NEXT) | instid1(VALU_DEP_1)
	v_fmac_f32_e64 v2, 0, 0x4f800000
	v_rcp_f32_e32 v2, v2
	s_waitcnt_depctr 0xfff
	v_mul_f32_e32 v2, 0x5f7ffffc, v2
	s_delay_alu instid0(VALU_DEP_1) | instskip(NEXT) | instid1(VALU_DEP_1)
	v_mul_f32_e32 v3, 0x2f800000, v2
	v_trunc_f32_e32 v3, v3
	s_delay_alu instid0(VALU_DEP_1) | instskip(SKIP_1) | instid1(VALU_DEP_2)
	v_fmac_f32_e32 v2, 0xcf800000, v3
	v_cvt_u32_f32_e32 v3, v3
	v_cvt_u32_f32_e32 v2, v2
	s_delay_alu instid0(VALU_DEP_2) | instskip(NEXT) | instid1(VALU_DEP_2)
	v_readfirstlane_b32 s8, v3
	v_readfirstlane_b32 s9, v2
	s_delay_alu instid0(VALU_DEP_2) | instskip(NEXT) | instid1(VALU_DEP_1)
	s_mul_i32 s26, s18, s8
	s_mul_hi_u32 s70, s18, s9
	s_mul_i32 s69, s19, s9
	s_add_i32 s26, s70, s26
	s_mul_i32 s71, s18, s9
	s_add_i32 s26, s26, s69
	s_mul_hi_u32 s70, s9, s71
	s_mul_hi_u32 s98, s8, s71
	s_mul_i32 s69, s8, s71
	s_mul_hi_u32 s71, s9, s26
	s_mul_i32 s9, s9, s26
	s_mul_hi_u32 s99, s8, s26
	s_add_u32 s9, s70, s9
	s_addc_u32 s70, 0, s71
	s_add_u32 s9, s9, s69
	s_mul_i32 s26, s8, s26
	s_addc_u32 s9, s70, s98
	s_addc_u32 s69, s99, 0
	s_add_u32 s9, s9, s26
	s_addc_u32 s26, 0, s69
	v_add_co_u32 v2, s9, v2, s9
	s_delay_alu instid0(VALU_DEP_1) | instskip(SKIP_1) | instid1(VALU_DEP_1)
	s_cmp_lg_u32 s9, 0
	s_addc_u32 s8, s8, s26
	v_readfirstlane_b32 s9, v2
	s_mul_i32 s26, s18, s8
	s_delay_alu instid0(VALU_DEP_1)
	s_mul_hi_u32 s69, s18, s9
	s_mul_i32 s19, s19, s9
	s_add_i32 s26, s69, s26
	s_mul_i32 s18, s18, s9
	s_add_i32 s26, s26, s19
	s_mul_hi_u32 s69, s8, s18
	s_mul_i32 s70, s8, s18
	s_mul_hi_u32 s18, s9, s18
	s_mul_hi_u32 s71, s9, s26
	s_mul_i32 s9, s9, s26
	s_mul_hi_u32 s19, s8, s26
	s_add_u32 s9, s18, s9
	s_addc_u32 s18, 0, s71
	s_add_u32 s9, s9, s70
	s_mul_i32 s26, s8, s26
	s_addc_u32 s9, s18, s69
	s_addc_u32 s18, s19, 0
	s_add_u32 s9, s9, s26
	s_addc_u32 s18, 0, s18
	v_add_co_u32 v2, s9, v2, s9
	s_delay_alu instid0(VALU_DEP_1) | instskip(SKIP_1) | instid1(VALU_DEP_1)
	s_cmp_lg_u32 s9, 0
	s_addc_u32 s8, s8, s18
	v_readfirstlane_b32 s9, v2
	s_mul_i32 s19, s76, s8
	s_mul_hi_u32 s18, s76, s8
	s_mul_hi_u32 s26, s27, s8
	s_mul_i32 s8, s27, s8
	s_mul_hi_u32 s69, s76, s9
	s_mul_hi_u32 s70, s27, s9
	s_mul_i32 s9, s27, s9
	s_add_u32 s19, s69, s19
	s_addc_u32 s18, 0, s18
	s_add_u32 s9, s19, s9
	s_addc_u32 s9, s18, s70
	s_addc_u32 s18, s26, 0
	s_add_u32 s8, s9, s8
	s_addc_u32 s9, 0, s18
	s_mul_hi_u32 s18, s49, s8
	s_mul_i32 s8, s49, s8
	s_mul_i32 s9, s49, s9
	v_sub_co_u32 v2, s8, s76, s8
	s_add_i32 s18, s18, s9
	s_cmp_lg_u32 s8, 0
	s_delay_alu instid0(VALU_DEP_1) | instskip(SKIP_2) | instid1(VALU_DEP_1)
	v_sub_co_u32 v3, s8, v2, s49
	s_subb_u32 s9, s27, s18
	s_cmp_lg_u32 s8, 0
	v_cmp_le_u32_e32 vcc_lo, s49, v3
	v_sub_co_u32 v4, s8, v3, s49
	s_subb_u32 s18, s9, 0
	s_cmp_lg_u32 s8, 0
	v_cndmask_b32_e64 v5, 0, -1, vcc_lo
	s_subb_u32 s8, s18, 0
	s_cmp_eq_u32 s18, 0
	v_mov_b32_e32 v9, s8
	s_cselect_b32 vcc_lo, -1, 0
	s_cmp_eq_u32 s9, 0
	v_cndmask_b32_e32 v5, -1, v5, vcc_lo
	v_cmp_le_u32_e32 vcc_lo, s49, v2
	s_cselect_b32 s8, -1, 0
	v_cndmask_b32_e64 v8, 0, -1, vcc_lo
	s_delay_alu instid0(VALU_DEP_3) | instskip(NEXT) | instid1(VALU_DEP_2)
	v_cmp_ne_u32_e32 vcc_lo, 0, v5
	v_cndmask_b32_e64 v5, -1, v8, s8
	v_cndmask_b32_e32 v8, s18, v9, vcc_lo
	v_cndmask_b32_e32 v4, v3, v4, vcc_lo
	s_delay_alu instid0(VALU_DEP_3) | instskip(NEXT) | instid1(VALU_DEP_3)
	v_cmp_ne_u32_e32 vcc_lo, 0, v5
	v_cndmask_b32_e32 v3, s9, v8, vcc_lo
	s_delay_alu instid0(VALU_DEP_3)
	v_cndmask_b32_e32 v2, v2, v4, vcc_lo
	s_cbranch_execnz .LBB147_201
.LBB147_200:                            ;   in Loop: Header=BB147_12 Depth=1
	v_cvt_f32_u32_e32 v2, s49
	s_sub_i32 s8, 0, s49
	s_delay_alu instid0(VALU_DEP_1) | instskip(SKIP_2) | instid1(VALU_DEP_1)
	v_rcp_iflag_f32_e32 v2, v2
	s_waitcnt_depctr 0xfff
	v_mul_f32_e32 v2, 0x4f7ffffe, v2
	v_cvt_u32_f32_e32 v2, v2
	s_delay_alu instid0(VALU_DEP_1) | instskip(NEXT) | instid1(VALU_DEP_1)
	v_mul_lo_u32 v3, s8, v2
	v_mul_hi_u32 v3, v2, v3
	s_delay_alu instid0(VALU_DEP_1) | instskip(NEXT) | instid1(VALU_DEP_1)
	v_add_nc_u32_e32 v2, v2, v3
	v_mul_hi_u32 v2, s76, v2
	s_delay_alu instid0(VALU_DEP_1) | instskip(NEXT) | instid1(VALU_DEP_1)
	v_mul_lo_u32 v2, v2, s49
	v_sub_nc_u32_e32 v2, s76, v2
	s_delay_alu instid0(VALU_DEP_1) | instskip(SKIP_1) | instid1(VALU_DEP_2)
	v_subrev_nc_u32_e32 v3, s49, v2
	v_cmp_le_u32_e32 vcc_lo, s49, v2
	v_cndmask_b32_e32 v2, v2, v3, vcc_lo
	s_delay_alu instid0(VALU_DEP_1) | instskip(SKIP_1) | instid1(VALU_DEP_2)
	v_subrev_nc_u32_e32 v3, s49, v2
	v_cmp_le_u32_e32 vcc_lo, s49, v2
	v_cndmask_b32_e32 v12, v2, v3, vcc_lo
	s_delay_alu instid0(VALU_DEP_1)
	v_dual_mov_b32 v2, v12 :: v_dual_mov_b32 v3, v13
.LBB147_201:                            ;   in Loop: Header=BB147_12 Depth=1
	s_delay_alu instid0(VALU_DEP_1) | instskip(NEXT) | instid1(VALU_DEP_2)
	v_sub_co_u32 v4, vcc_lo, s76, v2
	v_sub_co_ci_u32_e32 v5, vcc_lo, s27, v3, vcc_lo
	s_mov_b32 s26, 0
	s_mov_b32 s9, exec_lo
                                        ; implicit-def: $vgpr3
	s_delay_alu instid0(VALU_DEP_1)
	v_cmpx_gt_u64_e64 v[4:5], v[0:1]
	s_cbranch_execz .LBB147_210
; %bb.202:                              ;   in Loop: Header=BB147_12 Depth=1
	v_dual_mov_b32 v9, v1 :: v_dual_mov_b32 v8, v0
	s_mov_b32 s18, 0
                                        ; implicit-def: $sgpr19
	s_branch .LBB147_204
.LBB147_203:                            ;   in Loop: Header=BB147_204 Depth=2
	s_or_b32 exec_lo, exec_lo, s8
	s_waitcnt vmcnt(0) lgkmcnt(0)
	s_barrier
	buffer_gl0_inv
	ds_load_b64 v[2:3], v13 offset:3072
	v_add_co_u32 v8, vcc_lo, v8, s49
	v_add_co_ci_u32_e32 v9, vcc_lo, 0, v9, vcc_lo
	s_waitcnt lgkmcnt(0)
	s_barrier
	buffer_gl0_inv
	v_cmp_ge_u64_e32 vcc_lo, v[8:9], v[4:5]
	v_readfirstlane_b32 s8, v2
	s_delay_alu instid0(VALU_DEP_1) | instskip(SKIP_1) | instid1(SALU_CYCLE_1)
	s_cmp_lg_u32 s8, 0
	s_cselect_b32 s8, -1, 0
	s_or_b32 s26, vcc_lo, s8
	s_delay_alu instid0(SALU_CYCLE_1) | instskip(NEXT) | instid1(SALU_CYCLE_1)
	s_and_b32 s26, exec_lo, s26
	s_or_b32 s18, s26, s18
	s_and_not1_b32 s19, s19, exec_lo
	s_and_b32 s8, s8, exec_lo
	s_delay_alu instid0(SALU_CYCLE_1)
	s_or_b32 s19, s19, s8
	s_and_not1_b32 exec_lo, exec_lo, s18
	s_cbranch_execz .LBB147_209
.LBB147_204:                            ;   Parent Loop BB147_12 Depth=1
                                        ; =>  This Inner Loop Header: Depth=2
	s_delay_alu instid0(VALU_DEP_1)
	v_cmp_gt_u64_e32 vcc_lo, s[36:37], v[8:9]
	v_mov_b32_e32 v17, 0
	s_and_saveexec_b32 s26, vcc_lo
	s_cbranch_execz .LBB147_206
; %bb.205:                              ;   in Loop: Header=BB147_204 Depth=2
	v_mul_lo_u32 v12, v9, s30
	v_mul_lo_u32 v17, v8, s31
	v_mad_u64_u32 v[2:3], null, v8, s30, 0
	s_delay_alu instid0(VALU_DEP_1) | instskip(NEXT) | instid1(VALU_DEP_1)
	v_add3_u32 v3, v3, v17, v12
	v_lshlrev_b64 v[2:3], 2, v[2:3]
	s_delay_alu instid0(VALU_DEP_1) | instskip(NEXT) | instid1(VALU_DEP_1)
	v_add_co_u32 v2, s8, s33, v2
	v_add_co_ci_u32_e64 v3, s8, s35, v3, s8
	global_load_b32 v17, v[2:3], off
.LBB147_206:                            ;   in Loop: Header=BB147_204 Depth=2
	s_or_b32 exec_lo, exec_lo, s26
	s_and_saveexec_b32 s8, vcc_lo
	s_cbranch_execz .LBB147_203
; %bb.207:                              ;   in Loop: Header=BB147_204 Depth=2
	s_waitcnt vmcnt(0)
	v_xor_b32_e32 v2, 0x80000000, v17
	s_delay_alu instid0(VALU_DEP_1) | instskip(NEXT) | instid1(VALU_DEP_1)
	v_and_b32_e32 v2, v2, v22
	v_cmp_eq_u32_e32 vcc_lo, v2, v21
	s_and_b32 exec_lo, exec_lo, vcc_lo
	s_cbranch_execz .LBB147_203
; %bb.208:                              ;   in Loop: Header=BB147_204 Depth=2
	ds_store_b64 v13, v[16:17] offset:3072
	s_branch .LBB147_203
.LBB147_209:                            ;   in Loop: Header=BB147_12 Depth=1
	s_or_b32 exec_lo, exec_lo, s18
	s_delay_alu instid0(SALU_CYCLE_1)
	s_and_b32 s26, s19, exec_lo
.LBB147_210:                            ;   in Loop: Header=BB147_12 Depth=1
	s_or_b32 exec_lo, exec_lo, s9
	s_mov_b32 s71, -1
	s_mov_b32 s69, 0
	s_mov_b32 s70, 0
.LBB147_211:                            ;   in Loop: Header=BB147_12 Depth=1
	s_or_not1_b32 s8, s26, exec_lo
.LBB147_212:                            ;   in Loop: Header=BB147_12 Depth=1
	s_or_b32 exec_lo, exec_lo, s96
	s_mov_b32 s26, 0
                                        ; implicit-def: $vgpr8
	s_and_saveexec_b32 s96, s8
	s_cbranch_execz .LBB147_277
; %bb.213:                              ;   in Loop: Header=BB147_12 Depth=1
	v_mov_b32_e32 v4, 1
	v_dual_mov_b32 v5, 0 :: v_dual_mov_b32 v8, 1
	s_xor_b32 s9, s97, -1
	s_delay_alu instid0(SALU_CYCLE_1)
	s_and_saveexec_b32 s8, s9
	s_cbranch_execz .LBB147_223
; %bb.214:                              ;   in Loop: Header=BB147_12 Depth=1
	s_mov_b32 s18, exec_lo
                                        ; implicit-def: $sgpr19
                                        ; implicit-def: $sgpr9
	v_cmpx_ge_u64_e64 s[14:15], v[6:7]
	s_xor_b32 s18, exec_lo, s18
	s_cbranch_execz .LBB147_220
; %bb.215:                              ;   in Loop: Header=BB147_12 Depth=1
	ds_load_b64 v[4:5], v13 offset:5120
	s_waitcnt lgkmcnt(0)
	v_cmp_ne_u64_e32 vcc_lo, 0, v[4:5]
	s_cbranch_vccnz .LBB147_219
; %bb.216:                              ;   in Loop: Header=BB147_12 Depth=1
	s_and_saveexec_b32 s9, s5
	s_cbranch_execz .LBB147_218
; %bb.217:                              ;   in Loop: Header=BB147_12 Depth=1
	v_dual_mov_b32 v4, s14 :: v_dual_mov_b32 v5, s15
	ds_store_b64 v13, v[4:5] offset:5128
.LBB147_218:                            ;   in Loop: Header=BB147_12 Depth=1
	s_or_b32 exec_lo, exec_lo, s9
	s_waitcnt lgkmcnt(0)
	s_barrier
	buffer_gl0_inv
.LBB147_219:                            ;   in Loop: Header=BB147_12 Depth=1
	s_lshl_b32 s9, 2, s22
	v_or_b32_e32 v22, s20, v22
	v_and_or_b32 v21, v21, s21, s9
	s_mov_b32 s9, 0
	s_mov_b32 s19, 8
.LBB147_220:                            ;   in Loop: Header=BB147_12 Depth=1
	s_or_saveexec_b32 s18, s18
	v_mov_b32_e32 v8, s19
	s_xor_b32 exec_lo, exec_lo, s18
; %bb.221:                              ;   in Loop: Header=BB147_12 Depth=1
	v_sub_co_u32 v6, vcc_lo, v6, s14
	v_subrev_co_ci_u32_e32 v7, vcc_lo, s15, v7, vcc_lo
	v_mov_b32_e32 v8, 0
	s_or_b32 s9, s9, exec_lo
; %bb.222:                              ;   in Loop: Header=BB147_12 Depth=1
	s_or_b32 exec_lo, exec_lo, s18
	s_delay_alu instid0(VALU_DEP_2)
	v_dual_mov_b32 v4, v6 :: v_dual_mov_b32 v5, v7
	s_and_b32 s26, s9, exec_lo
.LBB147_223:                            ;   in Loop: Header=BB147_12 Depth=1
	s_or_b32 exec_lo, exec_lo, s8
	s_mov_b32 s19, -1
                                        ; implicit-def: $sgpr8
                                        ; implicit-def: $sgpr18
                                        ; implicit-def: $sgpr9
	s_and_saveexec_b32 s97, s26
	s_cbranch_execz .LBB147_276
; %bb.224:                              ;   in Loop: Header=BB147_12 Depth=1
	v_cmp_eq_u64_e32 vcc_lo, 1, v[4:5]
	s_cmp_eq_u64 s[16:17], 1
	s_mov_b32 s26, -1
	s_cselect_b32 s8, -1, 0
                                        ; implicit-def: $sgpr18
                                        ; implicit-def: $sgpr9
	s_delay_alu instid0(SALU_CYCLE_1) | instskip(NEXT) | instid1(SALU_CYCLE_1)
	s_and_b32 s98, s8, vcc_lo
                                        ; implicit-def: $sgpr8
	s_and_saveexec_b32 s99, s98
	s_cbranch_execz .LBB147_263
; %bb.225:                              ;   in Loop: Header=BB147_12 Depth=1
	ds_load_b64 v[2:3], v13 offset:5120
	s_waitcnt lgkmcnt(0)
	s_barrier
	buffer_gl0_inv
	v_readfirstlane_b32 s18, v2
	v_readfirstlane_b32 s19, v3
	s_and_saveexec_b32 s8, s6
	s_cbranch_execz .LBB147_227
; %bb.226:                              ;   in Loop: Header=BB147_12 Depth=1
	ds_store_b32 v28, v13
.LBB147_227:                            ;   in Loop: Header=BB147_12 Depth=1
	s_or_b32 exec_lo, exec_lo, s8
	v_or_b32_e32 v21, s20, v21
	v_or_b32_e32 v22, s20, v22
	s_cmp_eq_u64 s[18:19], 0
	s_waitcnt lgkmcnt(0)
	s_barrier
	buffer_gl0_inv
	s_cbranch_scc1 .LBB147_232
; %bb.228:                              ;   in Loop: Header=BB147_12 Depth=1
	s_add_u32 s26, s74, s18
	s_addc_u32 s9, s75, s19
	s_mov_b32 s8, s59
	s_mov_b64 s[46:47], s[42:43]
	s_mov_b64 s[44:45], s[40:41]
	;; [unrolled: 1-line block ×4, first 2 shown]
	s_cmp_lg_u64 s[8:9], 0
	s_cbranch_scc0 .LBB147_233
; %bb.229:                              ;   in Loop: Header=BB147_12 Depth=1
	v_cvt_f32_u32_e32 v2, s49
	s_sub_u32 s101, 0, s49
	s_subb_u32 s102, 0, 0
	s_delay_alu instid0(VALU_DEP_1) | instskip(NEXT) | instid1(VALU_DEP_1)
	v_fmac_f32_e64 v2, 0, 0x4f800000
	v_rcp_f32_e32 v2, v2
	s_waitcnt_depctr 0xfff
	v_mul_f32_e32 v2, 0x5f7ffffc, v2
	s_delay_alu instid0(VALU_DEP_1) | instskip(NEXT) | instid1(VALU_DEP_1)
	v_mul_f32_e32 v3, 0x2f800000, v2
	v_trunc_f32_e32 v3, v3
	s_delay_alu instid0(VALU_DEP_1) | instskip(SKIP_1) | instid1(VALU_DEP_2)
	v_fmac_f32_e32 v2, 0xcf800000, v3
	v_cvt_u32_f32_e32 v3, v3
	v_cvt_u32_f32_e32 v2, v2
	s_delay_alu instid0(VALU_DEP_2) | instskip(NEXT) | instid1(VALU_DEP_2)
	v_readfirstlane_b32 s8, v3
	v_readfirstlane_b32 s100, v2
	s_delay_alu instid0(VALU_DEP_2) | instskip(NEXT) | instid1(VALU_DEP_1)
	s_mul_i32 s103, s101, s8
	s_mul_hi_u32 vcc_lo, s101, s100
	s_mul_i32 s104, s102, s100
	s_add_i32 s103, vcc_lo, s103
	s_mul_i32 vcc_hi, s101, s100
	s_add_i32 s103, s103, s104
	s_mul_hi_u32 vcc_lo, s100, vcc_hi
	s_mul_hi_u32 s104, s100, s103
	s_mul_i32 s100, s100, s103
	s_mul_i32 s55, s8, vcc_hi
	s_add_u32 s100, vcc_lo, s100
	s_mul_hi_u32 s54, s8, vcc_hi
	s_addc_u32 s104, 0, s104
	s_mul_hi_u32 vcc_hi, s8, s103
	s_add_u32 s55, s100, s55
	s_mul_i32 s103, s8, s103
	s_addc_u32 s54, s104, s54
	s_addc_u32 s55, vcc_hi, 0
	s_add_u32 s54, s54, s103
	s_addc_u32 s55, 0, s55
	v_add_co_u32 v2, s54, v2, s54
	s_delay_alu instid0(VALU_DEP_1) | instskip(SKIP_1) | instid1(VALU_DEP_1)
	s_cmp_lg_u32 s54, 0
	s_addc_u32 s8, s8, s55
	v_readfirstlane_b32 s54, v2
	s_mul_i32 s55, s101, s8
	s_delay_alu instid0(VALU_DEP_1)
	s_mul_hi_u32 s100, s101, s54
	s_mul_i32 s102, s102, s54
	s_add_i32 s55, s100, s55
	s_mul_i32 s101, s101, s54
	s_add_i32 s55, s55, s102
	s_mul_hi_u32 s100, s8, s101
	s_mul_i32 s103, s8, s101
	s_mul_hi_u32 s101, s54, s101
	s_mul_hi_u32 s104, s54, s55
	s_mul_i32 s54, s54, s55
	s_mul_hi_u32 s102, s8, s55
	s_add_u32 s54, s101, s54
	s_addc_u32 s101, 0, s104
	s_add_u32 s54, s54, s103
	s_mul_i32 s55, s8, s55
	s_addc_u32 s54, s101, s100
	s_addc_u32 s100, s102, 0
	s_add_u32 s54, s54, s55
	s_addc_u32 s55, 0, s100
	v_add_co_u32 v2, s54, v2, s54
	s_delay_alu instid0(VALU_DEP_1) | instskip(SKIP_1) | instid1(VALU_DEP_1)
	s_cmp_lg_u32 s54, 0
	s_addc_u32 s8, s8, s55
	v_readfirstlane_b32 s54, v2
	s_mul_i32 s100, s26, s8
	s_mul_hi_u32 s55, s26, s8
	s_mul_hi_u32 s101, s9, s8
	s_mul_i32 s8, s9, s8
	s_mul_hi_u32 s102, s26, s54
	s_mul_hi_u32 s103, s9, s54
	s_mul_i32 s54, s9, s54
	s_add_u32 s100, s102, s100
	s_addc_u32 s55, 0, s55
	s_add_u32 s54, s100, s54
	s_addc_u32 s54, s55, s103
	s_addc_u32 s55, s101, 0
	s_add_u32 s8, s54, s8
	s_addc_u32 s54, 0, s55
	s_mul_hi_u32 s55, s49, s8
	s_mul_i32 s8, s49, s8
	s_mul_i32 s54, s49, s54
	v_sub_co_u32 v2, s8, s26, s8
	s_add_i32 s55, s55, s54
	s_cmp_lg_u32 s8, 0
	s_delay_alu instid0(VALU_DEP_1) | instskip(SKIP_3) | instid1(VALU_DEP_2)
	v_sub_co_u32 v3, s8, v2, s49
	s_subb_u32 s54, s9, s55
	s_cmp_lg_u32 s8, 0
	v_cmp_le_u32_e32 vcc_lo, s49, v2
	v_cmp_le_u32_e64 s8, s49, v3
	v_sub_co_u32 v6, s55, v3, s49
	s_subb_u32 s100, s54, 0
	s_cmp_lg_u32 s55, 0
	s_delay_alu instid0(VALU_DEP_2)
	v_cndmask_b32_e64 v7, 0, -1, s8
	s_subb_u32 s55, s100, 0
	s_cmp_eq_u32 s100, 0
	v_mov_b32_e32 v9, s55
	v_cndmask_b32_e64 v8, 0, -1, vcc_lo
	s_cselect_b32 vcc_lo, -1, 0
	s_cmp_eq_u32 s54, 0
	v_cndmask_b32_e32 v7, -1, v7, vcc_lo
	s_cselect_b32 vcc_lo, -1, 0
	v_cndmask_b32_e32 v8, -1, v8, vcc_lo
	s_delay_alu instid0(VALU_DEP_2) | instskip(NEXT) | instid1(VALU_DEP_2)
	v_cmp_ne_u32_e32 vcc_lo, 0, v7
	v_cmp_ne_u32_e64 s8, 0, v8
	v_cndmask_b32_e32 v7, s100, v9, vcc_lo
	v_cndmask_b32_e32 v6, v3, v6, vcc_lo
	s_delay_alu instid0(VALU_DEP_2) | instskip(NEXT) | instid1(VALU_DEP_2)
	v_cndmask_b32_e64 v3, s54, v7, s8
	v_cndmask_b32_e64 v2, v2, v6, s8
	s_mov_b32 s8, 0
	s_branch .LBB147_234
.LBB147_230:                            ;   in Loop: Header=BB147_12 Depth=1
                                        ; implicit-def: $vgpr2_vgpr3
	s_branch .LBB147_184
.LBB147_231:                            ;   in Loop: Header=BB147_12 Depth=1
                                        ; implicit-def: $vgpr2_vgpr3
	s_branch .LBB147_200
.LBB147_232:                            ;   in Loop: Header=BB147_12 Depth=1
	s_mov_b32 s8, -1
	s_mov_b32 s26, 0
                                        ; implicit-def: $sgpr9
                                        ; implicit-def: $vgpr3
	s_branch .LBB147_246
.LBB147_233:                            ;   in Loop: Header=BB147_12 Depth=1
	s_mov_b32 s8, -1
                                        ; implicit-def: $vgpr2_vgpr3
.LBB147_234:                            ;   in Loop: Header=BB147_12 Depth=1
	s_delay_alu instid0(SALU_CYCLE_1)
	s_and_not1_b32 vcc_lo, exec_lo, s8
	s_cbranch_vccnz .LBB147_236
; %bb.235:                              ;   in Loop: Header=BB147_12 Depth=1
	v_cvt_f32_u32_e32 v2, s49
	s_sub_i32 s8, 0, s49
	s_delay_alu instid0(VALU_DEP_1) | instskip(SKIP_2) | instid1(VALU_DEP_1)
	v_rcp_iflag_f32_e32 v2, v2
	s_waitcnt_depctr 0xfff
	v_mul_f32_e32 v2, 0x4f7ffffe, v2
	v_cvt_u32_f32_e32 v2, v2
	s_delay_alu instid0(VALU_DEP_1) | instskip(NEXT) | instid1(VALU_DEP_1)
	v_mul_lo_u32 v3, s8, v2
	v_mul_hi_u32 v3, v2, v3
	s_delay_alu instid0(VALU_DEP_1) | instskip(NEXT) | instid1(VALU_DEP_1)
	v_add_nc_u32_e32 v2, v2, v3
	v_mul_hi_u32 v2, s26, v2
	s_delay_alu instid0(VALU_DEP_1) | instskip(NEXT) | instid1(VALU_DEP_1)
	v_mul_lo_u32 v2, v2, s49
	v_sub_nc_u32_e32 v2, s26, v2
	s_delay_alu instid0(VALU_DEP_1) | instskip(SKIP_1) | instid1(VALU_DEP_2)
	v_subrev_nc_u32_e32 v3, s49, v2
	v_cmp_le_u32_e32 vcc_lo, s49, v2
	v_cndmask_b32_e32 v2, v2, v3, vcc_lo
	s_delay_alu instid0(VALU_DEP_1) | instskip(SKIP_1) | instid1(VALU_DEP_2)
	v_subrev_nc_u32_e32 v3, s49, v2
	v_cmp_le_u32_e32 vcc_lo, s49, v2
	v_cndmask_b32_e32 v12, v2, v3, vcc_lo
	s_delay_alu instid0(VALU_DEP_1)
	v_dual_mov_b32 v2, v12 :: v_dual_mov_b32 v3, v13
.LBB147_236:                            ;   in Loop: Header=BB147_12 Depth=1
	s_delay_alu instid0(VALU_DEP_1) | instskip(NEXT) | instid1(VALU_DEP_2)
	v_sub_co_u32 v6, vcc_lo, s26, v2
	v_sub_co_ci_u32_e32 v7, vcc_lo, s9, v3, vcc_lo
	s_mov_b32 s26, 0
	s_mov_b32 s8, exec_lo
                                        ; implicit-def: $vgpr3
	s_delay_alu instid0(VALU_DEP_1)
	v_cmpx_gt_u64_e64 v[6:7], v[0:1]
	s_mov_b64 s[102:103], s[56:57]
	s_mov_b64 s[56:57], s[40:41]
	;; [unrolled: 1-line block ×4, first 2 shown]
	s_load_b128 s[44:47], s[0:1], 0x298
	s_cbranch_execz .LBB147_245
; %bb.237:                              ;   in Loop: Header=BB147_12 Depth=1
	v_dual_mov_b32 v12, v14 :: v_dual_mov_b32 v9, v1
	v_mov_b32_e32 v8, v0
	s_mov_b32 s9, 0
                                        ; implicit-def: $sgpr26
	s_set_inst_prefetch_distance 0x1
	s_branch .LBB147_239
	.p2align	6
.LBB147_238:                            ;   in Loop: Header=BB147_239 Depth=2
	s_or_b32 exec_lo, exec_lo, s100
	s_waitcnt lgkmcnt(0)
	s_barrier
	buffer_gl0_inv
	ds_load_b64 v[2:3], v13 offset:3072
	v_add_co_u32 v8, vcc_lo, v8, s49
	v_add_co_ci_u32_e32 v9, vcc_lo, 0, v9, vcc_lo
	v_add_nc_u32_e32 v12, s82, v12
	s_waitcnt lgkmcnt(0)
	s_barrier
	s_delay_alu instid0(VALU_DEP_2) | instskip(SKIP_2) | instid1(VALU_DEP_1)
	v_cmp_ge_u64_e32 vcc_lo, v[8:9], v[6:7]
	buffer_gl0_inv
	v_readfirstlane_b32 s54, v2
	s_cmp_lg_u32 s54, 0
	s_cselect_b32 s54, -1, 0
	s_delay_alu instid0(SALU_CYCLE_1) | instskip(NEXT) | instid1(SALU_CYCLE_1)
	s_or_b32 s55, vcc_lo, s54
	s_and_b32 s55, exec_lo, s55
	s_delay_alu instid0(SALU_CYCLE_1) | instskip(SKIP_2) | instid1(SALU_CYCLE_1)
	s_or_b32 s9, s55, s9
	s_and_not1_b32 s26, s26, exec_lo
	s_and_b32 s54, s54, exec_lo
	s_or_b32 s26, s26, s54
	s_and_not1_b32 exec_lo, exec_lo, s9
	s_cbranch_execz .LBB147_244
.LBB147_239:                            ;   Parent Loop BB147_12 Depth=1
                                        ; =>  This Inner Loop Header: Depth=2
	s_delay_alu instid0(VALU_DEP_1)
	v_cmp_gt_u64_e32 vcc_lo, s[18:19], v[8:9]
	v_mov_b32_e32 v17, 0
	s_and_saveexec_b32 s100, vcc_lo
	s_cbranch_execz .LBB147_241
; %bb.240:                              ;   in Loop: Header=BB147_239 Depth=2
	ds_load_b32 v17, v12
.LBB147_241:                            ;   in Loop: Header=BB147_239 Depth=2
	s_or_b32 exec_lo, exec_lo, s100
	s_and_saveexec_b32 s100, vcc_lo
	s_cbranch_execz .LBB147_238
; %bb.242:                              ;   in Loop: Header=BB147_239 Depth=2
	s_waitcnt lgkmcnt(0)
	v_xor_b32_e32 v2, 0x80000000, v17
	s_delay_alu instid0(VALU_DEP_1) | instskip(NEXT) | instid1(VALU_DEP_1)
	v_and_b32_e32 v2, v2, v22
	v_cmp_eq_u32_e32 vcc_lo, v2, v21
	s_and_b32 exec_lo, exec_lo, vcc_lo
	s_cbranch_execz .LBB147_238
; %bb.243:                              ;   in Loop: Header=BB147_239 Depth=2
	ds_store_b64 v13, v[16:17] offset:3072
	s_branch .LBB147_238
.LBB147_244:                            ;   in Loop: Header=BB147_12 Depth=1
	s_set_inst_prefetch_distance 0x2
	s_or_b32 exec_lo, exec_lo, s9
	s_delay_alu instid0(SALU_CYCLE_1)
	s_and_b32 s26, s26, exec_lo
.LBB147_245:                            ;   in Loop: Header=BB147_12 Depth=1
	s_or_b32 exec_lo, exec_lo, s8
	s_mov_b32 s9, -1
	s_mov_b32 s8, 0
.LBB147_246:                            ;   in Loop: Header=BB147_12 Depth=1
	s_delay_alu instid0(SALU_CYCLE_1)
	s_and_b32 vcc_lo, exec_lo, s8
	s_mov_b32 s18, s8
	s_cbranch_vccz .LBB147_262
; %bb.247:                              ;   in Loop: Header=BB147_12 Depth=1
	s_mov_b32 s26, s59
	s_waitcnt lgkmcnt(0)
	s_mov_b64 s[46:47], s[42:43]
	s_mov_b64 s[44:45], s[40:41]
	;; [unrolled: 1-line block ×4, first 2 shown]
	s_cmp_lg_u64 s[26:27], 0
	s_cbranch_scc0 .LBB147_249
; %bb.248:                              ;   in Loop: Header=BB147_12 Depth=1
	v_cvt_f32_u32_e32 v2, s49
	s_sub_u32 s18, 0, s49
	s_subb_u32 s19, 0, 0
	s_delay_alu instid0(VALU_DEP_1) | instskip(NEXT) | instid1(VALU_DEP_1)
	v_fmac_f32_e64 v2, 0, 0x4f800000
	v_rcp_f32_e32 v2, v2
	s_waitcnt_depctr 0xfff
	v_mul_f32_e32 v2, 0x5f7ffffc, v2
	s_delay_alu instid0(VALU_DEP_1) | instskip(NEXT) | instid1(VALU_DEP_1)
	v_mul_f32_e32 v3, 0x2f800000, v2
	v_trunc_f32_e32 v3, v3
	s_delay_alu instid0(VALU_DEP_1) | instskip(SKIP_1) | instid1(VALU_DEP_2)
	v_fmac_f32_e32 v2, 0xcf800000, v3
	v_cvt_u32_f32_e32 v3, v3
	v_cvt_u32_f32_e32 v2, v2
	s_delay_alu instid0(VALU_DEP_2) | instskip(NEXT) | instid1(VALU_DEP_2)
	v_readfirstlane_b32 s8, v3
	v_readfirstlane_b32 s9, v2
	s_delay_alu instid0(VALU_DEP_2) | instskip(NEXT) | instid1(VALU_DEP_1)
	s_mul_i32 s26, s18, s8
	s_mul_hi_u32 s55, s18, s9
	s_mul_i32 s54, s19, s9
	s_add_i32 s26, s55, s26
	s_mul_i32 s100, s18, s9
	s_add_i32 s26, s26, s54
	s_mul_hi_u32 s55, s9, s100
	s_mul_hi_u32 s101, s8, s100
	s_mul_i32 s54, s8, s100
	s_mul_hi_u32 s100, s9, s26
	s_mul_i32 s9, s9, s26
	s_mul_hi_u32 s102, s8, s26
	s_add_u32 s9, s55, s9
	s_addc_u32 s55, 0, s100
	s_add_u32 s9, s9, s54
	s_mul_i32 s26, s8, s26
	s_addc_u32 s9, s55, s101
	s_addc_u32 s54, s102, 0
	s_add_u32 s9, s9, s26
	s_addc_u32 s26, 0, s54
	v_add_co_u32 v2, s9, v2, s9
	s_delay_alu instid0(VALU_DEP_1) | instskip(SKIP_1) | instid1(VALU_DEP_1)
	s_cmp_lg_u32 s9, 0
	s_addc_u32 s8, s8, s26
	v_readfirstlane_b32 s9, v2
	s_mul_i32 s26, s18, s8
	s_delay_alu instid0(VALU_DEP_1)
	s_mul_hi_u32 s54, s18, s9
	s_mul_i32 s19, s19, s9
	s_add_i32 s26, s54, s26
	s_mul_i32 s18, s18, s9
	s_add_i32 s26, s26, s19
	s_mul_hi_u32 s54, s8, s18
	s_mul_i32 s55, s8, s18
	s_mul_hi_u32 s18, s9, s18
	s_mul_hi_u32 s100, s9, s26
	s_mul_i32 s9, s9, s26
	s_mul_hi_u32 s19, s8, s26
	s_add_u32 s9, s18, s9
	s_addc_u32 s18, 0, s100
	s_add_u32 s9, s9, s55
	s_mul_i32 s26, s8, s26
	s_addc_u32 s9, s18, s54
	s_addc_u32 s18, s19, 0
	s_add_u32 s9, s9, s26
	s_addc_u32 s18, 0, s18
	v_add_co_u32 v2, s9, v2, s9
	s_delay_alu instid0(VALU_DEP_1) | instskip(SKIP_1) | instid1(VALU_DEP_1)
	s_cmp_lg_u32 s9, 0
	s_addc_u32 s8, s8, s18
	v_readfirstlane_b32 s9, v2
	s_mul_i32 s19, s76, s8
	s_mul_hi_u32 s18, s76, s8
	s_mul_hi_u32 s26, s27, s8
	s_mul_i32 s8, s27, s8
	s_mul_hi_u32 s54, s76, s9
	s_mul_hi_u32 s55, s27, s9
	s_mul_i32 s9, s27, s9
	s_add_u32 s19, s54, s19
	s_addc_u32 s18, 0, s18
	s_add_u32 s9, s19, s9
	s_addc_u32 s9, s18, s55
	s_addc_u32 s18, s26, 0
	s_add_u32 s8, s9, s8
	s_addc_u32 s9, 0, s18
	s_mul_hi_u32 s18, s49, s8
	s_mul_i32 s8, s49, s8
	s_mul_i32 s9, s49, s9
	v_sub_co_u32 v2, s8, s76, s8
	s_add_i32 s18, s18, s9
	s_cmp_lg_u32 s8, 0
	s_delay_alu instid0(VALU_DEP_1) | instskip(SKIP_2) | instid1(VALU_DEP_1)
	v_sub_co_u32 v3, s8, v2, s49
	s_subb_u32 s9, s27, s18
	s_cmp_lg_u32 s8, 0
	v_cmp_le_u32_e32 vcc_lo, s49, v3
	v_sub_co_u32 v6, s8, v3, s49
	s_subb_u32 s18, s9, 0
	s_cmp_lg_u32 s8, 0
	v_cndmask_b32_e64 v7, 0, -1, vcc_lo
	s_subb_u32 s8, s18, 0
	s_cmp_eq_u32 s18, 0
	v_mov_b32_e32 v9, s8
	s_cselect_b32 vcc_lo, -1, 0
	s_cmp_eq_u32 s9, 0
	v_cndmask_b32_e32 v7, -1, v7, vcc_lo
	v_cmp_le_u32_e32 vcc_lo, s49, v2
	s_cselect_b32 s8, -1, 0
	v_cndmask_b32_e64 v8, 0, -1, vcc_lo
	s_delay_alu instid0(VALU_DEP_3) | instskip(NEXT) | instid1(VALU_DEP_2)
	v_cmp_ne_u32_e32 vcc_lo, 0, v7
	v_cndmask_b32_e64 v7, -1, v8, s8
	v_cndmask_b32_e32 v8, s18, v9, vcc_lo
	v_cndmask_b32_e32 v6, v3, v6, vcc_lo
	s_mov_b32 s8, 0
	s_delay_alu instid0(VALU_DEP_3) | instskip(NEXT) | instid1(VALU_DEP_3)
	v_cmp_ne_u32_e32 vcc_lo, 0, v7
	v_cndmask_b32_e32 v3, s9, v8, vcc_lo
	s_delay_alu instid0(VALU_DEP_3)
	v_cndmask_b32_e32 v2, v2, v6, vcc_lo
	s_branch .LBB147_250
.LBB147_249:                            ;   in Loop: Header=BB147_12 Depth=1
	s_mov_b32 s8, -1
                                        ; implicit-def: $vgpr2_vgpr3
.LBB147_250:                            ;   in Loop: Header=BB147_12 Depth=1
	s_delay_alu instid0(SALU_CYCLE_1)
	s_and_not1_b32 vcc_lo, exec_lo, s8
	s_cbranch_vccnz .LBB147_252
; %bb.251:                              ;   in Loop: Header=BB147_12 Depth=1
	v_cvt_f32_u32_e32 v2, s49
	s_sub_i32 s8, 0, s49
	s_delay_alu instid0(VALU_DEP_1) | instskip(SKIP_2) | instid1(VALU_DEP_1)
	v_rcp_iflag_f32_e32 v2, v2
	s_waitcnt_depctr 0xfff
	v_mul_f32_e32 v2, 0x4f7ffffe, v2
	v_cvt_u32_f32_e32 v2, v2
	s_delay_alu instid0(VALU_DEP_1) | instskip(NEXT) | instid1(VALU_DEP_1)
	v_mul_lo_u32 v3, s8, v2
	v_mul_hi_u32 v3, v2, v3
	s_delay_alu instid0(VALU_DEP_1) | instskip(NEXT) | instid1(VALU_DEP_1)
	v_add_nc_u32_e32 v2, v2, v3
	v_mul_hi_u32 v2, s76, v2
	s_delay_alu instid0(VALU_DEP_1) | instskip(NEXT) | instid1(VALU_DEP_1)
	v_mul_lo_u32 v2, v2, s49
	v_sub_nc_u32_e32 v2, s76, v2
	s_delay_alu instid0(VALU_DEP_1) | instskip(SKIP_1) | instid1(VALU_DEP_2)
	v_subrev_nc_u32_e32 v3, s49, v2
	v_cmp_le_u32_e32 vcc_lo, s49, v2
	v_cndmask_b32_e32 v2, v2, v3, vcc_lo
	s_delay_alu instid0(VALU_DEP_1) | instskip(SKIP_1) | instid1(VALU_DEP_2)
	v_subrev_nc_u32_e32 v3, s49, v2
	v_cmp_le_u32_e32 vcc_lo, s49, v2
	v_cndmask_b32_e32 v12, v2, v3, vcc_lo
	s_delay_alu instid0(VALU_DEP_1)
	v_dual_mov_b32 v2, v12 :: v_dual_mov_b32 v3, v13
.LBB147_252:                            ;   in Loop: Header=BB147_12 Depth=1
	s_delay_alu instid0(VALU_DEP_1) | instskip(NEXT) | instid1(VALU_DEP_2)
	v_sub_co_u32 v6, vcc_lo, s76, v2
	v_sub_co_ci_u32_e32 v7, vcc_lo, s27, v3, vcc_lo
	s_mov_b32 s26, 0
	s_mov_b32 s9, exec_lo
                                        ; implicit-def: $vgpr3
	s_delay_alu instid0(VALU_DEP_1)
	v_cmpx_gt_u64_e64 v[6:7], v[0:1]
	s_mov_b64 s[102:103], s[56:57]
	s_mov_b64 s[56:57], s[40:41]
	s_mov_b64 s[40:41], s[44:45]
	s_mov_b64 s[42:43], s[46:47]
	s_load_b128 s[44:47], s[0:1], 0x298
	s_cbranch_execz .LBB147_261
; %bb.253:                              ;   in Loop: Header=BB147_12 Depth=1
	v_dual_mov_b32 v9, v1 :: v_dual_mov_b32 v8, v0
	s_mov_b32 s18, 0
                                        ; implicit-def: $sgpr19
	s_branch .LBB147_255
.LBB147_254:                            ;   in Loop: Header=BB147_255 Depth=2
	s_or_b32 exec_lo, exec_lo, s8
	s_waitcnt vmcnt(0) lgkmcnt(0)
	s_barrier
	buffer_gl0_inv
	ds_load_b64 v[2:3], v13 offset:3072
	v_add_co_u32 v8, vcc_lo, v8, s49
	v_add_co_ci_u32_e32 v9, vcc_lo, 0, v9, vcc_lo
	s_waitcnt lgkmcnt(0)
	s_barrier
	buffer_gl0_inv
	v_cmp_ge_u64_e32 vcc_lo, v[8:9], v[6:7]
	v_readfirstlane_b32 s8, v2
	s_delay_alu instid0(VALU_DEP_1) | instskip(SKIP_1) | instid1(SALU_CYCLE_1)
	s_cmp_lg_u32 s8, 0
	s_cselect_b32 s8, -1, 0
	s_or_b32 s26, vcc_lo, s8
	s_delay_alu instid0(SALU_CYCLE_1) | instskip(NEXT) | instid1(SALU_CYCLE_1)
	s_and_b32 s26, exec_lo, s26
	s_or_b32 s18, s26, s18
	s_and_not1_b32 s19, s19, exec_lo
	s_and_b32 s8, s8, exec_lo
	s_delay_alu instid0(SALU_CYCLE_1)
	s_or_b32 s19, s19, s8
	s_and_not1_b32 exec_lo, exec_lo, s18
	s_cbranch_execz .LBB147_260
.LBB147_255:                            ;   Parent Loop BB147_12 Depth=1
                                        ; =>  This Inner Loop Header: Depth=2
	s_delay_alu instid0(VALU_DEP_1)
	v_cmp_gt_u64_e32 vcc_lo, s[36:37], v[8:9]
	v_mov_b32_e32 v17, 0
	s_and_saveexec_b32 s26, vcc_lo
	s_cbranch_execz .LBB147_257
; %bb.256:                              ;   in Loop: Header=BB147_255 Depth=2
	v_mul_lo_u32 v12, v9, s30
	v_mul_lo_u32 v17, v8, s31
	v_mad_u64_u32 v[2:3], null, v8, s30, 0
	s_delay_alu instid0(VALU_DEP_1) | instskip(NEXT) | instid1(VALU_DEP_1)
	v_add3_u32 v3, v3, v17, v12
	v_lshlrev_b64 v[2:3], 2, v[2:3]
	s_delay_alu instid0(VALU_DEP_1) | instskip(NEXT) | instid1(VALU_DEP_1)
	v_add_co_u32 v2, s8, s33, v2
	v_add_co_ci_u32_e64 v3, s8, s35, v3, s8
	global_load_b32 v17, v[2:3], off
.LBB147_257:                            ;   in Loop: Header=BB147_255 Depth=2
	s_or_b32 exec_lo, exec_lo, s26
	s_and_saveexec_b32 s8, vcc_lo
	s_cbranch_execz .LBB147_254
; %bb.258:                              ;   in Loop: Header=BB147_255 Depth=2
	s_waitcnt vmcnt(0)
	v_xor_b32_e32 v2, 0x80000000, v17
	s_delay_alu instid0(VALU_DEP_1) | instskip(NEXT) | instid1(VALU_DEP_1)
	v_and_b32_e32 v2, v2, v22
	v_cmp_eq_u32_e32 vcc_lo, v2, v21
	s_and_b32 exec_lo, exec_lo, vcc_lo
	s_cbranch_execz .LBB147_254
; %bb.259:                              ;   in Loop: Header=BB147_255 Depth=2
	ds_store_b64 v13, v[16:17] offset:3072
	s_branch .LBB147_254
.LBB147_260:                            ;   in Loop: Header=BB147_12 Depth=1
	s_or_b32 exec_lo, exec_lo, s18
	s_delay_alu instid0(SALU_CYCLE_1)
	s_and_b32 s26, s19, exec_lo
.LBB147_261:                            ;   in Loop: Header=BB147_12 Depth=1
	s_or_b32 exec_lo, exec_lo, s9
	s_mov_b32 s18, -1
	s_mov_b32 s8, 0
	s_mov_b32 s9, 0
.LBB147_262:                            ;   in Loop: Header=BB147_12 Depth=1
	s_or_not1_b32 s26, s26, exec_lo
.LBB147_263:                            ;   in Loop: Header=BB147_12 Depth=1
	s_or_b32 exec_lo, exec_lo, s99
	s_mov_b32 s99, 0
                                        ; implicit-def: $vgpr8
                                        ; implicit-def: $vgpr6_vgpr7
	s_and_saveexec_b32 s19, s26
	s_cbranch_execz .LBB147_275
; %bb.264:                              ;   in Loop: Header=BB147_12 Depth=1
	v_mov_b32_e32 v6, 1
	v_dual_mov_b32 v7, 0 :: v_dual_mov_b32 v8, 1
	s_xor_b32 s54, s98, -1
	s_delay_alu instid0(SALU_CYCLE_1)
	s_and_saveexec_b32 s26, s54
	s_cbranch_execz .LBB147_274
; %bb.265:                              ;   in Loop: Header=BB147_12 Depth=1
                                        ; implicit-def: $sgpr99
	s_mov_b32 s54, exec_lo
	v_cmpx_ge_u64_e64 s[16:17], v[4:5]
	s_xor_b32 s98, exec_lo, s54
	s_cbranch_execz .LBB147_271
; %bb.266:                              ;   in Loop: Header=BB147_12 Depth=1
	ds_load_b64 v[6:7], v13 offset:5120
	s_waitcnt lgkmcnt(0)
	v_cmp_ne_u64_e32 vcc_lo, 0, v[6:7]
	s_cbranch_vccnz .LBB147_270
; %bb.267:                              ;   in Loop: Header=BB147_12 Depth=1
	s_and_saveexec_b32 s99, s5
	s_cbranch_execz .LBB147_269
; %bb.268:                              ;   in Loop: Header=BB147_12 Depth=1
	v_dual_mov_b32 v6, s16 :: v_dual_mov_b32 v7, s17
	ds_store_b64 v13, v[6:7] offset:5128
.LBB147_269:                            ;   in Loop: Header=BB147_12 Depth=1
	s_or_b32 exec_lo, exec_lo, s99
	s_waitcnt lgkmcnt(0)
	s_barrier
	buffer_gl0_inv
.LBB147_270:                            ;   in Loop: Header=BB147_12 Depth=1
	v_or_b32_e32 v21, s20, v21
	v_or_b32_e32 v22, s20, v22
	s_mov_b32 s99, 8
.LBB147_271:                            ;   in Loop: Header=BB147_12 Depth=1
	s_or_saveexec_b32 s98, s98
	v_mov_b32_e32 v8, s99
	s_xor_b32 exec_lo, exec_lo, s98
; %bb.272:                              ;   in Loop: Header=BB147_12 Depth=1
	v_sub_co_u32 v4, vcc_lo, v4, s16
	v_subrev_co_ci_u32_e32 v5, vcc_lo, s17, v5, vcc_lo
	v_mov_b32_e32 v8, 8
; %bb.273:                              ;   in Loop: Header=BB147_12 Depth=1
	s_or_b32 exec_lo, exec_lo, s98
	s_delay_alu instid0(VALU_DEP_2)
	v_dual_mov_b32 v7, v5 :: v_dual_mov_b32 v6, v4
.LBB147_274:                            ;   in Loop: Header=BB147_12 Depth=1
	s_or_b32 exec_lo, exec_lo, s26
	s_delay_alu instid0(SALU_CYCLE_1)
	s_mov_b32 s99, exec_lo
.LBB147_275:                            ;   in Loop: Header=BB147_12 Depth=1
	s_or_b32 exec_lo, exec_lo, s19
	s_delay_alu instid0(VALU_DEP_1)
	v_dual_mov_b32 v4, v6 :: v_dual_mov_b32 v5, v7
	s_or_not1_b32 s19, s99, exec_lo
.LBB147_276:                            ;   in Loop: Header=BB147_12 Depth=1
	s_or_b32 exec_lo, exec_lo, s97
	s_delay_alu instid0(SALU_CYCLE_1)
	s_and_not1_b32 s26, s69, exec_lo
	s_and_b32 s8, s8, exec_lo
	v_dual_mov_b32 v7, v5 :: v_dual_mov_b32 v6, v4
	s_or_b32 s69, s26, s8
	s_and_not1_b32 s8, s71, exec_lo
	s_and_b32 s18, s18, exec_lo
	s_and_not1_b32 s26, s70, exec_lo
	s_and_b32 s9, s9, exec_lo
	s_or_b32 s71, s8, s18
	s_or_b32 s70, s26, s9
	s_and_b32 s26, s19, exec_lo
.LBB147_277:                            ;   in Loop: Header=BB147_12 Depth=1
	s_or_b32 exec_lo, exec_lo, s96
	s_delay_alu instid0(SALU_CYCLE_1)
	s_and_b32 s19, s69, exec_lo
	s_and_b32 s18, s71, exec_lo
	;; [unrolled: 1-line block ×3, first 2 shown]
	s_or_not1_b32 s8, s26, exec_lo
.LBB147_278:                            ;   in Loop: Header=BB147_12 Depth=1
	s_or_b32 exec_lo, exec_lo, s68
	s_delay_alu instid0(SALU_CYCLE_1)
	s_and_not1_b32 s25, s25, exec_lo
	s_and_b32 s19, s19, exec_lo
	v_dual_mov_b32 v4, v6 :: v_dual_mov_b32 v5, v7
	s_or_b32 s25, s25, s19
	s_and_not1_b32 s19, s66, exec_lo
	s_and_b32 s18, s18, exec_lo
	s_and_not1_b32 s26, s65, exec_lo
	s_and_b32 s9, s9, exec_lo
	s_or_b32 s66, s19, s18
	s_or_b32 s65, s26, s9
	s_and_b32 s26, s8, exec_lo
.LBB147_279:                            ;   in Loop: Header=BB147_12 Depth=1
	s_or_b32 exec_lo, exec_lo, s67
	s_delay_alu instid0(SALU_CYCLE_1)
	s_and_b32 s19, s25, exec_lo
	s_and_b32 s18, s66, exec_lo
	;; [unrolled: 1-line block ×3, first 2 shown]
	s_or_not1_b32 s25, s26, exec_lo
.LBB147_280:                            ;   in Loop: Header=BB147_12 Depth=1
	s_or_b32 exec_lo, exec_lo, s24
	s_mov_b32 s8, 0
	s_mov_b32 s24, 0
	s_and_saveexec_b32 s26, s25
	s_delay_alu instid0(SALU_CYCLE_1)
	s_xor_b32 s25, exec_lo, s26
; %bb.281:                              ;   in Loop: Header=BB147_12 Depth=1
	v_cmp_ne_u32_e32 vcc_lo, 8, v8
	v_cmp_eq_u32_e64 s8, 8, v8
	s_and_not1_b32 s19, s19, exec_lo
	s_and_not1_b32 s18, s18, exec_lo
	;; [unrolled: 1-line block ×3, first 2 shown]
	s_and_b32 s24, vcc_lo, exec_lo
	s_and_b32 s8, s8, exec_lo
; %bb.282:                              ;   in Loop: Header=BB147_12 Depth=1
	s_or_b32 exec_lo, exec_lo, s25
	s_delay_alu instid0(SALU_CYCLE_1)
	s_and_not1_b32 s23, s23, exec_lo
	s_and_b32 s19, s19, exec_lo
	s_and_b32 s18, s18, exec_lo
	s_or_b32 s23, s23, s19
	s_and_not1_b32 s19, s62, exec_lo
	s_and_not1_b32 s25, s58, exec_lo
	s_and_b32 s9, s9, exec_lo
	s_or_b32 s62, s19, s18
	s_or_b32 s58, s25, s9
	s_and_b32 s24, s24, exec_lo
	s_and_b32 s25, s8, exec_lo
.LBB147_283:                            ;   in Loop: Header=BB147_12 Depth=1
	s_or_b32 exec_lo, exec_lo, s64
	s_delay_alu instid0(SALU_CYCLE_1)
	s_and_b32 vcc_lo, exec_lo, s63
	s_cbranch_vccz .LBB147_102
.LBB147_284:                            ;   in Loop: Header=BB147_12 Depth=1
	s_cmp_eq_u64 s[16:17], 1
                                        ; implicit-def: $sgpr18
                                        ; implicit-def: $sgpr19
                                        ; implicit-def: $sgpr23
	s_cselect_b32 s8, -1, 0
	s_delay_alu instid0(SALU_CYCLE_1)
	s_and_b32 s62, s8, s7
	s_mov_b32 s7, -1
	s_and_saveexec_b32 s58, s62
	s_cbranch_execz .LBB147_316
; %bb.285:                              ;   in Loop: Header=BB147_12 Depth=1
	ds_load_b64 v[2:3], v13 offset:5120
	s_waitcnt lgkmcnt(0)
	s_barrier
	buffer_gl0_inv
	v_readfirstlane_b32 s8, v2
	v_readfirstlane_b32 s9, v3
	s_and_saveexec_b32 s7, s6
	s_cbranch_execz .LBB147_287
; %bb.286:                              ;   in Loop: Header=BB147_12 Depth=1
	ds_store_b32 v28, v13
.LBB147_287:                            ;   in Loop: Header=BB147_12 Depth=1
	s_or_b32 exec_lo, exec_lo, s7
	v_or_b32_e32 v32, s20, v32
	v_or_b32_e32 v31, s20, v31
	s_cmp_eq_u64 s[8:9], 0
	s_waitcnt lgkmcnt(0)
	s_barrier
	buffer_gl0_inv
	s_cbranch_scc1 .LBB147_299
; %bb.288:                              ;   in Loop: Header=BB147_12 Depth=1
	s_add_u32 s23, s74, s8
	s_addc_u32 s19, s75, s9
	s_mov_b32 s18, s59
	s_delay_alu instid0(SALU_CYCLE_1)
	s_cmp_lg_u64 s[18:19], 0
	s_cbranch_scc0 .LBB147_343
; %bb.289:                              ;   in Loop: Header=BB147_12 Depth=1
	v_cvt_f32_u32_e32 v2, s49
	s_sub_u32 s26, 0, s49
	s_subb_u32 s63, 0, 0
	s_delay_alu instid0(VALU_DEP_1) | instskip(NEXT) | instid1(VALU_DEP_1)
	v_fmac_f32_e64 v2, 0, 0x4f800000
	v_rcp_f32_e32 v2, v2
	s_waitcnt_depctr 0xfff
	v_mul_f32_e32 v2, 0x5f7ffffc, v2
	s_delay_alu instid0(VALU_DEP_1) | instskip(NEXT) | instid1(VALU_DEP_1)
	v_mul_f32_e32 v3, 0x2f800000, v2
	v_trunc_f32_e32 v3, v3
	s_delay_alu instid0(VALU_DEP_1) | instskip(SKIP_1) | instid1(VALU_DEP_2)
	v_fmac_f32_e32 v2, 0xcf800000, v3
	v_cvt_u32_f32_e32 v3, v3
	v_cvt_u32_f32_e32 v2, v2
	s_delay_alu instid0(VALU_DEP_2) | instskip(NEXT) | instid1(VALU_DEP_2)
	v_readfirstlane_b32 s7, v3
	v_readfirstlane_b32 s18, v2
	s_delay_alu instid0(VALU_DEP_2) | instskip(NEXT) | instid1(VALU_DEP_1)
	s_mul_i32 s64, s26, s7
	s_mul_hi_u32 s66, s26, s18
	s_mul_i32 s65, s63, s18
	s_add_i32 s64, s66, s64
	s_mul_i32 s67, s26, s18
	s_add_i32 s64, s64, s65
	s_mul_hi_u32 s66, s18, s67
	s_mul_hi_u32 s68, s7, s67
	s_mul_i32 s65, s7, s67
	s_mul_hi_u32 s67, s18, s64
	s_mul_i32 s18, s18, s64
	s_mul_hi_u32 s69, s7, s64
	s_add_u32 s18, s66, s18
	s_addc_u32 s66, 0, s67
	s_add_u32 s18, s18, s65
	s_mul_i32 s64, s7, s64
	s_addc_u32 s18, s66, s68
	s_addc_u32 s65, s69, 0
	s_add_u32 s18, s18, s64
	s_addc_u32 s64, 0, s65
	v_add_co_u32 v2, s18, v2, s18
	s_delay_alu instid0(VALU_DEP_1) | instskip(SKIP_1) | instid1(VALU_DEP_1)
	s_cmp_lg_u32 s18, 0
	s_addc_u32 s7, s7, s64
	v_readfirstlane_b32 s18, v2
	s_mul_i32 s64, s26, s7
	s_delay_alu instid0(VALU_DEP_1)
	s_mul_hi_u32 s65, s26, s18
	s_mul_i32 s63, s63, s18
	s_add_i32 s64, s65, s64
	s_mul_i32 s26, s26, s18
	s_add_i32 s64, s64, s63
	s_mul_hi_u32 s65, s7, s26
	s_mul_i32 s66, s7, s26
	s_mul_hi_u32 s26, s18, s26
	s_mul_hi_u32 s67, s18, s64
	s_mul_i32 s18, s18, s64
	s_mul_hi_u32 s63, s7, s64
	s_add_u32 s18, s26, s18
	s_addc_u32 s26, 0, s67
	s_add_u32 s18, s18, s66
	s_mul_i32 s64, s7, s64
	s_addc_u32 s18, s26, s65
	s_addc_u32 s26, s63, 0
	s_add_u32 s18, s18, s64
	s_addc_u32 s26, 0, s26
	v_add_co_u32 v2, s18, v2, s18
	s_delay_alu instid0(VALU_DEP_1) | instskip(SKIP_1) | instid1(VALU_DEP_1)
	s_cmp_lg_u32 s18, 0
	s_addc_u32 s7, s7, s26
	v_readfirstlane_b32 s18, v2
	s_mul_i32 s63, s23, s7
	s_mul_hi_u32 s26, s23, s7
	s_mul_hi_u32 s64, s19, s7
	s_mul_i32 s7, s19, s7
	s_mul_hi_u32 s65, s23, s18
	s_mul_hi_u32 s66, s19, s18
	s_mul_i32 s18, s19, s18
	s_add_u32 s63, s65, s63
	s_addc_u32 s26, 0, s26
	s_add_u32 s18, s63, s18
	s_addc_u32 s18, s26, s66
	s_addc_u32 s26, s64, 0
	s_add_u32 s7, s18, s7
	s_addc_u32 s18, 0, s26
	s_mul_hi_u32 s26, s49, s7
	s_mul_i32 s7, s49, s7
	s_mul_i32 s18, s49, s18
	v_sub_co_u32 v2, s7, s23, s7
	s_add_i32 s26, s26, s18
	s_cmp_lg_u32 s7, 0
	s_delay_alu instid0(VALU_DEP_1) | instskip(SKIP_2) | instid1(VALU_DEP_1)
	v_sub_co_u32 v3, s7, v2, s49
	s_subb_u32 s18, s19, s26
	s_cmp_lg_u32 s7, 0
	v_cmp_le_u32_e32 vcc_lo, s49, v3
	v_sub_co_u32 v4, s7, v3, s49
	s_subb_u32 s26, s18, 0
	s_cmp_lg_u32 s7, 0
	v_cndmask_b32_e64 v5, 0, -1, vcc_lo
	s_subb_u32 s7, s26, 0
	s_cmp_eq_u32 s26, 0
	v_mov_b32_e32 v7, s7
	s_cselect_b32 vcc_lo, -1, 0
	s_cmp_eq_u32 s18, 0
	v_cndmask_b32_e32 v5, -1, v5, vcc_lo
	v_cmp_le_u32_e32 vcc_lo, s49, v2
	s_cselect_b32 s7, -1, 0
	v_cndmask_b32_e64 v6, 0, -1, vcc_lo
	s_delay_alu instid0(VALU_DEP_3) | instskip(NEXT) | instid1(VALU_DEP_2)
	v_cmp_ne_u32_e32 vcc_lo, 0, v5
	v_cndmask_b32_e64 v5, -1, v6, s7
	v_cndmask_b32_e32 v6, s26, v7, vcc_lo
	v_cndmask_b32_e32 v4, v3, v4, vcc_lo
	s_delay_alu instid0(VALU_DEP_3) | instskip(NEXT) | instid1(VALU_DEP_3)
	v_cmp_ne_u32_e32 vcc_lo, 0, v5
	v_cndmask_b32_e32 v3, s18, v6, vcc_lo
	s_delay_alu instid0(VALU_DEP_3)
	v_cndmask_b32_e32 v2, v2, v4, vcc_lo
	s_cbranch_execnz .LBB147_291
.LBB147_290:                            ;   in Loop: Header=BB147_12 Depth=1
	v_cvt_f32_u32_e32 v2, s49
	s_sub_i32 s7, 0, s49
	s_delay_alu instid0(VALU_DEP_1) | instskip(SKIP_2) | instid1(VALU_DEP_1)
	v_rcp_iflag_f32_e32 v2, v2
	s_waitcnt_depctr 0xfff
	v_mul_f32_e32 v2, 0x4f7ffffe, v2
	v_cvt_u32_f32_e32 v2, v2
	s_delay_alu instid0(VALU_DEP_1) | instskip(NEXT) | instid1(VALU_DEP_1)
	v_mul_lo_u32 v3, s7, v2
	v_mul_hi_u32 v3, v2, v3
	s_delay_alu instid0(VALU_DEP_1) | instskip(NEXT) | instid1(VALU_DEP_1)
	v_add_nc_u32_e32 v2, v2, v3
	v_mul_hi_u32 v2, s23, v2
	s_delay_alu instid0(VALU_DEP_1) | instskip(NEXT) | instid1(VALU_DEP_1)
	v_mul_lo_u32 v2, v2, s49
	v_sub_nc_u32_e32 v2, s23, v2
	s_delay_alu instid0(VALU_DEP_1) | instskip(SKIP_1) | instid1(VALU_DEP_2)
	v_subrev_nc_u32_e32 v3, s49, v2
	v_cmp_le_u32_e32 vcc_lo, s49, v2
	v_cndmask_b32_e32 v2, v2, v3, vcc_lo
	s_delay_alu instid0(VALU_DEP_1) | instskip(SKIP_1) | instid1(VALU_DEP_2)
	v_subrev_nc_u32_e32 v3, s49, v2
	v_cmp_le_u32_e32 vcc_lo, s49, v2
	v_cndmask_b32_e32 v12, v2, v3, vcc_lo
	s_delay_alu instid0(VALU_DEP_1)
	v_dual_mov_b32 v2, v12 :: v_dual_mov_b32 v3, v13
.LBB147_291:                            ;   in Loop: Header=BB147_12 Depth=1
	s_delay_alu instid0(VALU_DEP_1) | instskip(NEXT) | instid1(VALU_DEP_2)
	v_sub_co_u32 v2, vcc_lo, s23, v2
	v_sub_co_ci_u32_e32 v3, vcc_lo, s19, v3, vcc_lo
	s_mov_b32 s26, 0
	s_mov_b32 s7, exec_lo
                                        ; implicit-def: $vgpr18
	s_delay_alu instid0(VALU_DEP_1)
	v_cmpx_gt_u64_e64 v[2:3], v[0:1]
	s_cbranch_execz .LBB147_301
; %bb.292:                              ;   in Loop: Header=BB147_12 Depth=1
	v_dual_mov_b32 v6, v14 :: v_dual_mov_b32 v5, v1
	v_mov_b32_e32 v4, v0
	s_mov_b32 s18, 0
                                        ; implicit-def: $sgpr19
	s_set_inst_prefetch_distance 0x1
	s_branch .LBB147_294
	.p2align	6
.LBB147_293:                            ;   in Loop: Header=BB147_294 Depth=2
	s_or_b32 exec_lo, exec_lo, s23
	s_waitcnt lgkmcnt(0)
	s_barrier
	buffer_gl0_inv
	ds_load_b64 v[17:18], v13 offset:3072
	v_add_co_u32 v4, vcc_lo, v4, s49
	v_add_co_ci_u32_e32 v5, vcc_lo, 0, v5, vcc_lo
	v_add_nc_u32_e32 v6, s82, v6
	s_waitcnt lgkmcnt(0)
	s_barrier
	s_delay_alu instid0(VALU_DEP_2) | instskip(SKIP_2) | instid1(VALU_DEP_1)
	v_cmp_ge_u64_e32 vcc_lo, v[4:5], v[2:3]
	buffer_gl0_inv
	v_readfirstlane_b32 s23, v17
	s_cmp_lg_u32 s23, 0
	s_cselect_b32 s23, -1, 0
	s_delay_alu instid0(SALU_CYCLE_1) | instskip(NEXT) | instid1(SALU_CYCLE_1)
	s_or_b32 s26, vcc_lo, s23
	s_and_b32 s26, exec_lo, s26
	s_delay_alu instid0(SALU_CYCLE_1) | instskip(SKIP_2) | instid1(SALU_CYCLE_1)
	s_or_b32 s18, s26, s18
	s_and_not1_b32 s19, s19, exec_lo
	s_and_b32 s23, s23, exec_lo
	s_or_b32 s19, s19, s23
	s_and_not1_b32 exec_lo, exec_lo, s18
	s_cbranch_execz .LBB147_300
.LBB147_294:                            ;   Parent Loop BB147_12 Depth=1
                                        ; =>  This Inner Loop Header: Depth=2
	s_delay_alu instid0(VALU_DEP_1)
	v_cmp_gt_u64_e32 vcc_lo, s[8:9], v[4:5]
	v_mov_b32_e32 v17, 0
	s_and_saveexec_b32 s23, vcc_lo
	s_cbranch_execz .LBB147_296
; %bb.295:                              ;   in Loop: Header=BB147_294 Depth=2
	ds_load_b32 v17, v6
.LBB147_296:                            ;   in Loop: Header=BB147_294 Depth=2
	s_or_b32 exec_lo, exec_lo, s23
	s_and_saveexec_b32 s23, vcc_lo
	s_cbranch_execz .LBB147_293
; %bb.297:                              ;   in Loop: Header=BB147_294 Depth=2
	s_waitcnt lgkmcnt(0)
	v_xor_b32_e32 v7, 0x80000000, v17
	s_delay_alu instid0(VALU_DEP_1) | instskip(NEXT) | instid1(VALU_DEP_1)
	v_and_b32_e32 v7, v7, v31
	v_cmp_eq_u32_e32 vcc_lo, v7, v32
	s_and_b32 exec_lo, exec_lo, vcc_lo
	s_cbranch_execz .LBB147_293
; %bb.298:                              ;   in Loop: Header=BB147_294 Depth=2
	ds_store_b64 v13, v[16:17] offset:3072
	s_branch .LBB147_293
.LBB147_299:                            ;   in Loop: Header=BB147_12 Depth=1
	s_mov_b32 s18, -1
	s_mov_b32 s26, 0
                                        ; implicit-def: $sgpr19
                                        ; implicit-def: $vgpr18
	s_mov_b32 s23, s18
	s_cbranch_execnz .LBB147_302
	s_branch .LBB147_315
.LBB147_300:                            ;   in Loop: Header=BB147_12 Depth=1
	s_set_inst_prefetch_distance 0x2
	s_or_b32 exec_lo, exec_lo, s18
	s_delay_alu instid0(SALU_CYCLE_1)
	s_and_b32 s26, s19, exec_lo
.LBB147_301:                            ;   in Loop: Header=BB147_12 Depth=1
	s_or_b32 exec_lo, exec_lo, s7
	s_mov_b32 s18, 0
	s_mov_b32 s19, -1
	s_mov_b32 s23, s18
	s_branch .LBB147_315
.LBB147_302:                            ;   in Loop: Header=BB147_12 Depth=1
	s_mov_b32 s26, s59
	s_delay_alu instid0(SALU_CYCLE_1)
	s_cmp_lg_u64 s[26:27], 0
	s_cbranch_scc0 .LBB147_344
; %bb.303:                              ;   in Loop: Header=BB147_12 Depth=1
	v_cvt_f32_u32_e32 v2, s49
	s_sub_u32 s9, 0, s49
	s_subb_u32 s18, 0, 0
	s_delay_alu instid0(VALU_DEP_1) | instskip(NEXT) | instid1(VALU_DEP_1)
	v_fmac_f32_e64 v2, 0, 0x4f800000
	v_rcp_f32_e32 v2, v2
	s_waitcnt_depctr 0xfff
	v_mul_f32_e32 v2, 0x5f7ffffc, v2
	s_delay_alu instid0(VALU_DEP_1) | instskip(NEXT) | instid1(VALU_DEP_1)
	v_mul_f32_e32 v3, 0x2f800000, v2
	v_trunc_f32_e32 v3, v3
	s_delay_alu instid0(VALU_DEP_1) | instskip(SKIP_1) | instid1(VALU_DEP_2)
	v_fmac_f32_e32 v2, 0xcf800000, v3
	v_cvt_u32_f32_e32 v3, v3
	v_cvt_u32_f32_e32 v2, v2
	s_delay_alu instid0(VALU_DEP_2) | instskip(NEXT) | instid1(VALU_DEP_2)
	v_readfirstlane_b32 s7, v3
	v_readfirstlane_b32 s8, v2
	s_delay_alu instid0(VALU_DEP_2) | instskip(NEXT) | instid1(VALU_DEP_1)
	s_mul_i32 s19, s9, s7
	s_mul_hi_u32 s26, s9, s8
	s_mul_i32 s23, s18, s8
	s_add_i32 s19, s26, s19
	s_mul_i32 s63, s9, s8
	s_add_i32 s19, s19, s23
	s_mul_hi_u32 s26, s8, s63
	s_mul_hi_u32 s64, s7, s63
	s_mul_i32 s23, s7, s63
	s_mul_hi_u32 s63, s8, s19
	s_mul_i32 s8, s8, s19
	s_mul_hi_u32 s65, s7, s19
	s_add_u32 s8, s26, s8
	s_addc_u32 s26, 0, s63
	s_add_u32 s8, s8, s23
	s_mul_i32 s19, s7, s19
	s_addc_u32 s8, s26, s64
	s_addc_u32 s23, s65, 0
	s_add_u32 s8, s8, s19
	s_addc_u32 s19, 0, s23
	v_add_co_u32 v2, s8, v2, s8
	s_delay_alu instid0(VALU_DEP_1) | instskip(SKIP_1) | instid1(VALU_DEP_1)
	s_cmp_lg_u32 s8, 0
	s_addc_u32 s7, s7, s19
	v_readfirstlane_b32 s8, v2
	s_mul_i32 s19, s9, s7
	s_delay_alu instid0(VALU_DEP_1)
	s_mul_hi_u32 s23, s9, s8
	s_mul_i32 s18, s18, s8
	s_add_i32 s19, s23, s19
	s_mul_i32 s9, s9, s8
	s_add_i32 s19, s19, s18
	s_mul_hi_u32 s23, s7, s9
	s_mul_i32 s26, s7, s9
	s_mul_hi_u32 s9, s8, s9
	s_mul_hi_u32 s63, s8, s19
	s_mul_i32 s8, s8, s19
	s_mul_hi_u32 s18, s7, s19
	s_add_u32 s8, s9, s8
	s_addc_u32 s9, 0, s63
	s_add_u32 s8, s8, s26
	s_mul_i32 s19, s7, s19
	s_addc_u32 s8, s9, s23
	s_addc_u32 s9, s18, 0
	s_add_u32 s8, s8, s19
	s_addc_u32 s9, 0, s9
	v_add_co_u32 v2, s8, v2, s8
	s_delay_alu instid0(VALU_DEP_1) | instskip(SKIP_1) | instid1(VALU_DEP_1)
	s_cmp_lg_u32 s8, 0
	s_addc_u32 s7, s7, s9
	v_readfirstlane_b32 s8, v2
	s_mul_i32 s18, s76, s7
	s_mul_hi_u32 s9, s76, s7
	s_mul_hi_u32 s19, s27, s7
	s_mul_i32 s7, s27, s7
	s_mul_hi_u32 s23, s76, s8
	s_mul_hi_u32 s26, s27, s8
	s_mul_i32 s8, s27, s8
	s_add_u32 s18, s23, s18
	s_addc_u32 s9, 0, s9
	s_add_u32 s8, s18, s8
	s_addc_u32 s8, s9, s26
	s_addc_u32 s9, s19, 0
	s_add_u32 s7, s8, s7
	s_addc_u32 s8, 0, s9
	s_mul_hi_u32 s9, s49, s7
	s_mul_i32 s7, s49, s7
	s_mul_i32 s8, s49, s8
	v_sub_co_u32 v2, s7, s76, s7
	s_add_i32 s9, s9, s8
	s_cmp_lg_u32 s7, 0
	s_delay_alu instid0(VALU_DEP_1) | instskip(SKIP_2) | instid1(VALU_DEP_1)
	v_sub_co_u32 v3, s7, v2, s49
	s_subb_u32 s8, s27, s9
	s_cmp_lg_u32 s7, 0
	v_cmp_le_u32_e32 vcc_lo, s49, v3
	v_sub_co_u32 v4, s7, v3, s49
	s_subb_u32 s9, s8, 0
	s_cmp_lg_u32 s7, 0
	v_cndmask_b32_e64 v5, 0, -1, vcc_lo
	s_subb_u32 s7, s9, 0
	s_cmp_eq_u32 s9, 0
	v_mov_b32_e32 v7, s7
	s_cselect_b32 vcc_lo, -1, 0
	s_cmp_eq_u32 s8, 0
	v_cndmask_b32_e32 v5, -1, v5, vcc_lo
	v_cmp_le_u32_e32 vcc_lo, s49, v2
	s_cselect_b32 s7, -1, 0
	v_cndmask_b32_e64 v6, 0, -1, vcc_lo
	s_delay_alu instid0(VALU_DEP_3) | instskip(NEXT) | instid1(VALU_DEP_2)
	v_cmp_ne_u32_e32 vcc_lo, 0, v5
	v_cndmask_b32_e64 v5, -1, v6, s7
	v_cndmask_b32_e32 v6, s9, v7, vcc_lo
	v_cndmask_b32_e32 v4, v3, v4, vcc_lo
	s_delay_alu instid0(VALU_DEP_3) | instskip(NEXT) | instid1(VALU_DEP_3)
	v_cmp_ne_u32_e32 vcc_lo, 0, v5
	v_cndmask_b32_e32 v3, s8, v6, vcc_lo
	s_delay_alu instid0(VALU_DEP_3)
	v_cndmask_b32_e32 v2, v2, v4, vcc_lo
	s_cbranch_execnz .LBB147_305
.LBB147_304:                            ;   in Loop: Header=BB147_12 Depth=1
	v_cvt_f32_u32_e32 v2, s49
	s_sub_i32 s7, 0, s49
	s_delay_alu instid0(VALU_DEP_1) | instskip(SKIP_2) | instid1(VALU_DEP_1)
	v_rcp_iflag_f32_e32 v2, v2
	s_waitcnt_depctr 0xfff
	v_mul_f32_e32 v2, 0x4f7ffffe, v2
	v_cvt_u32_f32_e32 v2, v2
	s_delay_alu instid0(VALU_DEP_1) | instskip(NEXT) | instid1(VALU_DEP_1)
	v_mul_lo_u32 v3, s7, v2
	v_mul_hi_u32 v3, v2, v3
	s_delay_alu instid0(VALU_DEP_1) | instskip(NEXT) | instid1(VALU_DEP_1)
	v_add_nc_u32_e32 v2, v2, v3
	v_mul_hi_u32 v2, s76, v2
	s_delay_alu instid0(VALU_DEP_1) | instskip(NEXT) | instid1(VALU_DEP_1)
	v_mul_lo_u32 v2, v2, s49
	v_sub_nc_u32_e32 v2, s76, v2
	s_delay_alu instid0(VALU_DEP_1) | instskip(SKIP_1) | instid1(VALU_DEP_2)
	v_subrev_nc_u32_e32 v3, s49, v2
	v_cmp_le_u32_e32 vcc_lo, s49, v2
	v_cndmask_b32_e32 v2, v2, v3, vcc_lo
	s_delay_alu instid0(VALU_DEP_1) | instskip(SKIP_1) | instid1(VALU_DEP_2)
	v_subrev_nc_u32_e32 v3, s49, v2
	v_cmp_le_u32_e32 vcc_lo, s49, v2
	v_cndmask_b32_e32 v12, v2, v3, vcc_lo
	s_delay_alu instid0(VALU_DEP_1)
	v_dual_mov_b32 v2, v12 :: v_dual_mov_b32 v3, v13
.LBB147_305:                            ;   in Loop: Header=BB147_12 Depth=1
	s_delay_alu instid0(VALU_DEP_1) | instskip(NEXT) | instid1(VALU_DEP_2)
	v_sub_co_u32 v2, vcc_lo, s76, v2
	v_sub_co_ci_u32_e32 v3, vcc_lo, s27, v3, vcc_lo
	s_mov_b32 s26, 0
	s_mov_b32 s8, exec_lo
                                        ; implicit-def: $vgpr18
	s_delay_alu instid0(VALU_DEP_1)
	v_cmpx_gt_u64_e64 v[2:3], v[0:1]
	s_cbranch_execz .LBB147_314
; %bb.306:                              ;   in Loop: Header=BB147_12 Depth=1
	v_dual_mov_b32 v5, v1 :: v_dual_mov_b32 v4, v0
	s_mov_b32 s9, 0
                                        ; implicit-def: $sgpr18
	s_branch .LBB147_308
.LBB147_307:                            ;   in Loop: Header=BB147_308 Depth=2
	s_or_b32 exec_lo, exec_lo, s7
	s_waitcnt vmcnt(0) lgkmcnt(0)
	s_barrier
	buffer_gl0_inv
	ds_load_b64 v[17:18], v13 offset:3072
	v_add_co_u32 v4, vcc_lo, v4, s49
	v_add_co_ci_u32_e32 v5, vcc_lo, 0, v5, vcc_lo
	s_waitcnt lgkmcnt(0)
	s_barrier
	buffer_gl0_inv
	v_cmp_ge_u64_e32 vcc_lo, v[4:5], v[2:3]
	v_readfirstlane_b32 s7, v17
	s_delay_alu instid0(VALU_DEP_1) | instskip(SKIP_1) | instid1(SALU_CYCLE_1)
	s_cmp_lg_u32 s7, 0
	s_cselect_b32 s7, -1, 0
	s_or_b32 s19, vcc_lo, s7
	s_delay_alu instid0(SALU_CYCLE_1) | instskip(NEXT) | instid1(SALU_CYCLE_1)
	s_and_b32 s19, exec_lo, s19
	s_or_b32 s9, s19, s9
	s_and_not1_b32 s18, s18, exec_lo
	s_and_b32 s7, s7, exec_lo
	s_delay_alu instid0(SALU_CYCLE_1)
	s_or_b32 s18, s18, s7
	s_and_not1_b32 exec_lo, exec_lo, s9
	s_cbranch_execz .LBB147_313
.LBB147_308:                            ;   Parent Loop BB147_12 Depth=1
                                        ; =>  This Inner Loop Header: Depth=2
	s_delay_alu instid0(VALU_DEP_1)
	v_cmp_gt_u64_e32 vcc_lo, s[36:37], v[4:5]
	v_mov_b32_e32 v17, 0
	s_and_saveexec_b32 s19, vcc_lo
	s_cbranch_execz .LBB147_310
; %bb.309:                              ;   in Loop: Header=BB147_308 Depth=2
	v_mul_lo_u32 v8, v5, s30
	v_mul_lo_u32 v9, v4, s31
	v_mad_u64_u32 v[6:7], null, v4, s30, 0
	s_delay_alu instid0(VALU_DEP_1) | instskip(NEXT) | instid1(VALU_DEP_1)
	v_add3_u32 v7, v7, v9, v8
	v_lshlrev_b64 v[6:7], 2, v[6:7]
	s_delay_alu instid0(VALU_DEP_1) | instskip(NEXT) | instid1(VALU_DEP_1)
	v_add_co_u32 v6, s7, s33, v6
	v_add_co_ci_u32_e64 v7, s7, s35, v7, s7
	global_load_b32 v17, v[6:7], off
.LBB147_310:                            ;   in Loop: Header=BB147_308 Depth=2
	s_or_b32 exec_lo, exec_lo, s19
	s_and_saveexec_b32 s7, vcc_lo
	s_cbranch_execz .LBB147_307
; %bb.311:                              ;   in Loop: Header=BB147_308 Depth=2
	s_waitcnt vmcnt(0)
	v_xor_b32_e32 v6, 0x80000000, v17
	s_delay_alu instid0(VALU_DEP_1) | instskip(NEXT) | instid1(VALU_DEP_1)
	v_and_b32_e32 v6, v6, v31
	v_cmp_eq_u32_e32 vcc_lo, v6, v32
	s_and_b32 exec_lo, exec_lo, vcc_lo
	s_cbranch_execz .LBB147_307
; %bb.312:                              ;   in Loop: Header=BB147_308 Depth=2
	ds_store_b64 v13, v[16:17] offset:3072
	s_branch .LBB147_307
.LBB147_313:                            ;   in Loop: Header=BB147_12 Depth=1
	s_or_b32 exec_lo, exec_lo, s9
	s_delay_alu instid0(SALU_CYCLE_1)
	s_and_b32 s26, s18, exec_lo
.LBB147_314:                            ;   in Loop: Header=BB147_12 Depth=1
	s_or_b32 exec_lo, exec_lo, s8
	s_mov_b32 s19, 0
	s_mov_b32 s18, -1
	s_mov_b32 s23, 0
.LBB147_315:                            ;   in Loop: Header=BB147_12 Depth=1
	s_or_not1_b32 s7, s26, exec_lo
.LBB147_316:                            ;   in Loop: Header=BB147_12 Depth=1
	s_or_b32 exec_lo, exec_lo, s58
                                        ; implicit-def: $vgpr8
                                        ; implicit-def: $vgpr4_vgpr5
                                        ; implicit-def: $vgpr21
                                        ; implicit-def: $vgpr22
                                        ; implicit-def: $vgpr3
	s_and_saveexec_b32 s58, s7
	s_cbranch_execz .LBB147_479
; %bb.317:                              ;   in Loop: Header=BB147_12 Depth=1
	v_mov_b32_e32 v4, 1
	v_dual_mov_b32 v5, 0 :: v_dual_mov_b32 v8, 1
	s_xor_b32 s8, s62, -1
	s_mov_b32 s26, 0
	s_and_saveexec_b32 s7, s8
	s_cbranch_execz .LBB147_327
; %bb.318:                              ;   in Loop: Header=BB147_12 Depth=1
	s_mov_b32 s9, exec_lo
                                        ; implicit-def: $sgpr26
                                        ; implicit-def: $sgpr8
	v_cmpx_ge_u64_e64 s[16:17], v[19:20]
	s_xor_b32 s9, exec_lo, s9
	s_cbranch_execz .LBB147_324
; %bb.319:                              ;   in Loop: Header=BB147_12 Depth=1
	ds_load_b64 v[2:3], v13 offset:5120
	s_waitcnt lgkmcnt(0)
	v_cmp_ne_u64_e32 vcc_lo, 0, v[2:3]
	s_cbranch_vccnz .LBB147_323
; %bb.320:                              ;   in Loop: Header=BB147_12 Depth=1
	s_and_saveexec_b32 s8, s5
	s_cbranch_execz .LBB147_322
; %bb.321:                              ;   in Loop: Header=BB147_12 Depth=1
	v_dual_mov_b32 v2, s16 :: v_dual_mov_b32 v3, s17
	ds_store_b64 v13, v[2:3] offset:5128
.LBB147_322:                            ;   in Loop: Header=BB147_12 Depth=1
	s_or_b32 exec_lo, exec_lo, s8
	s_waitcnt lgkmcnt(0)
	s_barrier
	buffer_gl0_inv
.LBB147_323:                            ;   in Loop: Header=BB147_12 Depth=1
	v_or_b32_e32 v32, s20, v32
	v_or_b32_e32 v31, s20, v31
	s_mov_b32 s8, 0
	s_mov_b32 s26, 5
.LBB147_324:                            ;   in Loop: Header=BB147_12 Depth=1
	s_or_saveexec_b32 s9, s9
	v_mov_b32_e32 v8, s26
	s_xor_b32 exec_lo, exec_lo, s9
; %bb.325:                              ;   in Loop: Header=BB147_12 Depth=1
	v_sub_co_u32 v19, vcc_lo, v19, s16
	v_subrev_co_ci_u32_e32 v20, vcc_lo, s17, v20, vcc_lo
	v_mov_b32_e32 v8, 0
	s_or_b32 s8, s8, exec_lo
; %bb.326:                              ;   in Loop: Header=BB147_12 Depth=1
	s_or_b32 exec_lo, exec_lo, s9
	s_delay_alu instid0(VALU_DEP_2)
	v_dual_mov_b32 v4, v19 :: v_dual_mov_b32 v5, v20
	s_and_b32 s26, s8, exec_lo
.LBB147_327:                            ;   in Loop: Header=BB147_12 Depth=1
	s_or_b32 exec_lo, exec_lo, s7
	s_mov_b32 s17, -1
                                        ; implicit-def: $sgpr8
                                        ; implicit-def: $sgpr9
                                        ; implicit-def: $sgpr16
	s_and_saveexec_b32 s7, s26
	s_delay_alu instid0(SALU_CYCLE_1)
	s_xor_b32 s62, exec_lo, s7
	s_cbranch_execz .LBB147_476
; %bb.328:                              ;   in Loop: Header=BB147_12 Depth=1
	v_cmp_eq_u64_e32 vcc_lo, 1, v[4:5]
	s_cmp_eq_u64 s[14:15], 1
                                        ; implicit-def: $sgpr16
                                        ; implicit-def: $sgpr17
                                        ; implicit-def: $sgpr63
	s_cselect_b32 s7, -1, 0
	s_delay_alu instid0(SALU_CYCLE_1)
	s_and_b32 s65, s7, vcc_lo
	s_mov_b32 s7, -1
	s_and_saveexec_b32 s64, s65
	s_cbranch_execz .LBB147_362
; %bb.329:                              ;   in Loop: Header=BB147_12 Depth=1
	ds_load_b64 v[2:3], v13 offset:5120
	s_waitcnt lgkmcnt(0)
	s_barrier
	buffer_gl0_inv
	v_readfirstlane_b32 s8, v2
	v_readfirstlane_b32 s9, v3
	s_and_saveexec_b32 s7, s6
	s_cbranch_execz .LBB147_331
; %bb.330:                              ;   in Loop: Header=BB147_12 Depth=1
	ds_store_b32 v28, v13
.LBB147_331:                            ;   in Loop: Header=BB147_12 Depth=1
	s_or_b32 exec_lo, exec_lo, s7
	s_lshl_b32 s7, 2, s22
	v_or_b32_e32 v31, s20, v31
	v_and_or_b32 v32, v32, s21, s7
	s_cmp_eq_u64 s[8:9], 0
	s_waitcnt lgkmcnt(0)
	s_barrier
	buffer_gl0_inv
	s_cbranch_scc1 .LBB147_345
; %bb.332:                              ;   in Loop: Header=BB147_12 Depth=1
	s_add_u32 s26, s74, s8
	s_addc_u32 s17, s75, s9
	s_mov_b32 s16, s59
	s_delay_alu instid0(SALU_CYCLE_1)
	s_cmp_lg_u64 s[16:17], 0
	s_cbranch_scc0 .LBB147_389
; %bb.333:                              ;   in Loop: Header=BB147_12 Depth=1
	v_cvt_f32_u32_e32 v2, s49
	s_sub_u32 s63, 0, s49
	s_subb_u32 s66, 0, 0
	s_delay_alu instid0(VALU_DEP_1) | instskip(NEXT) | instid1(VALU_DEP_1)
	v_fmac_f32_e64 v2, 0, 0x4f800000
	v_rcp_f32_e32 v2, v2
	s_waitcnt_depctr 0xfff
	v_mul_f32_e32 v2, 0x5f7ffffc, v2
	s_delay_alu instid0(VALU_DEP_1) | instskip(NEXT) | instid1(VALU_DEP_1)
	v_mul_f32_e32 v3, 0x2f800000, v2
	v_trunc_f32_e32 v3, v3
	s_delay_alu instid0(VALU_DEP_1) | instskip(SKIP_1) | instid1(VALU_DEP_2)
	v_fmac_f32_e32 v2, 0xcf800000, v3
	v_cvt_u32_f32_e32 v3, v3
	v_cvt_u32_f32_e32 v2, v2
	s_delay_alu instid0(VALU_DEP_2) | instskip(NEXT) | instid1(VALU_DEP_2)
	v_readfirstlane_b32 s7, v3
	v_readfirstlane_b32 s16, v2
	s_delay_alu instid0(VALU_DEP_2) | instskip(NEXT) | instid1(VALU_DEP_1)
	s_mul_i32 s67, s63, s7
	s_mul_hi_u32 s69, s63, s16
	s_mul_i32 s68, s66, s16
	s_add_i32 s67, s69, s67
	s_mul_i32 s70, s63, s16
	s_add_i32 s67, s67, s68
	s_mul_hi_u32 s69, s16, s70
	s_mul_hi_u32 s71, s7, s70
	s_mul_i32 s68, s7, s70
	s_mul_hi_u32 s70, s16, s67
	s_mul_i32 s16, s16, s67
	s_mul_hi_u32 s96, s7, s67
	s_add_u32 s16, s69, s16
	s_addc_u32 s69, 0, s70
	s_add_u32 s16, s16, s68
	s_mul_i32 s67, s7, s67
	s_addc_u32 s16, s69, s71
	s_addc_u32 s68, s96, 0
	s_add_u32 s16, s16, s67
	s_addc_u32 s67, 0, s68
	v_add_co_u32 v2, s16, v2, s16
	s_delay_alu instid0(VALU_DEP_1) | instskip(SKIP_1) | instid1(VALU_DEP_1)
	s_cmp_lg_u32 s16, 0
	s_addc_u32 s7, s7, s67
	v_readfirstlane_b32 s16, v2
	s_mul_i32 s67, s63, s7
	s_delay_alu instid0(VALU_DEP_1)
	s_mul_hi_u32 s68, s63, s16
	s_mul_i32 s66, s66, s16
	s_add_i32 s67, s68, s67
	s_mul_i32 s63, s63, s16
	s_add_i32 s67, s67, s66
	s_mul_hi_u32 s68, s7, s63
	s_mul_i32 s69, s7, s63
	s_mul_hi_u32 s63, s16, s63
	s_mul_hi_u32 s70, s16, s67
	s_mul_i32 s16, s16, s67
	s_mul_hi_u32 s66, s7, s67
	s_add_u32 s16, s63, s16
	s_addc_u32 s63, 0, s70
	s_add_u32 s16, s16, s69
	s_mul_i32 s67, s7, s67
	s_addc_u32 s16, s63, s68
	s_addc_u32 s63, s66, 0
	s_add_u32 s16, s16, s67
	s_addc_u32 s63, 0, s63
	v_add_co_u32 v2, s16, v2, s16
	s_delay_alu instid0(VALU_DEP_1) | instskip(SKIP_1) | instid1(VALU_DEP_1)
	s_cmp_lg_u32 s16, 0
	s_addc_u32 s7, s7, s63
	v_readfirstlane_b32 s16, v2
	s_mul_i32 s66, s26, s7
	s_mul_hi_u32 s63, s26, s7
	s_mul_hi_u32 s67, s17, s7
	s_mul_i32 s7, s17, s7
	s_mul_hi_u32 s68, s26, s16
	s_mul_hi_u32 s69, s17, s16
	s_mul_i32 s16, s17, s16
	s_add_u32 s66, s68, s66
	s_addc_u32 s63, 0, s63
	s_add_u32 s16, s66, s16
	s_addc_u32 s16, s63, s69
	s_addc_u32 s63, s67, 0
	s_add_u32 s7, s16, s7
	s_addc_u32 s16, 0, s63
	s_mul_hi_u32 s63, s49, s7
	s_mul_i32 s7, s49, s7
	s_mul_i32 s16, s49, s16
	v_sub_co_u32 v2, s7, s26, s7
	s_add_i32 s63, s63, s16
	s_cmp_lg_u32 s7, 0
	s_delay_alu instid0(VALU_DEP_1) | instskip(SKIP_2) | instid1(VALU_DEP_1)
	v_sub_co_u32 v3, s7, v2, s49
	s_subb_u32 s16, s17, s63
	s_cmp_lg_u32 s7, 0
	v_cmp_le_u32_e32 vcc_lo, s49, v3
	v_sub_co_u32 v6, s7, v3, s49
	s_subb_u32 s63, s16, 0
	s_cmp_lg_u32 s7, 0
	v_cndmask_b32_e64 v7, 0, -1, vcc_lo
	s_subb_u32 s7, s63, 0
	s_cmp_eq_u32 s63, 0
	v_mov_b32_e32 v9, s7
	s_cselect_b32 vcc_lo, -1, 0
	s_cmp_eq_u32 s16, 0
	v_cndmask_b32_e32 v7, -1, v7, vcc_lo
	v_cmp_le_u32_e32 vcc_lo, s49, v2
	s_cselect_b32 s7, -1, 0
	v_cndmask_b32_e64 v8, 0, -1, vcc_lo
	s_delay_alu instid0(VALU_DEP_3) | instskip(NEXT) | instid1(VALU_DEP_2)
	v_cmp_ne_u32_e32 vcc_lo, 0, v7
	v_cndmask_b32_e64 v7, -1, v8, s7
	v_cndmask_b32_e32 v8, s63, v9, vcc_lo
	v_cndmask_b32_e32 v6, v3, v6, vcc_lo
	s_delay_alu instid0(VALU_DEP_3) | instskip(NEXT) | instid1(VALU_DEP_3)
	v_cmp_ne_u32_e32 vcc_lo, 0, v7
	v_cndmask_b32_e32 v3, s16, v8, vcc_lo
	s_delay_alu instid0(VALU_DEP_3)
	v_cndmask_b32_e32 v2, v2, v6, vcc_lo
	s_cbranch_execnz .LBB147_335
.LBB147_334:                            ;   in Loop: Header=BB147_12 Depth=1
	v_cvt_f32_u32_e32 v2, s49
	s_sub_i32 s7, 0, s49
	s_delay_alu instid0(VALU_DEP_1) | instskip(SKIP_2) | instid1(VALU_DEP_1)
	v_rcp_iflag_f32_e32 v2, v2
	s_waitcnt_depctr 0xfff
	v_mul_f32_e32 v2, 0x4f7ffffe, v2
	v_cvt_u32_f32_e32 v2, v2
	s_delay_alu instid0(VALU_DEP_1) | instskip(NEXT) | instid1(VALU_DEP_1)
	v_mul_lo_u32 v3, s7, v2
	v_mul_hi_u32 v3, v2, v3
	s_delay_alu instid0(VALU_DEP_1) | instskip(NEXT) | instid1(VALU_DEP_1)
	v_add_nc_u32_e32 v2, v2, v3
	v_mul_hi_u32 v2, s26, v2
	s_delay_alu instid0(VALU_DEP_1) | instskip(NEXT) | instid1(VALU_DEP_1)
	v_mul_lo_u32 v2, v2, s49
	v_sub_nc_u32_e32 v2, s26, v2
	s_delay_alu instid0(VALU_DEP_1) | instskip(SKIP_1) | instid1(VALU_DEP_2)
	v_subrev_nc_u32_e32 v3, s49, v2
	v_cmp_le_u32_e32 vcc_lo, s49, v2
	v_cndmask_b32_e32 v2, v2, v3, vcc_lo
	s_delay_alu instid0(VALU_DEP_1) | instskip(SKIP_1) | instid1(VALU_DEP_2)
	v_subrev_nc_u32_e32 v3, s49, v2
	v_cmp_le_u32_e32 vcc_lo, s49, v2
	v_cndmask_b32_e32 v12, v2, v3, vcc_lo
	s_delay_alu instid0(VALU_DEP_1)
	v_dual_mov_b32 v2, v12 :: v_dual_mov_b32 v3, v13
.LBB147_335:                            ;   in Loop: Header=BB147_12 Depth=1
	s_delay_alu instid0(VALU_DEP_1) | instskip(NEXT) | instid1(VALU_DEP_2)
	v_sub_co_u32 v2, vcc_lo, s26, v2
	v_sub_co_ci_u32_e32 v3, vcc_lo, s17, v3, vcc_lo
	s_mov_b32 s26, 0
	s_mov_b32 s7, exec_lo
                                        ; implicit-def: $vgpr18
	s_delay_alu instid0(VALU_DEP_1)
	v_cmpx_gt_u64_e64 v[2:3], v[0:1]
	s_cbranch_execz .LBB147_347
; %bb.336:                              ;   in Loop: Header=BB147_12 Depth=1
	v_dual_mov_b32 v8, v14 :: v_dual_mov_b32 v7, v1
	v_mov_b32_e32 v6, v0
	s_mov_b32 s16, 0
                                        ; implicit-def: $sgpr17
	s_set_inst_prefetch_distance 0x1
	s_branch .LBB147_338
	.p2align	6
.LBB147_337:                            ;   in Loop: Header=BB147_338 Depth=2
	s_or_b32 exec_lo, exec_lo, s26
	s_waitcnt lgkmcnt(0)
	s_barrier
	buffer_gl0_inv
	ds_load_b64 v[17:18], v13 offset:3072
	v_add_co_u32 v6, vcc_lo, v6, s49
	v_add_co_ci_u32_e32 v7, vcc_lo, 0, v7, vcc_lo
	v_add_nc_u32_e32 v8, s82, v8
	s_waitcnt lgkmcnt(0)
	s_barrier
	s_delay_alu instid0(VALU_DEP_2) | instskip(SKIP_2) | instid1(VALU_DEP_1)
	v_cmp_ge_u64_e32 vcc_lo, v[6:7], v[2:3]
	buffer_gl0_inv
	v_readfirstlane_b32 s26, v17
	s_cmp_lg_u32 s26, 0
	s_cselect_b32 s26, -1, 0
	s_delay_alu instid0(SALU_CYCLE_1) | instskip(NEXT) | instid1(SALU_CYCLE_1)
	s_or_b32 s63, vcc_lo, s26
	s_and_b32 s63, exec_lo, s63
	s_delay_alu instid0(SALU_CYCLE_1) | instskip(SKIP_2) | instid1(SALU_CYCLE_1)
	s_or_b32 s16, s63, s16
	s_and_not1_b32 s17, s17, exec_lo
	s_and_b32 s26, s26, exec_lo
	s_or_b32 s17, s17, s26
	s_and_not1_b32 exec_lo, exec_lo, s16
	s_cbranch_execz .LBB147_346
.LBB147_338:                            ;   Parent Loop BB147_12 Depth=1
                                        ; =>  This Inner Loop Header: Depth=2
	s_delay_alu instid0(VALU_DEP_1)
	v_cmp_gt_u64_e32 vcc_lo, s[8:9], v[6:7]
	v_mov_b32_e32 v17, 0
	s_and_saveexec_b32 s26, vcc_lo
	s_cbranch_execz .LBB147_340
; %bb.339:                              ;   in Loop: Header=BB147_338 Depth=2
	ds_load_b32 v17, v8
.LBB147_340:                            ;   in Loop: Header=BB147_338 Depth=2
	s_or_b32 exec_lo, exec_lo, s26
	s_and_saveexec_b32 s26, vcc_lo
	s_cbranch_execz .LBB147_337
; %bb.341:                              ;   in Loop: Header=BB147_338 Depth=2
	s_waitcnt lgkmcnt(0)
	v_xor_b32_e32 v9, 0x80000000, v17
	s_delay_alu instid0(VALU_DEP_1) | instskip(NEXT) | instid1(VALU_DEP_1)
	v_and_b32_e32 v9, v9, v31
	v_cmp_eq_u32_e32 vcc_lo, v9, v32
	s_and_b32 exec_lo, exec_lo, vcc_lo
	s_cbranch_execz .LBB147_337
; %bb.342:                              ;   in Loop: Header=BB147_338 Depth=2
	ds_store_b64 v13, v[16:17] offset:3072
	s_branch .LBB147_337
.LBB147_343:                            ;   in Loop: Header=BB147_12 Depth=1
                                        ; implicit-def: $vgpr2_vgpr3
	s_branch .LBB147_290
.LBB147_344:                            ;   in Loop: Header=BB147_12 Depth=1
                                        ; implicit-def: $vgpr2_vgpr3
	s_branch .LBB147_304
.LBB147_345:                            ;   in Loop: Header=BB147_12 Depth=1
	s_mov_b32 s16, -1
	s_mov_b32 s26, 0
                                        ; implicit-def: $sgpr17
                                        ; implicit-def: $vgpr18
	s_mov_b32 s63, s16
	s_cbranch_execnz .LBB147_348
	s_branch .LBB147_361
.LBB147_346:                            ;   in Loop: Header=BB147_12 Depth=1
	s_set_inst_prefetch_distance 0x2
	s_or_b32 exec_lo, exec_lo, s16
	s_delay_alu instid0(SALU_CYCLE_1)
	s_and_b32 s26, s17, exec_lo
.LBB147_347:                            ;   in Loop: Header=BB147_12 Depth=1
	s_or_b32 exec_lo, exec_lo, s7
	s_mov_b32 s16, 0
	s_mov_b32 s17, -1
	s_mov_b32 s63, s16
	s_branch .LBB147_361
.LBB147_348:                            ;   in Loop: Header=BB147_12 Depth=1
	s_mov_b32 s26, s59
	s_delay_alu instid0(SALU_CYCLE_1)
	s_cmp_lg_u64 s[26:27], 0
	s_cbranch_scc0 .LBB147_390
; %bb.349:                              ;   in Loop: Header=BB147_12 Depth=1
	v_cvt_f32_u32_e32 v2, s49
	s_sub_u32 s9, 0, s49
	s_subb_u32 s16, 0, 0
	s_delay_alu instid0(VALU_DEP_1) | instskip(NEXT) | instid1(VALU_DEP_1)
	v_fmac_f32_e64 v2, 0, 0x4f800000
	v_rcp_f32_e32 v2, v2
	s_waitcnt_depctr 0xfff
	v_mul_f32_e32 v2, 0x5f7ffffc, v2
	s_delay_alu instid0(VALU_DEP_1) | instskip(NEXT) | instid1(VALU_DEP_1)
	v_mul_f32_e32 v3, 0x2f800000, v2
	v_trunc_f32_e32 v3, v3
	s_delay_alu instid0(VALU_DEP_1) | instskip(SKIP_1) | instid1(VALU_DEP_2)
	v_fmac_f32_e32 v2, 0xcf800000, v3
	v_cvt_u32_f32_e32 v3, v3
	v_cvt_u32_f32_e32 v2, v2
	s_delay_alu instid0(VALU_DEP_2) | instskip(NEXT) | instid1(VALU_DEP_2)
	v_readfirstlane_b32 s7, v3
	v_readfirstlane_b32 s8, v2
	s_delay_alu instid0(VALU_DEP_2) | instskip(NEXT) | instid1(VALU_DEP_1)
	s_mul_i32 s17, s9, s7
	s_mul_hi_u32 s63, s9, s8
	s_mul_i32 s26, s16, s8
	s_add_i32 s17, s63, s17
	s_mul_i32 s66, s9, s8
	s_add_i32 s17, s17, s26
	s_mul_hi_u32 s63, s8, s66
	s_mul_hi_u32 s67, s7, s66
	s_mul_i32 s26, s7, s66
	s_mul_hi_u32 s66, s8, s17
	s_mul_i32 s8, s8, s17
	s_mul_hi_u32 s68, s7, s17
	s_add_u32 s8, s63, s8
	s_addc_u32 s63, 0, s66
	s_add_u32 s8, s8, s26
	s_mul_i32 s17, s7, s17
	s_addc_u32 s8, s63, s67
	s_addc_u32 s26, s68, 0
	s_add_u32 s8, s8, s17
	s_addc_u32 s17, 0, s26
	v_add_co_u32 v2, s8, v2, s8
	s_delay_alu instid0(VALU_DEP_1) | instskip(SKIP_1) | instid1(VALU_DEP_1)
	s_cmp_lg_u32 s8, 0
	s_addc_u32 s7, s7, s17
	v_readfirstlane_b32 s8, v2
	s_mul_i32 s17, s9, s7
	s_delay_alu instid0(VALU_DEP_1)
	s_mul_hi_u32 s26, s9, s8
	s_mul_i32 s16, s16, s8
	s_add_i32 s17, s26, s17
	s_mul_i32 s9, s9, s8
	s_add_i32 s17, s17, s16
	s_mul_hi_u32 s26, s7, s9
	s_mul_i32 s63, s7, s9
	s_mul_hi_u32 s9, s8, s9
	s_mul_hi_u32 s66, s8, s17
	s_mul_i32 s8, s8, s17
	s_mul_hi_u32 s16, s7, s17
	s_add_u32 s8, s9, s8
	s_addc_u32 s9, 0, s66
	s_add_u32 s8, s8, s63
	s_mul_i32 s17, s7, s17
	s_addc_u32 s8, s9, s26
	s_addc_u32 s9, s16, 0
	s_add_u32 s8, s8, s17
	s_addc_u32 s9, 0, s9
	v_add_co_u32 v2, s8, v2, s8
	s_delay_alu instid0(VALU_DEP_1) | instskip(SKIP_1) | instid1(VALU_DEP_1)
	s_cmp_lg_u32 s8, 0
	s_addc_u32 s7, s7, s9
	v_readfirstlane_b32 s8, v2
	s_mul_i32 s16, s76, s7
	s_mul_hi_u32 s9, s76, s7
	s_mul_hi_u32 s17, s27, s7
	s_mul_i32 s7, s27, s7
	s_mul_hi_u32 s26, s76, s8
	s_mul_hi_u32 s63, s27, s8
	s_mul_i32 s8, s27, s8
	s_add_u32 s16, s26, s16
	s_addc_u32 s9, 0, s9
	s_add_u32 s8, s16, s8
	s_addc_u32 s8, s9, s63
	s_addc_u32 s9, s17, 0
	s_add_u32 s7, s8, s7
	s_addc_u32 s8, 0, s9
	s_mul_hi_u32 s9, s49, s7
	s_mul_i32 s7, s49, s7
	s_mul_i32 s8, s49, s8
	v_sub_co_u32 v2, s7, s76, s7
	s_add_i32 s9, s9, s8
	s_cmp_lg_u32 s7, 0
	s_delay_alu instid0(VALU_DEP_1) | instskip(SKIP_2) | instid1(VALU_DEP_1)
	v_sub_co_u32 v3, s7, v2, s49
	s_subb_u32 s8, s27, s9
	s_cmp_lg_u32 s7, 0
	v_cmp_le_u32_e32 vcc_lo, s49, v3
	v_sub_co_u32 v6, s7, v3, s49
	s_subb_u32 s9, s8, 0
	s_cmp_lg_u32 s7, 0
	v_cndmask_b32_e64 v7, 0, -1, vcc_lo
	s_subb_u32 s7, s9, 0
	s_cmp_eq_u32 s9, 0
	v_mov_b32_e32 v9, s7
	s_cselect_b32 vcc_lo, -1, 0
	s_cmp_eq_u32 s8, 0
	v_cndmask_b32_e32 v7, -1, v7, vcc_lo
	v_cmp_le_u32_e32 vcc_lo, s49, v2
	s_cselect_b32 s7, -1, 0
	v_cndmask_b32_e64 v8, 0, -1, vcc_lo
	s_delay_alu instid0(VALU_DEP_3) | instskip(NEXT) | instid1(VALU_DEP_2)
	v_cmp_ne_u32_e32 vcc_lo, 0, v7
	v_cndmask_b32_e64 v7, -1, v8, s7
	v_cndmask_b32_e32 v8, s9, v9, vcc_lo
	v_cndmask_b32_e32 v6, v3, v6, vcc_lo
	s_delay_alu instid0(VALU_DEP_3) | instskip(NEXT) | instid1(VALU_DEP_3)
	v_cmp_ne_u32_e32 vcc_lo, 0, v7
	v_cndmask_b32_e32 v3, s8, v8, vcc_lo
	s_delay_alu instid0(VALU_DEP_3)
	v_cndmask_b32_e32 v2, v2, v6, vcc_lo
	s_cbranch_execnz .LBB147_351
.LBB147_350:                            ;   in Loop: Header=BB147_12 Depth=1
	v_cvt_f32_u32_e32 v2, s49
	s_sub_i32 s7, 0, s49
	s_delay_alu instid0(VALU_DEP_1) | instskip(SKIP_2) | instid1(VALU_DEP_1)
	v_rcp_iflag_f32_e32 v2, v2
	s_waitcnt_depctr 0xfff
	v_mul_f32_e32 v2, 0x4f7ffffe, v2
	v_cvt_u32_f32_e32 v2, v2
	s_delay_alu instid0(VALU_DEP_1) | instskip(NEXT) | instid1(VALU_DEP_1)
	v_mul_lo_u32 v3, s7, v2
	v_mul_hi_u32 v3, v2, v3
	s_delay_alu instid0(VALU_DEP_1) | instskip(NEXT) | instid1(VALU_DEP_1)
	v_add_nc_u32_e32 v2, v2, v3
	v_mul_hi_u32 v2, s76, v2
	s_delay_alu instid0(VALU_DEP_1) | instskip(NEXT) | instid1(VALU_DEP_1)
	v_mul_lo_u32 v2, v2, s49
	v_sub_nc_u32_e32 v2, s76, v2
	s_delay_alu instid0(VALU_DEP_1) | instskip(SKIP_1) | instid1(VALU_DEP_2)
	v_subrev_nc_u32_e32 v3, s49, v2
	v_cmp_le_u32_e32 vcc_lo, s49, v2
	v_cndmask_b32_e32 v2, v2, v3, vcc_lo
	s_delay_alu instid0(VALU_DEP_1) | instskip(SKIP_1) | instid1(VALU_DEP_2)
	v_subrev_nc_u32_e32 v3, s49, v2
	v_cmp_le_u32_e32 vcc_lo, s49, v2
	v_cndmask_b32_e32 v12, v2, v3, vcc_lo
	s_delay_alu instid0(VALU_DEP_1)
	v_dual_mov_b32 v2, v12 :: v_dual_mov_b32 v3, v13
.LBB147_351:                            ;   in Loop: Header=BB147_12 Depth=1
	s_delay_alu instid0(VALU_DEP_1) | instskip(NEXT) | instid1(VALU_DEP_2)
	v_sub_co_u32 v2, vcc_lo, s76, v2
	v_sub_co_ci_u32_e32 v3, vcc_lo, s27, v3, vcc_lo
	s_mov_b32 s26, 0
	s_mov_b32 s8, exec_lo
                                        ; implicit-def: $vgpr18
	s_delay_alu instid0(VALU_DEP_1)
	v_cmpx_gt_u64_e64 v[2:3], v[0:1]
	s_cbranch_execz .LBB147_360
; %bb.352:                              ;   in Loop: Header=BB147_12 Depth=1
	v_dual_mov_b32 v7, v1 :: v_dual_mov_b32 v6, v0
	s_mov_b32 s9, 0
                                        ; implicit-def: $sgpr16
	s_branch .LBB147_354
.LBB147_353:                            ;   in Loop: Header=BB147_354 Depth=2
	s_or_b32 exec_lo, exec_lo, s7
	s_waitcnt vmcnt(0) lgkmcnt(0)
	s_barrier
	buffer_gl0_inv
	ds_load_b64 v[17:18], v13 offset:3072
	v_add_co_u32 v6, vcc_lo, v6, s49
	v_add_co_ci_u32_e32 v7, vcc_lo, 0, v7, vcc_lo
	s_waitcnt lgkmcnt(0)
	s_barrier
	buffer_gl0_inv
	v_cmp_ge_u64_e32 vcc_lo, v[6:7], v[2:3]
	v_readfirstlane_b32 s7, v17
	s_delay_alu instid0(VALU_DEP_1) | instskip(SKIP_1) | instid1(SALU_CYCLE_1)
	s_cmp_lg_u32 s7, 0
	s_cselect_b32 s7, -1, 0
	s_or_b32 s17, vcc_lo, s7
	s_delay_alu instid0(SALU_CYCLE_1) | instskip(NEXT) | instid1(SALU_CYCLE_1)
	s_and_b32 s17, exec_lo, s17
	s_or_b32 s9, s17, s9
	s_and_not1_b32 s16, s16, exec_lo
	s_and_b32 s7, s7, exec_lo
	s_delay_alu instid0(SALU_CYCLE_1)
	s_or_b32 s16, s16, s7
	s_and_not1_b32 exec_lo, exec_lo, s9
	s_cbranch_execz .LBB147_359
.LBB147_354:                            ;   Parent Loop BB147_12 Depth=1
                                        ; =>  This Inner Loop Header: Depth=2
	s_delay_alu instid0(VALU_DEP_1)
	v_cmp_gt_u64_e32 vcc_lo, s[36:37], v[6:7]
	v_mov_b32_e32 v17, 0
	s_and_saveexec_b32 s17, vcc_lo
	s_cbranch_execz .LBB147_356
; %bb.355:                              ;   in Loop: Header=BB147_354 Depth=2
	v_mul_lo_u32 v12, v7, s30
	v_mul_lo_u32 v17, v6, s31
	v_mad_u64_u32 v[8:9], null, v6, s30, 0
	s_delay_alu instid0(VALU_DEP_1) | instskip(NEXT) | instid1(VALU_DEP_1)
	v_add3_u32 v9, v9, v17, v12
	v_lshlrev_b64 v[8:9], 2, v[8:9]
	s_delay_alu instid0(VALU_DEP_1) | instskip(NEXT) | instid1(VALU_DEP_1)
	v_add_co_u32 v8, s7, s33, v8
	v_add_co_ci_u32_e64 v9, s7, s35, v9, s7
	global_load_b32 v17, v[8:9], off
.LBB147_356:                            ;   in Loop: Header=BB147_354 Depth=2
	s_or_b32 exec_lo, exec_lo, s17
	s_and_saveexec_b32 s7, vcc_lo
	s_cbranch_execz .LBB147_353
; %bb.357:                              ;   in Loop: Header=BB147_354 Depth=2
	s_waitcnt vmcnt(0)
	v_xor_b32_e32 v8, 0x80000000, v17
	s_delay_alu instid0(VALU_DEP_1) | instskip(NEXT) | instid1(VALU_DEP_1)
	v_and_b32_e32 v8, v8, v31
	v_cmp_eq_u32_e32 vcc_lo, v8, v32
	s_and_b32 exec_lo, exec_lo, vcc_lo
	s_cbranch_execz .LBB147_353
; %bb.358:                              ;   in Loop: Header=BB147_354 Depth=2
	ds_store_b64 v13, v[16:17] offset:3072
	s_branch .LBB147_353
.LBB147_359:                            ;   in Loop: Header=BB147_12 Depth=1
	s_or_b32 exec_lo, exec_lo, s9
	s_delay_alu instid0(SALU_CYCLE_1)
	s_and_b32 s26, s16, exec_lo
.LBB147_360:                            ;   in Loop: Header=BB147_12 Depth=1
	s_or_b32 exec_lo, exec_lo, s8
	s_mov_b32 s17, 0
	s_mov_b32 s16, -1
	s_mov_b32 s63, 0
.LBB147_361:                            ;   in Loop: Header=BB147_12 Depth=1
	s_or_not1_b32 s7, s26, exec_lo
.LBB147_362:                            ;   in Loop: Header=BB147_12 Depth=1
	s_or_b32 exec_lo, exec_lo, s64
	s_mov_b32 s26, 0
                                        ; implicit-def: $vgpr8
	s_and_saveexec_b32 s64, s7
	s_cbranch_execz .LBB147_475
; %bb.363:                              ;   in Loop: Header=BB147_12 Depth=1
	v_mov_b32_e32 v2, 1
	v_dual_mov_b32 v3, 0 :: v_dual_mov_b32 v8, 1
	s_xor_b32 s8, s65, -1
	s_delay_alu instid0(SALU_CYCLE_1)
	s_and_saveexec_b32 s7, s8
	s_cbranch_execz .LBB147_373
; %bb.364:                              ;   in Loop: Header=BB147_12 Depth=1
	s_mov_b32 s9, exec_lo
                                        ; implicit-def: $sgpr26
                                        ; implicit-def: $sgpr8
	v_cmpx_ge_u64_e64 s[14:15], v[4:5]
	s_xor_b32 s9, exec_lo, s9
	s_cbranch_execz .LBB147_370
; %bb.365:                              ;   in Loop: Header=BB147_12 Depth=1
	ds_load_b64 v[2:3], v13 offset:5120
	s_waitcnt lgkmcnt(0)
	v_cmp_ne_u64_e32 vcc_lo, 0, v[2:3]
	s_cbranch_vccnz .LBB147_369
; %bb.366:                              ;   in Loop: Header=BB147_12 Depth=1
	s_and_saveexec_b32 s8, s5
	s_cbranch_execz .LBB147_368
; %bb.367:                              ;   in Loop: Header=BB147_12 Depth=1
	v_dual_mov_b32 v2, s14 :: v_dual_mov_b32 v3, s15
	ds_store_b64 v13, v[2:3] offset:5128
.LBB147_368:                            ;   in Loop: Header=BB147_12 Depth=1
	s_or_b32 exec_lo, exec_lo, s8
	s_waitcnt lgkmcnt(0)
	s_barrier
	buffer_gl0_inv
.LBB147_369:                            ;   in Loop: Header=BB147_12 Depth=1
	s_lshl_b32 s8, 2, s22
	v_or_b32_e32 v31, s20, v31
	v_and_or_b32 v32, v32, s21, s8
	s_mov_b32 s8, 0
	s_mov_b32 s26, 5
.LBB147_370:                            ;   in Loop: Header=BB147_12 Depth=1
	s_or_saveexec_b32 s9, s9
	v_mov_b32_e32 v8, s26
	s_xor_b32 exec_lo, exec_lo, s9
; %bb.371:                              ;   in Loop: Header=BB147_12 Depth=1
	v_sub_co_u32 v4, vcc_lo, v4, s14
	v_subrev_co_ci_u32_e32 v5, vcc_lo, s15, v5, vcc_lo
	v_mov_b32_e32 v8, 0
	s_or_b32 s8, s8, exec_lo
; %bb.372:                              ;   in Loop: Header=BB147_12 Depth=1
	s_or_b32 exec_lo, exec_lo, s9
	s_delay_alu instid0(VALU_DEP_2)
	v_dual_mov_b32 v2, v4 :: v_dual_mov_b32 v3, v5
	s_and_b32 s26, s8, exec_lo
.LBB147_373:                            ;   in Loop: Header=BB147_12 Depth=1
	s_or_b32 exec_lo, exec_lo, s7
	s_mov_b32 s7, -1
                                        ; implicit-def: $sgpr8
                                        ; implicit-def: $sgpr9
                                        ; implicit-def: $sgpr14
	s_and_saveexec_b32 s65, s26
	s_cbranch_execz .LBB147_474
; %bb.374:                              ;   in Loop: Header=BB147_12 Depth=1
	v_cmp_eq_u64_e32 vcc_lo, 1, v[2:3]
	s_cmp_eq_u64 s[12:13], 1
                                        ; implicit-def: $sgpr14
                                        ; implicit-def: $sgpr15
                                        ; implicit-def: $sgpr66
	s_cselect_b32 s7, -1, 0
	s_delay_alu instid0(SALU_CYCLE_1)
	s_and_b32 s68, s7, vcc_lo
	s_mov_b32 s7, -1
	s_and_saveexec_b32 s67, s68
	s_cbranch_execz .LBB147_408
; %bb.375:                              ;   in Loop: Header=BB147_12 Depth=1
	ds_load_b64 v[4:5], v13 offset:5120
	s_waitcnt lgkmcnt(0)
	s_barrier
	buffer_gl0_inv
	v_readfirstlane_b32 s8, v4
	v_readfirstlane_b32 s9, v5
	s_and_saveexec_b32 s7, s6
	s_cbranch_execz .LBB147_377
; %bb.376:                              ;   in Loop: Header=BB147_12 Depth=1
	ds_store_b32 v28, v13
.LBB147_377:                            ;   in Loop: Header=BB147_12 Depth=1
	s_or_b32 exec_lo, exec_lo, s7
	s_lshl_b32 s7, 1, s22
	v_or_b32_e32 v31, s20, v31
	v_and_or_b32 v32, v32, s21, s7
	s_cmp_eq_u64 s[8:9], 0
	s_waitcnt lgkmcnt(0)
	s_barrier
	buffer_gl0_inv
	s_cbranch_scc1 .LBB147_391
; %bb.378:                              ;   in Loop: Header=BB147_12 Depth=1
	s_add_u32 s26, s74, s8
	s_addc_u32 s15, s75, s9
	s_mov_b32 s14, s59
	s_delay_alu instid0(SALU_CYCLE_1)
	s_cmp_lg_u64 s[14:15], 0
	s_cbranch_scc0 .LBB147_426
; %bb.379:                              ;   in Loop: Header=BB147_12 Depth=1
	v_cvt_f32_u32_e32 v4, s49
	s_sub_u32 s66, 0, s49
	s_subb_u32 s69, 0, 0
	s_delay_alu instid0(VALU_DEP_1) | instskip(NEXT) | instid1(VALU_DEP_1)
	v_fmac_f32_e64 v4, 0, 0x4f800000
	v_rcp_f32_e32 v4, v4
	s_waitcnt_depctr 0xfff
	v_mul_f32_e32 v4, 0x5f7ffffc, v4
	s_delay_alu instid0(VALU_DEP_1) | instskip(NEXT) | instid1(VALU_DEP_1)
	v_mul_f32_e32 v5, 0x2f800000, v4
	v_trunc_f32_e32 v5, v5
	s_delay_alu instid0(VALU_DEP_1) | instskip(SKIP_1) | instid1(VALU_DEP_2)
	v_fmac_f32_e32 v4, 0xcf800000, v5
	v_cvt_u32_f32_e32 v5, v5
	v_cvt_u32_f32_e32 v4, v4
	s_delay_alu instid0(VALU_DEP_2) | instskip(NEXT) | instid1(VALU_DEP_2)
	v_readfirstlane_b32 s7, v5
	v_readfirstlane_b32 s14, v4
	s_delay_alu instid0(VALU_DEP_2) | instskip(NEXT) | instid1(VALU_DEP_1)
	s_mul_i32 s70, s66, s7
	s_mul_hi_u32 s96, s66, s14
	s_mul_i32 s71, s69, s14
	s_add_i32 s70, s96, s70
	s_mul_i32 s97, s66, s14
	s_add_i32 s70, s70, s71
	s_mul_hi_u32 s96, s14, s97
	s_mul_hi_u32 s98, s7, s97
	s_mul_i32 s71, s7, s97
	s_mul_hi_u32 s97, s14, s70
	s_mul_i32 s14, s14, s70
	s_mul_hi_u32 s99, s7, s70
	s_add_u32 s14, s96, s14
	s_addc_u32 s96, 0, s97
	s_add_u32 s14, s14, s71
	s_mul_i32 s70, s7, s70
	s_addc_u32 s14, s96, s98
	s_addc_u32 s71, s99, 0
	s_add_u32 s14, s14, s70
	s_addc_u32 s70, 0, s71
	v_add_co_u32 v4, s14, v4, s14
	s_delay_alu instid0(VALU_DEP_1) | instskip(SKIP_1) | instid1(VALU_DEP_1)
	s_cmp_lg_u32 s14, 0
	s_addc_u32 s7, s7, s70
	v_readfirstlane_b32 s14, v4
	s_mul_i32 s70, s66, s7
	s_delay_alu instid0(VALU_DEP_1)
	s_mul_hi_u32 s71, s66, s14
	s_mul_i32 s69, s69, s14
	s_add_i32 s70, s71, s70
	s_mul_i32 s66, s66, s14
	s_add_i32 s70, s70, s69
	s_mul_hi_u32 s71, s7, s66
	s_mul_i32 s96, s7, s66
	s_mul_hi_u32 s66, s14, s66
	s_mul_hi_u32 s97, s14, s70
	s_mul_i32 s14, s14, s70
	s_mul_hi_u32 s69, s7, s70
	s_add_u32 s14, s66, s14
	s_addc_u32 s66, 0, s97
	s_add_u32 s14, s14, s96
	s_mul_i32 s70, s7, s70
	s_addc_u32 s14, s66, s71
	s_addc_u32 s66, s69, 0
	s_add_u32 s14, s14, s70
	s_addc_u32 s66, 0, s66
	v_add_co_u32 v4, s14, v4, s14
	s_delay_alu instid0(VALU_DEP_1) | instskip(SKIP_1) | instid1(VALU_DEP_1)
	s_cmp_lg_u32 s14, 0
	s_addc_u32 s7, s7, s66
	v_readfirstlane_b32 s14, v4
	s_mul_i32 s69, s26, s7
	s_mul_hi_u32 s66, s26, s7
	s_mul_hi_u32 s70, s15, s7
	s_mul_i32 s7, s15, s7
	s_mul_hi_u32 s71, s26, s14
	s_mul_hi_u32 s96, s15, s14
	s_mul_i32 s14, s15, s14
	s_add_u32 s69, s71, s69
	s_addc_u32 s66, 0, s66
	s_add_u32 s14, s69, s14
	s_addc_u32 s14, s66, s96
	s_addc_u32 s66, s70, 0
	s_add_u32 s7, s14, s7
	s_addc_u32 s14, 0, s66
	s_mul_hi_u32 s66, s49, s7
	s_mul_i32 s7, s49, s7
	s_mul_i32 s14, s49, s14
	v_sub_co_u32 v4, s7, s26, s7
	s_add_i32 s66, s66, s14
	s_cmp_lg_u32 s7, 0
	s_delay_alu instid0(VALU_DEP_1) | instskip(SKIP_2) | instid1(VALU_DEP_1)
	v_sub_co_u32 v5, s7, v4, s49
	s_subb_u32 s14, s15, s66
	s_cmp_lg_u32 s7, 0
	v_cmp_le_u32_e32 vcc_lo, s49, v5
	v_sub_co_u32 v6, s7, v5, s49
	s_subb_u32 s66, s14, 0
	s_cmp_lg_u32 s7, 0
	v_cndmask_b32_e64 v7, 0, -1, vcc_lo
	s_subb_u32 s7, s66, 0
	s_cmp_eq_u32 s66, 0
	v_mov_b32_e32 v9, s7
	s_cselect_b32 vcc_lo, -1, 0
	s_cmp_eq_u32 s14, 0
	v_cndmask_b32_e32 v7, -1, v7, vcc_lo
	v_cmp_le_u32_e32 vcc_lo, s49, v4
	s_cselect_b32 s7, -1, 0
	v_cndmask_b32_e64 v8, 0, -1, vcc_lo
	s_delay_alu instid0(VALU_DEP_3) | instskip(NEXT) | instid1(VALU_DEP_2)
	v_cmp_ne_u32_e32 vcc_lo, 0, v7
	v_cndmask_b32_e64 v7, -1, v8, s7
	v_cndmask_b32_e32 v8, s66, v9, vcc_lo
	v_cndmask_b32_e32 v6, v5, v6, vcc_lo
	s_delay_alu instid0(VALU_DEP_3) | instskip(NEXT) | instid1(VALU_DEP_3)
	v_cmp_ne_u32_e32 vcc_lo, 0, v7
	v_cndmask_b32_e32 v5, s14, v8, vcc_lo
	s_delay_alu instid0(VALU_DEP_3)
	v_cndmask_b32_e32 v4, v4, v6, vcc_lo
	s_cbranch_execnz .LBB147_381
.LBB147_380:                            ;   in Loop: Header=BB147_12 Depth=1
	v_cvt_f32_u32_e32 v4, s49
	s_sub_i32 s7, 0, s49
	s_delay_alu instid0(VALU_DEP_1) | instskip(SKIP_2) | instid1(VALU_DEP_1)
	v_rcp_iflag_f32_e32 v4, v4
	s_waitcnt_depctr 0xfff
	v_mul_f32_e32 v4, 0x4f7ffffe, v4
	v_cvt_u32_f32_e32 v4, v4
	s_delay_alu instid0(VALU_DEP_1) | instskip(NEXT) | instid1(VALU_DEP_1)
	v_mul_lo_u32 v5, s7, v4
	v_mul_hi_u32 v5, v4, v5
	s_delay_alu instid0(VALU_DEP_1) | instskip(NEXT) | instid1(VALU_DEP_1)
	v_add_nc_u32_e32 v4, v4, v5
	v_mul_hi_u32 v4, s26, v4
	s_delay_alu instid0(VALU_DEP_1) | instskip(NEXT) | instid1(VALU_DEP_1)
	v_mul_lo_u32 v4, v4, s49
	v_sub_nc_u32_e32 v4, s26, v4
	s_delay_alu instid0(VALU_DEP_1) | instskip(SKIP_1) | instid1(VALU_DEP_2)
	v_subrev_nc_u32_e32 v5, s49, v4
	v_cmp_le_u32_e32 vcc_lo, s49, v4
	v_cndmask_b32_e32 v4, v4, v5, vcc_lo
	s_delay_alu instid0(VALU_DEP_1) | instskip(SKIP_1) | instid1(VALU_DEP_2)
	v_subrev_nc_u32_e32 v5, s49, v4
	v_cmp_le_u32_e32 vcc_lo, s49, v4
	v_cndmask_b32_e32 v12, v4, v5, vcc_lo
	s_delay_alu instid0(VALU_DEP_1)
	v_dual_mov_b32 v4, v12 :: v_dual_mov_b32 v5, v13
.LBB147_381:                            ;   in Loop: Header=BB147_12 Depth=1
	s_delay_alu instid0(VALU_DEP_1) | instskip(NEXT) | instid1(VALU_DEP_2)
	v_sub_co_u32 v4, vcc_lo, s26, v4
	v_sub_co_ci_u32_e32 v5, vcc_lo, s15, v5, vcc_lo
	s_mov_b32 s26, 0
	s_mov_b32 s7, exec_lo
                                        ; implicit-def: $vgpr18
	s_delay_alu instid0(VALU_DEP_1)
	v_cmpx_gt_u64_e64 v[4:5], v[0:1]
	s_cbranch_execz .LBB147_393
; %bb.382:                              ;   in Loop: Header=BB147_12 Depth=1
	v_dual_mov_b32 v8, v14 :: v_dual_mov_b32 v7, v1
	v_mov_b32_e32 v6, v0
	s_mov_b32 s14, 0
                                        ; implicit-def: $sgpr15
	s_set_inst_prefetch_distance 0x1
	s_branch .LBB147_384
	.p2align	6
.LBB147_383:                            ;   in Loop: Header=BB147_384 Depth=2
	s_or_b32 exec_lo, exec_lo, s26
	s_waitcnt lgkmcnt(0)
	s_barrier
	buffer_gl0_inv
	ds_load_b64 v[17:18], v13 offset:3072
	v_add_co_u32 v6, vcc_lo, v6, s49
	v_add_co_ci_u32_e32 v7, vcc_lo, 0, v7, vcc_lo
	v_add_nc_u32_e32 v8, s82, v8
	s_waitcnt lgkmcnt(0)
	s_barrier
	s_delay_alu instid0(VALU_DEP_2) | instskip(SKIP_2) | instid1(VALU_DEP_1)
	v_cmp_ge_u64_e32 vcc_lo, v[6:7], v[4:5]
	buffer_gl0_inv
	v_readfirstlane_b32 s26, v17
	s_cmp_lg_u32 s26, 0
	s_cselect_b32 s26, -1, 0
	s_delay_alu instid0(SALU_CYCLE_1) | instskip(NEXT) | instid1(SALU_CYCLE_1)
	s_or_b32 s66, vcc_lo, s26
	s_and_b32 s66, exec_lo, s66
	s_delay_alu instid0(SALU_CYCLE_1) | instskip(SKIP_2) | instid1(SALU_CYCLE_1)
	s_or_b32 s14, s66, s14
	s_and_not1_b32 s15, s15, exec_lo
	s_and_b32 s26, s26, exec_lo
	s_or_b32 s15, s15, s26
	s_and_not1_b32 exec_lo, exec_lo, s14
	s_cbranch_execz .LBB147_392
.LBB147_384:                            ;   Parent Loop BB147_12 Depth=1
                                        ; =>  This Inner Loop Header: Depth=2
	s_delay_alu instid0(VALU_DEP_1)
	v_cmp_gt_u64_e32 vcc_lo, s[8:9], v[6:7]
	v_mov_b32_e32 v17, 0
	s_and_saveexec_b32 s26, vcc_lo
	s_cbranch_execz .LBB147_386
; %bb.385:                              ;   in Loop: Header=BB147_384 Depth=2
	ds_load_b32 v17, v8
.LBB147_386:                            ;   in Loop: Header=BB147_384 Depth=2
	s_or_b32 exec_lo, exec_lo, s26
	s_and_saveexec_b32 s26, vcc_lo
	s_cbranch_execz .LBB147_383
; %bb.387:                              ;   in Loop: Header=BB147_384 Depth=2
	s_waitcnt lgkmcnt(0)
	v_xor_b32_e32 v9, 0x80000000, v17
	s_delay_alu instid0(VALU_DEP_1) | instskip(NEXT) | instid1(VALU_DEP_1)
	v_and_b32_e32 v9, v9, v31
	v_cmp_eq_u32_e32 vcc_lo, v9, v32
	s_and_b32 exec_lo, exec_lo, vcc_lo
	s_cbranch_execz .LBB147_383
; %bb.388:                              ;   in Loop: Header=BB147_384 Depth=2
	ds_store_b64 v13, v[16:17] offset:3072
	s_branch .LBB147_383
.LBB147_389:                            ;   in Loop: Header=BB147_12 Depth=1
                                        ; implicit-def: $vgpr2_vgpr3
	s_branch .LBB147_334
.LBB147_390:                            ;   in Loop: Header=BB147_12 Depth=1
                                        ; implicit-def: $vgpr2_vgpr3
	s_branch .LBB147_350
.LBB147_391:                            ;   in Loop: Header=BB147_12 Depth=1
	s_mov_b32 s14, -1
	s_mov_b32 s26, 0
                                        ; implicit-def: $sgpr15
                                        ; implicit-def: $vgpr18
	s_mov_b32 s66, s14
	s_cbranch_execnz .LBB147_394
	s_branch .LBB147_407
.LBB147_392:                            ;   in Loop: Header=BB147_12 Depth=1
	s_set_inst_prefetch_distance 0x2
	s_or_b32 exec_lo, exec_lo, s14
	s_delay_alu instid0(SALU_CYCLE_1)
	s_and_b32 s26, s15, exec_lo
.LBB147_393:                            ;   in Loop: Header=BB147_12 Depth=1
	s_or_b32 exec_lo, exec_lo, s7
	s_mov_b32 s14, 0
	s_mov_b32 s15, -1
	s_mov_b32 s66, s14
	s_branch .LBB147_407
.LBB147_394:                            ;   in Loop: Header=BB147_12 Depth=1
	s_mov_b32 s26, s59
	s_delay_alu instid0(SALU_CYCLE_1)
	s_cmp_lg_u64 s[26:27], 0
	s_cbranch_scc0 .LBB147_427
; %bb.395:                              ;   in Loop: Header=BB147_12 Depth=1
	v_cvt_f32_u32_e32 v4, s49
	s_sub_u32 s9, 0, s49
	s_subb_u32 s14, 0, 0
	s_delay_alu instid0(VALU_DEP_1) | instskip(NEXT) | instid1(VALU_DEP_1)
	v_fmac_f32_e64 v4, 0, 0x4f800000
	v_rcp_f32_e32 v4, v4
	s_waitcnt_depctr 0xfff
	v_mul_f32_e32 v4, 0x5f7ffffc, v4
	s_delay_alu instid0(VALU_DEP_1) | instskip(NEXT) | instid1(VALU_DEP_1)
	v_mul_f32_e32 v5, 0x2f800000, v4
	v_trunc_f32_e32 v5, v5
	s_delay_alu instid0(VALU_DEP_1) | instskip(SKIP_1) | instid1(VALU_DEP_2)
	v_fmac_f32_e32 v4, 0xcf800000, v5
	v_cvt_u32_f32_e32 v5, v5
	v_cvt_u32_f32_e32 v4, v4
	s_delay_alu instid0(VALU_DEP_2) | instskip(NEXT) | instid1(VALU_DEP_2)
	v_readfirstlane_b32 s7, v5
	v_readfirstlane_b32 s8, v4
	s_delay_alu instid0(VALU_DEP_2) | instskip(NEXT) | instid1(VALU_DEP_1)
	s_mul_i32 s15, s9, s7
	s_mul_hi_u32 s66, s9, s8
	s_mul_i32 s26, s14, s8
	s_add_i32 s15, s66, s15
	s_mul_i32 s69, s9, s8
	s_add_i32 s15, s15, s26
	s_mul_hi_u32 s66, s8, s69
	s_mul_hi_u32 s70, s7, s69
	s_mul_i32 s26, s7, s69
	s_mul_hi_u32 s69, s8, s15
	s_mul_i32 s8, s8, s15
	s_mul_hi_u32 s71, s7, s15
	s_add_u32 s8, s66, s8
	s_addc_u32 s66, 0, s69
	s_add_u32 s8, s8, s26
	s_mul_i32 s15, s7, s15
	s_addc_u32 s8, s66, s70
	s_addc_u32 s26, s71, 0
	s_add_u32 s8, s8, s15
	s_addc_u32 s15, 0, s26
	v_add_co_u32 v4, s8, v4, s8
	s_delay_alu instid0(VALU_DEP_1) | instskip(SKIP_1) | instid1(VALU_DEP_1)
	s_cmp_lg_u32 s8, 0
	s_addc_u32 s7, s7, s15
	v_readfirstlane_b32 s8, v4
	s_mul_i32 s15, s9, s7
	s_delay_alu instid0(VALU_DEP_1)
	s_mul_hi_u32 s26, s9, s8
	s_mul_i32 s14, s14, s8
	s_add_i32 s15, s26, s15
	s_mul_i32 s9, s9, s8
	s_add_i32 s15, s15, s14
	s_mul_hi_u32 s26, s7, s9
	s_mul_i32 s66, s7, s9
	s_mul_hi_u32 s9, s8, s9
	s_mul_hi_u32 s69, s8, s15
	s_mul_i32 s8, s8, s15
	s_mul_hi_u32 s14, s7, s15
	s_add_u32 s8, s9, s8
	s_addc_u32 s9, 0, s69
	s_add_u32 s8, s8, s66
	s_mul_i32 s15, s7, s15
	s_addc_u32 s8, s9, s26
	s_addc_u32 s9, s14, 0
	s_add_u32 s8, s8, s15
	s_addc_u32 s9, 0, s9
	v_add_co_u32 v4, s8, v4, s8
	s_delay_alu instid0(VALU_DEP_1) | instskip(SKIP_1) | instid1(VALU_DEP_1)
	s_cmp_lg_u32 s8, 0
	s_addc_u32 s7, s7, s9
	v_readfirstlane_b32 s8, v4
	s_mul_i32 s14, s76, s7
	s_mul_hi_u32 s9, s76, s7
	s_mul_hi_u32 s15, s27, s7
	s_mul_i32 s7, s27, s7
	s_mul_hi_u32 s26, s76, s8
	s_mul_hi_u32 s66, s27, s8
	s_mul_i32 s8, s27, s8
	s_add_u32 s14, s26, s14
	s_addc_u32 s9, 0, s9
	s_add_u32 s8, s14, s8
	s_addc_u32 s8, s9, s66
	s_addc_u32 s9, s15, 0
	s_add_u32 s7, s8, s7
	s_addc_u32 s8, 0, s9
	s_mul_hi_u32 s9, s49, s7
	s_mul_i32 s7, s49, s7
	s_mul_i32 s8, s49, s8
	v_sub_co_u32 v4, s7, s76, s7
	s_add_i32 s9, s9, s8
	s_cmp_lg_u32 s7, 0
	s_delay_alu instid0(VALU_DEP_1) | instskip(SKIP_2) | instid1(VALU_DEP_1)
	v_sub_co_u32 v5, s7, v4, s49
	s_subb_u32 s8, s27, s9
	s_cmp_lg_u32 s7, 0
	v_cmp_le_u32_e32 vcc_lo, s49, v5
	v_sub_co_u32 v6, s7, v5, s49
	s_subb_u32 s9, s8, 0
	s_cmp_lg_u32 s7, 0
	v_cndmask_b32_e64 v7, 0, -1, vcc_lo
	s_subb_u32 s7, s9, 0
	s_cmp_eq_u32 s9, 0
	v_mov_b32_e32 v9, s7
	s_cselect_b32 vcc_lo, -1, 0
	s_cmp_eq_u32 s8, 0
	v_cndmask_b32_e32 v7, -1, v7, vcc_lo
	v_cmp_le_u32_e32 vcc_lo, s49, v4
	s_cselect_b32 s7, -1, 0
	v_cndmask_b32_e64 v8, 0, -1, vcc_lo
	s_delay_alu instid0(VALU_DEP_3) | instskip(NEXT) | instid1(VALU_DEP_2)
	v_cmp_ne_u32_e32 vcc_lo, 0, v7
	v_cndmask_b32_e64 v7, -1, v8, s7
	v_cndmask_b32_e32 v8, s9, v9, vcc_lo
	v_cndmask_b32_e32 v6, v5, v6, vcc_lo
	s_delay_alu instid0(VALU_DEP_3) | instskip(NEXT) | instid1(VALU_DEP_3)
	v_cmp_ne_u32_e32 vcc_lo, 0, v7
	v_cndmask_b32_e32 v5, s8, v8, vcc_lo
	s_delay_alu instid0(VALU_DEP_3)
	v_cndmask_b32_e32 v4, v4, v6, vcc_lo
	s_cbranch_execnz .LBB147_397
.LBB147_396:                            ;   in Loop: Header=BB147_12 Depth=1
	v_cvt_f32_u32_e32 v4, s49
	s_sub_i32 s7, 0, s49
	s_delay_alu instid0(VALU_DEP_1) | instskip(SKIP_2) | instid1(VALU_DEP_1)
	v_rcp_iflag_f32_e32 v4, v4
	s_waitcnt_depctr 0xfff
	v_mul_f32_e32 v4, 0x4f7ffffe, v4
	v_cvt_u32_f32_e32 v4, v4
	s_delay_alu instid0(VALU_DEP_1) | instskip(NEXT) | instid1(VALU_DEP_1)
	v_mul_lo_u32 v5, s7, v4
	v_mul_hi_u32 v5, v4, v5
	s_delay_alu instid0(VALU_DEP_1) | instskip(NEXT) | instid1(VALU_DEP_1)
	v_add_nc_u32_e32 v4, v4, v5
	v_mul_hi_u32 v4, s76, v4
	s_delay_alu instid0(VALU_DEP_1) | instskip(NEXT) | instid1(VALU_DEP_1)
	v_mul_lo_u32 v4, v4, s49
	v_sub_nc_u32_e32 v4, s76, v4
	s_delay_alu instid0(VALU_DEP_1) | instskip(SKIP_1) | instid1(VALU_DEP_2)
	v_subrev_nc_u32_e32 v5, s49, v4
	v_cmp_le_u32_e32 vcc_lo, s49, v4
	v_cndmask_b32_e32 v4, v4, v5, vcc_lo
	s_delay_alu instid0(VALU_DEP_1) | instskip(SKIP_1) | instid1(VALU_DEP_2)
	v_subrev_nc_u32_e32 v5, s49, v4
	v_cmp_le_u32_e32 vcc_lo, s49, v4
	v_cndmask_b32_e32 v12, v4, v5, vcc_lo
	s_delay_alu instid0(VALU_DEP_1)
	v_dual_mov_b32 v4, v12 :: v_dual_mov_b32 v5, v13
.LBB147_397:                            ;   in Loop: Header=BB147_12 Depth=1
	s_delay_alu instid0(VALU_DEP_1) | instskip(NEXT) | instid1(VALU_DEP_2)
	v_sub_co_u32 v4, vcc_lo, s76, v4
	v_sub_co_ci_u32_e32 v5, vcc_lo, s27, v5, vcc_lo
	s_mov_b32 s26, 0
	s_mov_b32 s8, exec_lo
                                        ; implicit-def: $vgpr18
	s_delay_alu instid0(VALU_DEP_1)
	v_cmpx_gt_u64_e64 v[4:5], v[0:1]
	s_cbranch_execz .LBB147_406
; %bb.398:                              ;   in Loop: Header=BB147_12 Depth=1
	v_dual_mov_b32 v7, v1 :: v_dual_mov_b32 v6, v0
	s_mov_b32 s9, 0
                                        ; implicit-def: $sgpr14
	s_branch .LBB147_400
.LBB147_399:                            ;   in Loop: Header=BB147_400 Depth=2
	s_or_b32 exec_lo, exec_lo, s7
	s_waitcnt vmcnt(0) lgkmcnt(0)
	s_barrier
	buffer_gl0_inv
	ds_load_b64 v[17:18], v13 offset:3072
	v_add_co_u32 v6, vcc_lo, v6, s49
	v_add_co_ci_u32_e32 v7, vcc_lo, 0, v7, vcc_lo
	s_waitcnt lgkmcnt(0)
	s_barrier
	buffer_gl0_inv
	v_cmp_ge_u64_e32 vcc_lo, v[6:7], v[4:5]
	v_readfirstlane_b32 s7, v17
	s_delay_alu instid0(VALU_DEP_1) | instskip(SKIP_1) | instid1(SALU_CYCLE_1)
	s_cmp_lg_u32 s7, 0
	s_cselect_b32 s7, -1, 0
	s_or_b32 s15, vcc_lo, s7
	s_delay_alu instid0(SALU_CYCLE_1) | instskip(NEXT) | instid1(SALU_CYCLE_1)
	s_and_b32 s15, exec_lo, s15
	s_or_b32 s9, s15, s9
	s_and_not1_b32 s14, s14, exec_lo
	s_and_b32 s7, s7, exec_lo
	s_delay_alu instid0(SALU_CYCLE_1)
	s_or_b32 s14, s14, s7
	s_and_not1_b32 exec_lo, exec_lo, s9
	s_cbranch_execz .LBB147_405
.LBB147_400:                            ;   Parent Loop BB147_12 Depth=1
                                        ; =>  This Inner Loop Header: Depth=2
	s_delay_alu instid0(VALU_DEP_1)
	v_cmp_gt_u64_e32 vcc_lo, s[36:37], v[6:7]
	v_mov_b32_e32 v17, 0
	s_and_saveexec_b32 s15, vcc_lo
	s_cbranch_execz .LBB147_402
; %bb.401:                              ;   in Loop: Header=BB147_400 Depth=2
	v_mul_lo_u32 v12, v7, s30
	v_mul_lo_u32 v17, v6, s31
	v_mad_u64_u32 v[8:9], null, v6, s30, 0
	s_delay_alu instid0(VALU_DEP_1) | instskip(NEXT) | instid1(VALU_DEP_1)
	v_add3_u32 v9, v9, v17, v12
	v_lshlrev_b64 v[8:9], 2, v[8:9]
	s_delay_alu instid0(VALU_DEP_1) | instskip(NEXT) | instid1(VALU_DEP_1)
	v_add_co_u32 v8, s7, s33, v8
	v_add_co_ci_u32_e64 v9, s7, s35, v9, s7
	global_load_b32 v17, v[8:9], off
.LBB147_402:                            ;   in Loop: Header=BB147_400 Depth=2
	s_or_b32 exec_lo, exec_lo, s15
	s_and_saveexec_b32 s7, vcc_lo
	s_cbranch_execz .LBB147_399
; %bb.403:                              ;   in Loop: Header=BB147_400 Depth=2
	s_waitcnt vmcnt(0)
	v_xor_b32_e32 v8, 0x80000000, v17
	s_delay_alu instid0(VALU_DEP_1) | instskip(NEXT) | instid1(VALU_DEP_1)
	v_and_b32_e32 v8, v8, v31
	v_cmp_eq_u32_e32 vcc_lo, v8, v32
	s_and_b32 exec_lo, exec_lo, vcc_lo
	s_cbranch_execz .LBB147_399
; %bb.404:                              ;   in Loop: Header=BB147_400 Depth=2
	ds_store_b64 v13, v[16:17] offset:3072
	s_branch .LBB147_399
.LBB147_405:                            ;   in Loop: Header=BB147_12 Depth=1
	s_or_b32 exec_lo, exec_lo, s9
	s_delay_alu instid0(SALU_CYCLE_1)
	s_and_b32 s26, s14, exec_lo
.LBB147_406:                            ;   in Loop: Header=BB147_12 Depth=1
	s_or_b32 exec_lo, exec_lo, s8
	s_mov_b32 s15, 0
	s_mov_b32 s14, -1
	s_mov_b32 s66, 0
.LBB147_407:                            ;   in Loop: Header=BB147_12 Depth=1
	s_or_not1_b32 s7, s26, exec_lo
.LBB147_408:                            ;   in Loop: Header=BB147_12 Depth=1
	s_or_b32 exec_lo, exec_lo, s67
	s_mov_b32 s26, 0
                                        ; implicit-def: $vgpr8
	s_and_saveexec_b32 s67, s7
	s_cbranch_execz .LBB147_473
; %bb.409:                              ;   in Loop: Header=BB147_12 Depth=1
	v_mov_b32_e32 v4, 1
	v_dual_mov_b32 v5, 0 :: v_dual_mov_b32 v8, 1
	s_xor_b32 s8, s68, -1
	s_delay_alu instid0(SALU_CYCLE_1)
	s_and_saveexec_b32 s7, s8
	s_cbranch_execz .LBB147_419
; %bb.410:                              ;   in Loop: Header=BB147_12 Depth=1
	s_mov_b32 s9, exec_lo
                                        ; implicit-def: $sgpr26
                                        ; implicit-def: $sgpr8
	v_cmpx_ge_u64_e64 s[12:13], v[2:3]
	s_xor_b32 s9, exec_lo, s9
	s_cbranch_execz .LBB147_416
; %bb.411:                              ;   in Loop: Header=BB147_12 Depth=1
	ds_load_b64 v[4:5], v13 offset:5120
	s_waitcnt lgkmcnt(0)
	v_cmp_ne_u64_e32 vcc_lo, 0, v[4:5]
	s_cbranch_vccnz .LBB147_415
; %bb.412:                              ;   in Loop: Header=BB147_12 Depth=1
	s_and_saveexec_b32 s8, s5
	s_cbranch_execz .LBB147_414
; %bb.413:                              ;   in Loop: Header=BB147_12 Depth=1
	v_dual_mov_b32 v4, s12 :: v_dual_mov_b32 v5, s13
	ds_store_b64 v13, v[4:5] offset:5128
.LBB147_414:                            ;   in Loop: Header=BB147_12 Depth=1
	s_or_b32 exec_lo, exec_lo, s8
	s_waitcnt lgkmcnt(0)
	s_barrier
	buffer_gl0_inv
.LBB147_415:                            ;   in Loop: Header=BB147_12 Depth=1
	s_lshl_b32 s8, 1, s22
	v_or_b32_e32 v31, s20, v31
	v_and_or_b32 v32, v32, s21, s8
	s_mov_b32 s8, 0
	s_mov_b32 s26, 5
.LBB147_416:                            ;   in Loop: Header=BB147_12 Depth=1
	s_or_saveexec_b32 s9, s9
	v_mov_b32_e32 v8, s26
	s_xor_b32 exec_lo, exec_lo, s9
; %bb.417:                              ;   in Loop: Header=BB147_12 Depth=1
	v_sub_co_u32 v2, vcc_lo, v2, s12
	v_subrev_co_ci_u32_e32 v3, vcc_lo, s13, v3, vcc_lo
	v_mov_b32_e32 v8, 0
	s_or_b32 s8, s8, exec_lo
; %bb.418:                              ;   in Loop: Header=BB147_12 Depth=1
	s_or_b32 exec_lo, exec_lo, s9
	s_delay_alu instid0(VALU_DEP_2)
	v_dual_mov_b32 v5, v3 :: v_dual_mov_b32 v4, v2
	s_and_b32 s26, s8, exec_lo
.LBB147_419:                            ;   in Loop: Header=BB147_12 Depth=1
	s_or_b32 exec_lo, exec_lo, s7
	s_mov_b32 s12, -1
                                        ; implicit-def: $sgpr7
                                        ; implicit-def: $sgpr8
                                        ; implicit-def: $sgpr9
	s_and_saveexec_b32 s22, s26
	s_cbranch_execz .LBB147_472
; %bb.420:                              ;   in Loop: Header=BB147_12 Depth=1
	v_cmp_eq_u64_e32 vcc_lo, 1, v[4:5]
	s_cmp_eq_u64 s[10:11], 1
	s_mov_b32 s13, -1
	s_cselect_b32 s7, -1, 0
                                        ; implicit-def: $sgpr8
                                        ; implicit-def: $sgpr9
	s_delay_alu instid0(SALU_CYCLE_1) | instskip(NEXT) | instid1(SALU_CYCLE_1)
	s_and_b32 s68, s7, vcc_lo
                                        ; implicit-def: $sgpr7
	s_and_saveexec_b32 s69, s68
	s_cbranch_execz .LBB147_459
; %bb.421:                              ;   in Loop: Header=BB147_12 Depth=1
	ds_load_b64 v[2:3], v13 offset:5120
	s_waitcnt lgkmcnt(0)
	s_barrier
	buffer_gl0_inv
	v_readfirstlane_b32 s8, v2
	v_readfirstlane_b32 s9, v3
	s_and_saveexec_b32 s7, s6
	s_cbranch_execz .LBB147_423
; %bb.422:                              ;   in Loop: Header=BB147_12 Depth=1
	ds_store_b32 v28, v13
.LBB147_423:                            ;   in Loop: Header=BB147_12 Depth=1
	s_or_b32 exec_lo, exec_lo, s7
	v_and_b32_e32 v32, s21, v32
	v_or_b32_e32 v31, s20, v31
	s_cmp_eq_u64 s[8:9], 0
	s_waitcnt lgkmcnt(0)
	s_barrier
	buffer_gl0_inv
	s_cbranch_scc1 .LBB147_428
; %bb.424:                              ;   in Loop: Header=BB147_12 Depth=1
	s_add_u32 s26, s74, s8
	s_addc_u32 s13, s75, s9
	s_mov_b32 s12, s59
	s_delay_alu instid0(SALU_CYCLE_1)
	s_cmp_lg_u64 s[12:13], 0
	s_cbranch_scc0 .LBB147_429
; %bb.425:                              ;   in Loop: Header=BB147_12 Depth=1
	v_cvt_f32_u32_e32 v2, s49
	s_sub_u32 s70, 0, s49
	s_subb_u32 s71, 0, 0
	s_delay_alu instid0(VALU_DEP_1) | instskip(NEXT) | instid1(VALU_DEP_1)
	v_fmac_f32_e64 v2, 0, 0x4f800000
	v_rcp_f32_e32 v2, v2
	s_waitcnt_depctr 0xfff
	v_mul_f32_e32 v2, 0x5f7ffffc, v2
	s_delay_alu instid0(VALU_DEP_1) | instskip(NEXT) | instid1(VALU_DEP_1)
	v_mul_f32_e32 v3, 0x2f800000, v2
	v_trunc_f32_e32 v3, v3
	s_delay_alu instid0(VALU_DEP_1) | instskip(SKIP_1) | instid1(VALU_DEP_2)
	v_fmac_f32_e32 v2, 0xcf800000, v3
	v_cvt_u32_f32_e32 v3, v3
	v_cvt_u32_f32_e32 v2, v2
	s_delay_alu instid0(VALU_DEP_2) | instskip(NEXT) | instid1(VALU_DEP_2)
	v_readfirstlane_b32 s7, v3
	v_readfirstlane_b32 s12, v2
	s_delay_alu instid0(VALU_DEP_2) | instskip(NEXT) | instid1(VALU_DEP_1)
	s_mul_i32 s96, s70, s7
	s_mul_hi_u32 s98, s70, s12
	s_mul_i32 s97, s71, s12
	s_add_i32 s96, s98, s96
	s_mul_i32 s99, s70, s12
	s_add_i32 s96, s96, s97
	s_mul_hi_u32 s98, s12, s99
	s_mul_hi_u32 s100, s7, s99
	s_mul_i32 s97, s7, s99
	s_mul_hi_u32 s99, s12, s96
	s_mul_i32 s12, s12, s96
	s_mul_hi_u32 s101, s7, s96
	s_add_u32 s12, s98, s12
	s_addc_u32 s98, 0, s99
	s_add_u32 s12, s12, s97
	s_mul_i32 s96, s7, s96
	s_addc_u32 s12, s98, s100
	s_addc_u32 s97, s101, 0
	s_add_u32 s12, s12, s96
	s_addc_u32 s96, 0, s97
	v_add_co_u32 v2, s12, v2, s12
	s_delay_alu instid0(VALU_DEP_1) | instskip(SKIP_1) | instid1(VALU_DEP_1)
	s_cmp_lg_u32 s12, 0
	s_addc_u32 s7, s7, s96
	v_readfirstlane_b32 s12, v2
	s_mul_i32 s96, s70, s7
	s_delay_alu instid0(VALU_DEP_1)
	s_mul_hi_u32 s97, s70, s12
	s_mul_i32 s71, s71, s12
	s_add_i32 s96, s97, s96
	s_mul_i32 s70, s70, s12
	s_add_i32 s96, s96, s71
	s_mul_hi_u32 s97, s7, s70
	s_mul_i32 s98, s7, s70
	s_mul_hi_u32 s70, s12, s70
	s_mul_hi_u32 s99, s12, s96
	s_mul_i32 s12, s12, s96
	s_mul_hi_u32 s71, s7, s96
	s_add_u32 s12, s70, s12
	s_addc_u32 s70, 0, s99
	s_add_u32 s12, s12, s98
	s_mul_i32 s96, s7, s96
	s_addc_u32 s12, s70, s97
	s_addc_u32 s70, s71, 0
	s_add_u32 s12, s12, s96
	s_addc_u32 s70, 0, s70
	v_add_co_u32 v2, s12, v2, s12
	s_delay_alu instid0(VALU_DEP_1) | instskip(SKIP_1) | instid1(VALU_DEP_1)
	s_cmp_lg_u32 s12, 0
	s_addc_u32 s7, s7, s70
	v_readfirstlane_b32 s12, v2
	s_mul_i32 s71, s26, s7
	s_mul_hi_u32 s70, s26, s7
	s_mul_hi_u32 s96, s13, s7
	s_mul_i32 s7, s13, s7
	s_mul_hi_u32 s97, s26, s12
	s_mul_hi_u32 s98, s13, s12
	s_mul_i32 s12, s13, s12
	s_add_u32 s71, s97, s71
	s_addc_u32 s70, 0, s70
	s_add_u32 s12, s71, s12
	s_addc_u32 s12, s70, s98
	s_addc_u32 s70, s96, 0
	s_add_u32 s7, s12, s7
	s_addc_u32 s12, 0, s70
	s_mul_hi_u32 s70, s49, s7
	s_mul_i32 s7, s49, s7
	s_mul_i32 s12, s49, s12
	v_sub_co_u32 v2, s7, s26, s7
	s_add_i32 s70, s70, s12
	s_cmp_lg_u32 s7, 0
	s_delay_alu instid0(VALU_DEP_1) | instskip(SKIP_2) | instid1(VALU_DEP_1)
	v_sub_co_u32 v3, s7, v2, s49
	s_subb_u32 s12, s13, s70
	s_cmp_lg_u32 s7, 0
	v_cmp_le_u32_e32 vcc_lo, s49, v3
	v_sub_co_u32 v6, s7, v3, s49
	s_subb_u32 s70, s12, 0
	s_cmp_lg_u32 s7, 0
	v_cndmask_b32_e64 v7, 0, -1, vcc_lo
	s_subb_u32 s7, s70, 0
	s_cmp_eq_u32 s70, 0
	v_mov_b32_e32 v9, s7
	s_cselect_b32 vcc_lo, -1, 0
	s_cmp_eq_u32 s12, 0
	v_cndmask_b32_e32 v7, -1, v7, vcc_lo
	v_cmp_le_u32_e32 vcc_lo, s49, v2
	s_cselect_b32 s7, -1, 0
	v_cndmask_b32_e64 v8, 0, -1, vcc_lo
	s_delay_alu instid0(VALU_DEP_3) | instskip(NEXT) | instid1(VALU_DEP_2)
	v_cmp_ne_u32_e32 vcc_lo, 0, v7
	v_cndmask_b32_e64 v7, -1, v8, s7
	v_cndmask_b32_e32 v8, s70, v9, vcc_lo
	v_cndmask_b32_e32 v6, v3, v6, vcc_lo
	s_mov_b32 s7, 0
	s_delay_alu instid0(VALU_DEP_3) | instskip(NEXT) | instid1(VALU_DEP_3)
	v_cmp_ne_u32_e32 vcc_lo, 0, v7
	v_cndmask_b32_e32 v3, s12, v8, vcc_lo
	s_delay_alu instid0(VALU_DEP_3)
	v_cndmask_b32_e32 v2, v2, v6, vcc_lo
	s_branch .LBB147_430
.LBB147_426:                            ;   in Loop: Header=BB147_12 Depth=1
                                        ; implicit-def: $vgpr4_vgpr5
	s_branch .LBB147_380
.LBB147_427:                            ;   in Loop: Header=BB147_12 Depth=1
                                        ; implicit-def: $vgpr4_vgpr5
	s_branch .LBB147_396
.LBB147_428:                            ;   in Loop: Header=BB147_12 Depth=1
	s_mov_b32 s7, -1
	s_mov_b32 s12, 0
                                        ; implicit-def: $sgpr8
                                        ; implicit-def: $vgpr18
	s_branch .LBB147_442
.LBB147_429:                            ;   in Loop: Header=BB147_12 Depth=1
	s_mov_b32 s7, -1
                                        ; implicit-def: $vgpr2_vgpr3
.LBB147_430:                            ;   in Loop: Header=BB147_12 Depth=1
	s_delay_alu instid0(SALU_CYCLE_1)
	s_and_not1_b32 vcc_lo, exec_lo, s7
	s_cbranch_vccnz .LBB147_432
; %bb.431:                              ;   in Loop: Header=BB147_12 Depth=1
	v_cvt_f32_u32_e32 v2, s49
	s_sub_i32 s7, 0, s49
	s_delay_alu instid0(VALU_DEP_1) | instskip(SKIP_2) | instid1(VALU_DEP_1)
	v_rcp_iflag_f32_e32 v2, v2
	s_waitcnt_depctr 0xfff
	v_mul_f32_e32 v2, 0x4f7ffffe, v2
	v_cvt_u32_f32_e32 v2, v2
	s_delay_alu instid0(VALU_DEP_1) | instskip(NEXT) | instid1(VALU_DEP_1)
	v_mul_lo_u32 v3, s7, v2
	v_mul_hi_u32 v3, v2, v3
	s_delay_alu instid0(VALU_DEP_1) | instskip(NEXT) | instid1(VALU_DEP_1)
	v_add_nc_u32_e32 v2, v2, v3
	v_mul_hi_u32 v2, s26, v2
	s_delay_alu instid0(VALU_DEP_1) | instskip(NEXT) | instid1(VALU_DEP_1)
	v_mul_lo_u32 v2, v2, s49
	v_sub_nc_u32_e32 v2, s26, v2
	s_delay_alu instid0(VALU_DEP_1) | instskip(SKIP_1) | instid1(VALU_DEP_2)
	v_subrev_nc_u32_e32 v3, s49, v2
	v_cmp_le_u32_e32 vcc_lo, s49, v2
	v_cndmask_b32_e32 v2, v2, v3, vcc_lo
	s_delay_alu instid0(VALU_DEP_1) | instskip(SKIP_1) | instid1(VALU_DEP_2)
	v_subrev_nc_u32_e32 v3, s49, v2
	v_cmp_le_u32_e32 vcc_lo, s49, v2
	v_cndmask_b32_e32 v12, v2, v3, vcc_lo
	s_delay_alu instid0(VALU_DEP_1)
	v_dual_mov_b32 v2, v12 :: v_dual_mov_b32 v3, v13
.LBB147_432:                            ;   in Loop: Header=BB147_12 Depth=1
	s_delay_alu instid0(VALU_DEP_1) | instskip(NEXT) | instid1(VALU_DEP_2)
	v_sub_co_u32 v2, vcc_lo, s26, v2
	v_sub_co_ci_u32_e32 v3, vcc_lo, s13, v3, vcc_lo
	s_mov_b32 s12, 0
	s_mov_b32 s7, exec_lo
                                        ; implicit-def: $vgpr18
	s_delay_alu instid0(VALU_DEP_1)
	v_cmpx_gt_u64_e64 v[2:3], v[0:1]
	s_cbranch_execz .LBB147_441
; %bb.433:                              ;   in Loop: Header=BB147_12 Depth=1
	v_dual_mov_b32 v8, v14 :: v_dual_mov_b32 v7, v1
	v_mov_b32_e32 v6, v0
                                        ; implicit-def: $sgpr13
	s_set_inst_prefetch_distance 0x1
	s_branch .LBB147_435
	.p2align	6
.LBB147_434:                            ;   in Loop: Header=BB147_435 Depth=2
	s_or_b32 exec_lo, exec_lo, s26
	s_waitcnt lgkmcnt(0)
	s_barrier
	buffer_gl0_inv
	ds_load_b64 v[17:18], v13 offset:3072
	v_add_co_u32 v6, vcc_lo, v6, s49
	v_add_co_ci_u32_e32 v7, vcc_lo, 0, v7, vcc_lo
	v_add_nc_u32_e32 v8, s82, v8
	s_waitcnt lgkmcnt(0)
	s_barrier
	s_delay_alu instid0(VALU_DEP_2) | instskip(SKIP_2) | instid1(VALU_DEP_1)
	v_cmp_ge_u64_e32 vcc_lo, v[6:7], v[2:3]
	buffer_gl0_inv
	v_readfirstlane_b32 s26, v17
	s_cmp_lg_u32 s26, 0
	s_cselect_b32 s26, -1, 0
	s_delay_alu instid0(SALU_CYCLE_1) | instskip(NEXT) | instid1(SALU_CYCLE_1)
	s_or_b32 s70, vcc_lo, s26
	s_and_b32 s70, exec_lo, s70
	s_delay_alu instid0(SALU_CYCLE_1) | instskip(SKIP_2) | instid1(SALU_CYCLE_1)
	s_or_b32 s12, s70, s12
	s_and_not1_b32 s13, s13, exec_lo
	s_and_b32 s26, s26, exec_lo
	s_or_b32 s13, s13, s26
	s_and_not1_b32 exec_lo, exec_lo, s12
	s_cbranch_execz .LBB147_440
.LBB147_435:                            ;   Parent Loop BB147_12 Depth=1
                                        ; =>  This Inner Loop Header: Depth=2
	s_delay_alu instid0(VALU_DEP_1)
	v_cmp_gt_u64_e32 vcc_lo, s[8:9], v[6:7]
	v_mov_b32_e32 v17, 0
	s_and_saveexec_b32 s26, vcc_lo
	s_cbranch_execz .LBB147_437
; %bb.436:                              ;   in Loop: Header=BB147_435 Depth=2
	ds_load_b32 v17, v8
.LBB147_437:                            ;   in Loop: Header=BB147_435 Depth=2
	s_or_b32 exec_lo, exec_lo, s26
	s_and_saveexec_b32 s26, vcc_lo
	s_cbranch_execz .LBB147_434
; %bb.438:                              ;   in Loop: Header=BB147_435 Depth=2
	s_waitcnt lgkmcnt(0)
	v_xor_b32_e32 v9, 0x80000000, v17
	s_delay_alu instid0(VALU_DEP_1) | instskip(NEXT) | instid1(VALU_DEP_1)
	v_and_b32_e32 v9, v9, v31
	v_cmp_eq_u32_e32 vcc_lo, v9, v32
	s_and_b32 exec_lo, exec_lo, vcc_lo
	s_cbranch_execz .LBB147_434
; %bb.439:                              ;   in Loop: Header=BB147_435 Depth=2
	ds_store_b64 v13, v[16:17] offset:3072
	s_branch .LBB147_434
.LBB147_440:                            ;   in Loop: Header=BB147_12 Depth=1
	s_set_inst_prefetch_distance 0x2
	s_or_b32 exec_lo, exec_lo, s12
	s_delay_alu instid0(SALU_CYCLE_1)
	s_and_b32 s12, s13, exec_lo
.LBB147_441:                            ;   in Loop: Header=BB147_12 Depth=1
	s_or_b32 exec_lo, exec_lo, s7
	s_mov_b32 s7, 0
	s_mov_b32 s8, -1
.LBB147_442:                            ;   in Loop: Header=BB147_12 Depth=1
	s_and_b32 vcc_lo, exec_lo, s7
	s_mov_b32 s9, s7
	s_cbranch_vccz .LBB147_458
; %bb.443:                              ;   in Loop: Header=BB147_12 Depth=1
	s_mov_b32 s26, s59
	s_delay_alu instid0(SALU_CYCLE_1)
	s_cmp_lg_u64 s[26:27], 0
	s_cbranch_scc0 .LBB147_445
; %bb.444:                              ;   in Loop: Header=BB147_12 Depth=1
	v_cvt_f32_u32_e32 v2, s49
	s_sub_u32 s9, 0, s49
	s_subb_u32 s12, 0, 0
	s_delay_alu instid0(VALU_DEP_1) | instskip(NEXT) | instid1(VALU_DEP_1)
	v_fmac_f32_e64 v2, 0, 0x4f800000
	v_rcp_f32_e32 v2, v2
	s_waitcnt_depctr 0xfff
	v_mul_f32_e32 v2, 0x5f7ffffc, v2
	s_delay_alu instid0(VALU_DEP_1) | instskip(NEXT) | instid1(VALU_DEP_1)
	v_mul_f32_e32 v3, 0x2f800000, v2
	v_trunc_f32_e32 v3, v3
	s_delay_alu instid0(VALU_DEP_1) | instskip(SKIP_1) | instid1(VALU_DEP_2)
	v_fmac_f32_e32 v2, 0xcf800000, v3
	v_cvt_u32_f32_e32 v3, v3
	v_cvt_u32_f32_e32 v2, v2
	s_delay_alu instid0(VALU_DEP_2) | instskip(NEXT) | instid1(VALU_DEP_2)
	v_readfirstlane_b32 s7, v3
	v_readfirstlane_b32 s8, v2
	s_delay_alu instid0(VALU_DEP_2) | instskip(NEXT) | instid1(VALU_DEP_1)
	s_mul_i32 s13, s9, s7
	s_mul_hi_u32 s70, s9, s8
	s_mul_i32 s26, s12, s8
	s_add_i32 s13, s70, s13
	s_mul_i32 s71, s9, s8
	s_add_i32 s13, s13, s26
	s_mul_hi_u32 s70, s8, s71
	s_mul_hi_u32 s96, s7, s71
	s_mul_i32 s26, s7, s71
	s_mul_hi_u32 s71, s8, s13
	s_mul_i32 s8, s8, s13
	s_mul_hi_u32 s97, s7, s13
	s_add_u32 s8, s70, s8
	s_addc_u32 s70, 0, s71
	s_add_u32 s8, s8, s26
	s_mul_i32 s13, s7, s13
	s_addc_u32 s8, s70, s96
	s_addc_u32 s26, s97, 0
	s_add_u32 s8, s8, s13
	s_addc_u32 s13, 0, s26
	v_add_co_u32 v2, s8, v2, s8
	s_delay_alu instid0(VALU_DEP_1) | instskip(SKIP_1) | instid1(VALU_DEP_1)
	s_cmp_lg_u32 s8, 0
	s_addc_u32 s7, s7, s13
	v_readfirstlane_b32 s8, v2
	s_mul_i32 s13, s9, s7
	s_delay_alu instid0(VALU_DEP_1)
	s_mul_hi_u32 s26, s9, s8
	s_mul_i32 s12, s12, s8
	s_add_i32 s13, s26, s13
	s_mul_i32 s9, s9, s8
	s_add_i32 s13, s13, s12
	s_mul_hi_u32 s26, s7, s9
	s_mul_i32 s70, s7, s9
	s_mul_hi_u32 s9, s8, s9
	s_mul_hi_u32 s71, s8, s13
	s_mul_i32 s8, s8, s13
	s_mul_hi_u32 s12, s7, s13
	s_add_u32 s8, s9, s8
	s_addc_u32 s9, 0, s71
	s_add_u32 s8, s8, s70
	s_mul_i32 s13, s7, s13
	s_addc_u32 s8, s9, s26
	s_addc_u32 s9, s12, 0
	s_add_u32 s8, s8, s13
	s_addc_u32 s9, 0, s9
	v_add_co_u32 v2, s8, v2, s8
	s_delay_alu instid0(VALU_DEP_1) | instskip(SKIP_1) | instid1(VALU_DEP_1)
	s_cmp_lg_u32 s8, 0
	s_addc_u32 s7, s7, s9
	v_readfirstlane_b32 s8, v2
	s_mul_i32 s12, s76, s7
	s_mul_hi_u32 s9, s76, s7
	s_mul_hi_u32 s13, s27, s7
	s_mul_i32 s7, s27, s7
	s_mul_hi_u32 s26, s76, s8
	s_mul_hi_u32 s70, s27, s8
	s_mul_i32 s8, s27, s8
	s_add_u32 s12, s26, s12
	s_addc_u32 s9, 0, s9
	s_add_u32 s8, s12, s8
	s_addc_u32 s8, s9, s70
	s_addc_u32 s9, s13, 0
	s_add_u32 s7, s8, s7
	s_addc_u32 s8, 0, s9
	s_mul_hi_u32 s9, s49, s7
	s_mul_i32 s7, s49, s7
	s_mul_i32 s8, s49, s8
	v_sub_co_u32 v2, s7, s76, s7
	s_add_i32 s9, s9, s8
	s_cmp_lg_u32 s7, 0
	s_delay_alu instid0(VALU_DEP_1) | instskip(SKIP_2) | instid1(VALU_DEP_1)
	v_sub_co_u32 v3, s7, v2, s49
	s_subb_u32 s8, s27, s9
	s_cmp_lg_u32 s7, 0
	v_cmp_le_u32_e32 vcc_lo, s49, v3
	v_sub_co_u32 v6, s7, v3, s49
	s_subb_u32 s9, s8, 0
	s_cmp_lg_u32 s7, 0
	v_cndmask_b32_e64 v7, 0, -1, vcc_lo
	s_subb_u32 s7, s9, 0
	s_cmp_eq_u32 s9, 0
	v_mov_b32_e32 v9, s7
	s_cselect_b32 vcc_lo, -1, 0
	s_cmp_eq_u32 s8, 0
	v_cndmask_b32_e32 v7, -1, v7, vcc_lo
	v_cmp_le_u32_e32 vcc_lo, s49, v2
	s_cselect_b32 s7, -1, 0
	v_cndmask_b32_e64 v8, 0, -1, vcc_lo
	s_delay_alu instid0(VALU_DEP_3) | instskip(NEXT) | instid1(VALU_DEP_2)
	v_cmp_ne_u32_e32 vcc_lo, 0, v7
	v_cndmask_b32_e64 v7, -1, v8, s7
	v_cndmask_b32_e32 v8, s9, v9, vcc_lo
	v_cndmask_b32_e32 v6, v3, v6, vcc_lo
	s_mov_b32 s7, 0
	s_delay_alu instid0(VALU_DEP_3) | instskip(NEXT) | instid1(VALU_DEP_3)
	v_cmp_ne_u32_e32 vcc_lo, 0, v7
	v_cndmask_b32_e32 v3, s8, v8, vcc_lo
	s_delay_alu instid0(VALU_DEP_3)
	v_cndmask_b32_e32 v2, v2, v6, vcc_lo
	s_branch .LBB147_446
.LBB147_445:                            ;   in Loop: Header=BB147_12 Depth=1
	s_mov_b32 s7, -1
                                        ; implicit-def: $vgpr2_vgpr3
.LBB147_446:                            ;   in Loop: Header=BB147_12 Depth=1
	s_delay_alu instid0(SALU_CYCLE_1)
	s_and_not1_b32 vcc_lo, exec_lo, s7
	s_cbranch_vccnz .LBB147_448
; %bb.447:                              ;   in Loop: Header=BB147_12 Depth=1
	v_cvt_f32_u32_e32 v2, s49
	s_sub_i32 s7, 0, s49
	s_delay_alu instid0(VALU_DEP_1) | instskip(SKIP_2) | instid1(VALU_DEP_1)
	v_rcp_iflag_f32_e32 v2, v2
	s_waitcnt_depctr 0xfff
	v_mul_f32_e32 v2, 0x4f7ffffe, v2
	v_cvt_u32_f32_e32 v2, v2
	s_delay_alu instid0(VALU_DEP_1) | instskip(NEXT) | instid1(VALU_DEP_1)
	v_mul_lo_u32 v3, s7, v2
	v_mul_hi_u32 v3, v2, v3
	s_delay_alu instid0(VALU_DEP_1) | instskip(NEXT) | instid1(VALU_DEP_1)
	v_add_nc_u32_e32 v2, v2, v3
	v_mul_hi_u32 v2, s76, v2
	s_delay_alu instid0(VALU_DEP_1) | instskip(NEXT) | instid1(VALU_DEP_1)
	v_mul_lo_u32 v2, v2, s49
	v_sub_nc_u32_e32 v2, s76, v2
	s_delay_alu instid0(VALU_DEP_1) | instskip(SKIP_1) | instid1(VALU_DEP_2)
	v_subrev_nc_u32_e32 v3, s49, v2
	v_cmp_le_u32_e32 vcc_lo, s49, v2
	v_cndmask_b32_e32 v2, v2, v3, vcc_lo
	s_delay_alu instid0(VALU_DEP_1) | instskip(SKIP_1) | instid1(VALU_DEP_2)
	v_subrev_nc_u32_e32 v3, s49, v2
	v_cmp_le_u32_e32 vcc_lo, s49, v2
	v_cndmask_b32_e32 v12, v2, v3, vcc_lo
	s_delay_alu instid0(VALU_DEP_1)
	v_dual_mov_b32 v2, v12 :: v_dual_mov_b32 v3, v13
.LBB147_448:                            ;   in Loop: Header=BB147_12 Depth=1
	s_delay_alu instid0(VALU_DEP_1) | instskip(NEXT) | instid1(VALU_DEP_2)
	v_sub_co_u32 v2, vcc_lo, s76, v2
	v_sub_co_ci_u32_e32 v3, vcc_lo, s27, v3, vcc_lo
	s_mov_b32 s12, 0
	s_mov_b32 s8, exec_lo
                                        ; implicit-def: $vgpr18
	s_delay_alu instid0(VALU_DEP_1)
	v_cmpx_gt_u64_e64 v[2:3], v[0:1]
	s_cbranch_execz .LBB147_457
; %bb.449:                              ;   in Loop: Header=BB147_12 Depth=1
	v_dual_mov_b32 v7, v1 :: v_dual_mov_b32 v6, v0
	s_mov_b32 s9, 0
                                        ; implicit-def: $sgpr12
	s_branch .LBB147_451
.LBB147_450:                            ;   in Loop: Header=BB147_451 Depth=2
	s_or_b32 exec_lo, exec_lo, s7
	s_waitcnt vmcnt(0) lgkmcnt(0)
	s_barrier
	buffer_gl0_inv
	ds_load_b64 v[17:18], v13 offset:3072
	v_add_co_u32 v6, vcc_lo, v6, s49
	v_add_co_ci_u32_e32 v7, vcc_lo, 0, v7, vcc_lo
	s_waitcnt lgkmcnt(0)
	s_barrier
	buffer_gl0_inv
	v_cmp_ge_u64_e32 vcc_lo, v[6:7], v[2:3]
	v_readfirstlane_b32 s7, v17
	s_delay_alu instid0(VALU_DEP_1) | instskip(SKIP_1) | instid1(SALU_CYCLE_1)
	s_cmp_lg_u32 s7, 0
	s_cselect_b32 s7, -1, 0
	s_or_b32 s13, vcc_lo, s7
	s_delay_alu instid0(SALU_CYCLE_1) | instskip(NEXT) | instid1(SALU_CYCLE_1)
	s_and_b32 s13, exec_lo, s13
	s_or_b32 s9, s13, s9
	s_and_not1_b32 s12, s12, exec_lo
	s_and_b32 s7, s7, exec_lo
	s_delay_alu instid0(SALU_CYCLE_1)
	s_or_b32 s12, s12, s7
	s_and_not1_b32 exec_lo, exec_lo, s9
	s_cbranch_execz .LBB147_456
.LBB147_451:                            ;   Parent Loop BB147_12 Depth=1
                                        ; =>  This Inner Loop Header: Depth=2
	s_delay_alu instid0(VALU_DEP_1)
	v_cmp_gt_u64_e32 vcc_lo, s[36:37], v[6:7]
	v_mov_b32_e32 v17, 0
	s_and_saveexec_b32 s13, vcc_lo
	s_cbranch_execz .LBB147_453
; %bb.452:                              ;   in Loop: Header=BB147_451 Depth=2
	v_mul_lo_u32 v12, v7, s30
	v_mul_lo_u32 v17, v6, s31
	v_mad_u64_u32 v[8:9], null, v6, s30, 0
	s_delay_alu instid0(VALU_DEP_1) | instskip(NEXT) | instid1(VALU_DEP_1)
	v_add3_u32 v9, v9, v17, v12
	v_lshlrev_b64 v[8:9], 2, v[8:9]
	s_delay_alu instid0(VALU_DEP_1) | instskip(NEXT) | instid1(VALU_DEP_1)
	v_add_co_u32 v8, s7, s33, v8
	v_add_co_ci_u32_e64 v9, s7, s35, v9, s7
	global_load_b32 v17, v[8:9], off
.LBB147_453:                            ;   in Loop: Header=BB147_451 Depth=2
	s_or_b32 exec_lo, exec_lo, s13
	s_and_saveexec_b32 s7, vcc_lo
	s_cbranch_execz .LBB147_450
; %bb.454:                              ;   in Loop: Header=BB147_451 Depth=2
	s_waitcnt vmcnt(0)
	v_xor_b32_e32 v8, 0x80000000, v17
	s_delay_alu instid0(VALU_DEP_1) | instskip(NEXT) | instid1(VALU_DEP_1)
	v_and_b32_e32 v8, v8, v31
	v_cmp_eq_u32_e32 vcc_lo, v8, v32
	s_and_b32 exec_lo, exec_lo, vcc_lo
	s_cbranch_execz .LBB147_450
; %bb.455:                              ;   in Loop: Header=BB147_451 Depth=2
	ds_store_b64 v13, v[16:17] offset:3072
	s_branch .LBB147_450
.LBB147_456:                            ;   in Loop: Header=BB147_12 Depth=1
	s_or_b32 exec_lo, exec_lo, s9
	s_delay_alu instid0(SALU_CYCLE_1)
	s_and_b32 s12, s12, exec_lo
.LBB147_457:                            ;   in Loop: Header=BB147_12 Depth=1
	s_or_b32 exec_lo, exec_lo, s8
	s_mov_b32 s8, 0
	s_mov_b32 s7, -1
	s_mov_b32 s9, 0
.LBB147_458:                            ;   in Loop: Header=BB147_12 Depth=1
	s_or_not1_b32 s13, s12, exec_lo
.LBB147_459:                            ;   in Loop: Header=BB147_12 Depth=1
	s_or_b32 exec_lo, exec_lo, s69
	s_mov_b32 s26, 0
                                        ; implicit-def: $vgpr8
                                        ; implicit-def: $vgpr2_vgpr3
	s_and_saveexec_b32 s12, s13
	s_cbranch_execz .LBB147_471
; %bb.460:                              ;   in Loop: Header=BB147_12 Depth=1
	v_mov_b32_e32 v2, 1
	v_dual_mov_b32 v3, 0 :: v_dual_mov_b32 v8, 1
	s_xor_b32 s26, s68, -1
	s_delay_alu instid0(SALU_CYCLE_1)
	s_and_saveexec_b32 s13, s26
	s_cbranch_execz .LBB147_470
; %bb.461:                              ;   in Loop: Header=BB147_12 Depth=1
	s_mov_b32 s26, exec_lo
                                        ; implicit-def: $sgpr68
	v_cmpx_ge_u64_e64 s[10:11], v[4:5]
	s_xor_b32 s26, exec_lo, s26
	s_cbranch_execz .LBB147_467
; %bb.462:                              ;   in Loop: Header=BB147_12 Depth=1
	ds_load_b64 v[2:3], v13 offset:5120
	s_waitcnt lgkmcnt(0)
	v_cmp_ne_u64_e32 vcc_lo, 0, v[2:3]
	s_cbranch_vccnz .LBB147_466
; %bb.463:                              ;   in Loop: Header=BB147_12 Depth=1
	s_and_saveexec_b32 s68, s5
	s_cbranch_execz .LBB147_465
; %bb.464:                              ;   in Loop: Header=BB147_12 Depth=1
	v_dual_mov_b32 v2, s10 :: v_dual_mov_b32 v3, s11
	ds_store_b64 v13, v[2:3] offset:5128
.LBB147_465:                            ;   in Loop: Header=BB147_12 Depth=1
	s_or_b32 exec_lo, exec_lo, s68
	s_waitcnt lgkmcnt(0)
	s_barrier
	buffer_gl0_inv
.LBB147_466:                            ;   in Loop: Header=BB147_12 Depth=1
	v_and_b32_e32 v32, s21, v32
	v_or_b32_e32 v31, s20, v31
	s_mov_b32 s68, 5
.LBB147_467:                            ;   in Loop: Header=BB147_12 Depth=1
	s_or_saveexec_b32 s20, s26
	v_mov_b32_e32 v8, s68
	s_xor_b32 exec_lo, exec_lo, s20
; %bb.468:                              ;   in Loop: Header=BB147_12 Depth=1
	v_sub_co_u32 v4, vcc_lo, v4, s10
	v_subrev_co_ci_u32_e32 v5, vcc_lo, s11, v5, vcc_lo
	v_mov_b32_e32 v8, 5
; %bb.469:                              ;   in Loop: Header=BB147_12 Depth=1
	s_or_b32 exec_lo, exec_lo, s20
	s_delay_alu instid0(VALU_DEP_2)
	v_dual_mov_b32 v2, v4 :: v_dual_mov_b32 v3, v5
.LBB147_470:                            ;   in Loop: Header=BB147_12 Depth=1
	s_or_b32 exec_lo, exec_lo, s13
	s_delay_alu instid0(SALU_CYCLE_1)
	s_mov_b32 s26, exec_lo
.LBB147_471:                            ;   in Loop: Header=BB147_12 Depth=1
	s_or_b32 exec_lo, exec_lo, s12
	s_delay_alu instid0(VALU_DEP_1)
	v_dual_mov_b32 v5, v3 :: v_dual_mov_b32 v4, v2
	s_or_not1_b32 s12, s26, exec_lo
.LBB147_472:                            ;   in Loop: Header=BB147_12 Depth=1
	s_or_b32 exec_lo, exec_lo, s22
	s_delay_alu instid0(SALU_CYCLE_1)
	s_and_not1_b32 s10, s14, exec_lo
	s_and_b32 s7, s7, exec_lo
	s_and_b32 s8, s8, exec_lo
	s_or_b32 s14, s10, s7
	s_and_not1_b32 s7, s15, exec_lo
	s_and_not1_b32 s10, s66, exec_lo
	s_and_b32 s9, s9, exec_lo
	v_dual_mov_b32 v2, v4 :: v_dual_mov_b32 v3, v5
	s_or_b32 s15, s7, s8
	s_or_b32 s66, s10, s9
	s_and_b32 s26, s12, exec_lo
.LBB147_473:                            ;   in Loop: Header=BB147_12 Depth=1
	s_or_b32 exec_lo, exec_lo, s67
	s_delay_alu instid0(SALU_CYCLE_1)
	s_and_b32 s14, s14, exec_lo
	s_and_b32 s9, s15, exec_lo
	;; [unrolled: 1-line block ×3, first 2 shown]
	s_or_not1_b32 s7, s26, exec_lo
.LBB147_474:                            ;   in Loop: Header=BB147_12 Depth=1
	s_or_b32 exec_lo, exec_lo, s65
	s_delay_alu instid0(SALU_CYCLE_1)
	s_and_not1_b32 s10, s16, exec_lo
	s_and_b32 s11, s14, exec_lo
	s_and_b32 s9, s9, exec_lo
	s_or_b32 s16, s10, s11
	s_and_not1_b32 s10, s17, exec_lo
	s_and_not1_b32 s11, s63, exec_lo
	s_and_b32 s8, s8, exec_lo
	v_dual_mov_b32 v5, v3 :: v_dual_mov_b32 v4, v2
	s_or_b32 s17, s10, s9
	s_or_b32 s63, s11, s8
	s_and_b32 s26, s7, exec_lo
.LBB147_475:                            ;   in Loop: Header=BB147_12 Depth=1
	s_or_b32 exec_lo, exec_lo, s64
	s_delay_alu instid0(SALU_CYCLE_1)
	s_and_b32 s16, s16, exec_lo
	s_and_b32 s9, s17, exec_lo
	;; [unrolled: 1-line block ×3, first 2 shown]
	s_or_not1_b32 s17, s26, exec_lo
.LBB147_476:                            ;   in Loop: Header=BB147_12 Depth=1
	s_or_b32 exec_lo, exec_lo, s62
	s_mov_b32 s7, s25
	s_mov_b32 s10, s24
	s_and_saveexec_b32 s11, s17
; %bb.477:                              ;   in Loop: Header=BB147_12 Depth=1
	v_cmp_eq_u32_e32 vcc_lo, 5, v8
	v_cmp_ne_u32_e64 s7, 5, v8
	s_and_not1_b32 s10, s24, exec_lo
	s_and_not1_b32 s12, s25, exec_lo
	;; [unrolled: 1-line block ×3, first 2 shown]
	s_and_b32 s13, vcc_lo, exec_lo
	s_and_b32 s7, s7, exec_lo
	s_and_not1_b32 s9, s9, exec_lo
	s_and_not1_b32 s8, s8, exec_lo
	s_or_b32 s10, s10, s7
	s_or_b32 s7, s12, s13
; %bb.478:                              ;   in Loop: Header=BB147_12 Depth=1
	s_or_b32 exec_lo, exec_lo, s11
	s_delay_alu instid0(SALU_CYCLE_1)
	s_and_not1_b32 s11, s18, exec_lo
	s_and_b32 s12, s16, exec_lo
	s_and_b32 s9, s9, exec_lo
	s_or_b32 s18, s11, s12
	s_and_not1_b32 s11, s19, exec_lo
	s_and_not1_b32 s12, s23, exec_lo
	s_and_b32 s8, s8, exec_lo
	v_dual_mov_b32 v21, v32 :: v_dual_mov_b32 v22, v31
	v_mov_b32_e32 v3, v18
	s_or_b32 s19, s11, s9
	s_or_b32 s23, s12, s8
	s_and_not1_b32 s8, s24, exec_lo
	s_and_b32 s9, s10, exec_lo
	s_and_not1_b32 s10, s25, exec_lo
	s_and_b32 s7, s7, exec_lo
	s_or_b32 s24, s8, s9
	s_or_b32 s25, s10, s7
.LBB147_479:                            ;   in Loop: Header=BB147_12 Depth=1
	s_or_b32 exec_lo, exec_lo, s58
	s_mov_b32 s62, s23
	s_mov_b32 s58, s23
	s_and_saveexec_b32 s7, s25
.LBB147_480:                            ;   in Loop: Header=BB147_12 Depth=1
	v_mov_b32_e32 v8, 0
	s_and_not1_b32 s23, s23, exec_lo
	s_and_not1_b32 s18, s18, exec_lo
	;; [unrolled: 1-line block ×5, first 2 shown]
	s_or_b32 s24, s24, exec_lo
.LBB147_481:                            ;   in Loop: Header=BB147_12 Depth=1
	s_or_b32 exec_lo, exec_lo, s7
	s_delay_alu instid0(SALU_CYCLE_1)
	s_and_not1_b32 s7, s95, exec_lo
	s_and_b32 s9, s23, exec_lo
	s_and_not1_b32 s10, s92, exec_lo
	s_or_b32 s95, s7, s9
	s_and_not1_b32 s7, s94, exec_lo
	s_and_b32 s9, s18, exec_lo
	s_and_b32 s11, s19, exec_lo
	s_or_b32 s94, s7, s9
	s_or_b32 s92, s10, s11
	s_and_not1_b32 s7, s93, exec_lo
	s_and_b32 s9, s62, exec_lo
	s_and_not1_b32 s10, s91, exec_lo
	s_and_b32 s11, s58, exec_lo
	s_mov_b32 s8, -1
	s_or_b32 s93, s7, s9
	s_or_b32 s91, s10, s11
                                        ; implicit-def: $vgpr31
                                        ; implicit-def: $vgpr32
                                        ; implicit-def: $vgpr19_vgpr20
                                        ; implicit-def: $vgpr18
	s_and_saveexec_b32 s7, s24
	s_delay_alu instid0(SALU_CYCLE_1)
	s_xor_b32 s7, exec_lo, s7
	s_cbranch_execz .LBB147_11
; %bb.482:                              ;   in Loop: Header=BB147_12 Depth=1
	s_mov_b32 s9, -1
	s_mov_b32 s10, exec_lo
	v_cmpx_eq_u32_e32 0, v8
	s_cbranch_execz .LBB147_10
; %bb.483:                              ;   in Loop: Header=BB147_12 Depth=1
	s_xor_b32 s85, s85, 1
	s_add_i32 s11, s89, -2
	s_cmp_eq_u32 s89, 0
	s_mov_b32 s89, s11
	s_cselect_b32 s8, -1, 0
	s_xor_b32 s9, exec_lo, -1
	s_or_not1_b32 s8, s8, exec_lo
	s_branch .LBB147_10
.LBB147_484:
	s_or_b32 exec_lo, exec_lo, s83
	s_xor_b32 s7, s90, -1
	s_xor_b32 s9, s87, -1
	;; [unrolled: 1-line block ×5, first 2 shown]
	s_mov_b32 s8, 0
	s_and_saveexec_b32 s12, s11
	s_delay_alu instid0(SALU_CYCLE_1)
	s_xor_b32 s12, exec_lo, s12
	s_cbranch_execz .LBB147_541
; %bb.485:
	s_and_saveexec_b32 s11, s10
	s_delay_alu instid0(SALU_CYCLE_1)
	s_xor_b32 s13, exec_lo, s11
	s_cbranch_execz .LBB147_539
; %bb.486:
	;; [unrolled: 5-line block ×4, first 2 shown]
	s_and_saveexec_b32 s7, s6
	s_delay_alu instid0(SALU_CYCLE_1)
	s_xor_b32 s6, exec_lo, s7
; %bb.489:
	v_xor_b32_e32 v3, 0x80000000, v21
; %bb.490:
	s_or_b32 exec_lo, exec_lo, s6
	s_and_saveexec_b32 s6, s5
	s_cbranch_execz .LBB147_492
; %bb.491:
	v_mov_b32_e32 v4, 0
	s_delay_alu instid0(VALU_DEP_1)
	v_mov_b32_e32 v5, v4
	ds_store_b64 v4, v[4:5] offset:5136
.LBB147_492:
	s_or_b32 exec_lo, exec_lo, s6
	v_mov_b32_e32 v2, 0
	s_waitcnt lgkmcnt(0)
	s_barrier
	buffer_gl0_inv
	s_and_saveexec_b32 s5, s4
	s_cbranch_execz .LBB147_494
; %bb.493:
	global_load_b32 v2, v[10:11], off
.LBB147_494:
	s_or_b32 exec_lo, exec_lo, s5
	s_add_u32 s5, s36, 31
	s_addc_u32 s7, s37, 0
	s_and_b32 s6, s5, 0xffffffe0
	s_mul_i32 s5, s48, s51
	s_mul_hi_u32 s8, s48, s50
	s_mul_i32 s9, s48, s50
	s_add_i32 s8, s8, s5
	s_sub_u32 s5, s34, s9
	s_subb_u32 s8, 0, s8
	s_mul_i32 s9, s5, s47
	s_mul_hi_u32 s10, s5, s46
	s_mul_i32 s8, s8, s46
	s_add_i32 s9, s10, s9
	s_mul_i32 s16, s5, s46
	s_add_i32 s17, s9, s8
	s_mul_i32 s8, s48, s45
	s_mul_hi_u32 s9, s48, s44
	s_mul_i32 s5, s52, s29
	s_add_i32 s9, s9, s8
	s_mul_hi_u32 s8, s52, s28
	s_mul_i32 s10, s52, s28
	s_add_i32 s5, s8, s5
	s_sub_u32 s18, s34, s10
	s_subb_u32 s5, 0, s5
	s_mul_i32 s10, s18, s43
	s_mul_hi_u32 s11, s18, s42
	s_mul_i32 s8, s48, s44
	s_add_i32 s10, s11, s10
	s_mul_i32 s5, s5, s42
	s_mul_i32 s11, s52, s41
	s_mul_hi_u32 s20, s52, s40
	s_add_i32 s19, s10, s5
	s_add_i32 s21, s20, s11
	s_lshl_b64 s[22:23], s[8:9], 2
	s_clause 0x1
	s_load_b64 s[8:9], s[0:1], 0x368
	s_load_b64 s[10:11], s[0:1], 0x510
	s_add_u32 s0, s56, s22
	s_addc_u32 s5, s57, s23
	s_lshl_b64 s[16:17], s[16:17], 2
	s_mul_i32 s20, s52, s40
	s_add_u32 s1, s0, s16
	s_addc_u32 s5, s5, s17
	s_lshl_b64 s[16:17], s[20:21], 3
	s_mul_i32 s18, s18, s42
	s_add_u32 s0, s102, s16
	s_addc_u32 s20, s103, s17
	s_lshl_b64 s[16:17], s[18:19], 3
	s_mov_b32 s19, 0
	s_add_u32 s16, s0, s16
	s_addc_u32 s17, s20, s17
	s_mov_b32 s0, -1
	s_mov_b32 s18, 0
	s_mov_b32 s20, exec_lo
	v_cmpx_gt_u64_e64 s[6:7], v[0:1]
	s_cbranch_execz .LBB147_510
; %bb.495:
	v_mov_b32_e32 v13, v1
	v_xor_b32_e32 v16, 0x80000000, v3
	v_dual_mov_b32 v5, 0 :: v_dual_mov_b32 v12, v0
                                        ; implicit-def: $sgpr21
                                        ; implicit-def: $vgpr8_vgpr9
	s_branch .LBB147_497
.LBB147_496:                            ;   in Loop: Header=BB147_497 Depth=1
	s_or_b32 exec_lo, exec_lo, s22
	s_xor_b32 s22, s24, -1
	s_and_b32 s0, exec_lo, s0
	v_dual_mov_b32 v2, v17 :: v_dual_mov_b32 v13, v7
	s_or_b32 s18, s0, s18
	v_mov_b32_e32 v12, v6
	s_and_not1_b32 s0, s21, exec_lo
	s_and_b32 s21, s22, exec_lo
	s_delay_alu instid0(SALU_CYCLE_1)
	s_or_b32 s21, s0, s21
	s_and_not1_b32 exec_lo, exec_lo, s18
	s_cbranch_execz .LBB147_509
.LBB147_497:                            ; =>This Inner Loop Header: Depth=1
	s_delay_alu instid0(VALU_DEP_1) | instskip(SKIP_3) | instid1(VALU_DEP_2)
	v_add_co_u32 v6, vcc_lo, v12, s49
	v_add_co_ci_u32_e32 v7, vcc_lo, 0, v13, vcc_lo
	v_mov_b32_e32 v17, 0
	s_mov_b32 s0, exec_lo
	v_cmpx_gt_u64_e64 s[36:37], v[6:7]
	s_cbranch_execz .LBB147_499
; %bb.498:                              ;   in Loop: Header=BB147_497 Depth=1
	v_mul_lo_u32 v4, v7, s30
	v_mul_lo_u32 v17, v6, s31
	v_mad_u64_u32 v[14:15], null, v6, s30, 0
	s_delay_alu instid0(VALU_DEP_1) | instskip(NEXT) | instid1(VALU_DEP_1)
	v_add3_u32 v15, v15, v17, v4
	v_lshlrev_b64 v[14:15], 2, v[14:15]
	s_delay_alu instid0(VALU_DEP_1) | instskip(NEXT) | instid1(VALU_DEP_2)
	v_add_co_u32 v14, vcc_lo, s33, v14
	v_add_co_ci_u32_e32 v15, vcc_lo, s35, v15, vcc_lo
	global_load_b32 v17, v[14:15], off
.LBB147_499:                            ;   in Loop: Header=BB147_497 Depth=1
	s_or_b32 exec_lo, exec_lo, s0
	s_waitcnt vmcnt(0)
	v_xor_b32_e32 v4, 0x80000000, v2
	s_delay_alu instid0(VALU_DEP_1) | instskip(SKIP_4) | instid1(VALU_DEP_2)
	v_cmp_gt_u32_e32 vcc_lo, v4, v16
	v_cndmask_b32_e64 v14, 0, 1, vcc_lo
	v_cmp_lt_u32_e32 vcc_lo, v4, v16
	v_cndmask_b32_e64 v4, 0, 1, vcc_lo
	v_cmp_gt_u64_e32 vcc_lo, s[36:37], v[12:13]
	v_cndmask_b32_e64 v4, v4, v14, s3
	s_delay_alu instid0(VALU_DEP_1) | instskip(NEXT) | instid1(VALU_DEP_1)
	v_and_b32_e32 v4, 1, v4
	v_cmp_eq_u32_e64 s0, 1, v4
	s_delay_alu instid0(VALU_DEP_1) | instskip(NEXT) | instid1(SALU_CYCLE_1)
	s_and_b32 s23, vcc_lo, s0
	v_cndmask_b32_e64 v4, 0, 1, s23
	s_delay_alu instid0(VALU_DEP_1) | instskip(SKIP_2) | instid1(SALU_CYCLE_1)
	v_cmp_ne_u32_e32 vcc_lo, 0, v4
	s_cmp_lg_u32 vcc_lo, 0
	s_cselect_b32 s0, -1, 0
	s_and_b32 s0, s2, s0
	s_delay_alu instid0(SALU_CYCLE_1)
	s_and_saveexec_b32 s22, s0
	s_cbranch_execz .LBB147_503
; %bb.500:                              ;   in Loop: Header=BB147_497 Depth=1
	s_mov_b32 s26, exec_lo
	s_bcnt1_i32_b32 s24, vcc_lo
	v_mbcnt_lo_u32_b32 v14, s26, 0
	s_mov_b32 s25, exec_lo
                                        ; implicit-def: $vgpr8_vgpr9
	s_delay_alu instid0(VALU_DEP_1)
	v_cmpx_eq_u32_e32 0, v14
	s_cbranch_execz .LBB147_502
; %bb.501:                              ;   in Loop: Header=BB147_497 Depth=1
	s_bcnt1_i32_b32 s0, s26
	s_delay_alu instid0(SALU_CYCLE_1) | instskip(NEXT) | instid1(SALU_CYCLE_1)
	s_mul_i32 s0, s24, s0
	v_mov_b32_e32 v4, s0
	s_waitcnt lgkmcnt(0)
	ds_add_rtn_u64 v[8:9], v5, v[4:5] offset:5136
.LBB147_502:                            ;   in Loop: Header=BB147_497 Depth=1
	s_or_b32 exec_lo, exec_lo, s25
	s_waitcnt lgkmcnt(0)
	v_readfirstlane_b32 s27, v9
	v_readfirstlane_b32 s26, v8
	s_delay_alu instid0(VALU_DEP_1)
	v_mad_u64_u32 v[8:9], null, s24, v14, s[26:27]
.LBB147_503:                            ;   in Loop: Header=BB147_497 Depth=1
	s_or_b32 exec_lo, exec_lo, s22
	s_waitcnt lgkmcnt(0)
	ds_bpermute_b32 v8, v5, v8
	ds_bpermute_b32 v9, v5, v9
	s_mov_b32 s0, -1
	s_mov_b32 s25, -1
                                        ; implicit-def: $sgpr24
	s_and_saveexec_b32 s22, s23
	s_cbranch_execz .LBB147_507
; %bb.504:                              ;   in Loop: Header=BB147_497 Depth=1
	v_and_b32_e32 v4, vcc_lo, v25
	s_mov_b32 s23, 0
	s_mov_b32 s24, exec_lo
	s_delay_alu instid0(VALU_DEP_1) | instskip(SKIP_1) | instid1(VALU_DEP_1)
	v_bcnt_u32_b32 v4, v4, 0
	s_waitcnt lgkmcnt(0)
	v_add_co_u32 v14, vcc_lo, v8, v4
	v_add_co_ci_u32_e32 v15, vcc_lo, 0, v9, vcc_lo
	s_delay_alu instid0(VALU_DEP_1)
	v_cmpx_gt_u64_e64 s[38:39], v[14:15]
	s_cbranch_execz .LBB147_506
; %bb.505:                              ;   in Loop: Header=BB147_497 Depth=1
	v_mul_lo_u32 v4, v15, s8
	v_mul_lo_u32 v22, v14, s9
	v_mad_u64_u32 v[18:19], null, v14, s8, 0
	v_mul_lo_u32 v15, v15, s10
	v_mul_lo_u32 v23, v14, s11
	v_mad_u64_u32 v[20:21], null, v14, s10, 0
	s_mov_b32 s23, exec_lo
	s_delay_alu instid0(VALU_DEP_4) | instskip(NEXT) | instid1(VALU_DEP_2)
	v_add3_u32 v19, v19, v22, v4
	v_add3_u32 v21, v21, v23, v15
	s_delay_alu instid0(VALU_DEP_2) | instskip(NEXT) | instid1(VALU_DEP_2)
	v_lshlrev_b64 v[14:15], 2, v[18:19]
	v_lshlrev_b64 v[18:19], 3, v[20:21]
	s_delay_alu instid0(VALU_DEP_2) | instskip(NEXT) | instid1(VALU_DEP_3)
	v_add_co_u32 v14, vcc_lo, s1, v14
	v_add_co_ci_u32_e32 v15, vcc_lo, s5, v15, vcc_lo
	s_delay_alu instid0(VALU_DEP_3) | instskip(NEXT) | instid1(VALU_DEP_4)
	v_add_co_u32 v18, vcc_lo, s16, v18
	v_add_co_ci_u32_e32 v19, vcc_lo, s17, v19, vcc_lo
	global_store_b32 v[14:15], v2, off
	global_store_b64 v[18:19], v[12:13], off
.LBB147_506:                            ;   in Loop: Header=BB147_497 Depth=1
	s_or_b32 exec_lo, exec_lo, s24
	s_mov_b32 s24, -1
	s_or_not1_b32 s25, s23, exec_lo
.LBB147_507:                            ;   in Loop: Header=BB147_497 Depth=1
	s_or_b32 exec_lo, exec_lo, s22
	s_and_saveexec_b32 s22, s25
	s_cbranch_execz .LBB147_496
; %bb.508:                              ;   in Loop: Header=BB147_497 Depth=1
	v_cmp_le_u64_e32 vcc_lo, s[6:7], v[6:7]
	s_and_not1_b32 s24, s24, exec_lo
	s_or_not1_b32 s0, vcc_lo, exec_lo
	s_branch .LBB147_496
.LBB147_509:
	s_or_b32 exec_lo, exec_lo, s18
	s_delay_alu instid0(SALU_CYCLE_1)
	s_mov_b32 s18, exec_lo
	s_or_not1_b32 s0, s21, exec_lo
.LBB147_510:
	s_or_b32 exec_lo, exec_lo, s20
	s_and_saveexec_b32 s3, s0
	s_cbranch_execz .LBB147_533
; %bb.511:
	s_waitcnt vmcnt(0)
	v_dual_mov_b32 v5, 0 :: v_dual_mov_b32 v2, 0
	s_waitcnt lgkmcnt(0)
	s_waitcnt_vscnt null, 0x0
	s_barrier
	buffer_gl0_inv
	s_and_saveexec_b32 s0, s4
	s_cbranch_execz .LBB147_513
; %bb.512:
	global_load_b32 v2, v[10:11], off
.LBB147_513:
	s_or_b32 exec_lo, exec_lo, s0
	s_mov_b32 s19, 0
                                        ; implicit-def: $sgpr4
                                        ; implicit-def: $sgpr20
                                        ; implicit-def: $sgpr21
                                        ; implicit-def: $vgpr6_vgpr7
	s_branch .LBB147_516
.LBB147_514:                            ;   in Loop: Header=BB147_516 Depth=1
	s_or_b32 exec_lo, exec_lo, s24
	v_dual_mov_b32 v0, v8 :: v_dual_mov_b32 v1, v9
	s_and_not1_b32 s0, s21, exec_lo
	s_and_b32 s21, s26, exec_lo
	s_and_not1_b32 s20, s20, exec_lo
	s_and_b32 s23, s23, exec_lo
	s_or_b32 s21, s0, s21
	s_or_b32 s20, s20, s23
.LBB147_515:                            ;   in Loop: Header=BB147_516 Depth=1
	s_or_b32 exec_lo, exec_lo, s22
	s_xor_b32 s0, s21, -1
	s_and_b32 s22, exec_lo, s20
	s_delay_alu instid0(SALU_CYCLE_1) | instskip(SKIP_2) | instid1(SALU_CYCLE_1)
	s_or_b32 s19, s22, s19
	s_and_not1_b32 s4, s4, exec_lo
	s_and_b32 s0, s0, exec_lo
	s_or_b32 s4, s4, s0
	s_and_not1_b32 exec_lo, exec_lo, s19
	s_cbranch_execz .LBB147_531
.LBB147_516:                            ; =>This Inner Loop Header: Depth=1
	s_or_b32 s21, s21, exec_lo
	s_or_b32 s20, s20, exec_lo
	s_mov_b32 s22, exec_lo
	v_cmpx_gt_u64_e64 s[6:7], v[0:1]
	s_cbranch_execz .LBB147_515
; %bb.517:                              ;   in Loop: Header=BB147_516 Depth=1
	v_add_co_u32 v8, vcc_lo, v0, s49
	v_add_co_ci_u32_e32 v9, vcc_lo, 0, v1, vcc_lo
	v_mov_b32_e32 v12, 0
	s_mov_b32 s0, exec_lo
	s_delay_alu instid0(VALU_DEP_2)
	v_cmpx_gt_u64_e64 s[36:37], v[8:9]
	s_cbranch_execz .LBB147_519
; %bb.518:                              ;   in Loop: Header=BB147_516 Depth=1
	v_mul_lo_u32 v4, v9, s30
	v_mul_lo_u32 v12, v8, s31
	v_mad_u64_u32 v[10:11], null, v8, s30, 0
	s_delay_alu instid0(VALU_DEP_1) | instskip(NEXT) | instid1(VALU_DEP_1)
	v_add3_u32 v11, v11, v12, v4
	v_lshlrev_b64 v[10:11], 2, v[10:11]
	s_delay_alu instid0(VALU_DEP_1) | instskip(NEXT) | instid1(VALU_DEP_2)
	v_add_co_u32 v10, vcc_lo, s33, v10
	v_add_co_ci_u32_e32 v11, vcc_lo, s35, v11, vcc_lo
	global_load_b32 v12, v[10:11], off
.LBB147_519:                            ;   in Loop: Header=BB147_516 Depth=1
	s_or_b32 exec_lo, exec_lo, s0
	v_cmp_gt_u64_e32 vcc_lo, s[36:37], v[0:1]
	s_waitcnt vmcnt(0)
	v_cmp_eq_u32_e64 s0, v2, v3
	s_delay_alu instid0(VALU_DEP_1) | instskip(NEXT) | instid1(SALU_CYCLE_1)
	s_and_b32 s24, vcc_lo, s0
	v_cndmask_b32_e64 v4, 0, 1, s24
	s_delay_alu instid0(VALU_DEP_1) | instskip(SKIP_2) | instid1(SALU_CYCLE_1)
	v_cmp_ne_u32_e32 vcc_lo, 0, v4
	s_cmp_lg_u32 vcc_lo, 0
	s_cselect_b32 s0, -1, 0
	s_and_b32 s0, s2, s0
	s_delay_alu instid0(SALU_CYCLE_1)
	s_and_saveexec_b32 s23, s0
	s_cbranch_execz .LBB147_523
; %bb.520:                              ;   in Loop: Header=BB147_516 Depth=1
	s_mov_b32 s27, exec_lo
	s_bcnt1_i32_b32 s25, vcc_lo
	v_mbcnt_lo_u32_b32 v10, s27, 0
	s_mov_b32 s26, exec_lo
                                        ; implicit-def: $vgpr6_vgpr7
	s_delay_alu instid0(VALU_DEP_1)
	v_cmpx_eq_u32_e32 0, v10
	s_cbranch_execz .LBB147_522
; %bb.521:                              ;   in Loop: Header=BB147_516 Depth=1
	s_bcnt1_i32_b32 s0, s27
	s_delay_alu instid0(SALU_CYCLE_1) | instskip(NEXT) | instid1(SALU_CYCLE_1)
	s_mul_i32 s0, s25, s0
	v_mov_b32_e32 v4, s0
	ds_add_rtn_u64 v[6:7], v5, v[4:5] offset:5136
.LBB147_522:                            ;   in Loop: Header=BB147_516 Depth=1
	s_or_b32 exec_lo, exec_lo, s26
	s_waitcnt lgkmcnt(0)
	v_readfirstlane_b32 s27, v7
	v_readfirstlane_b32 s26, v6
	s_delay_alu instid0(VALU_DEP_1)
	v_mad_u64_u32 v[6:7], null, s25, v10, s[26:27]
.LBB147_523:                            ;   in Loop: Header=BB147_516 Depth=1
	s_or_b32 exec_lo, exec_lo, s23
	ds_bpermute_b32 v6, v5, v6
	ds_bpermute_b32 v7, v5, v7
	s_cmp_eq_u32 vcc_lo, 0
	s_mov_b32 s23, -1
	s_cselect_b32 s25, -1, 0
	s_mov_b32 s26, -1
	s_waitcnt lgkmcnt(0)
	v_cmp_gt_u64_e64 s0, s[38:39], v[6:7]
	s_delay_alu instid0(VALU_DEP_1) | instskip(SKIP_3) | instid1(SALU_CYCLE_1)
	s_or_b32 s0, s25, s0
	s_mov_b32 s25, -1
	v_cndmask_b32_e64 v2, v2, v12, s0
	s_and_b32 s27, s24, s0
	s_and_saveexec_b32 s24, s27
	s_cbranch_execz .LBB147_529
; %bb.524:                              ;   in Loop: Header=BB147_516 Depth=1
	v_and_b32_e32 v2, vcc_lo, v25
	v_sub_co_u32 v10, vcc_lo, s38, v6
	v_sub_co_ci_u32_e32 v11, vcc_lo, s39, v7, vcc_lo
	s_delay_alu instid0(VALU_DEP_3) | instskip(SKIP_2) | instid1(VALU_DEP_1)
	v_bcnt_u32_b32 v4, v2, 0
	s_mov_b32 s27, -1
	s_mov_b32 s26, exec_lo
	v_cmp_le_u64_e64 s25, v[10:11], v[4:5]
	v_cmpx_gt_u64_e64 v[10:11], v[4:5]
	s_cbranch_execz .LBB147_528
; %bb.525:                              ;   in Loop: Header=BB147_516 Depth=1
	v_add_co_u32 v10, vcc_lo, v6, v4
	v_add_co_ci_u32_e32 v11, vcc_lo, 0, v7, vcc_lo
	s_delay_alu instid0(VALU_DEP_4) | instskip(SKIP_1) | instid1(VALU_DEP_1)
	s_mov_b32 s28, s25
	s_mov_b32 s27, exec_lo
	v_cmpx_gt_u64_e64 s[38:39], v[10:11]
	s_cbranch_execz .LBB147_527
; %bb.526:                              ;   in Loop: Header=BB147_516 Depth=1
	v_mul_lo_u32 v2, v11, s8
	v_mul_lo_u32 v4, v10, s9
	v_mad_u64_u32 v[13:14], null, v10, s8, 0
	v_mul_lo_u32 v11, v11, s10
	v_mul_lo_u32 v17, v10, s11
	v_mad_u64_u32 v[15:16], null, v10, s10, 0
	s_or_b32 s28, s25, exec_lo
	s_delay_alu instid0(VALU_DEP_4) | instskip(NEXT) | instid1(VALU_DEP_2)
	v_add3_u32 v14, v14, v4, v2
	v_add3_u32 v16, v16, v17, v11
	s_delay_alu instid0(VALU_DEP_2) | instskip(NEXT) | instid1(VALU_DEP_2)
	v_lshlrev_b64 v[10:11], 2, v[13:14]
	v_lshlrev_b64 v[13:14], 3, v[15:16]
	s_delay_alu instid0(VALU_DEP_2) | instskip(NEXT) | instid1(VALU_DEP_3)
	v_add_co_u32 v10, vcc_lo, s1, v10
	v_add_co_ci_u32_e32 v11, vcc_lo, s5, v11, vcc_lo
	s_delay_alu instid0(VALU_DEP_3) | instskip(NEXT) | instid1(VALU_DEP_4)
	v_add_co_u32 v13, vcc_lo, s16, v13
	v_add_co_ci_u32_e32 v14, vcc_lo, s17, v14, vcc_lo
	global_store_b32 v[10:11], v3, off
	global_store_b64 v[13:14], v[0:1], off
.LBB147_527:                            ;   in Loop: Header=BB147_516 Depth=1
	s_or_b32 exec_lo, exec_lo, s27
	s_delay_alu instid0(SALU_CYCLE_1)
	s_and_not1_b32 s25, s25, exec_lo
	s_and_b32 s28, s28, exec_lo
	s_xor_b32 s27, exec_lo, -1
	s_or_b32 s25, s25, s28
.LBB147_528:                            ;   in Loop: Header=BB147_516 Depth=1
	s_or_b32 exec_lo, exec_lo, s26
	v_mov_b32_e32 v2, v12
	s_or_not1_b32 s26, s27, exec_lo
	s_or_b32 s0, s0, exec_lo
	s_or_not1_b32 s25, s25, exec_lo
.LBB147_529:                            ;   in Loop: Header=BB147_516 Depth=1
	s_or_b32 exec_lo, exec_lo, s24
	s_and_saveexec_b32 s24, s25
	s_cbranch_execz .LBB147_514
; %bb.530:                              ;   in Loop: Header=BB147_516 Depth=1
	s_xor_b32 s0, s0, -1
	s_or_b32 s26, s26, exec_lo
	s_or_not1_b32 s23, s0, exec_lo
	s_branch .LBB147_514
.LBB147_531:
	s_or_b32 exec_lo, exec_lo, s19
	s_mov_b32 s0, 0
	s_and_saveexec_b32 s1, s4
	s_delay_alu instid0(SALU_CYCLE_1)
	s_xor_b32 s1, exec_lo, s1
	s_cbranch_execnz .LBB147_563
.LBB147_532:
	s_or_b32 exec_lo, exec_lo, s1
	s_delay_alu instid0(SALU_CYCLE_1)
	s_and_b32 s19, s0, exec_lo
	s_and_not1_b32 s18, s18, exec_lo
.LBB147_533:
	s_or_b32 exec_lo, exec_lo, s3
	s_and_saveexec_b32 s0, s18
	s_delay_alu instid0(SALU_CYCLE_1)
	s_xor_b32 s0, exec_lo, s0
	s_cbranch_execnz .LBB147_559
.LBB147_534:
	s_or_b32 exec_lo, exec_lo, s0
	s_waitcnt lgkmcnt(0)
	s_and_b32 s8, s19, exec_lo
.LBB147_535:
	s_and_not1_saveexec_b32 s0, s15
	s_cbranch_execnz .LBB147_555
.LBB147_536:
	s_or_b32 exec_lo, exec_lo, s0
	s_delay_alu instid0(SALU_CYCLE_1)
	s_and_b32 s8, s8, exec_lo
.LBB147_537:
	s_and_not1_saveexec_b32 s0, s14
	s_cbranch_execnz .LBB147_551
.LBB147_538:
	s_or_b32 exec_lo, exec_lo, s0
	s_delay_alu instid0(SALU_CYCLE_1)
	s_and_b32 s8, s8, exec_lo
.LBB147_539:
	s_and_not1_saveexec_b32 s0, s13
	s_cbranch_execnz .LBB147_547
.LBB147_540:
	s_or_b32 exec_lo, exec_lo, s0
	s_delay_alu instid0(SALU_CYCLE_1)
	s_and_b32 s8, s8, exec_lo
.LBB147_541:
	s_and_not1_saveexec_b32 s0, s12
	s_cbranch_execnz .LBB147_545
; %bb.542:
	s_or_b32 exec_lo, exec_lo, s0
	s_and_saveexec_b32 s0, s8
.LBB147_543:
	; divergent unreachable
.LBB147_544:
	s_nop 0
	s_sendmsg sendmsg(MSG_DEALLOC_VGPRS)
	s_endpgm
.LBB147_545:
	s_cbranch_execnz .LBB147_549
; %bb.546:
	s_or_b32 s8, s8, exec_lo
	s_or_b32 exec_lo, exec_lo, s0
	s_and_saveexec_b32 s0, s8
	s_cbranch_execnz .LBB147_543
	s_branch .LBB147_544
.LBB147_547:
	s_cbranch_execnz .LBB147_553
; %bb.548:
	s_or_b32 s8, s8, exec_lo
	s_branch .LBB147_540
.LBB147_549:
	s_trap 2
	s_sendmsg_rtn_b32 s0, sendmsg(MSG_RTN_GET_DOORBELL)
	s_mov_b32 ttmp2, m0
	s_waitcnt lgkmcnt(0)
	s_and_b32 s0, s0, 0x3ff
	s_delay_alu instid0(SALU_CYCLE_1) | instskip(NEXT) | instid1(SALU_CYCLE_1)
	s_bitset1_b32 s0, 10
	s_mov_b32 m0, s0
	s_sendmsg sendmsg(MSG_INTERRUPT)
	s_mov_b32 m0, ttmp2
.LBB147_550:                            ; =>This Inner Loop Header: Depth=1
	s_sethalt 5
	s_branch .LBB147_550
.LBB147_551:
	s_cbranch_execnz .LBB147_557
; %bb.552:
	s_or_b32 s8, s8, exec_lo
	s_branch .LBB147_538
.LBB147_553:
	s_trap 2
	s_sendmsg_rtn_b32 s0, sendmsg(MSG_RTN_GET_DOORBELL)
	s_mov_b32 ttmp2, m0
	s_waitcnt lgkmcnt(0)
	s_and_b32 s0, s0, 0x3ff
	s_delay_alu instid0(SALU_CYCLE_1) | instskip(NEXT) | instid1(SALU_CYCLE_1)
	s_bitset1_b32 s0, 10
	s_mov_b32 m0, s0
	s_sendmsg sendmsg(MSG_INTERRUPT)
	s_mov_b32 m0, ttmp2
.LBB147_554:                            ; =>This Inner Loop Header: Depth=1
	s_sethalt 5
	s_branch .LBB147_554
.LBB147_555:
	s_cbranch_execnz .LBB147_561
; %bb.556:
	s_or_b32 s8, s8, exec_lo
	s_branch .LBB147_536
.LBB147_557:
	s_trap 2
	s_sendmsg_rtn_b32 s0, sendmsg(MSG_RTN_GET_DOORBELL)
	s_mov_b32 ttmp2, m0
	s_waitcnt lgkmcnt(0)
	s_and_b32 s0, s0, 0x3ff
	s_delay_alu instid0(SALU_CYCLE_1) | instskip(NEXT) | instid1(SALU_CYCLE_1)
	s_bitset1_b32 s0, 10
	s_mov_b32 m0, s0
	s_sendmsg sendmsg(MSG_INTERRUPT)
	s_mov_b32 m0, ttmp2
.LBB147_558:                            ; =>This Inner Loop Header: Depth=1
	s_sethalt 5
	s_branch .LBB147_558
.LBB147_559:
	s_cbranch_execnz .LBB147_565
; %bb.560:
	s_or_b32 s19, s19, exec_lo
	s_branch .LBB147_534
.LBB147_561:
	s_trap 2
	s_sendmsg_rtn_b32 s0, sendmsg(MSG_RTN_GET_DOORBELL)
	s_mov_b32 ttmp2, m0
	s_waitcnt lgkmcnt(0)
	s_and_b32 s0, s0, 0x3ff
	s_delay_alu instid0(SALU_CYCLE_1) | instskip(NEXT) | instid1(SALU_CYCLE_1)
	s_bitset1_b32 s0, 10
	s_mov_b32 m0, s0
	s_sendmsg sendmsg(MSG_INTERRUPT)
	s_mov_b32 m0, ttmp2
.LBB147_562:                            ; =>This Inner Loop Header: Depth=1
	s_sethalt 5
	s_branch .LBB147_562
.LBB147_563:
	s_cbranch_execnz .LBB147_567
; %bb.564:
	s_mov_b32 s0, exec_lo
	s_branch .LBB147_532
.LBB147_565:
	s_trap 2
	s_sendmsg_rtn_b32 s0, sendmsg(MSG_RTN_GET_DOORBELL)
	s_mov_b32 ttmp2, m0
	s_waitcnt lgkmcnt(0)
	s_and_b32 s0, s0, 0x3ff
	s_delay_alu instid0(SALU_CYCLE_1) | instskip(NEXT) | instid1(SALU_CYCLE_1)
	s_bitset1_b32 s0, 10
	s_mov_b32 m0, s0
	s_sendmsg sendmsg(MSG_INTERRUPT)
	s_mov_b32 m0, ttmp2
.LBB147_566:                            ; =>This Inner Loop Header: Depth=1
	s_sethalt 5
	s_branch .LBB147_566
.LBB147_567:
	s_trap 2
	s_sendmsg_rtn_b32 s0, sendmsg(MSG_RTN_GET_DOORBELL)
	s_mov_b32 ttmp2, m0
	s_waitcnt lgkmcnt(0)
	s_and_b32 s0, s0, 0x3ff
	s_delay_alu instid0(SALU_CYCLE_1) | instskip(NEXT) | instid1(SALU_CYCLE_1)
	s_bitset1_b32 s0, 10
	s_mov_b32 m0, s0
	s_sendmsg sendmsg(MSG_INTERRUPT)
	s_mov_b32 m0, ttmp2
.LBB147_568:                            ; =>This Inner Loop Header: Depth=1
	s_sethalt 5
	s_branch .LBB147_568
	.section	.rodata,"a",@progbits
	.p2align	6, 0x0
	.amdhsa_kernel _ZN2at6native6sbtopk10gatherTopKIimLi2ELb0EEEvNS_4cuda6detail10TensorInfoIKT_T0_EES8_S8_bS8_S8_NS5_IS6_S8_EES8_NS5_IlS8_EES8_PS6_
		.amdhsa_group_segment_fixed_size 5152
		.amdhsa_private_segment_fixed_size 0
		.amdhsa_kernarg_size 1568
		.amdhsa_user_sgpr_count 13
		.amdhsa_user_sgpr_dispatch_ptr 0
		.amdhsa_user_sgpr_queue_ptr 0
		.amdhsa_user_sgpr_kernarg_segment_ptr 1
		.amdhsa_user_sgpr_dispatch_id 0
		.amdhsa_user_sgpr_private_segment_size 0
		.amdhsa_wavefront_size32 1
		.amdhsa_uses_dynamic_stack 0
		.amdhsa_enable_private_segment 0
		.amdhsa_system_sgpr_workgroup_id_x 1
		.amdhsa_system_sgpr_workgroup_id_y 1
		.amdhsa_system_sgpr_workgroup_id_z 1
		.amdhsa_system_sgpr_workgroup_info 0
		.amdhsa_system_vgpr_workitem_id 0
		.amdhsa_next_free_vgpr 37
		.amdhsa_next_free_sgpr 105
		.amdhsa_reserve_vcc 1
		.amdhsa_float_round_mode_32 0
		.amdhsa_float_round_mode_16_64 0
		.amdhsa_float_denorm_mode_32 3
		.amdhsa_float_denorm_mode_16_64 3
		.amdhsa_dx10_clamp 1
		.amdhsa_ieee_mode 1
		.amdhsa_fp16_overflow 0
		.amdhsa_workgroup_processor_mode 1
		.amdhsa_memory_ordered 1
		.amdhsa_forward_progress 0
		.amdhsa_shared_vgpr_count 0
		.amdhsa_exception_fp_ieee_invalid_op 0
		.amdhsa_exception_fp_denorm_src 0
		.amdhsa_exception_fp_ieee_div_zero 0
		.amdhsa_exception_fp_ieee_overflow 0
		.amdhsa_exception_fp_ieee_underflow 0
		.amdhsa_exception_fp_ieee_inexact 0
		.amdhsa_exception_int_div_zero 0
	.end_amdhsa_kernel
	.section	.text._ZN2at6native6sbtopk10gatherTopKIimLi2ELb0EEEvNS_4cuda6detail10TensorInfoIKT_T0_EES8_S8_bS8_S8_NS5_IS6_S8_EES8_NS5_IlS8_EES8_PS6_,"axG",@progbits,_ZN2at6native6sbtopk10gatherTopKIimLi2ELb0EEEvNS_4cuda6detail10TensorInfoIKT_T0_EES8_S8_bS8_S8_NS5_IS6_S8_EES8_NS5_IlS8_EES8_PS6_,comdat
.Lfunc_end147:
	.size	_ZN2at6native6sbtopk10gatherTopKIimLi2ELb0EEEvNS_4cuda6detail10TensorInfoIKT_T0_EES8_S8_bS8_S8_NS5_IS6_S8_EES8_NS5_IlS8_EES8_PS6_, .Lfunc_end147-_ZN2at6native6sbtopk10gatherTopKIimLi2ELb0EEEvNS_4cuda6detail10TensorInfoIKT_T0_EES8_S8_bS8_S8_NS5_IS6_S8_EES8_NS5_IlS8_EES8_PS6_
                                        ; -- End function
	.section	.AMDGPU.csdata,"",@progbits
; Kernel info:
; codeLenInByte = 28972
; NumSgprs: 107
; NumVgprs: 37
; ScratchSize: 0
; MemoryBound: 0
; FloatMode: 240
; IeeeMode: 1
; LDSByteSize: 5152 bytes/workgroup (compile time only)
; SGPRBlocks: 13
; VGPRBlocks: 4
; NumSGPRsForWavesPerEU: 107
; NumVGPRsForWavesPerEU: 37
; Occupancy: 16
; WaveLimiterHint : 1
; COMPUTE_PGM_RSRC2:SCRATCH_EN: 0
; COMPUTE_PGM_RSRC2:USER_SGPR: 13
; COMPUTE_PGM_RSRC2:TRAP_HANDLER: 0
; COMPUTE_PGM_RSRC2:TGID_X_EN: 1
; COMPUTE_PGM_RSRC2:TGID_Y_EN: 1
; COMPUTE_PGM_RSRC2:TGID_Z_EN: 1
; COMPUTE_PGM_RSRC2:TIDIG_COMP_CNT: 0
	.section	.text._ZN2at6native6mbtopk23computeBlockDigitCountsIimjLi3EEEvNS_4cuda6detail10TensorInfoIKT_T0_EEjPjjS8_iijT1_PSB_Ps,"axG",@progbits,_ZN2at6native6mbtopk23computeBlockDigitCountsIimjLi3EEEvNS_4cuda6detail10TensorInfoIKT_T0_EEjPjjS8_iijT1_PSB_Ps,comdat
	.protected	_ZN2at6native6mbtopk23computeBlockDigitCountsIimjLi3EEEvNS_4cuda6detail10TensorInfoIKT_T0_EEjPjjS8_iijT1_PSB_Ps ; -- Begin function _ZN2at6native6mbtopk23computeBlockDigitCountsIimjLi3EEEvNS_4cuda6detail10TensorInfoIKT_T0_EEjPjjS8_iijT1_PSB_Ps
	.globl	_ZN2at6native6mbtopk23computeBlockDigitCountsIimjLi3EEEvNS_4cuda6detail10TensorInfoIKT_T0_EEjPjjS8_iijT1_PSB_Ps
	.p2align	8
	.type	_ZN2at6native6mbtopk23computeBlockDigitCountsIimjLi3EEEvNS_4cuda6detail10TensorInfoIKT_T0_EEjPjjS8_iijT1_PSB_Ps,@function
_ZN2at6native6mbtopk23computeBlockDigitCountsIimjLi3EEEvNS_4cuda6detail10TensorInfoIKT_T0_EEjPjjS8_iijT1_PSB_Ps: ; @_ZN2at6native6mbtopk23computeBlockDigitCountsIimjLi3EEEvNS_4cuda6detail10TensorInfoIKT_T0_EEjPjjS8_iijT1_PSB_Ps
; %bb.0:
	s_clause 0x2
	s_load_b128 s[8:11], s[0:1], 0x1c0
	s_load_b32 s5, s[0:1], 0x1b0
	s_load_b64 s[2:3], s[0:1], 0x1e0
	s_waitcnt lgkmcnt(0)
	v_cvt_f32_u32_e32 v1, s10
	s_sub_i32 s6, 0, s10
	s_mul_i32 s3, s3, s15
	s_delay_alu instid0(SALU_CYCLE_1) | instskip(NEXT) | instid1(VALU_DEP_1)
	s_add_i32 s3, s3, s14
	v_rcp_iflag_f32_e32 v1, v1
	s_mul_i32 s24, s3, s2
	s_delay_alu instid0(SALU_CYCLE_1) | instskip(SKIP_2) | instid1(VALU_DEP_1)
	s_add_i32 s24, s24, s13
	s_waitcnt_depctr 0xfff
	v_mul_f32_e32 v1, 0x4f7ffffe, v1
	v_cvt_u32_f32_e32 v1, v1
	s_delay_alu instid0(VALU_DEP_1) | instskip(NEXT) | instid1(VALU_DEP_1)
	v_readfirstlane_b32 s4, v1
	s_mul_i32 s6, s6, s4
	s_delay_alu instid0(SALU_CYCLE_1) | instskip(NEXT) | instid1(SALU_CYCLE_1)
	s_mul_hi_u32 s2, s4, s6
	s_add_i32 s4, s4, s2
	s_delay_alu instid0(SALU_CYCLE_1) | instskip(NEXT) | instid1(SALU_CYCLE_1)
	s_mul_hi_u32 s2, s24, s4
	s_mul_i32 s3, s2, s10
	s_add_i32 s4, s2, 1
	s_sub_i32 s3, s24, s3
	s_delay_alu instid0(SALU_CYCLE_1)
	s_sub_i32 s6, s3, s10
	s_cmp_ge_u32 s3, s10
	s_cselect_b32 s2, s4, s2
	s_cselect_b32 s3, s6, s3
	s_add_i32 s4, s2, 1
	s_cmp_ge_u32 s3, s10
	s_mov_b32 s3, 0
	s_cselect_b32 s2, s4, s2
	s_delay_alu instid0(SALU_CYCLE_1)
	s_cmp_ge_u32 s2, s5
	s_cbranch_scc1 .LBB148_27
; %bb.1:
	s_clause 0x1
	s_load_b128 s[12:15], s[0:1], 0x10
	s_load_b128 s[4:7], s[0:1], 0x1d0
	s_lshl_b64 s[16:17], s[2:3], 2
	s_mov_b64 s[20:21], 0
	s_waitcnt lgkmcnt(0)
	v_cmp_lt_u64_e64 s18, s[2:3], s[14:15]
	s_add_u32 s22, s4, s16
	s_addc_u32 s23, s5, s17
	s_mov_b64 s[4:5], 0
	s_delay_alu instid0(VALU_DEP_1)
	s_and_b32 vcc_lo, exec_lo, s18
	s_cbranch_vccz .LBB148_15
; %bb.2:
	v_cmp_lt_u64_e64 s3, s[20:21], s[12:13]
	s_delay_alu instid0(VALU_DEP_1)
	s_and_b32 vcc_lo, exec_lo, s3
	s_cbranch_vccz .LBB148_16
.LBB148_3:
	v_cmp_gt_u32_e32 vcc_lo, 0x100, v0
	v_lshlrev_b32_e32 v1, 2, v0
	s_and_saveexec_b32 s3, vcc_lo
	s_cbranch_execz .LBB148_5
.LBB148_4:
	v_mov_b32_e32 v2, 0
	ds_store_b32 v1, v2
.LBB148_5:
	s_or_b32 exec_lo, exec_lo, s3
	s_load_b32 s3, s[0:1], 0x1a0
	s_mul_i32 s5, s2, s10
	s_waitcnt lgkmcnt(0)
	s_sub_i32 s5, s24, s5
	s_barrier
	s_mul_i32 s16, s9, s5
	s_add_i32 s5, s5, 1
	s_lshl_b32 s25, s16, 8
	buffer_gl0_inv
	s_sub_i32 s16, s3, s25
	s_delay_alu instid0(SALU_CYCLE_1) | instskip(SKIP_4) | instid1(VALU_DEP_1)
	s_add_u32 s16, s16, 0xff
	s_addc_u32 s17, 0, 0
	s_cmp_lt_u32 s5, s10
	v_alignbit_b32 v2, s17, s16, 8
	s_mov_b32 s10, 0
	v_readfirstlane_b32 s16, v2
	s_delay_alu instid0(VALU_DEP_1) | instskip(NEXT) | instid1(SALU_CYCLE_1)
	s_cselect_b32 s9, s9, s16
	s_cmp_lt_i32 s9, 1
	s_cbranch_scc1 .LBB148_23
; %bb.6:
	s_clause 0x2
	s_load_b64 s[26:27], s[0:1], 0xe0
	s_load_b128 s[16:19], s[0:1], 0xd0
	s_load_b64 s[28:29], s[0:1], 0x0
	s_load_b32 s5, s[22:23], 0x0
	s_mul_i32 s15, s20, s15
	s_mul_hi_u32 s22, s20, s14
	s_mul_i32 s14, s20, s14
	s_add_i32 s22, s22, s15
	s_sub_u32 s2, s2, s14
	s_mul_i32 s23, s4, s13
	s_mul_hi_u32 s30, s4, s12
	s_mul_i32 s31, s4, s12
	s_load_b64 s[12:13], s[0:1], 0x1b8
	s_subb_u32 s0, 0, s22
	s_add_i32 s30, s30, s23
	v_add_nc_u32_e32 v2, s25, v0
	s_waitcnt lgkmcnt(0)
	s_mul_i32 s1, s2, s27
	s_mul_hi_u32 s14, s2, s26
	s_mul_i32 s15, s0, s26
	s_add_i32 s1, s14, s1
	s_mul_i32 s17, s4, s17
	s_add_i32 s15, s1, s15
	s_mul_hi_u32 s22, s4, s16
	s_mul_i32 s0, s4, s16
	s_sub_u32 s4, s20, s31
	s_subb_u32 s14, s21, s30
	s_add_i32 s1, s22, s17
	s_mul_i32 s16, s4, s19
	s_mul_hi_u32 s17, s4, s18
	s_mul_i32 s14, s14, s18
	s_add_i32 s16, s17, s16
	s_lshl_b64 s[0:1], s[0:1], 2
	s_add_i32 s17, s16, s14
	s_mul_i32 s16, s4, s18
	s_add_u32 s4, s28, s0
	s_addc_u32 s18, s29, s1
	s_lshl_b64 s[0:1], s[16:17], 2
	s_mul_i32 s14, s2, s26
	s_add_u32 s2, s4, s0
	s_addc_u32 s4, s18, s1
	s_lshl_b64 s[0:1], s[14:15], 2
	s_delay_alu instid0(SALU_CYCLE_1)
	s_add_u32 s2, s2, s0
	s_addc_u32 s4, s4, s1
	s_and_b32 s1, s8, 0xff
	s_cmp_eq_u32 s9, 1
	s_cbranch_scc1 .LBB148_18
; %bb.7:
	v_dual_mov_b32 v3, 1 :: v_dual_mov_b32 v4, v2
	s_and_b32 s8, s9, 0x7ffffffe
	s_branch .LBB148_9
.LBB148_8:                              ;   in Loop: Header=BB148_9 Depth=1
	s_or_b32 exec_lo, exec_lo, s14
	v_add_nc_u32_e32 v4, 0x200, v4
	s_add_i32 s10, s10, 2
	s_delay_alu instid0(SALU_CYCLE_1)
	s_cmp_eq_u32 s8, s10
	s_cbranch_scc1 .LBB148_17
.LBB148_9:                              ; =>This Inner Loop Header: Depth=1
	s_mov_b32 s14, exec_lo
	s_delay_alu instid0(VALU_DEP_1)
	v_cmpx_gt_u32_e64 s3, v4
	s_cbranch_execz .LBB148_12
; %bb.10:                               ;   in Loop: Header=BB148_9 Depth=1
	v_mad_u64_u32 v[5:6], null, v4, s12, 0
	s_delay_alu instid0(VALU_DEP_1) | instskip(NEXT) | instid1(VALU_DEP_1)
	v_mad_u64_u32 v[7:8], null, v4, s13, v[6:7]
	v_mov_b32_e32 v6, v7
	s_delay_alu instid0(VALU_DEP_1) | instskip(NEXT) | instid1(VALU_DEP_1)
	v_lshlrev_b64 v[5:6], 2, v[5:6]
	v_add_co_u32 v5, s0, s2, v5
	s_delay_alu instid0(VALU_DEP_1) | instskip(SKIP_3) | instid1(VALU_DEP_1)
	v_add_co_ci_u32_e64 v6, s0, s4, v6, s0
	global_load_b32 v5, v[5:6], off
	s_waitcnt vmcnt(0)
	v_xor_b32_e32 v5, 0x80000000, v5
	v_xor_b32_e32 v6, s5, v5
	s_delay_alu instid0(VALU_DEP_1) | instskip(NEXT) | instid1(VALU_DEP_1)
	v_and_b32_e32 v6, s11, v6
	v_cmp_eq_u32_e64 s0, 0, v6
	s_delay_alu instid0(VALU_DEP_1)
	s_and_b32 exec_lo, exec_lo, s0
	s_cbranch_execz .LBB148_12
; %bb.11:                               ;   in Loop: Header=BB148_9 Depth=1
	v_bfe_u32 v5, v5, s1, 8
	s_delay_alu instid0(VALU_DEP_1)
	v_lshlrev_b32_e32 v5, 2, v5
	ds_add_u32 v5, v3
.LBB148_12:                             ;   in Loop: Header=BB148_9 Depth=1
	s_or_b32 exec_lo, exec_lo, s14
	v_add_nc_u32_e32 v5, 0x100, v4
	s_mov_b32 s14, exec_lo
	s_delay_alu instid0(VALU_DEP_1)
	v_cmpx_gt_u32_e64 s3, v5
	s_cbranch_execz .LBB148_8
; %bb.13:                               ;   in Loop: Header=BB148_9 Depth=1
	v_mad_u64_u32 v[6:7], null, v5, s12, 0
	s_delay_alu instid0(VALU_DEP_1) | instskip(NEXT) | instid1(VALU_DEP_1)
	v_mad_u64_u32 v[8:9], null, v5, s13, v[7:8]
	v_mov_b32_e32 v7, v8
	s_delay_alu instid0(VALU_DEP_1) | instskip(NEXT) | instid1(VALU_DEP_1)
	v_lshlrev_b64 v[5:6], 2, v[6:7]
	v_add_co_u32 v5, s0, s2, v5
	s_delay_alu instid0(VALU_DEP_1) | instskip(SKIP_3) | instid1(VALU_DEP_1)
	v_add_co_ci_u32_e64 v6, s0, s4, v6, s0
	global_load_b32 v5, v[5:6], off
	s_waitcnt vmcnt(0)
	v_xor_b32_e32 v5, 0x80000000, v5
	v_xor_b32_e32 v6, s5, v5
	s_delay_alu instid0(VALU_DEP_1) | instskip(NEXT) | instid1(VALU_DEP_1)
	v_and_b32_e32 v6, s11, v6
	v_cmp_eq_u32_e64 s0, 0, v6
	s_delay_alu instid0(VALU_DEP_1)
	s_and_b32 exec_lo, exec_lo, s0
	s_cbranch_execz .LBB148_8
; %bb.14:                               ;   in Loop: Header=BB148_9 Depth=1
	v_bfe_u32 v5, v5, s1, 8
	s_delay_alu instid0(VALU_DEP_1)
	v_lshlrev_b32_e32 v5, 2, v5
	ds_add_u32 v5, v3
	s_branch .LBB148_8
.LBB148_15:
	v_cvt_f32_u32_e32 v1, s14
	s_sub_i32 s5, 0, s14
	s_mov_b32 s21, 0
	s_delay_alu instid0(VALU_DEP_1) | instskip(SKIP_2) | instid1(VALU_DEP_1)
	v_rcp_iflag_f32_e32 v1, v1
	s_waitcnt_depctr 0xfff
	v_mul_f32_e32 v1, 0x4f7ffffe, v1
	v_cvt_u32_f32_e32 v1, v1
	s_delay_alu instid0(VALU_DEP_1) | instskip(NEXT) | instid1(VALU_DEP_1)
	v_readfirstlane_b32 s3, v1
	s_mul_i32 s5, s5, s3
	s_delay_alu instid0(SALU_CYCLE_1) | instskip(NEXT) | instid1(SALU_CYCLE_1)
	s_mul_hi_u32 s5, s3, s5
	s_add_i32 s3, s3, s5
	s_delay_alu instid0(SALU_CYCLE_1) | instskip(NEXT) | instid1(SALU_CYCLE_1)
	s_mul_hi_u32 s3, s2, s3
	s_mul_i32 s5, s3, s14
	s_add_i32 s16, s3, 1
	s_sub_i32 s5, s2, s5
	s_delay_alu instid0(SALU_CYCLE_1)
	s_sub_i32 s17, s5, s14
	s_cmp_ge_u32 s5, s14
	s_cselect_b32 s3, s16, s3
	s_cselect_b32 s5, s17, s5
	s_add_i32 s16, s3, 1
	s_cmp_ge_u32 s5, s14
	s_cselect_b32 s20, s16, s3
	s_delay_alu instid0(SALU_CYCLE_1) | instskip(NEXT) | instid1(VALU_DEP_1)
	v_cmp_lt_u64_e64 s3, s[20:21], s[12:13]
	s_and_b32 vcc_lo, exec_lo, s3
	s_cbranch_vccnz .LBB148_3
.LBB148_16:
	v_cvt_f32_u32_e32 v1, s12
	s_sub_i32 s4, 0, s12
	s_delay_alu instid0(VALU_DEP_1) | instskip(SKIP_2) | instid1(VALU_DEP_1)
	v_rcp_iflag_f32_e32 v1, v1
	s_waitcnt_depctr 0xfff
	v_mul_f32_e32 v1, 0x4f7ffffe, v1
	v_cvt_u32_f32_e32 v1, v1
	s_delay_alu instid0(VALU_DEP_1) | instskip(NEXT) | instid1(VALU_DEP_1)
	v_readfirstlane_b32 s3, v1
	s_mul_i32 s4, s4, s3
	s_delay_alu instid0(SALU_CYCLE_1) | instskip(NEXT) | instid1(SALU_CYCLE_1)
	s_mul_hi_u32 s4, s3, s4
	s_add_i32 s3, s3, s4
	s_delay_alu instid0(SALU_CYCLE_1) | instskip(NEXT) | instid1(SALU_CYCLE_1)
	s_mul_hi_u32 s3, s20, s3
	s_mul_i32 s4, s3, s12
	s_add_i32 s5, s3, 1
	s_sub_i32 s4, s20, s4
	s_delay_alu instid0(SALU_CYCLE_1)
	s_sub_i32 s16, s4, s12
	s_cmp_ge_u32 s4, s12
	s_cselect_b32 s3, s5, s3
	s_cselect_b32 s4, s16, s4
	s_add_i32 s5, s3, 1
	s_cmp_ge_u32 s4, s12
	s_cselect_b32 s4, s5, s3
	v_cmp_gt_u32_e32 vcc_lo, 0x100, v0
	v_lshlrev_b32_e32 v1, 2, v0
	s_and_saveexec_b32 s3, vcc_lo
	s_cbranch_execnz .LBB148_4
	s_branch .LBB148_5
.LBB148_17:
	s_lshl_b32 s10, s8, 8
.LBB148_18:
	s_bitcmp0_b32 s9, 0
	s_cbranch_scc1 .LBB148_23
; %bb.19:
	v_add_nc_u32_e32 v2, s10, v2
	s_delay_alu instid0(VALU_DEP_1) | instskip(NEXT) | instid1(VALU_DEP_1)
	v_cmp_gt_u32_e64 s0, s3, v2
	s_and_saveexec_b32 s3, s0
	s_cbranch_execz .LBB148_22
; %bb.20:
	v_mad_u64_u32 v[3:4], null, v2, s12, 0
	s_delay_alu instid0(VALU_DEP_1) | instskip(NEXT) | instid1(VALU_DEP_1)
	v_mad_u64_u32 v[5:6], null, v2, s13, v[4:5]
	v_mov_b32_e32 v4, v5
	s_delay_alu instid0(VALU_DEP_1) | instskip(NEXT) | instid1(VALU_DEP_1)
	v_lshlrev_b64 v[2:3], 2, v[3:4]
	v_add_co_u32 v2, s0, s2, v2
	s_delay_alu instid0(VALU_DEP_1) | instskip(SKIP_3) | instid1(VALU_DEP_1)
	v_add_co_ci_u32_e64 v3, s0, s4, v3, s0
	global_load_b32 v2, v[2:3], off
	s_waitcnt vmcnt(0)
	v_xor_b32_e32 v2, 0x80000000, v2
	v_xor_b32_e32 v3, s5, v2
	s_delay_alu instid0(VALU_DEP_1) | instskip(NEXT) | instid1(VALU_DEP_1)
	v_and_b32_e32 v3, s11, v3
	v_cmp_eq_u32_e64 s0, 0, v3
	s_delay_alu instid0(VALU_DEP_1)
	s_and_b32 exec_lo, exec_lo, s0
	s_cbranch_execz .LBB148_22
; %bb.21:
	v_bfe_u32 v2, v2, s1, 8
	s_delay_alu instid0(VALU_DEP_1)
	v_dual_mov_b32 v3, 1 :: v_dual_lshlrev_b32 v2, 2, v2
	ds_add_u32 v2, v3
.LBB148_22:
	s_or_b32 exec_lo, exec_lo, s3
.LBB148_23:
	v_mov_b32_e32 v2, 0
	s_waitcnt lgkmcnt(0)
	s_barrier
	buffer_gl0_inv
	s_and_saveexec_b32 s0, vcc_lo
	s_cbranch_execz .LBB148_25
; %bb.24:
	ds_load_b32 v2, v1
.LBB148_25:
	s_or_b32 exec_lo, exec_lo, s0
	s_and_saveexec_b32 s0, vcc_lo
	s_cbranch_execz .LBB148_27
; %bb.26:
	v_lshl_or_b32 v0, s24, 8, v0
	v_mov_b32_e32 v1, 0
	s_delay_alu instid0(VALU_DEP_1) | instskip(NEXT) | instid1(VALU_DEP_1)
	v_lshlrev_b64 v[0:1], 1, v[0:1]
	v_add_co_u32 v0, vcc_lo, s6, v0
	s_delay_alu instid0(VALU_DEP_2)
	v_add_co_ci_u32_e32 v1, vcc_lo, s7, v1, vcc_lo
	s_waitcnt lgkmcnt(0)
	global_store_b16 v[0:1], v2, off
.LBB148_27:
	s_nop 0
	s_sendmsg sendmsg(MSG_DEALLOC_VGPRS)
	s_endpgm
	.section	.rodata,"a",@progbits
	.p2align	6, 0x0
	.amdhsa_kernel _ZN2at6native6mbtopk23computeBlockDigitCountsIimjLi3EEEvNS_4cuda6detail10TensorInfoIKT_T0_EEjPjjS8_iijT1_PSB_Ps
		.amdhsa_group_segment_fixed_size 1024
		.amdhsa_private_segment_fixed_size 0
		.amdhsa_kernarg_size 736
		.amdhsa_user_sgpr_count 13
		.amdhsa_user_sgpr_dispatch_ptr 0
		.amdhsa_user_sgpr_queue_ptr 0
		.amdhsa_user_sgpr_kernarg_segment_ptr 1
		.amdhsa_user_sgpr_dispatch_id 0
		.amdhsa_user_sgpr_private_segment_size 0
		.amdhsa_wavefront_size32 1
		.amdhsa_uses_dynamic_stack 0
		.amdhsa_enable_private_segment 0
		.amdhsa_system_sgpr_workgroup_id_x 1
		.amdhsa_system_sgpr_workgroup_id_y 1
		.amdhsa_system_sgpr_workgroup_id_z 1
		.amdhsa_system_sgpr_workgroup_info 0
		.amdhsa_system_vgpr_workitem_id 0
		.amdhsa_next_free_vgpr 10
		.amdhsa_next_free_sgpr 32
		.amdhsa_reserve_vcc 1
		.amdhsa_float_round_mode_32 0
		.amdhsa_float_round_mode_16_64 0
		.amdhsa_float_denorm_mode_32 3
		.amdhsa_float_denorm_mode_16_64 3
		.amdhsa_dx10_clamp 1
		.amdhsa_ieee_mode 1
		.amdhsa_fp16_overflow 0
		.amdhsa_workgroup_processor_mode 1
		.amdhsa_memory_ordered 1
		.amdhsa_forward_progress 0
		.amdhsa_shared_vgpr_count 0
		.amdhsa_exception_fp_ieee_invalid_op 0
		.amdhsa_exception_fp_denorm_src 0
		.amdhsa_exception_fp_ieee_div_zero 0
		.amdhsa_exception_fp_ieee_overflow 0
		.amdhsa_exception_fp_ieee_underflow 0
		.amdhsa_exception_fp_ieee_inexact 0
		.amdhsa_exception_int_div_zero 0
	.end_amdhsa_kernel
	.section	.text._ZN2at6native6mbtopk23computeBlockDigitCountsIimjLi3EEEvNS_4cuda6detail10TensorInfoIKT_T0_EEjPjjS8_iijT1_PSB_Ps,"axG",@progbits,_ZN2at6native6mbtopk23computeBlockDigitCountsIimjLi3EEEvNS_4cuda6detail10TensorInfoIKT_T0_EEjPjjS8_iijT1_PSB_Ps,comdat
.Lfunc_end148:
	.size	_ZN2at6native6mbtopk23computeBlockDigitCountsIimjLi3EEEvNS_4cuda6detail10TensorInfoIKT_T0_EEjPjjS8_iijT1_PSB_Ps, .Lfunc_end148-_ZN2at6native6mbtopk23computeBlockDigitCountsIimjLi3EEEvNS_4cuda6detail10TensorInfoIKT_T0_EEjPjjS8_iijT1_PSB_Ps
                                        ; -- End function
	.section	.AMDGPU.csdata,"",@progbits
; Kernel info:
; codeLenInByte = 1536
; NumSgprs: 34
; NumVgprs: 10
; ScratchSize: 0
; MemoryBound: 0
; FloatMode: 240
; IeeeMode: 1
; LDSByteSize: 1024 bytes/workgroup (compile time only)
; SGPRBlocks: 4
; VGPRBlocks: 1
; NumSGPRsForWavesPerEU: 34
; NumVGPRsForWavesPerEU: 10
; Occupancy: 16
; WaveLimiterHint : 1
; COMPUTE_PGM_RSRC2:SCRATCH_EN: 0
; COMPUTE_PGM_RSRC2:USER_SGPR: 13
; COMPUTE_PGM_RSRC2:TRAP_HANDLER: 0
; COMPUTE_PGM_RSRC2:TGID_X_EN: 1
; COMPUTE_PGM_RSRC2:TGID_Y_EN: 1
; COMPUTE_PGM_RSRC2:TGID_Z_EN: 1
; COMPUTE_PGM_RSRC2:TIDIG_COMP_CNT: 0
	.section	.text._ZN2at6native6mbtopk10gatherTopKIimLi3EEEvNS_4cuda6detail10TensorInfoIKT_T0_EES8_S8_bjS8_NS5_IS6_S8_EES8_NS5_IlS8_EES8_jjPS6_PjSD_j,"axG",@progbits,_ZN2at6native6mbtopk10gatherTopKIimLi3EEEvNS_4cuda6detail10TensorInfoIKT_T0_EES8_S8_bjS8_NS5_IS6_S8_EES8_NS5_IlS8_EES8_jjPS6_PjSD_j,comdat
	.protected	_ZN2at6native6mbtopk10gatherTopKIimLi3EEEvNS_4cuda6detail10TensorInfoIKT_T0_EES8_S8_bjS8_NS5_IS6_S8_EES8_NS5_IlS8_EES8_jjPS6_PjSD_j ; -- Begin function _ZN2at6native6mbtopk10gatherTopKIimLi3EEEvNS_4cuda6detail10TensorInfoIKT_T0_EES8_S8_bjS8_NS5_IS6_S8_EES8_NS5_IlS8_EES8_jjPS6_PjSD_j
	.globl	_ZN2at6native6mbtopk10gatherTopKIimLi3EEEvNS_4cuda6detail10TensorInfoIKT_T0_EES8_S8_bjS8_NS5_IS6_S8_EES8_NS5_IlS8_EES8_jjPS6_PjSD_j
	.p2align	8
	.type	_ZN2at6native6mbtopk10gatherTopKIimLi3EEEvNS_4cuda6detail10TensorInfoIKT_T0_EES8_S8_bjS8_NS5_IS6_S8_EES8_NS5_IlS8_EES8_jjPS6_PjSD_j,@function
_ZN2at6native6mbtopk10gatherTopKIimLi3EEEvNS_4cuda6detail10TensorInfoIKT_T0_EES8_S8_bjS8_NS5_IS6_S8_EES8_NS5_IlS8_EES8_jjPS6_PjSD_j: ; @_ZN2at6native6mbtopk10gatherTopKIimLi3EEEvNS_4cuda6detail10TensorInfoIKT_T0_EES8_S8_bjS8_NS5_IS6_S8_EES8_NS5_IlS8_EES8_jjPS6_PjSD_j
; %bb.0:
	s_clause 0x1
	s_load_b64 s[2:3], s[0:1], 0x538
	s_load_b32 s4, s[0:1], 0x530
	s_waitcnt lgkmcnt(0)
	s_mul_i32 s3, s3, s15
	s_delay_alu instid0(SALU_CYCLE_1) | instskip(NEXT) | instid1(SALU_CYCLE_1)
	s_add_i32 s3, s3, s14
	s_mul_i32 s2, s3, s2
	s_delay_alu instid0(SALU_CYCLE_1) | instskip(NEXT) | instid1(SALU_CYCLE_1)
	s_add_i32 s2, s2, s13
	s_cmp_ge_u32 s2, s4
	s_cbranch_scc1 .LBB149_54
; %bb.1:
	s_load_b64 s[34:35], s[0:1], 0x510
	s_mov_b32 s45, 0
	s_waitcnt lgkmcnt(0)
	v_cvt_f32_u32_e32 v1, s35
	s_sub_i32 s4, 0, s35
	s_lshl_b32 s72, s34, 8
	s_delay_alu instid0(VALU_DEP_1) | instskip(SKIP_2) | instid1(VALU_DEP_1)
	v_rcp_iflag_f32_e32 v1, v1
	s_waitcnt_depctr 0xfff
	v_mul_f32_e32 v1, 0x4f7ffffe, v1
	v_cvt_u32_f32_e32 v1, v1
	s_delay_alu instid0(VALU_DEP_1) | instskip(NEXT) | instid1(VALU_DEP_1)
	v_readfirstlane_b32 s3, v1
	s_mul_i32 s4, s4, s3
	s_delay_alu instid0(SALU_CYCLE_1) | instskip(NEXT) | instid1(SALU_CYCLE_1)
	s_mul_hi_u32 s4, s3, s4
	s_add_i32 s3, s3, s4
	s_clause 0x1
	s_load_b128 s[4:7], s[0:1], 0x1a0
	s_load_b128 s[8:11], s[0:1], 0x10
	s_mul_hi_u32 s3, s2, s3
	s_delay_alu instid0(SALU_CYCLE_1) | instskip(SKIP_2) | instid1(SALU_CYCLE_1)
	s_mul_i32 s12, s3, s35
	s_add_i32 s13, s3, 1
	s_sub_i32 s12, s2, s12
	s_sub_i32 s14, s12, s35
	s_cmp_ge_u32 s12, s35
	s_cselect_b32 s3, s13, s3
	s_cselect_b32 s12, s14, s12
	s_add_i32 s13, s3, 1
	s_cmp_ge_u32 s12, s35
	s_cselect_b32 s44, s13, s3
	s_delay_alu instid0(SALU_CYCLE_1) | instskip(NEXT) | instid1(SALU_CYCLE_1)
	s_mul_i32 s52, s44, s35
	s_sub_i32 s73, s2, s52
	s_delay_alu instid0(SALU_CYCLE_1) | instskip(NEXT) | instid1(SALU_CYCLE_1)
	s_add_i32 s2, s73, 1
	s_cmp_lt_u32 s2, s35
	s_cbranch_scc1 .LBB149_3
; %bb.2:
	s_mul_i32 s2, s73, s72
	s_waitcnt lgkmcnt(0)
	s_sub_u32 s2, s4, s2
	s_subb_u32 s3, s5, 0
	s_add_u32 s2, s2, 0xff
	s_addc_u32 s3, s3, 0
	s_delay_alu instid0(SALU_CYCLE_1) | instskip(NEXT) | instid1(SALU_CYCLE_1)
	s_ashr_i32 s12, s3, 31
	s_lshr_b32 s12, s12, 24
	s_delay_alu instid0(SALU_CYCLE_1) | instskip(SKIP_1) | instid1(SALU_CYCLE_1)
	s_add_u32 s2, s2, s12
	s_addc_u32 s3, s3, 0
	v_alignbit_b32 v1, s3, s2, 8
	s_delay_alu instid0(VALU_DEP_1)
	v_readfirstlane_b32 s34, v1
.LBB149_3:
	s_waitcnt lgkmcnt(0)
	v_cmp_lt_u64_e64 s2, s[44:45], s[10:11]
	s_mov_b64 s[46:47], 0
	s_mov_b64 s[48:49], 0
	s_delay_alu instid0(VALU_DEP_1)
	s_and_b32 vcc_lo, exec_lo, s2
	s_cbranch_vccnz .LBB149_5
; %bb.4:
	v_cvt_f32_u32_e32 v1, s10
	s_sub_i32 s3, 0, s10
	s_mov_b32 s49, 0
	s_delay_alu instid0(VALU_DEP_1) | instskip(SKIP_2) | instid1(VALU_DEP_1)
	v_rcp_iflag_f32_e32 v1, v1
	s_waitcnt_depctr 0xfff
	v_mul_f32_e32 v1, 0x4f7ffffe, v1
	v_cvt_u32_f32_e32 v1, v1
	s_delay_alu instid0(VALU_DEP_1) | instskip(NEXT) | instid1(VALU_DEP_1)
	v_readfirstlane_b32 s2, v1
	s_mul_i32 s3, s3, s2
	s_delay_alu instid0(SALU_CYCLE_1) | instskip(NEXT) | instid1(SALU_CYCLE_1)
	s_mul_hi_u32 s3, s2, s3
	s_add_i32 s2, s2, s3
	s_delay_alu instid0(SALU_CYCLE_1) | instskip(NEXT) | instid1(SALU_CYCLE_1)
	s_mul_hi_u32 s2, s44, s2
	s_mul_i32 s3, s2, s10
	s_add_i32 s12, s2, 1
	s_sub_i32 s3, s44, s3
	s_delay_alu instid0(SALU_CYCLE_1)
	s_sub_i32 s13, s3, s10
	s_cmp_ge_u32 s3, s10
	s_cselect_b32 s2, s12, s2
	s_cselect_b32 s3, s13, s3
	s_add_i32 s12, s2, 1
	s_cmp_ge_u32 s3, s10
	s_cselect_b32 s48, s12, s2
.LBB149_5:
	s_load_b128 s[20:23], s[0:1], 0x1d0
	v_cmp_lt_u64_e64 s2, s[48:49], s[8:9]
	s_delay_alu instid0(VALU_DEP_1)
	s_and_b32 vcc_lo, exec_lo, s2
	s_cbranch_vccnz .LBB149_7
; %bb.6:
	v_cvt_f32_u32_e32 v1, s8
	s_sub_i32 s3, 0, s8
	s_delay_alu instid0(VALU_DEP_1) | instskip(SKIP_2) | instid1(VALU_DEP_1)
	v_rcp_iflag_f32_e32 v1, v1
	s_waitcnt_depctr 0xfff
	v_mul_f32_e32 v1, 0x4f7ffffe, v1
	v_cvt_u32_f32_e32 v1, v1
	s_delay_alu instid0(VALU_DEP_1) | instskip(NEXT) | instid1(VALU_DEP_1)
	v_readfirstlane_b32 s2, v1
	s_mul_i32 s3, s3, s2
	s_delay_alu instid0(SALU_CYCLE_1) | instskip(NEXT) | instid1(SALU_CYCLE_1)
	s_mul_hi_u32 s3, s2, s3
	s_add_i32 s2, s2, s3
	s_delay_alu instid0(SALU_CYCLE_1) | instskip(NEXT) | instid1(SALU_CYCLE_1)
	s_mul_hi_u32 s2, s48, s2
	s_mul_i32 s3, s2, s8
	s_add_i32 s12, s2, 1
	s_sub_i32 s3, s48, s3
	s_delay_alu instid0(SALU_CYCLE_1)
	s_sub_i32 s13, s3, s8
	s_cmp_ge_u32 s3, s8
	s_cselect_b32 s2, s12, s2
	s_cselect_b32 s3, s13, s3
	s_add_i32 s12, s2, 1
	s_cmp_ge_u32 s3, s8
	s_cselect_b32 s46, s12, s2
.LBB149_7:
	s_waitcnt lgkmcnt(0)
	v_cmp_lt_u64_e64 s2, s[44:45], s[22:23]
	s_mov_b64 s[50:51], 0
	s_mov_b64 s[60:61], 0
	s_delay_alu instid0(VALU_DEP_1)
	s_and_b32 vcc_lo, exec_lo, s2
	s_cbranch_vccnz .LBB149_9
; %bb.8:
	v_cvt_f32_u32_e32 v1, s22
	s_sub_i32 s3, 0, s22
	s_mov_b32 s61, 0
	s_delay_alu instid0(VALU_DEP_1) | instskip(SKIP_2) | instid1(VALU_DEP_1)
	v_rcp_iflag_f32_e32 v1, v1
	s_waitcnt_depctr 0xfff
	v_mul_f32_e32 v1, 0x4f7ffffe, v1
	v_cvt_u32_f32_e32 v1, v1
	s_delay_alu instid0(VALU_DEP_1) | instskip(NEXT) | instid1(VALU_DEP_1)
	v_readfirstlane_b32 s2, v1
	s_mul_i32 s3, s3, s2
	s_delay_alu instid0(SALU_CYCLE_1) | instskip(NEXT) | instid1(SALU_CYCLE_1)
	s_mul_hi_u32 s3, s2, s3
	s_add_i32 s2, s2, s3
	s_delay_alu instid0(SALU_CYCLE_1) | instskip(NEXT) | instid1(SALU_CYCLE_1)
	s_mul_hi_u32 s2, s44, s2
	s_mul_i32 s3, s2, s22
	s_add_i32 s12, s2, 1
	s_sub_i32 s3, s44, s3
	s_delay_alu instid0(SALU_CYCLE_1)
	s_sub_i32 s13, s3, s22
	s_cmp_ge_u32 s3, s22
	s_cselect_b32 s2, s12, s2
	s_cselect_b32 s3, s13, s3
	s_add_i32 s12, s2, 1
	s_cmp_ge_u32 s3, s22
	s_cselect_b32 s60, s12, s2
.LBB149_9:
	s_load_b128 s[24:27], s[0:1], 0x378
	v_cmp_lt_u64_e64 s2, s[60:61], s[20:21]
	s_delay_alu instid0(VALU_DEP_1)
	s_and_b32 vcc_lo, exec_lo, s2
	s_cbranch_vccnz .LBB149_11
; %bb.10:
	v_cvt_f32_u32_e32 v1, s20
	s_sub_i32 s3, 0, s20
	s_delay_alu instid0(VALU_DEP_1) | instskip(SKIP_2) | instid1(VALU_DEP_1)
	v_rcp_iflag_f32_e32 v1, v1
	s_waitcnt_depctr 0xfff
	v_mul_f32_e32 v1, 0x4f7ffffe, v1
	v_cvt_u32_f32_e32 v1, v1
	s_delay_alu instid0(VALU_DEP_1) | instskip(NEXT) | instid1(VALU_DEP_1)
	v_readfirstlane_b32 s2, v1
	s_mul_i32 s3, s3, s2
	s_delay_alu instid0(SALU_CYCLE_1) | instskip(NEXT) | instid1(SALU_CYCLE_1)
	s_mul_hi_u32 s3, s2, s3
	s_add_i32 s2, s2, s3
	s_delay_alu instid0(SALU_CYCLE_1) | instskip(NEXT) | instid1(SALU_CYCLE_1)
	s_mul_hi_u32 s2, s60, s2
	s_mul_i32 s3, s2, s20
	s_add_i32 s12, s2, 1
	s_sub_i32 s3, s60, s3
	s_delay_alu instid0(SALU_CYCLE_1)
	s_sub_i32 s13, s3, s20
	s_cmp_ge_u32 s3, s20
	s_cselect_b32 s2, s12, s2
	s_cselect_b32 s3, s13, s3
	s_add_i32 s12, s2, 1
	s_cmp_ge_u32 s3, s20
	s_cselect_b32 s50, s12, s2
.LBB149_11:
	s_waitcnt lgkmcnt(0)
	v_cmp_lt_u64_e64 s2, s[44:45], s[26:27]
	s_mov_b64 s[54:55], 0
	s_mov_b64 s[64:65], 0
	s_delay_alu instid0(VALU_DEP_1)
	s_and_b32 vcc_lo, exec_lo, s2
	s_cbranch_vccnz .LBB149_13
; %bb.12:
	v_cvt_f32_u32_e32 v1, s26
	s_sub_i32 s3, 0, s26
	s_mov_b32 s65, 0
	s_delay_alu instid0(VALU_DEP_1) | instskip(SKIP_2) | instid1(VALU_DEP_1)
	v_rcp_iflag_f32_e32 v1, v1
	s_waitcnt_depctr 0xfff
	v_mul_f32_e32 v1, 0x4f7ffffe, v1
	v_cvt_u32_f32_e32 v1, v1
	s_delay_alu instid0(VALU_DEP_1) | instskip(NEXT) | instid1(VALU_DEP_1)
	v_readfirstlane_b32 s2, v1
	s_mul_i32 s3, s3, s2
	s_delay_alu instid0(SALU_CYCLE_1) | instskip(NEXT) | instid1(SALU_CYCLE_1)
	s_mul_hi_u32 s3, s2, s3
	s_add_i32 s2, s2, s3
	s_delay_alu instid0(SALU_CYCLE_1) | instskip(NEXT) | instid1(SALU_CYCLE_1)
	s_mul_hi_u32 s2, s44, s2
	s_mul_i32 s3, s2, s26
	s_add_i32 s12, s2, 1
	s_sub_i32 s3, s44, s3
	s_delay_alu instid0(SALU_CYCLE_1)
	s_sub_i32 s13, s3, s26
	s_cmp_ge_u32 s3, s26
	s_cselect_b32 s2, s12, s2
	s_cselect_b32 s3, s13, s3
	s_add_i32 s12, s2, 1
	s_cmp_ge_u32 s3, s26
	s_cselect_b32 s64, s12, s2
.LBB149_13:
	s_clause 0x5
	s_load_b64 s[62:63], s[0:1], 0xe0
	s_load_b128 s[40:43], s[0:1], 0xd0
	s_load_b64 s[58:59], s[0:1], 0x2a0
	s_load_b128 s[36:39], s[0:1], 0x290
	;; [unrolled: 2-line block ×3, first 2 shown]
	v_cmp_lt_u64_e64 s2, s[64:65], s[24:25]
	s_delay_alu instid0(VALU_DEP_1)
	s_and_b32 vcc_lo, exec_lo, s2
	s_cbranch_vccnz .LBB149_15
; %bb.14:
	v_cvt_f32_u32_e32 v1, s24
	s_sub_i32 s3, 0, s24
	s_delay_alu instid0(VALU_DEP_1) | instskip(SKIP_2) | instid1(VALU_DEP_1)
	v_rcp_iflag_f32_e32 v1, v1
	s_waitcnt_depctr 0xfff
	v_mul_f32_e32 v1, 0x4f7ffffe, v1
	v_cvt_u32_f32_e32 v1, v1
	s_delay_alu instid0(VALU_DEP_1) | instskip(NEXT) | instid1(VALU_DEP_1)
	v_readfirstlane_b32 s2, v1
	s_mul_i32 s3, s3, s2
	s_delay_alu instid0(SALU_CYCLE_1) | instskip(NEXT) | instid1(SALU_CYCLE_1)
	s_mul_hi_u32 s3, s2, s3
	s_add_i32 s2, s2, s3
	s_delay_alu instid0(SALU_CYCLE_1) | instskip(NEXT) | instid1(SALU_CYCLE_1)
	s_mul_hi_u32 s2, s64, s2
	s_mul_i32 s3, s2, s24
	s_add_i32 s12, s2, 1
	s_sub_i32 s3, s64, s3
	s_delay_alu instid0(SALU_CYCLE_1)
	s_sub_i32 s13, s3, s24
	s_cmp_ge_u32 s3, s24
	s_cselect_b32 s2, s12, s2
	s_cselect_b32 s3, s13, s3
	s_add_i32 s12, s2, 1
	s_cmp_ge_u32 s3, s24
	s_cselect_b32 s54, s12, s2
.LBB149_15:
	s_load_b128 s[12:15], s[0:1], 0x518
	s_lshl_b64 s[2:3], s[44:45], 2
	s_mov_b32 s53, 0
	s_waitcnt lgkmcnt(0)
	s_add_u32 s2, s12, s2
	s_addc_u32 s3, s13, s3
	s_load_b64 s[66:67], s[0:1], 0x0
	s_load_b32 s33, s[2:3], 0x0
	v_cmp_ne_u32_e64 s2, 0, v0
	v_cmp_eq_u32_e64 s3, 0, v0
	s_delay_alu instid0(VALU_DEP_1)
	s_and_saveexec_b32 s45, s3
	s_cbranch_execz .LBB149_31
; %bb.16:
	s_load_b64 s[12:13], s[0:1], 0x528
	s_lshl_b64 s[68:69], s[52:53], 2
	s_mov_b32 s47, 0
	s_add_u32 s16, s14, s68
	s_addc_u32 s17, s15, s69
	s_mov_b32 s51, 0
	s_waitcnt lgkmcnt(0)
	s_add_u32 s18, s12, s68
	s_addc_u32 s19, s13, s69
	s_cmp_lt_u32 s35, 4
	s_cbranch_scc1 .LBB149_28
; %bb.17:
	s_mov_b32 s52, 0
.LBB149_18:                             ; =>This Inner Loop Header: Depth=1
	s_add_u32 s16, s14, s68
	s_addc_u32 s17, s15, s69
	s_add_u32 s70, s12, s68
	s_load_b128 s[16:19], s[16:17], 0x0
	s_addc_u32 s71, s13, s69
	s_cmp_ge_u32 s52, s73
	s_cbranch_scc0 .LBB149_25
; %bb.19:                               ;   in Loop: Header=BB149_18 Depth=1
	s_add_i32 s55, s52, 1
	s_delay_alu instid0(SALU_CYCLE_1)
	s_cmp_ge_u32 s55, s73
	s_cbranch_scc0 .LBB149_26
.LBB149_20:                             ;   in Loop: Header=BB149_18 Depth=1
	s_add_i32 s55, s55, 1
	s_delay_alu instid0(SALU_CYCLE_1)
	s_cmp_ge_u32 s55, s73
	s_cbranch_scc0 .LBB149_27
.LBB149_21:                             ;   in Loop: Header=BB149_18 Depth=1
	s_add_i32 s55, s55, 1
	s_delay_alu instid0(SALU_CYCLE_1)
	s_cmp_ge_u32 s55, s73
	s_cbranch_scc1 .LBB149_23
.LBB149_22:                             ;   in Loop: Header=BB149_18 Depth=1
	s_load_b32 s70, s[70:71], 0xc
	s_waitcnt lgkmcnt(0)
	s_add_i32 s53, s53, s19
	s_add_i32 s47, s70, s47
.LBB149_23:                             ;   in Loop: Header=BB149_18 Depth=1
	s_waitcnt lgkmcnt(0)
	s_add_i32 s16, s16, s51
	s_delay_alu instid0(SALU_CYCLE_1) | instskip(NEXT) | instid1(SALU_CYCLE_1)
	s_add_i32 s16, s16, s17
	s_add_i32 s16, s16, s18
	s_delay_alu instid0(SALU_CYCLE_1)
	s_add_i32 s51, s16, s19
	s_add_u32 s14, s14, 16
	s_addc_u32 s15, s15, 0
	s_add_u32 s12, s12, 16
	s_addc_u32 s13, s13, 0
	s_add_i32 s70, s55, 4
	s_add_u32 s18, s12, s68
	s_addc_u32 s19, s13, s69
	s_add_u32 s16, s14, s68
	s_addc_u32 s17, s15, s69
	s_add_i32 s55, s55, 1
	s_cmp_ge_u32 s70, s35
	s_cbranch_scc1 .LBB149_29
; %bb.24:                               ;   in Loop: Header=BB149_18 Depth=1
	s_mov_b32 s52, s55
	s_branch .LBB149_18
.LBB149_25:                             ;   in Loop: Header=BB149_18 Depth=1
	s_load_b32 s55, s[70:71], 0x0
	s_waitcnt lgkmcnt(0)
	s_add_i32 s53, s16, s53
	s_add_i32 s47, s55, s47
	;; [unrolled: 1-line block ×3, first 2 shown]
	s_delay_alu instid0(SALU_CYCLE_1)
	s_cmp_ge_u32 s55, s73
	s_cbranch_scc1 .LBB149_20
.LBB149_26:                             ;   in Loop: Header=BB149_18 Depth=1
	s_load_b32 s74, s[70:71], 0x4
	s_waitcnt lgkmcnt(0)
	s_add_i32 s53, s53, s17
	s_add_i32 s47, s74, s47
	;; [unrolled: 1-line block ×3, first 2 shown]
	s_delay_alu instid0(SALU_CYCLE_1)
	s_cmp_ge_u32 s55, s73
	s_cbranch_scc1 .LBB149_21
.LBB149_27:                             ;   in Loop: Header=BB149_18 Depth=1
	s_load_b32 s74, s[70:71], 0x8
	s_waitcnt lgkmcnt(0)
	s_add_i32 s53, s53, s18
	s_add_i32 s47, s74, s47
	;; [unrolled: 1-line block ×3, first 2 shown]
	s_delay_alu instid0(SALU_CYCLE_1)
	s_cmp_ge_u32 s55, s73
	s_cbranch_scc0 .LBB149_22
	s_branch .LBB149_23
.LBB149_28:
	s_mov_b32 s12, 0
	s_delay_alu instid0(SALU_CYCLE_1)
	s_cmp_ge_u32 s12, s35
	s_cbranch_scc0 .LBB149_52
	s_branch .LBB149_30
.LBB149_29:
	s_add_i32 s12, s52, 4
	s_delay_alu instid0(SALU_CYCLE_1)
	s_cmp_ge_u32 s12, s35
	s_cbranch_scc0 .LBB149_52
.LBB149_30:
	v_dual_mov_b32 v1, s47 :: v_dual_mov_b32 v2, s51
	v_dual_mov_b32 v3, s53 :: v_dual_mov_b32 v4, 0
	ds_store_b96 v4, v[1:3] offset:1056
.LBB149_31:
	s_or_b32 exec_lo, exec_lo, s45
	s_clause 0x1
	s_load_b128 s[12:15], s[0:1], 0x1b8
	s_load_b128 s[16:19], s[0:1], 0x360
	s_cmp_eq_u32 s34, 0
	s_waitcnt lgkmcnt(0)
	s_barrier
	buffer_gl0_inv
	s_cbranch_scc1 .LBB149_54
; %bb.32:
	s_mul_i32 s27, s64, s27
	s_mul_hi_u32 s35, s64, s26
	s_mul_i32 s26, s64, s26
	s_add_i32 s35, s35, s27
	s_sub_u32 s26, s44, s26
	s_subb_u32 s35, 0, s35
	s_mul_i32 s27, s26, s57
	s_mul_hi_u32 s45, s26, s56
	s_mul_i32 s35, s35, s56
	s_add_i32 s27, s45, s27
	s_mul_i32 s21, s50, s21
	s_add_i32 s27, s27, s35
	s_mul_hi_u32 s35, s50, s20
	s_mul_i32 s20, s50, s20
	s_add_i32 s35, s35, s21
	s_sub_u32 s20, s60, s20
	s_subb_u32 s35, s61, s35
	s_mul_i32 s21, s20, s39
	s_mul_hi_u32 s39, s20, s38
	s_mul_i32 s35, s35, s38
	s_add_i32 s21, s39, s21
	s_mul_i32 s39, s50, s37
	s_mul_hi_u32 s45, s50, s36
	s_add_i32 s37, s21, s35
	s_mul_i32 s21, s60, s23
	s_mul_hi_u32 s23, s60, s22
	s_mul_i32 s22, s60, s22
	s_add_i32 s45, s45, s39
	s_add_i32 s23, s23, s21
	s_sub_u32 s35, s44, s22
	s_subb_u32 s23, 0, s23
	s_mul_i32 s21, s35, s59
	s_mul_hi_u32 s22, s35, s58
	s_mul_i32 s23, s23, s58
	s_add_i32 s21, s22, s21
	s_mul_i32 s9, s46, s9
	s_mul_hi_u32 s22, s46, s8
	s_mul_i32 s8, s46, s8
	s_add_i32 s21, s21, s23
	s_add_i32 s22, s22, s9
	s_sub_u32 s8, s48, s8
	s_subb_u32 s22, s49, s22
	s_mul_i32 s9, s8, s43
	s_mul_hi_u32 s23, s8, s42
	s_mul_i32 s22, s22, s42
	s_add_i32 s9, s23, s9
	s_mul_i32 s23, s46, s41
	s_mul_hi_u32 s39, s46, s40
	s_add_i32 s9, s9, s22
	s_mul_i32 s11, s48, s11
	s_mul_hi_u32 s22, s48, s10
	s_mul_i32 s10, s48, s10
	s_add_i32 s23, s39, s23
	s_add_i32 s22, s22, s11
	s_sub_u32 s10, s44, s10
	s_subb_u32 s22, 0, s22
	s_mul_i32 s11, s10, s63
	s_mul_hi_u32 s39, s10, s62
	s_mul_i32 s22, s22, s62
	s_add_i32 s11, s39, s11
	s_mul_i32 s29, s54, s29
	s_add_i32 s11, s11, s22
	s_mul_i32 s22, s54, s25
	s_mul_hi_u32 s25, s54, s24
	s_mul_i32 s24, s54, s24
	s_add_i32 s25, s25, s22
	s_sub_u32 s24, s64, s24
	s_subb_u32 s25, s65, s25
	s_mul_i32 s22, s24, s31
	s_mul_hi_u32 s31, s24, s30
	s_mul_i32 s25, s25, s30
	s_add_i32 s31, s31, s22
	s_mul_i32 s22, s46, s40
	s_add_i32 s25, s31, s25
	s_mul_hi_u32 s31, s54, s28
	s_lshl_b64 s[22:23], s[22:23], 2
	s_mul_i32 s8, s8, s42
	s_add_i32 s29, s31, s29
	s_add_u32 s22, s66, s22
	s_addc_u32 s23, s67, s23
	s_lshl_b64 s[8:9], s[8:9], 2
	s_mul_i32 s10, s10, s62
	v_dual_mov_b32 v5, 0 :: v_dual_add_nc_u32 v4, -1, v0
	s_add_u32 s22, s22, s8
	s_addc_u32 s23, s23, s9
	s_lshl_b64 s[8:9], s[10:11], 2
	s_mul_i32 s44, s50, s36
	s_add_u32 s10, s22, s8
	s_addc_u32 s11, s23, s9
	s_lshl_b64 s[8:9], s[44:45], 2
	ds_load_b96 v[1:3], v5 offset:1056
	s_mul_i32 s36, s20, s38
	s_add_u32 s14, s14, s8
	s_addc_u32 s15, s15, s9
	s_lshl_b64 s[8:9], s[36:37], 2
	s_mul_i32 s20, s35, s58
	s_add_u32 s14, s14, s8
	s_addc_u32 s15, s15, s9
	s_lshl_b64 s[8:9], s[20:21], 2
	;; [unrolled: 4-line block ×4, first 2 shown]
	s_mul_i32 s26, s26, s56
	s_add_u32 s18, s18, s8
	s_load_b32 s21, s[0:1], 0x1b0
	s_addc_u32 s19, s19, s9
	s_lshl_b64 s[8:9], s[26:27], 3
	s_waitcnt lgkmcnt(0)
	v_add_nc_u32_e32 v1, v1, v2
	s_add_u32 s18, s18, s8
	s_addc_u32 s19, s19, s9
	s_load_b64 s[8:9], s[0:1], 0x508
	v_lshrrev_b32_e32 v2, 5, v0
	v_mad_u64_u32 v[6:7], null, s73, s72, v[0:1]
	v_lshlrev_b32_e32 v10, 3, v0
	v_lshrrev_b32_e32 v11, 2, v0
	v_lshrrev_b32_e32 v12, 5, v4
	v_mbcnt_lo_u32_b32 v8, -1, 0
	s_xor_b32 s20, s33, 0x80000000
	v_add_lshl_u32 v9, v2, v0, 2
	v_cmp_gt_u32_e64 s0, 32, v0
	v_add_lshl_u32 v0, v11, v10, 2
	v_add_lshl_u32 v10, v12, v4, 2
	v_dual_mov_b32 v4, v6 :: v_dual_and_b32 v11, 15, v8
	v_bfe_i32 v12, v8, 4, 1
	v_add_nc_u32_e32 v13, -1, v8
	s_bitcmp1_b32 s21, 0
                                        ; implicit-def: $vgpr14
	s_cselect_b32 s1, -1, 0
	s_branch .LBB149_35
.LBB149_33:                             ;   in Loop: Header=BB149_35 Depth=1
	s_or_b32 exec_lo, exec_lo, s21
	v_add_nc_u32_e32 v1, v2, v1
.LBB149_34:                             ;   in Loop: Header=BB149_35 Depth=1
	v_add_nc_u32_e32 v3, v15, v3
	v_add_nc_u32_e32 v4, 0x100, v4
	s_add_i32 s34, s34, -1
	s_delay_alu instid0(SALU_CYCLE_1)
	s_cmp_lg_u32 s34, 0
	s_cbranch_scc0 .LBB149_54
.LBB149_35:                             ; =>This Inner Loop Header: Depth=1
	v_mov_b32_e32 v2, v5
	v_mov_b32_e32 v6, v5
	s_mov_b32 s21, exec_lo
	v_cmpx_gt_u64_e64 s[4:5], v[4:5]
	s_cbranch_execz .LBB149_37
; %bb.36:                               ;   in Loop: Header=BB149_35 Depth=1
	v_mad_u64_u32 v[6:7], null, v4, s12, 0
	s_delay_alu instid0(VALU_DEP_1) | instskip(NEXT) | instid1(VALU_DEP_1)
	v_mov_b32_e32 v2, v7
	v_mad_u64_u32 v[14:15], null, v4, s13, v[2:3]
	s_delay_alu instid0(VALU_DEP_1) | instskip(NEXT) | instid1(VALU_DEP_1)
	v_mov_b32_e32 v7, v14
	v_lshlrev_b64 v[6:7], 2, v[6:7]
	s_delay_alu instid0(VALU_DEP_1) | instskip(NEXT) | instid1(VALU_DEP_2)
	v_add_co_u32 v6, vcc_lo, s10, v6
	v_add_co_ci_u32_e32 v7, vcc_lo, s11, v7, vcc_lo
	global_load_b32 v14, v[6:7], off
	s_waitcnt vmcnt(0)
	v_xor_b32_e32 v2, 0x80000000, v14
	s_delay_alu instid0(VALU_DEP_1) | instskip(SKIP_4) | instid1(VALU_DEP_2)
	v_cmp_lt_u32_e32 vcc_lo, s20, v2
	v_cndmask_b32_e64 v6, 0, 1, vcc_lo
	v_cmp_gt_u32_e32 vcc_lo, s20, v2
	v_cndmask_b32_e64 v2, 0, 1, vcc_lo
	v_cmp_eq_u32_e32 vcc_lo, s33, v14
	v_cndmask_b32_e64 v2, v2, v6, s1
	v_cndmask_b32_e64 v6, 0, 1, vcc_lo
	s_delay_alu instid0(VALU_DEP_2)
	v_and_b32_e32 v2, 1, v2
.LBB149_37:                             ;   in Loop: Header=BB149_35 Depth=1
	s_or_b32 exec_lo, exec_lo, s21
	ds_store_b32 v9, v2
	s_waitcnt lgkmcnt(0)
	s_waitcnt_vscnt null, 0x0
	s_barrier
	buffer_gl0_inv
	s_and_saveexec_b32 s21, s0
	s_cbranch_execz .LBB149_39
; %bb.38:                               ;   in Loop: Header=BB149_35 Depth=1
	ds_load_2addr_b32 v[15:16], v0 offset1:1
	ds_load_2addr_b32 v[17:18], v0 offset0:2 offset1:3
	ds_load_2addr_b32 v[19:20], v0 offset0:4 offset1:5
	;; [unrolled: 1-line block ×3, first 2 shown]
	v_cmp_ne_u32_e32 vcc_lo, 0, v11
	; wave barrier
	s_waitcnt lgkmcnt(3)
	v_add_nc_u32_e32 v7, v16, v15
	s_waitcnt lgkmcnt(2)
	s_delay_alu instid0(VALU_DEP_1) | instskip(SKIP_1) | instid1(VALU_DEP_1)
	v_add3_u32 v7, v7, v17, v18
	s_waitcnt lgkmcnt(1)
	v_add3_u32 v7, v7, v19, v20
	s_waitcnt lgkmcnt(0)
	s_delay_alu instid0(VALU_DEP_1) | instskip(NEXT) | instid1(VALU_DEP_1)
	v_add3_u32 v7, v7, v21, v22
	v_mov_b32_dpp v16, v7 row_shr:1 row_mask:0xf bank_mask:0xf
	s_delay_alu instid0(VALU_DEP_1) | instskip(SKIP_1) | instid1(VALU_DEP_2)
	v_cndmask_b32_e32 v16, 0, v16, vcc_lo
	v_cmp_lt_u32_e32 vcc_lo, 1, v11
	v_add_nc_u32_e32 v7, v16, v7
	s_delay_alu instid0(VALU_DEP_1) | instskip(NEXT) | instid1(VALU_DEP_1)
	v_mov_b32_dpp v16, v7 row_shr:2 row_mask:0xf bank_mask:0xf
	v_cndmask_b32_e32 v16, 0, v16, vcc_lo
	v_cmp_lt_u32_e32 vcc_lo, 3, v11
	s_delay_alu instid0(VALU_DEP_2) | instskip(NEXT) | instid1(VALU_DEP_1)
	v_add_nc_u32_e32 v7, v7, v16
	v_mov_b32_dpp v16, v7 row_shr:4 row_mask:0xf bank_mask:0xf
	s_delay_alu instid0(VALU_DEP_1) | instskip(SKIP_1) | instid1(VALU_DEP_2)
	v_cndmask_b32_e32 v16, 0, v16, vcc_lo
	v_cmp_lt_u32_e32 vcc_lo, 7, v11
	v_add_nc_u32_e32 v7, v7, v16
	s_delay_alu instid0(VALU_DEP_1) | instskip(NEXT) | instid1(VALU_DEP_1)
	v_mov_b32_dpp v16, v7 row_shr:8 row_mask:0xf bank_mask:0xf
	v_cndmask_b32_e32 v16, 0, v16, vcc_lo
	v_cmp_gt_i32_e32 vcc_lo, 0, v13
	s_delay_alu instid0(VALU_DEP_2)
	v_add_nc_u32_e32 v7, v7, v16
	v_cndmask_b32_e32 v17, v13, v8, vcc_lo
	ds_swizzle_b32 v16, v7 offset:swizzle(BROADCAST,32,15)
	v_lshlrev_b32_e32 v17, 2, v17
	s_waitcnt lgkmcnt(0)
	v_and_b32_e32 v16, v12, v16
	s_delay_alu instid0(VALU_DEP_1) | instskip(SKIP_3) | instid1(VALU_DEP_1)
	v_add_nc_u32_e32 v7, v7, v16
	ds_bpermute_b32 v7, v17, v7
	s_waitcnt lgkmcnt(0)
	v_add_nc_u32_e32 v7, v7, v15
	v_cndmask_b32_e64 v7, v7, v2, s3
	ds_store_b32 v0, v7
	; wave barrier
	ds_load_2addr_b32 v[15:16], v0 offset0:1 offset1:2
	ds_load_2addr_b32 v[17:18], v0 offset0:3 offset1:4
	;; [unrolled: 1-line block ×3, first 2 shown]
	ds_load_b32 v21, v0 offset:28
	s_waitcnt lgkmcnt(3)
	v_add_nc_u32_e32 v7, v15, v7
	s_delay_alu instid0(VALU_DEP_1) | instskip(SKIP_1) | instid1(VALU_DEP_1)
	v_add_nc_u32_e32 v15, v16, v7
	s_waitcnt lgkmcnt(2)
	v_add_nc_u32_e32 v16, v17, v15
	s_delay_alu instid0(VALU_DEP_1) | instskip(SKIP_1) | instid1(VALU_DEP_1)
	v_add_nc_u32_e32 v17, v18, v16
	;; [unrolled: 4-line block ×3, first 2 shown]
	s_waitcnt lgkmcnt(0)
	v_add_nc_u32_e32 v20, v21, v19
	ds_store_2addr_b32 v0, v7, v15 offset0:1 offset1:2
	ds_store_2addr_b32 v0, v16, v17 offset0:3 offset1:4
	;; [unrolled: 1-line block ×3, first 2 shown]
	ds_store_b32 v0, v20 offset:28
.LBB149_39:                             ;   in Loop: Header=BB149_35 Depth=1
	s_or_b32 exec_lo, exec_lo, s21
	v_mov_b32_e32 v7, 0
	s_waitcnt lgkmcnt(0)
	s_barrier
	buffer_gl0_inv
	s_and_saveexec_b32 s21, s2
	s_cbranch_execz .LBB149_41
; %bb.40:                               ;   in Loop: Header=BB149_35 Depth=1
	ds_load_b32 v7, v10
.LBB149_41:                             ;   in Loop: Header=BB149_35 Depth=1
	s_or_b32 exec_lo, exec_lo, s21
	ds_load_b32 v15, v5 offset:1048
	s_mov_b32 s21, exec_lo
	s_waitcnt lgkmcnt(0)
	s_barrier
	buffer_gl0_inv
	v_cmpx_ne_u32_e32 0, v2
	s_cbranch_execz .LBB149_43
; %bb.42:                               ;   in Loop: Header=BB149_35 Depth=1
	v_add_nc_u32_e32 v22, v7, v3
	s_delay_alu instid0(VALU_DEP_1) | instskip(SKIP_1) | instid1(VALU_DEP_1)
	v_mad_u64_u32 v[16:17], null, v22, s16, 0
	v_mad_u64_u32 v[18:19], null, v22, s8, 0
	v_dual_mov_b32 v2, v17 :: v_dual_mov_b32 v7, v19
	s_delay_alu instid0(VALU_DEP_1) | instskip(NEXT) | instid1(VALU_DEP_2)
	v_mad_u64_u32 v[19:20], null, v22, s17, v[2:3]
	v_mad_u64_u32 v[20:21], null, v22, s9, v[7:8]
	s_delay_alu instid0(VALU_DEP_2) | instskip(NEXT) | instid1(VALU_DEP_2)
	v_mov_b32_e32 v17, v19
	v_mov_b32_e32 v19, v20
	s_delay_alu instid0(VALU_DEP_2) | instskip(NEXT) | instid1(VALU_DEP_2)
	v_lshlrev_b64 v[16:17], 2, v[16:17]
	v_lshlrev_b64 v[18:19], 3, v[18:19]
	s_delay_alu instid0(VALU_DEP_2) | instskip(NEXT) | instid1(VALU_DEP_3)
	v_add_co_u32 v16, vcc_lo, s14, v16
	v_add_co_ci_u32_e32 v17, vcc_lo, s15, v17, vcc_lo
	s_delay_alu instid0(VALU_DEP_3) | instskip(NEXT) | instid1(VALU_DEP_4)
	v_add_co_u32 v18, vcc_lo, s18, v18
	v_add_co_ci_u32_e32 v19, vcc_lo, s19, v19, vcc_lo
	global_store_b32 v[16:17], v14, off
	global_store_b64 v[18:19], v[4:5], off
.LBB149_43:                             ;   in Loop: Header=BB149_35 Depth=1
	s_or_b32 exec_lo, exec_lo, s21
	v_mov_b32_e32 v2, v5
	s_delay_alu instid0(VALU_DEP_1)
	v_cmp_le_u64_e32 vcc_lo, s[6:7], v[1:2]
	s_cbranch_vccnz .LBB149_34
; %bb.44:                               ;   in Loop: Header=BB149_35 Depth=1
	ds_store_b32 v9, v6
	s_waitcnt lgkmcnt(0)
	s_waitcnt_vscnt null, 0x0
	s_barrier
	buffer_gl0_inv
	s_and_saveexec_b32 s21, s0
	s_cbranch_execz .LBB149_46
; %bb.45:                               ;   in Loop: Header=BB149_35 Depth=1
	ds_load_2addr_b32 v[16:17], v0 offset1:1
	ds_load_2addr_b32 v[18:19], v0 offset0:2 offset1:3
	ds_load_2addr_b32 v[20:21], v0 offset0:4 offset1:5
	;; [unrolled: 1-line block ×3, first 2 shown]
	v_cmp_ne_u32_e32 vcc_lo, 0, v11
	; wave barrier
	s_waitcnt lgkmcnt(3)
	v_add_nc_u32_e32 v2, v17, v16
	s_waitcnt lgkmcnt(2)
	s_delay_alu instid0(VALU_DEP_1) | instskip(SKIP_1) | instid1(VALU_DEP_1)
	v_add3_u32 v2, v2, v18, v19
	s_waitcnt lgkmcnt(1)
	v_add3_u32 v2, v2, v20, v21
	s_waitcnt lgkmcnt(0)
	s_delay_alu instid0(VALU_DEP_1) | instskip(NEXT) | instid1(VALU_DEP_1)
	v_add3_u32 v2, v2, v22, v23
	v_mov_b32_dpp v7, v2 row_shr:1 row_mask:0xf bank_mask:0xf
	s_delay_alu instid0(VALU_DEP_1) | instskip(SKIP_1) | instid1(VALU_DEP_2)
	v_cndmask_b32_e32 v7, 0, v7, vcc_lo
	v_cmp_lt_u32_e32 vcc_lo, 1, v11
	v_add_nc_u32_e32 v2, v7, v2
	s_delay_alu instid0(VALU_DEP_1) | instskip(NEXT) | instid1(VALU_DEP_1)
	v_mov_b32_dpp v7, v2 row_shr:2 row_mask:0xf bank_mask:0xf
	v_cndmask_b32_e32 v7, 0, v7, vcc_lo
	v_cmp_lt_u32_e32 vcc_lo, 3, v11
	s_delay_alu instid0(VALU_DEP_2) | instskip(NEXT) | instid1(VALU_DEP_1)
	v_add_nc_u32_e32 v2, v2, v7
	v_mov_b32_dpp v7, v2 row_shr:4 row_mask:0xf bank_mask:0xf
	s_delay_alu instid0(VALU_DEP_1) | instskip(SKIP_1) | instid1(VALU_DEP_2)
	v_cndmask_b32_e32 v7, 0, v7, vcc_lo
	v_cmp_lt_u32_e32 vcc_lo, 7, v11
	v_add_nc_u32_e32 v2, v2, v7
	s_delay_alu instid0(VALU_DEP_1) | instskip(NEXT) | instid1(VALU_DEP_1)
	v_mov_b32_dpp v7, v2 row_shr:8 row_mask:0xf bank_mask:0xf
	v_cndmask_b32_e32 v7, 0, v7, vcc_lo
	v_cmp_gt_i32_e32 vcc_lo, 0, v13
	s_delay_alu instid0(VALU_DEP_2) | instskip(SKIP_4) | instid1(VALU_DEP_1)
	v_dual_cndmask_b32 v17, v13, v8 :: v_dual_add_nc_u32 v2, v2, v7
	ds_swizzle_b32 v7, v2 offset:swizzle(BROADCAST,32,15)
	v_lshlrev_b32_e32 v17, 2, v17
	s_waitcnt lgkmcnt(0)
	v_and_b32_e32 v7, v12, v7
	v_add_nc_u32_e32 v2, v2, v7
	ds_bpermute_b32 v2, v17, v2
	s_waitcnt lgkmcnt(0)
	v_add_nc_u32_e32 v2, v2, v16
	s_delay_alu instid0(VALU_DEP_1)
	v_cndmask_b32_e64 v2, v2, v6, s3
	ds_store_b32 v0, v2
	; wave barrier
	ds_load_2addr_b32 v[16:17], v0 offset0:1 offset1:2
	ds_load_2addr_b32 v[18:19], v0 offset0:3 offset1:4
	;; [unrolled: 1-line block ×3, first 2 shown]
	ds_load_b32 v7, v0 offset:28
	s_waitcnt lgkmcnt(3)
	v_add_nc_u32_e32 v2, v16, v2
	s_delay_alu instid0(VALU_DEP_1) | instskip(SKIP_1) | instid1(VALU_DEP_1)
	v_add_nc_u32_e32 v16, v17, v2
	s_waitcnt lgkmcnt(2)
	v_add_nc_u32_e32 v17, v18, v16
	s_delay_alu instid0(VALU_DEP_1) | instskip(SKIP_1) | instid1(VALU_DEP_1)
	v_add_nc_u32_e32 v18, v19, v17
	;; [unrolled: 4-line block ×3, first 2 shown]
	s_waitcnt lgkmcnt(0)
	v_add_nc_u32_e32 v7, v7, v20
	ds_store_2addr_b32 v0, v2, v16 offset0:1 offset1:2
	ds_store_2addr_b32 v0, v17, v18 offset0:3 offset1:4
	;; [unrolled: 1-line block ×3, first 2 shown]
	ds_store_b32 v0, v7 offset:28
.LBB149_46:                             ;   in Loop: Header=BB149_35 Depth=1
	s_or_b32 exec_lo, exec_lo, s21
	v_mov_b32_e32 v7, 0
	s_waitcnt lgkmcnt(0)
	s_barrier
	buffer_gl0_inv
	s_and_saveexec_b32 s21, s2
	s_cbranch_execz .LBB149_48
; %bb.47:                               ;   in Loop: Header=BB149_35 Depth=1
	ds_load_b32 v7, v10
.LBB149_48:                             ;   in Loop: Header=BB149_35 Depth=1
	s_or_b32 exec_lo, exec_lo, s21
	ds_load_b32 v2, v5 offset:1048
	s_mov_b32 s21, exec_lo
	s_waitcnt lgkmcnt(0)
	s_barrier
	buffer_gl0_inv
	v_cmpx_ne_u32_e32 0, v6
	s_cbranch_execz .LBB149_33
; %bb.49:                               ;   in Loop: Header=BB149_35 Depth=1
	v_dual_mov_b32 v7, v5 :: v_dual_add_nc_u32 v6, v7, v1
	s_delay_alu instid0(VALU_DEP_1)
	v_cmp_gt_u64_e32 vcc_lo, s[6:7], v[6:7]
	s_and_b32 exec_lo, exec_lo, vcc_lo
	s_cbranch_execz .LBB149_33
; %bb.50:                               ;   in Loop: Header=BB149_35 Depth=1
	v_mad_u64_u32 v[16:17], null, v6, s16, 0
	v_mad_u64_u32 v[18:19], null, v6, s8, 0
	s_delay_alu instid0(VALU_DEP_2) | instskip(NEXT) | instid1(VALU_DEP_2)
	v_mov_b32_e32 v7, v17
	v_mov_b32_e32 v17, v19
	s_delay_alu instid0(VALU_DEP_2) | instskip(NEXT) | instid1(VALU_DEP_2)
	v_mad_u64_u32 v[19:20], null, v6, s17, v[7:8]
	v_mad_u64_u32 v[20:21], null, v6, s9, v[17:18]
	s_delay_alu instid0(VALU_DEP_2) | instskip(NEXT) | instid1(VALU_DEP_2)
	v_mov_b32_e32 v17, v19
	v_mov_b32_e32 v19, v20
	s_delay_alu instid0(VALU_DEP_2) | instskip(NEXT) | instid1(VALU_DEP_2)
	v_lshlrev_b64 v[6:7], 2, v[16:17]
	v_lshlrev_b64 v[16:17], 3, v[18:19]
	s_delay_alu instid0(VALU_DEP_2) | instskip(NEXT) | instid1(VALU_DEP_3)
	v_add_co_u32 v6, vcc_lo, s14, v6
	v_add_co_ci_u32_e32 v7, vcc_lo, s15, v7, vcc_lo
	s_delay_alu instid0(VALU_DEP_3) | instskip(NEXT) | instid1(VALU_DEP_4)
	v_add_co_u32 v16, vcc_lo, s18, v16
	v_add_co_ci_u32_e32 v17, vcc_lo, s19, v17, vcc_lo
	global_store_b32 v[6:7], v14, off
	global_store_b64 v[16:17], v[4:5], off
	s_branch .LBB149_33
	.p2align	6
.LBB149_51:                             ;   in Loop: Header=BB149_52 Depth=1
	s_add_u32 s16, s16, 4
	s_addc_u32 s17, s17, 0
	s_waitcnt lgkmcnt(0)
	s_add_i32 s51, s13, s51
	s_add_u32 s18, s18, 4
	s_addc_u32 s19, s19, 0
	s_add_i32 s12, s12, 1
	s_delay_alu instid0(SALU_CYCLE_1)
	s_cmp_lt_u32 s12, s35
	s_cbranch_scc0 .LBB149_30
.LBB149_52:                             ; =>This Inner Loop Header: Depth=1
	s_load_b32 s13, s[16:17], 0x0
	s_cmp_ge_u32 s12, s73
	s_cbranch_scc1 .LBB149_51
; %bb.53:                               ;   in Loop: Header=BB149_52 Depth=1
	s_load_b32 s14, s[18:19], 0x0
	s_waitcnt lgkmcnt(0)
	s_add_i32 s53, s13, s53
	s_add_i32 s47, s14, s47
	s_branch .LBB149_51
.LBB149_54:
	s_nop 0
	s_sendmsg sendmsg(MSG_DEALLOC_VGPRS)
	s_endpgm
	.section	.rodata,"a",@progbits
	.p2align	6, 0x0
	.amdhsa_kernel _ZN2at6native6mbtopk10gatherTopKIimLi3EEEvNS_4cuda6detail10TensorInfoIKT_T0_EES8_S8_bjS8_NS5_IS6_S8_EES8_NS5_IlS8_EES8_jjPS6_PjSD_j
		.amdhsa_group_segment_fixed_size 1068
		.amdhsa_private_segment_fixed_size 0
		.amdhsa_kernarg_size 1592
		.amdhsa_user_sgpr_count 13
		.amdhsa_user_sgpr_dispatch_ptr 0
		.amdhsa_user_sgpr_queue_ptr 0
		.amdhsa_user_sgpr_kernarg_segment_ptr 1
		.amdhsa_user_sgpr_dispatch_id 0
		.amdhsa_user_sgpr_private_segment_size 0
		.amdhsa_wavefront_size32 1
		.amdhsa_uses_dynamic_stack 0
		.amdhsa_enable_private_segment 0
		.amdhsa_system_sgpr_workgroup_id_x 1
		.amdhsa_system_sgpr_workgroup_id_y 1
		.amdhsa_system_sgpr_workgroup_id_z 1
		.amdhsa_system_sgpr_workgroup_info 0
		.amdhsa_system_vgpr_workitem_id 0
		.amdhsa_next_free_vgpr 24
		.amdhsa_next_free_sgpr 75
		.amdhsa_reserve_vcc 1
		.amdhsa_float_round_mode_32 0
		.amdhsa_float_round_mode_16_64 0
		.amdhsa_float_denorm_mode_32 3
		.amdhsa_float_denorm_mode_16_64 3
		.amdhsa_dx10_clamp 1
		.amdhsa_ieee_mode 1
		.amdhsa_fp16_overflow 0
		.amdhsa_workgroup_processor_mode 1
		.amdhsa_memory_ordered 1
		.amdhsa_forward_progress 0
		.amdhsa_shared_vgpr_count 0
		.amdhsa_exception_fp_ieee_invalid_op 0
		.amdhsa_exception_fp_denorm_src 0
		.amdhsa_exception_fp_ieee_div_zero 0
		.amdhsa_exception_fp_ieee_overflow 0
		.amdhsa_exception_fp_ieee_underflow 0
		.amdhsa_exception_fp_ieee_inexact 0
		.amdhsa_exception_int_div_zero 0
	.end_amdhsa_kernel
	.section	.text._ZN2at6native6mbtopk10gatherTopKIimLi3EEEvNS_4cuda6detail10TensorInfoIKT_T0_EES8_S8_bjS8_NS5_IS6_S8_EES8_NS5_IlS8_EES8_jjPS6_PjSD_j,"axG",@progbits,_ZN2at6native6mbtopk10gatherTopKIimLi3EEEvNS_4cuda6detail10TensorInfoIKT_T0_EES8_S8_bjS8_NS5_IS6_S8_EES8_NS5_IlS8_EES8_jjPS6_PjSD_j,comdat
.Lfunc_end149:
	.size	_ZN2at6native6mbtopk10gatherTopKIimLi3EEEvNS_4cuda6detail10TensorInfoIKT_T0_EES8_S8_bjS8_NS5_IS6_S8_EES8_NS5_IlS8_EES8_jjPS6_PjSD_j, .Lfunc_end149-_ZN2at6native6mbtopk10gatherTopKIimLi3EEEvNS_4cuda6detail10TensorInfoIKT_T0_EES8_S8_bjS8_NS5_IS6_S8_EES8_NS5_IlS8_EES8_jjPS6_PjSD_j
                                        ; -- End function
	.section	.AMDGPU.csdata,"",@progbits
; Kernel info:
; codeLenInByte = 3876
; NumSgprs: 77
; NumVgprs: 24
; ScratchSize: 0
; MemoryBound: 0
; FloatMode: 240
; IeeeMode: 1
; LDSByteSize: 1068 bytes/workgroup (compile time only)
; SGPRBlocks: 9
; VGPRBlocks: 2
; NumSGPRsForWavesPerEU: 77
; NumVGPRsForWavesPerEU: 24
; Occupancy: 16
; WaveLimiterHint : 1
; COMPUTE_PGM_RSRC2:SCRATCH_EN: 0
; COMPUTE_PGM_RSRC2:USER_SGPR: 13
; COMPUTE_PGM_RSRC2:TRAP_HANDLER: 0
; COMPUTE_PGM_RSRC2:TGID_X_EN: 1
; COMPUTE_PGM_RSRC2:TGID_Y_EN: 1
; COMPUTE_PGM_RSRC2:TGID_Z_EN: 1
; COMPUTE_PGM_RSRC2:TIDIG_COMP_CNT: 0
	.section	.text._ZN2at6native6sbtopk10gatherTopKIimLi3ELb0EEEvNS_4cuda6detail10TensorInfoIKT_T0_EES8_S8_bS8_S8_NS5_IS6_S8_EES8_NS5_IlS8_EES8_PS6_,"axG",@progbits,_ZN2at6native6sbtopk10gatherTopKIimLi3ELb0EEEvNS_4cuda6detail10TensorInfoIKT_T0_EES8_S8_bS8_S8_NS5_IS6_S8_EES8_NS5_IlS8_EES8_PS6_,comdat
	.protected	_ZN2at6native6sbtopk10gatherTopKIimLi3ELb0EEEvNS_4cuda6detail10TensorInfoIKT_T0_EES8_S8_bS8_S8_NS5_IS6_S8_EES8_NS5_IlS8_EES8_PS6_ ; -- Begin function _ZN2at6native6sbtopk10gatherTopKIimLi3ELb0EEEvNS_4cuda6detail10TensorInfoIKT_T0_EES8_S8_bS8_S8_NS5_IS6_S8_EES8_NS5_IlS8_EES8_PS6_
	.globl	_ZN2at6native6sbtopk10gatherTopKIimLi3ELb0EEEvNS_4cuda6detail10TensorInfoIKT_T0_EES8_S8_bS8_S8_NS5_IS6_S8_EES8_NS5_IlS8_EES8_PS6_
	.p2align	8
	.type	_ZN2at6native6sbtopk10gatherTopKIimLi3ELb0EEEvNS_4cuda6detail10TensorInfoIKT_T0_EES8_S8_bS8_S8_NS5_IS6_S8_EES8_NS5_IlS8_EES8_PS6_,@function
_ZN2at6native6sbtopk10gatherTopKIimLi3ELb0EEEvNS_4cuda6detail10TensorInfoIKT_T0_EES8_S8_bS8_S8_NS5_IS6_S8_EES8_NS5_IlS8_EES8_PS6_: ; @_ZN2at6native6sbtopk10gatherTopKIimLi3ELb0EEEvNS_4cuda6detail10TensorInfoIKT_T0_EES8_S8_bS8_S8_NS5_IS6_S8_EES8_NS5_IlS8_EES8_PS6_
; %bb.0:
	s_clause 0x1
	s_load_b64 s[22:23], s[0:1], 0x520
	s_load_b128 s[28:31], s[0:1], 0x1b8
	s_add_u32 s20, s0, 0x520
	s_addc_u32 s21, s1, 0
	s_mov_b32 s35, 0
	s_waitcnt lgkmcnt(0)
	s_mul_i32 s2, s23, s15
	s_delay_alu instid0(SALU_CYCLE_1) | instskip(NEXT) | instid1(SALU_CYCLE_1)
	s_add_i32 s2, s2, s14
	s_mul_i32 s2, s2, s22
	s_delay_alu instid0(SALU_CYCLE_1) | instskip(NEXT) | instid1(SALU_CYCLE_1)
	s_add_i32 s34, s2, s13
	v_cmp_ge_u64_e64 s2, s[34:35], s[28:29]
	s_delay_alu instid0(VALU_DEP_1)
	s_and_b32 vcc_lo, exec_lo, s2
	s_cbranch_vccnz .LBB150_550
; %bb.1:
	s_load_b128 s[8:11], s[0:1], 0x10
	s_mov_b64 s[2:3], 0
	s_mov_b64 s[6:7], 0
	s_waitcnt lgkmcnt(0)
	v_cmp_lt_u64_e64 s4, s[34:35], s[10:11]
	s_delay_alu instid0(VALU_DEP_1)
	s_and_b32 vcc_lo, exec_lo, s4
	s_cbranch_vccnz .LBB150_3
; %bb.2:
	v_cvt_f32_u32_e32 v1, s10
	s_sub_i32 s4, 0, s10
	s_mov_b32 s7, 0
	s_delay_alu instid0(VALU_DEP_1) | instskip(SKIP_2) | instid1(VALU_DEP_1)
	v_rcp_iflag_f32_e32 v1, v1
	s_waitcnt_depctr 0xfff
	v_mul_f32_e32 v1, 0x4f7ffffe, v1
	v_cvt_u32_f32_e32 v1, v1
	s_delay_alu instid0(VALU_DEP_1) | instskip(NEXT) | instid1(VALU_DEP_1)
	v_readfirstlane_b32 s3, v1
	s_mul_i32 s4, s4, s3
	s_delay_alu instid0(SALU_CYCLE_1) | instskip(NEXT) | instid1(SALU_CYCLE_1)
	s_mul_hi_u32 s4, s3, s4
	s_add_i32 s3, s3, s4
	s_delay_alu instid0(SALU_CYCLE_1) | instskip(NEXT) | instid1(SALU_CYCLE_1)
	s_mul_hi_u32 s3, s34, s3
	s_mul_i32 s4, s3, s10
	s_add_i32 s5, s3, 1
	s_sub_i32 s4, s34, s4
	s_delay_alu instid0(SALU_CYCLE_1)
	s_sub_i32 s6, s4, s10
	s_cmp_ge_u32 s4, s10
	s_cselect_b32 s3, s5, s3
	s_cselect_b32 s4, s6, s4
	s_add_i32 s5, s3, 1
	s_cmp_ge_u32 s4, s10
	s_cselect_b32 s6, s5, s3
.LBB150_3:
	s_load_b128 s[40:43], s[0:1], 0x1d8
	v_cmp_lt_u64_e64 s3, s[6:7], s[8:9]
	s_delay_alu instid0(VALU_DEP_1)
	s_and_b32 vcc_lo, exec_lo, s3
	s_cbranch_vccnz .LBB150_5
; %bb.4:
	v_cvt_f32_u32_e32 v1, s8
	s_sub_i32 s3, 0, s8
	s_delay_alu instid0(VALU_DEP_1) | instskip(SKIP_2) | instid1(VALU_DEP_1)
	v_rcp_iflag_f32_e32 v1, v1
	s_waitcnt_depctr 0xfff
	v_mul_f32_e32 v1, 0x4f7ffffe, v1
	v_cvt_u32_f32_e32 v1, v1
	s_delay_alu instid0(VALU_DEP_1) | instskip(NEXT) | instid1(VALU_DEP_1)
	v_readfirstlane_b32 s2, v1
	s_mul_i32 s3, s3, s2
	s_delay_alu instid0(SALU_CYCLE_1) | instskip(NEXT) | instid1(SALU_CYCLE_1)
	s_mul_hi_u32 s3, s2, s3
	s_add_i32 s2, s2, s3
	s_delay_alu instid0(SALU_CYCLE_1) | instskip(NEXT) | instid1(SALU_CYCLE_1)
	s_mul_hi_u32 s2, s6, s2
	s_mul_i32 s3, s2, s8
	s_add_i32 s4, s2, 1
	s_sub_i32 s3, s6, s3
	s_delay_alu instid0(SALU_CYCLE_1)
	s_sub_i32 s5, s3, s8
	s_cmp_ge_u32 s3, s8
	s_cselect_b32 s2, s4, s2
	s_cselect_b32 s3, s5, s3
	s_add_i32 s4, s2, 1
	s_cmp_ge_u32 s3, s8
	s_cselect_b32 s2, s4, s2
.LBB150_5:
	s_waitcnt lgkmcnt(0)
	v_cmp_lt_u64_e64 s3, s[34:35], s[42:43]
	s_mov_b64 s[28:29], 0
	s_mov_b64 s[56:57], 0
	s_delay_alu instid0(VALU_DEP_1)
	s_and_b32 vcc_lo, exec_lo, s3
	s_cbranch_vccnz .LBB150_7
; %bb.6:
	v_cvt_f32_u32_e32 v1, s42
	s_sub_i32 s4, 0, s42
	s_mov_b32 s57, 0
	s_delay_alu instid0(VALU_DEP_1) | instskip(SKIP_2) | instid1(VALU_DEP_1)
	v_rcp_iflag_f32_e32 v1, v1
	s_waitcnt_depctr 0xfff
	v_mul_f32_e32 v1, 0x4f7ffffe, v1
	v_cvt_u32_f32_e32 v1, v1
	s_delay_alu instid0(VALU_DEP_1) | instskip(NEXT) | instid1(VALU_DEP_1)
	v_readfirstlane_b32 s3, v1
	s_mul_i32 s4, s4, s3
	s_delay_alu instid0(SALU_CYCLE_1) | instskip(NEXT) | instid1(SALU_CYCLE_1)
	s_mul_hi_u32 s4, s3, s4
	s_add_i32 s3, s3, s4
	s_delay_alu instid0(SALU_CYCLE_1) | instskip(NEXT) | instid1(SALU_CYCLE_1)
	s_mul_hi_u32 s3, s34, s3
	s_mul_i32 s4, s3, s42
	s_add_i32 s5, s3, 1
	s_sub_i32 s4, s34, s4
	s_delay_alu instid0(SALU_CYCLE_1)
	s_sub_i32 s12, s4, s42
	s_cmp_ge_u32 s4, s42
	s_cselect_b32 s3, s5, s3
	s_cselect_b32 s4, s12, s4
	s_add_i32 s5, s3, 1
	s_cmp_ge_u32 s4, s42
	s_cselect_b32 s56, s5, s3
.LBB150_7:
	s_load_b128 s[44:47], s[0:1], 0x380
	v_cmp_lt_u64_e64 s3, s[56:57], s[40:41]
	s_delay_alu instid0(VALU_DEP_1)
	s_and_b32 vcc_lo, exec_lo, s3
	s_cbranch_vccnz .LBB150_9
; %bb.8:
	v_cvt_f32_u32_e32 v1, s40
	s_sub_i32 s4, 0, s40
	s_delay_alu instid0(VALU_DEP_1) | instskip(SKIP_2) | instid1(VALU_DEP_1)
	v_rcp_iflag_f32_e32 v1, v1
	s_waitcnt_depctr 0xfff
	v_mul_f32_e32 v1, 0x4f7ffffe, v1
	v_cvt_u32_f32_e32 v1, v1
	s_delay_alu instid0(VALU_DEP_1) | instskip(NEXT) | instid1(VALU_DEP_1)
	v_readfirstlane_b32 s3, v1
	s_mul_i32 s4, s4, s3
	s_delay_alu instid0(SALU_CYCLE_1) | instskip(NEXT) | instid1(SALU_CYCLE_1)
	s_mul_hi_u32 s4, s3, s4
	s_add_i32 s3, s3, s4
	s_delay_alu instid0(SALU_CYCLE_1) | instskip(NEXT) | instid1(SALU_CYCLE_1)
	s_mul_hi_u32 s3, s56, s3
	s_mul_i32 s4, s3, s40
	s_add_i32 s5, s3, 1
	s_sub_i32 s4, s56, s4
	s_delay_alu instid0(SALU_CYCLE_1)
	s_sub_i32 s12, s4, s40
	s_cmp_ge_u32 s4, s40
	s_cselect_b32 s3, s5, s3
	s_cselect_b32 s4, s12, s4
	s_add_i32 s5, s3, 1
	s_cmp_ge_u32 s4, s40
	s_cselect_b32 s28, s5, s3
.LBB150_9:
	s_clause 0x1
	s_load_b64 s[14:15], s[0:1], 0xe0
	s_load_b128 s[16:19], s[0:1], 0xd0
	s_waitcnt lgkmcnt(0)
	v_cmp_lt_u64_e64 s3, s[34:35], s[46:47]
	s_mov_b64 s[60:61], 0
	s_mov_b64 s[62:63], 0
	s_delay_alu instid0(VALU_DEP_1)
	s_and_b32 vcc_lo, exec_lo, s3
	s_cbranch_vccnz .LBB150_11
; %bb.10:
	v_cvt_f32_u32_e32 v1, s46
	s_sub_i32 s4, 0, s46
	s_mov_b32 s63, 0
	s_delay_alu instid0(VALU_DEP_1) | instskip(SKIP_2) | instid1(VALU_DEP_1)
	v_rcp_iflag_f32_e32 v1, v1
	s_waitcnt_depctr 0xfff
	v_mul_f32_e32 v1, 0x4f7ffffe, v1
	v_cvt_u32_f32_e32 v1, v1
	s_delay_alu instid0(VALU_DEP_1) | instskip(NEXT) | instid1(VALU_DEP_1)
	v_readfirstlane_b32 s3, v1
	s_mul_i32 s4, s4, s3
	s_delay_alu instid0(SALU_CYCLE_1) | instskip(NEXT) | instid1(SALU_CYCLE_1)
	s_mul_hi_u32 s4, s3, s4
	s_add_i32 s3, s3, s4
	s_delay_alu instid0(SALU_CYCLE_1) | instskip(NEXT) | instid1(SALU_CYCLE_1)
	s_mul_hi_u32 s3, s34, s3
	s_mul_i32 s4, s3, s46
	s_add_i32 s5, s3, 1
	s_sub_i32 s4, s34, s4
	s_delay_alu instid0(SALU_CYCLE_1)
	s_sub_i32 s12, s4, s46
	s_cmp_ge_u32 s4, s46
	s_cselect_b32 s3, s5, s3
	s_cselect_b32 s4, s12, s4
	s_add_i32 s5, s3, 1
	s_cmp_ge_u32 s4, s46
	s_cselect_b32 s62, s5, s3
.LBB150_11:
	s_load_b64 s[24:25], s[0:1], 0x0
	v_cmp_lt_u64_e64 s3, s[62:63], s[44:45]
	s_delay_alu instid0(VALU_DEP_1)
	s_and_b32 vcc_lo, exec_lo, s3
	s_cbranch_vccnz .LBB150_13
; %bb.12:
	v_cvt_f32_u32_e32 v1, s44
	s_sub_i32 s4, 0, s44
	s_delay_alu instid0(VALU_DEP_1) | instskip(SKIP_2) | instid1(VALU_DEP_1)
	v_rcp_iflag_f32_e32 v1, v1
	s_waitcnt_depctr 0xfff
	v_mul_f32_e32 v1, 0x4f7ffffe, v1
	v_cvt_u32_f32_e32 v1, v1
	s_delay_alu instid0(VALU_DEP_1) | instskip(NEXT) | instid1(VALU_DEP_1)
	v_readfirstlane_b32 s3, v1
	s_mul_i32 s4, s4, s3
	s_delay_alu instid0(SALU_CYCLE_1) | instskip(NEXT) | instid1(SALU_CYCLE_1)
	s_mul_hi_u32 s4, s3, s4
	s_add_i32 s3, s3, s4
	s_delay_alu instid0(SALU_CYCLE_1) | instskip(NEXT) | instid1(SALU_CYCLE_1)
	s_mul_hi_u32 s3, s62, s3
	s_mul_i32 s4, s3, s44
	s_add_i32 s5, s3, 1
	s_sub_i32 s4, s62, s4
	s_delay_alu instid0(SALU_CYCLE_1)
	s_sub_i32 s12, s4, s44
	s_cmp_ge_u32 s4, s44
	s_cselect_b32 s3, s5, s3
	s_cselect_b32 s4, s12, s4
	s_add_i32 s5, s3, 1
	s_cmp_ge_u32 s4, s44
	s_cselect_b32 s60, s5, s3
.LBB150_13:
	s_clause 0x1
	s_load_b64 s[4:5], s[0:1], 0x370
	s_load_b128 s[36:39], s[0:1], 0x1a0
                                        ; implicit-def: $vgpr37 : SGPR spill to VGPR lane
	s_mov_b32 s71, 0
	s_waitcnt lgkmcnt(0)
	v_writelane_b32 v37, s4, 0
	v_writelane_b32 v37, s5, 1
	v_cmp_eq_u32_e64 s5, 0, v0
	s_delay_alu instid0(VALU_DEP_1)
	s_and_saveexec_b32 s3, s5
	s_cbranch_execz .LBB150_15
; %bb.14:
	v_dual_mov_b32 v1, 0 :: v_dual_mov_b32 v4, s37
	s_delay_alu instid0(VALU_DEP_1)
	v_dual_mov_b32 v3, s36 :: v_dual_mov_b32 v2, v1
	ds_store_b32 v1, v1 offset:5144
	ds_store_b128 v1, v[1:4] offset:5120
.LBB150_15:
	s_or_b32 exec_lo, exec_lo, s3
	s_mul_i32 s3, s2, s9
	s_mul_hi_u32 s4, s2, s8
	s_mul_i32 s8, s2, s8
	s_add_i32 s4, s4, s3
	s_sub_u32 s3, s6, s8
	s_subb_u32 s4, s7, s4
	s_mul_i32 s8, s3, s19
	s_mul_hi_u32 s9, s3, s18
	s_mul_i32 s4, s4, s18
	s_add_i32 s7, s9, s8
	s_mul_i32 s8, s3, s18
	s_add_i32 s9, s7, s4
	s_mul_i32 s4, s2, s17
	s_mul_hi_u32 s7, s2, s16
	s_mul_i32 s2, s2, s16
	s_add_i32 s3, s7, s4
	s_mul_i32 s4, s6, s11
	s_mul_hi_u32 s7, s6, s10
	s_mul_i32 s6, s6, s10
	s_add_i32 s7, s7, s4
	s_sub_u32 s4, s34, s6
	s_subb_u32 s7, 0, s7
	s_mul_i32 s6, s4, s15
	s_mul_hi_u32 s11, s4, s14
	s_mul_i32 s7, s7, s14
	s_add_i32 s6, s11, s6
	s_lshl_b64 s[2:3], s[2:3], 2
	s_add_i32 s7, s6, s7
	s_add_u32 s11, s24, s2
	s_load_b32 s10, s[0:1], 0x1b0
	s_addc_u32 s12, s25, s3
	s_lshl_b64 s[2:3], s[8:9], 2
	s_mul_i32 s6, s4, s14
	s_add_u32 s4, s11, s2
	v_mad_u64_u32 v[2:3], null, v0, s30, 0
	s_addc_u32 s8, s12, s3
	s_lshl_b64 s[2:3], s[6:7], 2
	s_waitcnt lgkmcnt(0)
	s_barrier
	buffer_gl0_inv
	s_load_b32 s7, s[20:21], 0xc
	v_dual_mov_b32 v1, v3 :: v_dual_lshlrev_b32 v14, 2, v0
	v_mbcnt_lo_u32_b32 v26, -1, 0
	s_add_u32 s29, s4, s2
	s_addc_u32 s33, s8, s3
	s_delay_alu instid0(VALU_DEP_2)
	v_mad_u64_u32 v[3:4], null, v0, s31, v[1:2]
	v_cmp_gt_u32_e32 vcc_lo, 32, v0
	v_cmp_gt_i32_e64 s4, 4, v26
	s_bitcmp1_b32 s10, 0
	v_dual_mov_b32 v13, 0 :: v_dual_add_nc_u32 v28, 0xc00, v14
	s_cselect_b32 s3, -1, 0
	s_delay_alu instid0(VALU_DEP_4)
	v_lshlrev_b64 v[2:3], 2, v[2:3]
	s_xor_b32 s61, s3, -1
	s_and_b32 s84, vcc_lo, s4
	v_mov_b32_e32 v1, v13
	v_lshrrev_b32_e32 v4, 3, v0
	v_dual_mov_b32 v19, s38 :: v_dual_mov_b32 v20, s39
	s_waitcnt lgkmcnt(0)
	s_and_b32 s35, s7, 0xffff
	s_bfe_u32 s8, s7, 0xb0005
	s_add_u32 s86, s35, -1
	s_addc_u32 s87, 0, -1
	s_add_u32 s88, s86, s36
	s_addc_u32 s27, s87, s37
	s_cmp_lt_u32 s13, s22
	v_add_co_u32 v10, vcc_lo, s29, v2
	s_cselect_b32 s9, 12, 18
	v_add_co_ci_u32_e32 v11, vcc_lo, s33, v3, vcc_lo
	v_lshlrev_b64 v[2:3], v26, -1
	s_add_u32 s72, s20, s9
	s_addc_u32 s73, s21, 0
	s_add_i32 s9, s8, -1
	s_bfe_u32 s89, s35, 0x30005
	s_cmp_gt_u32 s9, 6
	v_cmp_lt_u64_e64 s85, 0x300, s[36:37]
	v_cmp_gt_u64_e64 s4, s[36:37], v[0:1]
	v_cmp_eq_u32_e64 s2, 0, v26
	v_dual_mov_b32 v15, v13 :: v_dual_mov_b32 v16, 1
	v_dual_mov_b32 v18, 0 :: v_dual_and_b32 v27, 0x7c, v4
	v_cmp_gt_u32_e64 s6, 2, v0
	v_not_b32_e32 v25, v2
	s_cselect_b32 s90, -1, 0
	s_and_b32 s91, s8, 0x7f8
	v_cmp_gt_u16_e64 s92, s7, 31
	v_dual_mov_b32 v32, 0 :: v_dual_lshlrev_b32 v29, 4, v0
	v_lshl_or_b32 v30, v26, 3, 0xc00
	v_mov_b32_e32 v31, 0
	s_cmp_lg_u32 s89, 0
	s_mov_b32 s101, 30
	s_cselect_b32 s93, -1, 0
	s_lshl_b32 s94, s35, 2
	s_mov_b32 s95, 0
	s_mov_b32 s97, 0
                                        ; implicit-def: $sgpr96
                                        ; implicit-def: $sgpr100
                                        ; implicit-def: $sgpr99
                                        ; implicit-def: $sgpr102
                                        ; implicit-def: $sgpr98
                                        ; implicit-def: $sgpr103
                                        ; implicit-def: $vcc_hi
                                        ; implicit-def: $sgpr104
                                        ; implicit-def: $sgpr66
                                        ; implicit-def: $sgpr67
	s_branch .LBB150_18
.LBB150_16:                             ;   in Loop: Header=BB150_18 Depth=1
	s_or_b32 exec_lo, exec_lo, s10
	v_dual_mov_b32 v31, v22 :: v_dual_mov_b32 v32, v21
	v_dual_mov_b32 v20, v5 :: v_dual_mov_b32 v19, v4
	v_mov_b32_e32 v18, v3
	s_and_not1_b32 s10, s67, exec_lo
	s_and_b32 s9, s9, exec_lo
	s_and_not1_b32 s66, s66, exec_lo
	s_or_b32 s67, s10, s9
	s_and_not1_b32 s104, s104, exec_lo
	s_and_not1_b32 vcc_hi, vcc_hi, exec_lo
	s_and_not1_b32 s103, s103, exec_lo
	s_or_not1_b32 s8, s8, exec_lo
.LBB150_17:                             ;   in Loop: Header=BB150_18 Depth=1
	s_or_b32 exec_lo, exec_lo, s7
	s_delay_alu instid0(SALU_CYCLE_1) | instskip(NEXT) | instid1(SALU_CYCLE_1)
	s_and_b32 s7, exec_lo, s8
	s_or_b32 s95, s7, s95
	s_and_not1_b32 s7, s98, exec_lo
	s_and_b32 s8, s67, exec_lo
	s_and_not1_b32 s9, s102, exec_lo
	s_or_b32 s98, s7, s8
	s_and_b32 s7, s66, exec_lo
	s_and_not1_b32 s8, s99, exec_lo
	s_and_b32 s10, s104, exec_lo
	s_or_b32 s102, s9, s7
	s_or_b32 s99, s8, s10
	s_and_not1_b32 s7, s100, exec_lo
	s_and_b32 s8, vcc_hi, exec_lo
	s_and_not1_b32 s9, s96, exec_lo
	s_and_b32 s10, s103, exec_lo
	s_or_b32 s100, s7, s8
	s_or_b32 s96, s9, s10
	s_and_not1_b32 exec_lo, exec_lo, s95
	s_cbranch_execz .LBB150_490
.LBB150_18:                             ; =>This Loop Header: Depth=1
                                        ;     Child Loop BB150_26 Depth 2
                                        ;     Child Loop BB150_44 Depth 2
	;; [unrolled: 1-line block ×24, first 2 shown]
	ds_load_b128 v[2:5], v13 offset:5120
	s_waitcnt lgkmcnt(0)
	v_readfirstlane_b32 s75, v3
	v_readfirstlane_b32 s74, v2
	s_delay_alu instid0(VALU_DEP_1)
	s_cmp_lg_u64 s[74:75], 0
	s_cbranch_scc1 .LBB150_51
; %bb.19:                               ;   in Loop: Header=BB150_18 Depth=1
	s_and_b32 vcc_lo, exec_lo, s85
	s_cbranch_vccz .LBB150_34
; %bb.20:                               ;   in Loop: Header=BB150_18 Depth=1
	v_cmp_gt_u64_e32 vcc_lo, 0x301, v[4:5]
	s_mov_b32 s9, 0
	s_mov_b32 s7, 0
	s_cbranch_vccz .LBB150_35
; %bb.21:                               ;   in Loop: Header=BB150_18 Depth=1
	v_mov_b32_e32 v4, 0
	s_and_saveexec_b32 s7, s4
	s_cbranch_execz .LBB150_23
; %bb.22:                               ;   in Loop: Header=BB150_18 Depth=1
	global_load_b32 v4, v[10:11], off
.LBB150_23:                             ;   in Loop: Header=BB150_18 Depth=1
	s_or_b32 exec_lo, exec_lo, s7
	s_and_saveexec_b32 s10, s4
	s_cbranch_execz .LBB150_36
; %bb.24:                               ;   in Loop: Header=BB150_18 Depth=1
	global_load_u16 v2, v13, s[72:73]
	s_mov_b32 s11, 0
	s_waitcnt vmcnt(0)
	v_and_b32_e32 v5, 0xffff, v2
	v_dual_mov_b32 v3, v1 :: v_dual_mov_b32 v2, v0
	s_branch .LBB150_26
.LBB150_25:                             ;   in Loop: Header=BB150_26 Depth=2
	s_or_b32 exec_lo, exec_lo, s8
	s_waitcnt vmcnt(0)
	v_mov_b32_e32 v4, v6
	s_and_not1_b32 exec_lo, exec_lo, s11
	s_cbranch_execz .LBB150_36
.LBB150_26:                             ;   Parent Loop BB150_18 Depth=1
                                        ; =>  This Inner Loop Header: Depth=2
	s_delay_alu instid0(VALU_DEP_1) | instskip(NEXT) | instid1(VALU_DEP_2)
	v_add_co_u32 v2, vcc_lo, v2, v5
	v_add_co_ci_u32_e32 v3, vcc_lo, 0, v3, vcc_lo
	s_waitcnt lgkmcnt(0)
	v_dual_mov_b32 v7, 0 :: v_dual_mov_b32 v6, 0
	s_mov_b32 s8, exec_lo
	s_delay_alu instid0(VALU_DEP_2)
	v_cmp_le_u64_e32 vcc_lo, s[36:37], v[2:3]
	v_cmpx_gt_u64_e64 s[36:37], v[2:3]
	s_cbranch_execz .LBB150_28
; %bb.27:                               ;   in Loop: Header=BB150_26 Depth=2
	v_mul_lo_u32 v6, v3, s30
	v_mul_lo_u32 v12, v2, s31
	v_mad_u64_u32 v[8:9], null, v2, s30, 0
	s_delay_alu instid0(VALU_DEP_1) | instskip(NEXT) | instid1(VALU_DEP_1)
	v_add3_u32 v9, v9, v12, v6
	v_lshlrev_b64 v[8:9], 2, v[8:9]
	s_delay_alu instid0(VALU_DEP_1) | instskip(NEXT) | instid1(VALU_DEP_1)
	v_add_co_u32 v8, s7, s29, v8
	v_add_co_ci_u32_e64 v9, s7, s33, v9, s7
	global_load_b32 v6, v[8:9], off
.LBB150_28:                             ;   in Loop: Header=BB150_26 Depth=2
	s_or_b32 exec_lo, exec_lo, s8
	v_xor_b32_e32 v8, 0x80000000, v4
	s_delay_alu instid0(VALU_DEP_1) | instskip(NEXT) | instid1(VALU_DEP_1)
	v_and_b32_e32 v8, v8, v31
	v_cmp_eq_u32_e64 s7, v8, v32
	s_delay_alu instid0(VALU_DEP_1) | instskip(SKIP_1) | instid1(SALU_CYCLE_1)
	s_cmp_lg_u32 s7, 0
	s_cselect_b32 s8, -1, 0
	s_and_b32 s8, s2, s8
	s_delay_alu instid0(SALU_CYCLE_1)
	s_and_saveexec_b32 s12, s8
	s_cbranch_execz .LBB150_32
; %bb.29:                               ;   in Loop: Header=BB150_26 Depth=2
	s_mov_b32 s15, exec_lo
	s_bcnt1_i32_b32 s13, s7
	v_mbcnt_lo_u32_b32 v7, s15, 0
	s_mov_b32 s14, exec_lo
                                        ; implicit-def: $vgpr8
	s_delay_alu instid0(VALU_DEP_1)
	v_cmpx_eq_u32_e32 0, v7
	s_cbranch_execz .LBB150_31
; %bb.30:                               ;   in Loop: Header=BB150_26 Depth=2
	s_bcnt1_i32_b32 s8, s15
	s_delay_alu instid0(SALU_CYCLE_1) | instskip(NEXT) | instid1(SALU_CYCLE_1)
	s_mul_i32 s8, s13, s8
	v_mov_b32_e32 v8, s8
	ds_add_rtn_u32 v8, v13, v8 offset:5144
.LBB150_31:                             ;   in Loop: Header=BB150_26 Depth=2
	s_or_b32 exec_lo, exec_lo, s14
	s_waitcnt lgkmcnt(0)
	v_readfirstlane_b32 s8, v8
	s_delay_alu instid0(VALU_DEP_1)
	v_mad_u32_u24 v7, s13, v7, s8
.LBB150_32:                             ;   in Loop: Header=BB150_26 Depth=2
	s_or_b32 exec_lo, exec_lo, s12
	ds_bpermute_b32 v7, v13, v7
	s_and_b32 s8, exec_lo, vcc_lo
	s_delay_alu instid0(SALU_CYCLE_1)
	s_or_b32 s11, s8, s11
	s_and_saveexec_b32 s8, s7
	s_cbranch_execz .LBB150_25
; %bb.33:                               ;   in Loop: Header=BB150_26 Depth=2
	v_and_b32_e32 v8, s7, v25
	s_delay_alu instid0(VALU_DEP_1) | instskip(NEXT) | instid1(VALU_DEP_1)
	v_bcnt_u32_b32 v8, v8, 0
	v_lshlrev_b32_e32 v8, 2, v8
	s_waitcnt lgkmcnt(0)
	s_delay_alu instid0(VALU_DEP_1)
	v_lshl_add_u32 v7, v7, 2, v8
	ds_store_b32 v7, v4
	s_branch .LBB150_25
.LBB150_34:                             ;   in Loop: Header=BB150_18 Depth=1
	s_mov_b32 s7, 0
                                        ; implicit-def: $sgpr74_sgpr75
	s_cbranch_execnz .LBB150_39
	s_branch .LBB150_49
.LBB150_35:                             ;   in Loop: Header=BB150_18 Depth=1
	s_mov_b64 s[74:75], 0
	s_and_b32 vcc_lo, exec_lo, s9
	s_cbranch_vccnz .LBB150_39
	s_branch .LBB150_49
.LBB150_36:                             ;   in Loop: Header=BB150_18 Depth=1
	s_or_b32 exec_lo, exec_lo, s10
	s_waitcnt vmcnt(0) lgkmcnt(0)
	s_barrier
	buffer_gl0_inv
	s_and_saveexec_b32 s7, s5
	s_cbranch_execz .LBB150_38
; %bb.37:                               ;   in Loop: Header=BB150_18 Depth=1
	ds_load_b32 v2, v13 offset:5144
	s_waitcnt lgkmcnt(0)
	v_ashrrev_i32_e32 v3, 31, v2
	ds_store_b64 v13, v[2:3] offset:5120
.LBB150_38:                             ;   in Loop: Header=BB150_18 Depth=1
	s_or_b32 exec_lo, exec_lo, s7
	s_waitcnt lgkmcnt(0)
	s_mov_b32 s7, -1
	s_barrier
	s_mov_b64 s[74:75], 0
	s_and_b32 vcc_lo, exec_lo, s9
	s_cbranch_vccz .LBB150_49
.LBB150_39:                             ;   in Loop: Header=BB150_18 Depth=1
	v_mov_b32_e32 v4, 0
	s_and_saveexec_b32 s7, s4
	s_cbranch_execz .LBB150_41
; %bb.40:                               ;   in Loop: Header=BB150_18 Depth=1
	global_load_b32 v4, v[10:11], off
.LBB150_41:                             ;   in Loop: Header=BB150_18 Depth=1
	s_or_b32 exec_lo, exec_lo, s7
	s_and_saveexec_b32 s8, s4
	s_cbranch_execz .LBB150_46
; %bb.42:                               ;   in Loop: Header=BB150_18 Depth=1
	global_load_u16 v2, v13, s[72:73]
	s_mov_b32 s9, 0
	s_waitcnt vmcnt(0)
	v_dual_mov_b32 v6, v14 :: v_dual_and_b32 v5, 0xffff, v2
	v_dual_mov_b32 v3, v1 :: v_dual_mov_b32 v2, v0
	s_delay_alu instid0(VALU_DEP_2)
	v_lshlrev_b32_e32 v7, 2, v5
	s_set_inst_prefetch_distance 0x1
	s_branch .LBB150_44
	.p2align	6
.LBB150_43:                             ;   in Loop: Header=BB150_44 Depth=2
	s_or_b32 exec_lo, exec_lo, s10
	ds_store_b32 v6, v4
	v_add_nc_u32_e32 v6, v6, v7
	s_waitcnt vmcnt(0)
	v_mov_b32_e32 v4, v8
	s_and_b32 s7, exec_lo, vcc_lo
	s_delay_alu instid0(SALU_CYCLE_1) | instskip(NEXT) | instid1(SALU_CYCLE_1)
	s_or_b32 s9, s7, s9
	s_and_not1_b32 exec_lo, exec_lo, s9
	s_cbranch_execz .LBB150_46
.LBB150_44:                             ;   Parent Loop BB150_18 Depth=1
                                        ; =>  This Inner Loop Header: Depth=2
	s_delay_alu instid0(VALU_DEP_2) | instskip(SKIP_3) | instid1(VALU_DEP_2)
	v_add_co_u32 v2, vcc_lo, v2, v5
	v_add_co_ci_u32_e32 v3, vcc_lo, 0, v3, vcc_lo
	v_mov_b32_e32 v8, 0
	s_mov_b32 s10, exec_lo
	v_cmp_le_u64_e32 vcc_lo, s[36:37], v[2:3]
	v_cmpx_gt_u64_e64 s[36:37], v[2:3]
	s_cbranch_execz .LBB150_43
; %bb.45:                               ;   in Loop: Header=BB150_44 Depth=2
	v_mul_lo_u32 v12, v3, s30
	v_mul_lo_u32 v17, v2, s31
	v_mad_u64_u32 v[8:9], null, v2, s30, 0
	s_delay_alu instid0(VALU_DEP_1) | instskip(NEXT) | instid1(VALU_DEP_1)
	v_add3_u32 v9, v9, v17, v12
	v_lshlrev_b64 v[8:9], 2, v[8:9]
	s_delay_alu instid0(VALU_DEP_1) | instskip(NEXT) | instid1(VALU_DEP_1)
	v_add_co_u32 v8, s7, s29, v8
	v_add_co_ci_u32_e64 v9, s7, s33, v9, s7
	global_load_b32 v8, v[8:9], off
	s_branch .LBB150_43
.LBB150_46:                             ;   in Loop: Header=BB150_18 Depth=1
	s_set_inst_prefetch_distance 0x2
	s_or_b32 exec_lo, exec_lo, s8
	s_waitcnt vmcnt(0) lgkmcnt(0)
	s_barrier
	buffer_gl0_inv
	s_and_saveexec_b32 s7, s5
	s_cbranch_execz .LBB150_48
; %bb.47:                               ;   in Loop: Header=BB150_18 Depth=1
	v_dual_mov_b32 v2, s36 :: v_dual_mov_b32 v3, s37
	ds_store_b64 v13, v[2:3] offset:5120
.LBB150_48:                             ;   in Loop: Header=BB150_18 Depth=1
	s_or_b32 exec_lo, exec_lo, s7
	s_mov_b32 s7, -1
	s_waitcnt lgkmcnt(0)
	s_barrier
                                        ; implicit-def: $sgpr74_sgpr75
.LBB150_49:                             ;   in Loop: Header=BB150_18 Depth=1
	s_and_b32 vcc_lo, exec_lo, s7
	s_cbranch_vccz .LBB150_51
; %bb.50:                               ;   in Loop: Header=BB150_18 Depth=1
	buffer_gl0_inv
	ds_load_b64 v[2:3], v13 offset:5120
	s_waitcnt lgkmcnt(0)
	v_readfirstlane_b32 s74, v2
.LBB150_51:                             ;   in Loop: Header=BB150_18 Depth=1
	s_delay_alu instid0(VALU_DEP_1)
	s_cmp_lt_i32 s74, 1
	s_cbranch_scc0 .LBB150_66
; %bb.52:                               ;   in Loop: Header=BB150_18 Depth=1
	global_load_u16 v17, v13, s[72:73]
	s_mov_b32 s8, s71
	s_mov_b32 s9, s37
	s_waitcnt vmcnt(0)
	v_readfirstlane_b32 s7, v17
	s_delay_alu instid0(VALU_DEP_1) | instskip(NEXT) | instid1(SALU_CYCLE_1)
	s_and_b32 s7, 0xffff, s7
	s_lshl_b32 s25, s7, 2
	s_cmp_lg_u64 s[8:9], 0
	s_cbranch_scc0 .LBB150_86
; %bb.53:                               ;   in Loop: Header=BB150_18 Depth=1
	v_cvt_f32_u32_e32 v2, s25
	s_sub_u32 s9, 0, s25
	s_subb_u32 s10, 0, 0
	s_delay_alu instid0(VALU_DEP_1) | instskip(NEXT) | instid1(VALU_DEP_1)
	v_fmac_f32_e64 v2, 0, 0x4f800000
	v_rcp_f32_e32 v2, v2
	s_waitcnt_depctr 0xfff
	v_mul_f32_e32 v2, 0x5f7ffffc, v2
	s_delay_alu instid0(VALU_DEP_1) | instskip(NEXT) | instid1(VALU_DEP_1)
	v_mul_f32_e32 v3, 0x2f800000, v2
	v_trunc_f32_e32 v3, v3
	s_delay_alu instid0(VALU_DEP_1) | instskip(SKIP_1) | instid1(VALU_DEP_2)
	v_fmac_f32_e32 v2, 0xcf800000, v3
	v_cvt_u32_f32_e32 v3, v3
	v_cvt_u32_f32_e32 v2, v2
	s_delay_alu instid0(VALU_DEP_2) | instskip(NEXT) | instid1(VALU_DEP_2)
	v_readfirstlane_b32 s7, v3
	v_readfirstlane_b32 s8, v2
	s_delay_alu instid0(VALU_DEP_2) | instskip(NEXT) | instid1(VALU_DEP_1)
	s_mul_i32 s11, s9, s7
	s_mul_hi_u32 s13, s9, s8
	s_mul_i32 s12, s10, s8
	s_add_i32 s11, s13, s11
	s_mul_i32 s14, s9, s8
	s_add_i32 s11, s11, s12
	s_mul_hi_u32 s13, s8, s14
	s_mul_hi_u32 s15, s7, s14
	s_mul_i32 s12, s7, s14
	s_mul_hi_u32 s14, s8, s11
	s_mul_i32 s8, s8, s11
	s_mul_hi_u32 s16, s7, s11
	s_add_u32 s8, s13, s8
	s_addc_u32 s13, 0, s14
	s_add_u32 s8, s8, s12
	s_mul_i32 s11, s7, s11
	s_addc_u32 s8, s13, s15
	s_addc_u32 s12, s16, 0
	s_add_u32 s8, s8, s11
	s_addc_u32 s11, 0, s12
	v_add_co_u32 v2, s8, v2, s8
	s_delay_alu instid0(VALU_DEP_1) | instskip(SKIP_1) | instid1(VALU_DEP_1)
	s_cmp_lg_u32 s8, 0
	s_addc_u32 s7, s7, s11
	v_readfirstlane_b32 s8, v2
	s_mul_i32 s11, s9, s7
	s_delay_alu instid0(VALU_DEP_1)
	s_mul_hi_u32 s12, s9, s8
	s_mul_i32 s10, s10, s8
	s_add_i32 s11, s12, s11
	s_mul_i32 s9, s9, s8
	s_add_i32 s11, s11, s10
	s_mul_hi_u32 s12, s7, s9
	s_mul_i32 s13, s7, s9
	s_mul_hi_u32 s9, s8, s9
	s_mul_hi_u32 s14, s8, s11
	s_mul_i32 s8, s8, s11
	s_mul_hi_u32 s10, s7, s11
	s_add_u32 s8, s9, s8
	s_addc_u32 s9, 0, s14
	s_add_u32 s8, s8, s13
	s_mul_i32 s11, s7, s11
	s_addc_u32 s8, s9, s12
	s_addc_u32 s9, s10, 0
	s_add_u32 s8, s8, s11
	s_addc_u32 s9, 0, s9
	v_add_co_u32 v2, s8, v2, s8
	s_delay_alu instid0(VALU_DEP_1) | instskip(SKIP_1) | instid1(VALU_DEP_1)
	s_cmp_lg_u32 s8, 0
	s_addc_u32 s7, s7, s9
	v_readfirstlane_b32 s8, v2
	s_mul_i32 s10, s36, s7
	s_mul_hi_u32 s9, s36, s7
	s_mul_hi_u32 s11, s37, s7
	s_mul_i32 s7, s37, s7
	s_mul_hi_u32 s12, s36, s8
	s_mul_hi_u32 s13, s37, s8
	s_mul_i32 s8, s37, s8
	s_add_u32 s10, s12, s10
	s_addc_u32 s9, 0, s9
	s_add_u32 s8, s10, s8
	s_addc_u32 s8, s9, s13
	s_addc_u32 s9, s11, 0
	s_add_u32 s7, s8, s7
	s_addc_u32 s8, 0, s9
	s_mul_hi_u32 s9, s25, s7
	s_mul_i32 s7, s25, s7
	s_mul_i32 s8, s25, s8
	v_sub_co_u32 v2, s7, s36, s7
	s_add_i32 s9, s9, s8
	s_cmp_lg_u32 s7, 0
	s_delay_alu instid0(VALU_DEP_1) | instskip(SKIP_2) | instid1(VALU_DEP_1)
	v_sub_co_u32 v3, s7, v2, s25
	s_subb_u32 s8, s37, s9
	s_cmp_lg_u32 s7, 0
	v_cmp_le_u32_e32 vcc_lo, s25, v3
	v_sub_co_u32 v4, s7, v3, s25
	s_subb_u32 s9, s8, 0
	s_cmp_lg_u32 s7, 0
	v_cndmask_b32_e64 v5, 0, -1, vcc_lo
	s_subb_u32 s7, s9, 0
	s_cmp_eq_u32 s9, 0
	v_mov_b32_e32 v7, s7
	s_cselect_b32 vcc_lo, -1, 0
	s_cmp_eq_u32 s8, 0
	v_cndmask_b32_e32 v5, -1, v5, vcc_lo
	v_cmp_le_u32_e32 vcc_lo, s25, v2
	s_cselect_b32 s7, -1, 0
	v_cndmask_b32_e64 v6, 0, -1, vcc_lo
	s_delay_alu instid0(VALU_DEP_3) | instskip(NEXT) | instid1(VALU_DEP_2)
	v_cmp_ne_u32_e32 vcc_lo, 0, v5
	v_cndmask_b32_e64 v5, -1, v6, s7
	v_cndmask_b32_e32 v6, s9, v7, vcc_lo
	v_cndmask_b32_e32 v4, v3, v4, vcc_lo
	s_delay_alu instid0(VALU_DEP_3) | instskip(NEXT) | instid1(VALU_DEP_3)
	v_cmp_ne_u32_e32 vcc_lo, 0, v5
	v_cndmask_b32_e32 v3, s8, v6, vcc_lo
	s_delay_alu instid0(VALU_DEP_3)
	v_cndmask_b32_e32 v2, v2, v4, vcc_lo
	s_cbranch_execnz .LBB150_55
.LBB150_54:                             ;   in Loop: Header=BB150_18 Depth=1
	v_cvt_f32_u32_e32 v2, s25
	s_sub_i32 s7, 0, s25
	s_delay_alu instid0(VALU_DEP_1) | instskip(SKIP_2) | instid1(VALU_DEP_1)
	v_rcp_iflag_f32_e32 v2, v2
	s_waitcnt_depctr 0xfff
	v_mul_f32_e32 v2, 0x4f7ffffe, v2
	v_cvt_u32_f32_e32 v2, v2
	s_delay_alu instid0(VALU_DEP_1) | instskip(NEXT) | instid1(VALU_DEP_1)
	v_mul_lo_u32 v3, s7, v2
	v_mul_hi_u32 v3, v2, v3
	s_delay_alu instid0(VALU_DEP_1) | instskip(NEXT) | instid1(VALU_DEP_1)
	v_add_nc_u32_e32 v2, v2, v3
	v_mul_hi_u32 v2, s36, v2
	s_delay_alu instid0(VALU_DEP_1) | instskip(NEXT) | instid1(VALU_DEP_1)
	v_mul_lo_u32 v2, v2, s25
	v_sub_nc_u32_e32 v2, s36, v2
	s_delay_alu instid0(VALU_DEP_1) | instskip(SKIP_1) | instid1(VALU_DEP_2)
	v_subrev_nc_u32_e32 v3, s25, v2
	v_cmp_le_u32_e32 vcc_lo, s25, v2
	v_cndmask_b32_e32 v2, v2, v3, vcc_lo
	s_delay_alu instid0(VALU_DEP_1) | instskip(SKIP_1) | instid1(VALU_DEP_2)
	v_subrev_nc_u32_e32 v3, s25, v2
	v_cmp_le_u32_e32 vcc_lo, s25, v2
	v_cndmask_b32_e32 v12, v2, v3, vcc_lo
	s_delay_alu instid0(VALU_DEP_1)
	v_dual_mov_b32 v2, v12 :: v_dual_mov_b32 v3, v13
.LBB150_55:                             ;   in Loop: Header=BB150_18 Depth=1
	s_delay_alu instid0(VALU_DEP_1) | instskip(NEXT) | instid1(VALU_DEP_2)
	v_sub_co_u32 v21, vcc_lo, s36, v2
	v_sub_co_ci_u32_e32 v22, vcc_lo, s37, v3, vcc_lo
	v_mov_b32_e32 v2, 0
	v_mov_b32_e32 v3, 0
	s_mov_b64 s[76:77], 0
	s_mov_b32 s26, exec_lo
	s_delay_alu instid0(VALU_DEP_1)
	v_dual_mov_b32 v5, v3 :: v_dual_mov_b32 v4, v2
	v_dual_mov_b32 v7, v3 :: v_dual_mov_b32 v6, v2
	v_dual_mov_b32 v9, v3 :: v_dual_mov_b32 v8, v2
	v_cmpx_gt_u64_e64 v[21:22], v[14:15]
	s_cbranch_execz .LBB150_59
; %bb.56:                               ;   in Loop: Header=BB150_18 Depth=1
	v_dual_mov_b32 v24, v15 :: v_dual_mov_b32 v23, v14
	s_and_b32 s59, s101, 0xfe
	s_mov_b32 s58, 0
	s_mov_b64 s[78:79], 0
	s_mov_b64 s[80:81], 0
	;; [unrolled: 1-line block ×3, first 2 shown]
.LBB150_57:                             ;   Parent Loop BB150_18 Depth=1
                                        ; =>  This Inner Loop Header: Depth=2
	v_mul_lo_u32 v4, v24, s30
	v_mul_lo_u32 v5, v23, s31
	v_mad_u64_u32 v[2:3], null, v23, s30, 0
	s_lshl_b64 s[8:9], s[30:31], 2
	s_delay_alu instid0(VALU_DEP_1) | instskip(NEXT) | instid1(VALU_DEP_1)
	v_add3_u32 v3, v3, v5, v4
	v_lshlrev_b64 v[2:3], 2, v[2:3]
	s_delay_alu instid0(VALU_DEP_1) | instskip(NEXT) | instid1(VALU_DEP_2)
	v_add_co_u32 v2, vcc_lo, s29, v2
	v_add_co_ci_u32_e32 v3, vcc_lo, s33, v3, vcc_lo
	s_delay_alu instid0(VALU_DEP_2) | instskip(NEXT) | instid1(VALU_DEP_2)
	v_add_co_u32 v4, vcc_lo, v2, s8
	v_add_co_ci_u32_e32 v5, vcc_lo, s9, v3, vcc_lo
	s_clause 0x1
	global_load_b32 v6, v[2:3], off
	global_load_b32 v7, v[4:5], off
	v_add_co_u32 v2, vcc_lo, v4, s8
	v_add_co_ci_u32_e32 v3, vcc_lo, s9, v5, vcc_lo
	s_delay_alu instid0(VALU_DEP_2)
	v_add_co_u32 v4, vcc_lo, v2, s8
	global_load_b32 v2, v[2:3], off
	v_add_co_ci_u32_e32 v5, vcc_lo, s9, v3, vcc_lo
	v_add_co_u32 v23, vcc_lo, v23, s25
	v_add_co_ci_u32_e32 v24, vcc_lo, 0, v24, vcc_lo
	global_load_b32 v3, v[4:5], off
	v_cmp_ge_u64_e32 vcc_lo, v[23:24], v[21:22]
	s_waitcnt vmcnt(3)
	v_xor_b32_e32 v4, 0x80000000, v6
	s_waitcnt vmcnt(2)
	v_xor_b32_e32 v6, 0x80000000, v7
	s_delay_alu instid0(VALU_DEP_2) | instskip(SKIP_1) | instid1(VALU_DEP_2)
	v_and_b32_e32 v5, v4, v31
	v_bfe_u32 v4, v4, s59, 2
	v_cmp_eq_u32_e64 s7, v5, v32
	s_waitcnt vmcnt(1)
	v_xor_b32_e32 v2, 0x80000000, v2
	v_and_b32_e32 v5, v6, v31
	v_bfe_u32 v6, v6, s59, 2
	v_cmp_eq_u32_e64 s8, 0, v4
	v_cmp_eq_u32_e64 s9, 1, v4
	;; [unrolled: 1-line block ×4, first 2 shown]
	s_waitcnt vmcnt(0)
	v_xor_b32_e32 v3, 0x80000000, v3
	v_and_b32_e32 v4, v2, v31
	v_cmp_eq_u32_e64 s12, v5, v32
	v_bfe_u32 v2, v2, s59, 2
	v_cmp_eq_u32_e64 s13, 0, v6
	s_and_b32 s16, s7, s8
	v_cmp_eq_u32_e64 s8, 1, v6
	v_cndmask_b32_e64 v5, 0, 1, s16
	v_cmp_eq_u32_e64 s16, v4, v32
	v_and_b32_e32 v4, v3, v31
	v_bfe_u32 v3, v3, s59, 2
	v_cmp_eq_u32_e64 s17, 0, v2
	s_and_b32 s21, s12, s13
	v_cmp_eq_u32_e64 s13, 1, v2
	v_cmp_eq_u32_e64 s18, 2, v2
	;; [unrolled: 1-line block ×3, first 2 shown]
	v_cmp_ne_u32_e64 s20, 0, v5
	v_cndmask_b32_e64 v2, 0, 1, s21
	v_cmp_eq_u32_e64 s21, v4, v32
	v_cmp_eq_u32_e64 s22, 0, v3
	s_and_b32 s64, s16, s17
	s_bcnt1_i32_b32 s65, s20
	v_cmp_ne_u32_e64 s20, 0, v2
	v_cndmask_b32_e64 v2, 0, 1, s64
	s_and_b32 s22, s21, s22
	v_cmp_eq_u32_e64 s17, 1, v3
	v_cmp_eq_u32_e64 s23, 2, v3
	;; [unrolled: 1-line block ×3, first 2 shown]
	v_cndmask_b32_e64 v3, 0, 1, s22
	s_bcnt1_i32_b32 s22, s20
	v_cmp_ne_u32_e64 s20, 0, v2
	s_add_i32 s64, s22, s65
	v_cmp_eq_u32_e64 s14, 2, v6
	v_cmp_ne_u32_e64 s22, 0, v3
	v_cmp_eq_u32_e64 s15, 3, v6
	s_bcnt1_i32_b32 s20, s20
	s_delay_alu instid0(SALU_CYCLE_1) | instskip(NEXT) | instid1(VALU_DEP_2)
	s_add_i32 s20, s64, s20
	s_bcnt1_i32_b32 s22, s22
	s_delay_alu instid0(SALU_CYCLE_1) | instskip(NEXT) | instid1(SALU_CYCLE_1)
	s_add_i32 s20, s20, s22
	s_add_u32 s82, s82, s20
	s_addc_u32 s83, s83, 0
	s_and_b32 s9, s7, s9
	s_and_b32 s8, s12, s8
	;; [unrolled: 1-line block ×3, first 2 shown]
	v_cndmask_b32_e64 v2, 0, 1, s9
	v_cndmask_b32_e64 v3, 0, 1, s8
	s_and_b32 s17, s21, s17
	v_cndmask_b32_e64 v4, 0, 1, s13
	v_cndmask_b32_e64 v5, 0, 1, s17
	v_cmp_ne_u32_e64 s8, 0, v2
	v_cmp_ne_u32_e64 s9, 0, v3
	s_delay_alu instid0(VALU_DEP_4) | instskip(NEXT) | instid1(VALU_DEP_4)
	v_cmp_ne_u32_e64 s13, 0, v4
	v_cmp_ne_u32_e64 s17, 0, v5
	s_delay_alu instid0(VALU_DEP_4) | instskip(NEXT) | instid1(VALU_DEP_3)
	s_bcnt1_i32_b32 s8, s8
	s_bcnt1_i32_b32 s9, s9
	s_delay_alu instid0(VALU_DEP_2) | instskip(SKIP_3) | instid1(SALU_CYCLE_1)
	s_bcnt1_i32_b32 s13, s13
	s_add_i32 s8, s9, s8
	s_bcnt1_i32_b32 s17, s17
	s_add_i32 s8, s8, s13
	s_add_i32 s8, s8, s17
	s_delay_alu instid0(SALU_CYCLE_1)
	s_add_u32 s80, s80, s8
	s_addc_u32 s81, s81, 0
	s_and_b32 s8, s7, s10
	s_and_b32 s9, s12, s14
	;; [unrolled: 1-line block ×3, first 2 shown]
	v_cndmask_b32_e64 v2, 0, 1, s8
	v_cndmask_b32_e64 v3, 0, 1, s9
	s_and_b32 s13, s21, s23
	v_cndmask_b32_e64 v4, 0, 1, s10
	v_cndmask_b32_e64 v5, 0, 1, s13
	v_cmp_ne_u32_e64 s8, 0, v2
	v_cmp_ne_u32_e64 s9, 0, v3
	s_delay_alu instid0(VALU_DEP_4) | instskip(NEXT) | instid1(VALU_DEP_4)
	v_cmp_ne_u32_e64 s10, 0, v4
	v_cmp_ne_u32_e64 s13, 0, v5
	s_delay_alu instid0(VALU_DEP_4) | instskip(NEXT) | instid1(VALU_DEP_3)
	s_bcnt1_i32_b32 s8, s8
	s_bcnt1_i32_b32 s9, s9
	s_delay_alu instid0(VALU_DEP_2) | instskip(SKIP_3) | instid1(SALU_CYCLE_1)
	s_bcnt1_i32_b32 s10, s10
	s_add_i32 s8, s9, s8
	s_bcnt1_i32_b32 s13, s13
	s_add_i32 s8, s8, s10
	s_add_i32 s8, s8, s13
	s_delay_alu instid0(SALU_CYCLE_1)
	s_add_u32 s78, s78, s8
	s_addc_u32 s79, s79, 0
	s_and_b32 s7, s7, s11
	s_and_b32 s8, s12, s15
	;; [unrolled: 1-line block ×3, first 2 shown]
	v_cndmask_b32_e64 v2, 0, 1, s7
	v_cndmask_b32_e64 v3, 0, 1, s8
	s_and_b32 s10, s21, s24
	v_cndmask_b32_e64 v4, 0, 1, s9
	v_cndmask_b32_e64 v5, 0, 1, s10
	v_cmp_ne_u32_e64 s7, 0, v2
	v_cmp_ne_u32_e64 s8, 0, v3
	v_mov_b32_e32 v2, s82
	v_cmp_ne_u32_e64 s9, 0, v4
	v_cmp_ne_u32_e64 s10, 0, v5
	s_bcnt1_i32_b32 s7, s7
	s_bcnt1_i32_b32 s8, s8
	v_mov_b32_e32 v4, s80
	s_bcnt1_i32_b32 s9, s9
	s_add_i32 s7, s8, s7
	s_bcnt1_i32_b32 s8, s10
	s_add_i32 s7, s7, s9
	v_dual_mov_b32 v6, s78 :: v_dual_mov_b32 v7, s79
	s_add_i32 s7, s7, s8
	v_mov_b32_e32 v3, s83
	s_add_u32 s76, s76, s7
	s_addc_u32 s77, s77, 0
	v_dual_mov_b32 v5, s81 :: v_dual_mov_b32 v8, s76
	v_mov_b32_e32 v9, s77
	s_or_b32 s58, vcc_lo, s58
	s_delay_alu instid0(SALU_CYCLE_1)
	s_and_not1_b32 exec_lo, exec_lo, s58
	s_cbranch_execnz .LBB150_57
; %bb.58:                               ;   in Loop: Header=BB150_18 Depth=1
	s_or_b32 exec_lo, exec_lo, s58
.LBB150_59:                             ;   in Loop: Header=BB150_18 Depth=1
	s_delay_alu instid0(SALU_CYCLE_1) | instskip(SKIP_3) | instid1(VALU_DEP_2)
	s_or_b32 exec_lo, exec_lo, s26
	v_add_co_u32 v21, vcc_lo, v21, v0
	v_add_co_ci_u32_e32 v22, vcc_lo, 0, v22, vcc_lo
	v_dual_mov_b32 v23, 0 :: v_dual_and_b32 v12, 0xffff, v17
	v_cmp_gt_u64_e32 vcc_lo, s[36:37], v[21:22]
	s_and_saveexec_b32 s8, vcc_lo
	s_cbranch_execz .LBB150_61
; %bb.60:                               ;   in Loop: Header=BB150_18 Depth=1
	v_mul_lo_u32 v17, v22, s30
	v_mul_lo_u32 v33, v21, s31
	v_mad_u64_u32 v[23:24], null, v21, s30, 0
	s_delay_alu instid0(VALU_DEP_1) | instskip(NEXT) | instid1(VALU_DEP_1)
	v_add3_u32 v24, v24, v33, v17
	v_lshlrev_b64 v[23:24], 2, v[23:24]
	s_delay_alu instid0(VALU_DEP_1) | instskip(NEXT) | instid1(VALU_DEP_1)
	v_add_co_u32 v23, s7, s29, v23
	v_add_co_ci_u32_e64 v24, s7, s33, v24, s7
	global_load_b32 v23, v[23:24], off
.LBB150_61:                             ;   in Loop: Header=BB150_18 Depth=1
	s_or_b32 exec_lo, exec_lo, s8
	s_and_saveexec_b32 s10, vcc_lo
	s_cbranch_execz .LBB150_68
; %bb.62:                               ;   in Loop: Header=BB150_18 Depth=1
	s_and_b32 s12, s101, 0xfe
	s_mov_b32 s11, 0
	s_branch .LBB150_64
.LBB150_63:                             ;   in Loop: Header=BB150_64 Depth=2
	s_or_b32 exec_lo, exec_lo, s8
	s_waitcnt vmcnt(0)
	v_xor_b32_e32 v23, 0x80000000, v23
	s_and_b32 s9, exec_lo, vcc_lo
	s_delay_alu instid0(SALU_CYCLE_1) | instskip(NEXT) | instid1(VALU_DEP_1)
	s_or_b32 s11, s9, s11
	v_and_b32_e32 v24, v23, v31
	v_bfe_u32 v23, v23, s12, 2
	s_delay_alu instid0(VALU_DEP_2) | instskip(NEXT) | instid1(VALU_DEP_2)
	v_cmp_eq_u32_e64 s7, v24, v32
	v_cmp_eq_u32_e64 s8, 0, v23
	v_cmp_eq_u32_e32 vcc_lo, 1, v23
	v_cmp_eq_u32_e64 s9, 2, v23
	s_delay_alu instid0(VALU_DEP_3) | instskip(NEXT) | instid1(SALU_CYCLE_1)
	s_and_b32 s8, s7, s8
	v_cndmask_b32_e64 v24, 0, 1, s8
	s_and_b32 s8, s7, vcc_lo
	v_cmp_eq_u32_e32 vcc_lo, 3, v23
	v_cndmask_b32_e64 v33, 0, 1, s8
	s_and_b32 s8, s7, s9
	s_delay_alu instid0(SALU_CYCLE_1) | instskip(SKIP_1) | instid1(VALU_DEP_3)
	v_cndmask_b32_e64 v23, 0, 1, s8
	v_cmp_ne_u32_e64 s8, 0, v24
	v_cmp_ne_u32_e64 s9, 0, v33
	s_and_b32 s7, s7, vcc_lo
	s_delay_alu instid0(SALU_CYCLE_1) | instskip(NEXT) | instid1(VALU_DEP_3)
	v_cndmask_b32_e64 v24, 0, 1, s7
	s_bcnt1_i32_b32 s7, s8
	v_cmp_ne_u32_e32 vcc_lo, 0, v23
	v_mov_b32_e32 v23, v17
	v_add_co_u32 v2, s7, v2, s7
	s_bcnt1_i32_b32 s8, s9
	v_add_co_ci_u32_e64 v3, s7, 0, v3, s7
	v_add_co_u32 v4, s7, v4, s8
	s_delay_alu instid0(VALU_DEP_1) | instskip(SKIP_3) | instid1(VALU_DEP_1)
	v_add_co_ci_u32_e64 v5, s7, 0, v5, s7
	s_bcnt1_i32_b32 s7, vcc_lo
	v_cmp_ne_u32_e32 vcc_lo, 0, v24
	v_add_co_u32 v6, s7, v6, s7
	v_add_co_ci_u32_e64 v7, s7, 0, v7, s7
	s_bcnt1_i32_b32 s7, vcc_lo
	s_delay_alu instid0(SALU_CYCLE_1)
	v_add_co_u32 v8, vcc_lo, v8, s7
	v_add_co_ci_u32_e32 v9, vcc_lo, 0, v9, vcc_lo
	s_and_not1_b32 exec_lo, exec_lo, s11
	s_cbranch_execz .LBB150_67
.LBB150_64:                             ;   Parent Loop BB150_18 Depth=1
                                        ; =>  This Inner Loop Header: Depth=2
	v_add_co_u32 v21, vcc_lo, v21, v12
	v_add_co_ci_u32_e32 v22, vcc_lo, 0, v22, vcc_lo
	v_mov_b32_e32 v17, 0
	s_mov_b32 s8, exec_lo
	s_delay_alu instid0(VALU_DEP_2)
	v_cmp_le_u64_e32 vcc_lo, s[36:37], v[21:22]
	v_cmpx_gt_u64_e64 s[36:37], v[21:22]
	s_cbranch_execz .LBB150_63
; %bb.65:                               ;   in Loop: Header=BB150_64 Depth=2
	v_mul_lo_u32 v17, v22, s30
	v_mul_lo_u32 v24, v21, s31
	v_mad_u64_u32 v[33:34], null, v21, s30, 0
	s_delay_alu instid0(VALU_DEP_1) | instskip(NEXT) | instid1(VALU_DEP_1)
	v_add3_u32 v34, v34, v24, v17
	v_lshlrev_b64 v[33:34], 2, v[33:34]
	s_delay_alu instid0(VALU_DEP_1) | instskip(NEXT) | instid1(VALU_DEP_1)
	v_add_co_u32 v33, s7, s29, v33
	v_add_co_ci_u32_e64 v34, s7, s33, v34, s7
	global_load_b32 v17, v[33:34], off
	s_branch .LBB150_63
.LBB150_66:                             ;   in Loop: Header=BB150_18 Depth=1
                                        ; implicit-def: $vgpr8_vgpr9
                                        ; implicit-def: $vgpr4_vgpr5
	s_cbranch_execnz .LBB150_69
	s_branch .LBB150_78
.LBB150_67:                             ;   in Loop: Header=BB150_18 Depth=1
	s_or_b32 exec_lo, exec_lo, s11
.LBB150_68:                             ;   in Loop: Header=BB150_18 Depth=1
	s_delay_alu instid0(SALU_CYCLE_1)
	s_or_b32 exec_lo, exec_lo, s10
	s_branch .LBB150_78
.LBB150_69:                             ;   in Loop: Header=BB150_18 Depth=1
	global_load_u16 v8, v13, s[72:73]
	s_mov_b64 s[76:77], 0
	s_mov_b32 s59, exec_lo
	s_waitcnt vmcnt(0)
	v_readfirstlane_b32 s7, v8
	v_and_b32_e32 v17, 0xffff, v8
	s_delay_alu instid0(VALU_DEP_2) | instskip(NEXT) | instid1(SALU_CYCLE_1)
	s_and_b32 s7, 0xffff, s7
	s_lshl_b32 s58, s7, 2
	s_delay_alu instid0(SALU_CYCLE_1) | instskip(SKIP_1) | instid1(VALU_DEP_1)
	v_cvt_f32_u32_e32 v2, s58
	s_sub_i32 s8, 0, s58
	v_rcp_iflag_f32_e32 v2, v2
	s_waitcnt_depctr 0xfff
	v_mul_f32_e32 v2, 0x4f7ffffe, v2
	s_delay_alu instid0(VALU_DEP_1) | instskip(NEXT) | instid1(VALU_DEP_1)
	v_cvt_u32_f32_e32 v2, v2
	v_readfirstlane_b32 s7, v2
	v_mov_b32_e32 v2, 0
	v_mov_b32_e32 v3, 0
	s_delay_alu instid0(VALU_DEP_3) | instskip(NEXT) | instid1(VALU_DEP_1)
	s_mul_i32 s8, s8, s7
	v_dual_mov_b32 v5, v3 :: v_dual_mov_b32 v4, v2
	s_mul_hi_u32 s8, s7, s8
	v_dual_mov_b32 v7, v3 :: v_dual_mov_b32 v6, v2
	s_add_i32 s7, s7, s8
	v_dual_mov_b32 v9, v3 :: v_dual_mov_b32 v8, v2
	s_mul_hi_u32 s7, s74, s7
	s_delay_alu instid0(SALU_CYCLE_1) | instskip(NEXT) | instid1(SALU_CYCLE_1)
	s_mul_i32 s7, s7, s58
	s_sub_i32 s7, s74, s7
	s_delay_alu instid0(SALU_CYCLE_1) | instskip(SKIP_2) | instid1(SALU_CYCLE_1)
	s_sub_i32 s8, s7, s58
	s_cmp_ge_u32 s7, s58
	s_cselect_b32 s7, s8, s7
	s_sub_i32 s8, s7, s58
	s_cmp_ge_u32 s7, s58
	s_cselect_b32 s7, s8, s7
	s_delay_alu instid0(SALU_CYCLE_1) | instskip(NEXT) | instid1(SALU_CYCLE_1)
	s_sub_i32 s70, s74, s7
	v_cmpx_gt_u32_e64 s70, v14
	s_cbranch_execz .LBB150_73
; %bb.70:                               ;   in Loop: Header=BB150_18 Depth=1
	v_dual_mov_b32 v23, v29 :: v_dual_lshlrev_b32 v12, 4, v17
	v_dual_mov_b32 v22, v15 :: v_dual_mov_b32 v21, v14
	s_and_b32 s68, s101, 0xfe
	s_mov_b32 s69, 0
	s_mov_b64 s[78:79], 0
	s_mov_b64 s[80:81], 0
	;; [unrolled: 1-line block ×3, first 2 shown]
.LBB150_71:                             ;   Parent Loop BB150_18 Depth=1
                                        ; =>  This Inner Loop Header: Depth=2
	ds_load_b128 v[2:5], v23
	v_add_co_u32 v21, vcc_lo, v21, s58
	v_add_co_ci_u32_e32 v22, vcc_lo, 0, v22, vcc_lo
	s_delay_alu instid0(VALU_DEP_1)
	v_cmp_le_u64_e32 vcc_lo, s[70:71], v[21:22]
	s_waitcnt lgkmcnt(0)
	v_xor_b32_e32 v2, 0x80000000, v2
	v_xor_b32_e32 v3, 0x80000000, v3
	;; [unrolled: 1-line block ×4, first 2 shown]
	s_delay_alu instid0(VALU_DEP_4) | instskip(NEXT) | instid1(VALU_DEP_4)
	v_and_b32_e32 v6, v2, v31
	v_and_b32_e32 v7, v3, v31
	v_bfe_u32 v2, v2, s68, 2
	v_bfe_u32 v3, v3, s68, 2
	v_and_b32_e32 v8, v4, v31
	v_bfe_u32 v4, v4, s68, 2
	v_cmp_eq_u32_e64 s7, v6, v32
	v_and_b32_e32 v6, v5, v31
	v_bfe_u32 v5, v5, s68, 2
	v_cmp_eq_u32_e64 s8, v7, v32
	v_cmp_eq_u32_e64 s11, 0, v2
	v_cmp_eq_u32_e64 s12, 0, v3
	v_cmp_eq_u32_e64 s9, v8, v32
	v_cmp_eq_u32_e64 s13, 0, v4
	v_cmp_eq_u32_e64 s10, v6, v32
	v_cmp_eq_u32_e64 s14, 0, v5
	s_and_b32 s11, s7, s11
	s_and_b32 s12, s8, s12
	v_cmp_eq_u32_e64 s15, 1, v2
	v_cmp_eq_u32_e64 s16, 1, v3
	;; [unrolled: 1-line block ×6, first 2 shown]
	s_and_b32 s13, s9, s13
	v_cndmask_b32_e64 v2, 0, 1, s11
	v_cndmask_b32_e64 v3, 0, 1, s12
	v_cmp_eq_u32_e64 s17, 1, v4
	v_cmp_eq_u32_e64 s21, 2, v4
	;; [unrolled: 1-line block ×3, first 2 shown]
	s_and_b32 s14, s10, s14
	v_cndmask_b32_e64 v4, 0, 1, s13
	v_cmp_eq_u32_e64 s18, 1, v5
	v_cmp_eq_u32_e64 s22, 2, v5
	;; [unrolled: 1-line block ×3, first 2 shown]
	v_cndmask_b32_e64 v5, 0, 1, s14
	v_cmp_ne_u32_e64 s11, 0, v2
	v_cmp_ne_u32_e64 s12, 0, v3
	;; [unrolled: 1-line block ×3, first 2 shown]
	s_delay_alu instid0(VALU_DEP_4) | instskip(NEXT) | instid1(VALU_DEP_4)
	v_cmp_ne_u32_e64 s14, 0, v5
	s_bcnt1_i32_b32 s11, s11
	s_delay_alu instid0(VALU_DEP_3) | instskip(NEXT) | instid1(VALU_DEP_2)
	s_bcnt1_i32_b32 s12, s12
	s_bcnt1_i32_b32 s13, s13
	s_add_i32 s11, s12, s11
	s_bcnt1_i32_b32 s14, s14
	s_add_i32 s11, s11, s13
	s_delay_alu instid0(SALU_CYCLE_1) | instskip(NEXT) | instid1(SALU_CYCLE_1)
	s_add_i32 s11, s11, s14
	s_add_u32 s82, s82, s11
	s_addc_u32 s83, s83, 0
	s_and_b32 s11, s7, s15
	s_and_b32 s12, s8, s16
	;; [unrolled: 1-line block ×3, first 2 shown]
	v_cndmask_b32_e64 v2, 0, 1, s11
	v_cndmask_b32_e64 v3, 0, 1, s12
	s_and_b32 s14, s10, s18
	v_cndmask_b32_e64 v4, 0, 1, s13
	v_cndmask_b32_e64 v5, 0, 1, s14
	v_cmp_ne_u32_e64 s11, 0, v2
	v_cmp_ne_u32_e64 s12, 0, v3
	v_add_nc_u32_e32 v23, v23, v12
	v_cmp_ne_u32_e64 s13, 0, v4
	v_cmp_ne_u32_e64 s14, 0, v5
	s_bcnt1_i32_b32 s11, s11
	s_bcnt1_i32_b32 s12, s12
	s_delay_alu instid0(VALU_DEP_2) | instskip(SKIP_3) | instid1(SALU_CYCLE_1)
	s_bcnt1_i32_b32 s13, s13
	s_add_i32 s11, s12, s11
	s_bcnt1_i32_b32 s14, s14
	s_add_i32 s11, s11, s13
	s_add_i32 s11, s11, s14
	s_delay_alu instid0(SALU_CYCLE_1)
	s_add_u32 s80, s80, s11
	s_addc_u32 s81, s81, 0
	s_and_b32 s11, s7, s19
	s_and_b32 s12, s8, s20
	;; [unrolled: 1-line block ×3, first 2 shown]
	v_cndmask_b32_e64 v2, 0, 1, s11
	v_cndmask_b32_e64 v3, 0, 1, s12
	s_and_b32 s14, s10, s22
	v_cndmask_b32_e64 v4, 0, 1, s13
	v_cndmask_b32_e64 v5, 0, 1, s14
	v_cmp_ne_u32_e64 s11, 0, v2
	v_cmp_ne_u32_e64 s12, 0, v3
	s_delay_alu instid0(VALU_DEP_4) | instskip(NEXT) | instid1(VALU_DEP_4)
	v_cmp_ne_u32_e64 s13, 0, v4
	v_cmp_ne_u32_e64 s14, 0, v5
	s_delay_alu instid0(VALU_DEP_4) | instskip(NEXT) | instid1(VALU_DEP_3)
	s_bcnt1_i32_b32 s11, s11
	s_bcnt1_i32_b32 s12, s12
	s_delay_alu instid0(VALU_DEP_2) | instskip(SKIP_3) | instid1(SALU_CYCLE_1)
	s_bcnt1_i32_b32 s13, s13
	s_add_i32 s11, s12, s11
	s_bcnt1_i32_b32 s14, s14
	s_add_i32 s11, s11, s13
	s_add_i32 s11, s11, s14
	s_delay_alu instid0(SALU_CYCLE_1)
	s_add_u32 s78, s78, s11
	s_addc_u32 s79, s79, 0
	s_and_b32 s7, s7, s23
	s_and_b32 s8, s8, s24
	;; [unrolled: 1-line block ×3, first 2 shown]
	v_cndmask_b32_e64 v2, 0, 1, s7
	v_cndmask_b32_e64 v3, 0, 1, s8
	s_and_b32 s10, s10, s26
	v_cndmask_b32_e64 v4, 0, 1, s9
	v_cndmask_b32_e64 v5, 0, 1, s10
	v_cmp_ne_u32_e64 s7, 0, v2
	v_cmp_ne_u32_e64 s8, 0, v3
	v_mov_b32_e32 v2, s82
	v_cmp_ne_u32_e64 s9, 0, v4
	v_cmp_ne_u32_e64 s10, 0, v5
	s_bcnt1_i32_b32 s7, s7
	s_bcnt1_i32_b32 s8, s8
	v_mov_b32_e32 v4, s80
	s_bcnt1_i32_b32 s9, s9
	s_add_i32 s7, s8, s7
	s_bcnt1_i32_b32 s8, s10
	s_add_i32 s7, s7, s9
	v_mov_b32_e32 v3, s83
	s_add_i32 s7, s7, s8
	v_mov_b32_e32 v5, s81
	s_add_u32 s76, s76, s7
	s_addc_u32 s77, s77, 0
	v_mov_b32_e32 v6, s78
	v_dual_mov_b32 v8, s76 :: v_dual_mov_b32 v9, s77
	v_mov_b32_e32 v7, s79
	s_or_b32 s69, vcc_lo, s69
	s_delay_alu instid0(SALU_CYCLE_1)
	s_and_not1_b32 exec_lo, exec_lo, s69
	s_cbranch_execnz .LBB150_71
; %bb.72:                               ;   in Loop: Header=BB150_18 Depth=1
	s_or_b32 exec_lo, exec_lo, s69
.LBB150_73:                             ;   in Loop: Header=BB150_18 Depth=1
	s_delay_alu instid0(SALU_CYCLE_1) | instskip(SKIP_2) | instid1(VALU_DEP_1)
	s_or_b32 exec_lo, exec_lo, s59
	v_add_nc_u32_e32 v12, s70, v0
	s_mov_b32 s14, exec_lo
	v_cmpx_gt_u32_e64 s74, v12
	s_cbranch_execz .LBB150_77
; %bb.74:                               ;   in Loop: Header=BB150_18 Depth=1
	v_dual_mov_b32 v22, v13 :: v_dual_lshlrev_b32 v23, 2, v12
	v_mov_b32_e32 v21, v12
	s_mov_b32 s13, 0
	s_and_b32 s12, s74, 0x7fffffff
	s_and_b32 s16, s101, 0xfe
	s_mov_b32 s15, s13
.LBB150_75:                             ;   Parent Loop BB150_18 Depth=1
                                        ; =>  This Inner Loop Header: Depth=2
	ds_load_b32 v12, v23
	v_add_co_u32 v21, vcc_lo, v21, v17
	v_add_co_ci_u32_e32 v22, vcc_lo, 0, v22, vcc_lo
	v_add_nc_u32_e32 v23, s58, v23
	s_delay_alu instid0(VALU_DEP_2) | instskip(SKIP_2) | instid1(VALU_DEP_1)
	v_cmp_le_u64_e32 vcc_lo, s[12:13], v[21:22]
	s_waitcnt lgkmcnt(0)
	v_xor_b32_e32 v12, 0x80000000, v12
	v_and_b32_e32 v24, v12, v31
	v_bfe_u32 v12, v12, s16, 2
	s_delay_alu instid0(VALU_DEP_2) | instskip(NEXT) | instid1(VALU_DEP_2)
	v_cmp_eq_u32_e64 s7, v24, v32
	v_cmp_eq_u32_e64 s8, 0, v12
	;; [unrolled: 1-line block ×5, first 2 shown]
	s_delay_alu instid0(VALU_DEP_4) | instskip(NEXT) | instid1(SALU_CYCLE_1)
	s_and_b32 s8, s7, s8
	v_cndmask_b32_e64 v12, 0, 1, s8
	s_and_b32 s8, s7, s9
	s_delay_alu instid0(SALU_CYCLE_1)
	v_cndmask_b32_e64 v24, 0, 1, s8
	s_and_b32 s8, s7, s10
	s_and_b32 s7, s7, s11
	v_cndmask_b32_e64 v33, 0, 1, s8
	v_cndmask_b32_e64 v34, 0, 1, s7
	v_cmp_ne_u32_e64 s7, 0, v12
	v_cmp_ne_u32_e64 s8, 0, v24
	s_delay_alu instid0(VALU_DEP_4) | instskip(NEXT) | instid1(VALU_DEP_4)
	v_cmp_ne_u32_e64 s9, 0, v33
	v_cmp_ne_u32_e64 s10, 0, v34
	s_delay_alu instid0(VALU_DEP_4) | instskip(NEXT) | instid1(VALU_DEP_3)
	s_bcnt1_i32_b32 s7, s7
	s_bcnt1_i32_b32 s8, s8
	v_add_co_u32 v2, s7, v2, s7
	s_delay_alu instid0(VALU_DEP_1)
	v_add_co_ci_u32_e64 v3, s7, 0, v3, s7
	v_add_co_u32 v4, s7, v4, s8
	s_bcnt1_i32_b32 s9, s9
	v_add_co_ci_u32_e64 v5, s7, 0, v5, s7
	v_add_co_u32 v6, s7, v6, s9
	s_bcnt1_i32_b32 s10, s10
	v_add_co_ci_u32_e64 v7, s7, 0, v7, s7
	v_add_co_u32 v8, s7, v8, s10
	s_delay_alu instid0(VALU_DEP_1) | instskip(SKIP_1) | instid1(SALU_CYCLE_1)
	v_add_co_ci_u32_e64 v9, s7, 0, v9, s7
	s_or_b32 s15, vcc_lo, s15
	s_and_not1_b32 exec_lo, exec_lo, s15
	s_cbranch_execnz .LBB150_75
; %bb.76:                               ;   in Loop: Header=BB150_18 Depth=1
	s_or_b32 exec_lo, exec_lo, s15
.LBB150_77:                             ;   in Loop: Header=BB150_18 Depth=1
	s_delay_alu instid0(SALU_CYCLE_1)
	s_or_b32 exec_lo, exec_lo, s14
.LBB150_78:                             ;   in Loop: Header=BB150_18 Depth=1
	s_lshl_b32 s7, s97, 7
	s_and_saveexec_b32 s8, s2
	s_cbranch_execz .LBB150_80
; %bb.79:                               ;   in Loop: Header=BB150_18 Depth=1
	v_or_b32_e32 v12, s7, v27
	s_delay_alu instid0(VALU_DEP_1)
	v_lshlrev_b32_e32 v12, 3, v12
	ds_store_b128 v12, v[2:5] offset:3072
	ds_store_b128 v12, v[6:9] offset:3088
.LBB150_80:                             ;   in Loop: Header=BB150_18 Depth=1
	s_or_b32 exec_lo, exec_lo, s8
	s_waitcnt vmcnt(0) lgkmcnt(0)
	s_barrier
	buffer_gl0_inv
	s_and_saveexec_b32 s8, s84
	s_cbranch_execz .LBB150_91
; %bb.81:                               ;   in Loop: Header=BB150_18 Depth=1
	v_mov_b32_e32 v2, 0
	v_mov_b32_e32 v3, 0
	s_and_not1_b32 vcc_lo, exec_lo, s92
	s_cbranch_vccnz .LBB150_90
; %bb.82:                               ;   in Loop: Header=BB150_18 Depth=1
	v_mov_b32_e32 v2, 0
	v_mov_b32_e32 v3, 0
	s_and_not1_b32 vcc_lo, exec_lo, s90
	s_cbranch_vccnz .LBB150_87
; %bb.83:                               ;   in Loop: Header=BB150_18 Depth=1
	v_lshl_add_u32 v4, s97, 10, v30
	s_mov_b32 s9, 0
	s_set_inst_prefetch_distance 0x1
	.p2align	6
.LBB150_84:                             ;   Parent Loop BB150_18 Depth=1
                                        ; =>  This Inner Loop Header: Depth=2
	ds_load_2addr_b64 v[5:8], v4 offset1:4
	ds_load_2addr_b64 v[21:24], v4 offset0:8 offset1:12
	ds_load_2addr_b64 v[33:36], v4 offset0:16 offset1:20
	s_add_i32 s9, s9, 8
	s_delay_alu instid0(SALU_CYCLE_1) | instskip(SKIP_3) | instid1(VALU_DEP_2)
	s_cmp_eq_u32 s91, s9
	s_waitcnt lgkmcnt(2)
	v_add_co_u32 v2, vcc_lo, v5, v2
	v_add_co_ci_u32_e32 v3, vcc_lo, v6, v3, vcc_lo
	v_add_co_u32 v2, vcc_lo, v7, v2
	s_delay_alu instid0(VALU_DEP_2)
	v_add_co_ci_u32_e32 v3, vcc_lo, v8, v3, vcc_lo
	ds_load_2addr_b64 v[5:8], v4 offset0:24 offset1:28
	s_waitcnt lgkmcnt(2)
	v_add_co_u32 v2, vcc_lo, v21, v2
	v_add_co_ci_u32_e32 v3, vcc_lo, v22, v3, vcc_lo
	v_add_nc_u32_e32 v4, 0x100, v4
	s_delay_alu instid0(VALU_DEP_3) | instskip(NEXT) | instid1(VALU_DEP_3)
	v_add_co_u32 v2, vcc_lo, v23, v2
	v_add_co_ci_u32_e32 v3, vcc_lo, v24, v3, vcc_lo
	s_waitcnt lgkmcnt(1)
	s_delay_alu instid0(VALU_DEP_2) | instskip(NEXT) | instid1(VALU_DEP_2)
	v_add_co_u32 v2, vcc_lo, v33, v2
	v_add_co_ci_u32_e32 v3, vcc_lo, v34, v3, vcc_lo
	s_delay_alu instid0(VALU_DEP_2) | instskip(NEXT) | instid1(VALU_DEP_2)
	v_add_co_u32 v2, vcc_lo, v35, v2
	v_add_co_ci_u32_e32 v3, vcc_lo, v36, v3, vcc_lo
	s_waitcnt lgkmcnt(0)
	s_delay_alu instid0(VALU_DEP_2) | instskip(NEXT) | instid1(VALU_DEP_2)
	v_add_co_u32 v2, vcc_lo, v5, v2
	v_add_co_ci_u32_e32 v3, vcc_lo, v6, v3, vcc_lo
	s_delay_alu instid0(VALU_DEP_2) | instskip(NEXT) | instid1(VALU_DEP_2)
	v_add_co_u32 v2, vcc_lo, v7, v2
	v_add_co_ci_u32_e32 v3, vcc_lo, v8, v3, vcc_lo
	s_cbranch_scc0 .LBB150_84
; %bb.85:                               ;   in Loop: Header=BB150_18 Depth=1
	s_set_inst_prefetch_distance 0x2
	s_mov_b32 s9, s91
	s_and_not1_b32 vcc_lo, exec_lo, s93
	s_cbranch_vccz .LBB150_88
	s_branch .LBB150_90
.LBB150_86:                             ;   in Loop: Header=BB150_18 Depth=1
                                        ; implicit-def: $vgpr2_vgpr3
	s_branch .LBB150_54
.LBB150_87:                             ;   in Loop: Header=BB150_18 Depth=1
	s_mov_b32 s9, 0
	s_and_not1_b32 vcc_lo, exec_lo, s93
	s_cbranch_vccnz .LBB150_90
.LBB150_88:                             ;   in Loop: Header=BB150_18 Depth=1
	s_lshl_b32 s10, s97, 10
	s_lshl_b32 s9, s9, 5
	s_delay_alu instid0(SALU_CYCLE_1)
	v_add3_u32 v4, s10, s9, v30
	s_mov_b32 s9, s89
.LBB150_89:                             ;   Parent Loop BB150_18 Depth=1
                                        ; =>  This Inner Loop Header: Depth=2
	ds_load_b64 v[5:6], v4
	v_add_nc_u32_e32 v4, 32, v4
	s_add_i32 s9, s9, -1
	s_delay_alu instid0(SALU_CYCLE_1)
	s_cmp_lg_u32 s9, 0
	s_waitcnt lgkmcnt(0)
	v_add_co_u32 v2, vcc_lo, v5, v2
	v_add_co_ci_u32_e32 v3, vcc_lo, v6, v3, vcc_lo
	s_cbranch_scc1 .LBB150_89
.LBB150_90:                             ;   in Loop: Header=BB150_18 Depth=1
	v_add_lshl_u32 v4, s7, v26, 3
	ds_store_b64 v4, v[2:3] offset:3072
.LBB150_91:                             ;   in Loop: Header=BB150_18 Depth=1
	s_or_b32 exec_lo, exec_lo, s8
	s_lshl_b32 s7, s7, 3
	s_waitcnt lgkmcnt(0)
	v_mov_b32_e32 v6, s7
	s_barrier
	buffer_gl0_inv
	s_and_b32 s22, s101, 0xfe
	v_cmp_eq_u64_e64 s7, 1, v[19:20]
	ds_load_b128 v[2:5], v6 offset:3072
	ds_load_b128 v[6:9], v6 offset:3088
	s_lshl_b32 s20, 3, s22
	s_and_not1_b32 vcc_lo, exec_lo, s61
	s_not_b32 s21, s20
	s_waitcnt lgkmcnt(1)
	v_readfirstlane_b32 s11, v3
	v_readfirstlane_b32 s10, v2
	;; [unrolled: 1-line block ×4, first 2 shown]
	s_waitcnt lgkmcnt(0)
	v_readfirstlane_b32 s15, v7
	v_readfirstlane_b32 s14, v6
	;; [unrolled: 1-line block ×4, first 2 shown]
	s_cbranch_vccnz .LBB150_107
; %bb.92:                               ;   in Loop: Header=BB150_18 Depth=1
	s_cmp_eq_u64 s[10:11], 1
	v_dual_mov_b32 v21, v32 :: v_dual_mov_b32 v22, v31
	v_mov_b32_e32 v3, v18
	s_cselect_b32 s8, -1, 0
                                        ; implicit-def: $sgpr23
                                        ; implicit-def: $sgpr74
                                        ; implicit-def: $sgpr70
	s_delay_alu instid0(SALU_CYCLE_1)
	s_and_b32 s58, s8, s7
	s_mov_b32 s8, -1
	s_and_saveexec_b32 s24, s58
	s_cbranch_execz .LBB150_126
; %bb.93:                               ;   in Loop: Header=BB150_18 Depth=1
	ds_load_b64 v[2:3], v13 offset:5120
	s_waitcnt lgkmcnt(0)
	s_barrier
	buffer_gl0_inv
	v_readfirstlane_b32 s18, v2
	v_readfirstlane_b32 s19, v3
	s_and_saveexec_b32 s8, s6
	s_cbranch_execz .LBB150_95
; %bb.94:                               ;   in Loop: Header=BB150_18 Depth=1
	ds_store_b32 v28, v13
.LBB150_95:                             ;   in Loop: Header=BB150_18 Depth=1
	s_or_b32 exec_lo, exec_lo, s8
	v_and_b32_e32 v21, s21, v32
	v_or_b32_e32 v22, s20, v31
	s_cmp_eq_u64 s[18:19], 0
	s_waitcnt lgkmcnt(0)
	s_barrier
	buffer_gl0_inv
	s_cbranch_scc1 .LBB150_109
; %bb.96:                               ;   in Loop: Header=BB150_18 Depth=1
	s_add_u32 s23, s86, s18
	s_addc_u32 s9, s87, s19
	s_mov_b32 s8, s71
	s_delay_alu instid0(SALU_CYCLE_1)
	s_cmp_lg_u64 s[8:9], 0
	s_cbranch_scc0 .LBB150_153
; %bb.97:                               ;   in Loop: Header=BB150_18 Depth=1
	v_cvt_f32_u32_e32 v2, s35
	s_sub_u32 s26, 0, s35
	s_subb_u32 s48, 0, 0
	s_delay_alu instid0(VALU_DEP_1) | instskip(NEXT) | instid1(VALU_DEP_1)
	v_fmac_f32_e64 v2, 0, 0x4f800000
	v_rcp_f32_e32 v2, v2
	s_waitcnt_depctr 0xfff
	v_mul_f32_e32 v2, 0x5f7ffffc, v2
	s_delay_alu instid0(VALU_DEP_1) | instskip(NEXT) | instid1(VALU_DEP_1)
	v_mul_f32_e32 v3, 0x2f800000, v2
	v_trunc_f32_e32 v3, v3
	s_delay_alu instid0(VALU_DEP_1) | instskip(SKIP_1) | instid1(VALU_DEP_2)
	v_fmac_f32_e32 v2, 0xcf800000, v3
	v_cvt_u32_f32_e32 v3, v3
	v_cvt_u32_f32_e32 v2, v2
	s_delay_alu instid0(VALU_DEP_2) | instskip(NEXT) | instid1(VALU_DEP_2)
	v_readfirstlane_b32 s8, v3
	v_readfirstlane_b32 s25, v2
	s_delay_alu instid0(VALU_DEP_2) | instskip(NEXT) | instid1(VALU_DEP_1)
	s_mul_i32 s49, s26, s8
	s_mul_hi_u32 s51, s26, s25
	s_mul_i32 s50, s48, s25
	s_add_i32 s49, s51, s49
	s_mul_i32 s52, s26, s25
	s_add_i32 s49, s49, s50
	s_mul_hi_u32 s51, s25, s52
	s_mul_hi_u32 s53, s8, s52
	s_mul_i32 s50, s8, s52
	s_mul_hi_u32 s52, s25, s49
	s_mul_i32 s25, s25, s49
	s_mul_hi_u32 s54, s8, s49
	s_add_u32 s25, s51, s25
	s_addc_u32 s51, 0, s52
	s_add_u32 s25, s25, s50
	s_mul_i32 s49, s8, s49
	s_addc_u32 s25, s51, s53
	s_addc_u32 s50, s54, 0
	s_add_u32 s25, s25, s49
	s_addc_u32 s49, 0, s50
	v_add_co_u32 v2, s25, v2, s25
	s_delay_alu instid0(VALU_DEP_1) | instskip(SKIP_1) | instid1(VALU_DEP_1)
	s_cmp_lg_u32 s25, 0
	s_addc_u32 s8, s8, s49
	v_readfirstlane_b32 s25, v2
	s_mul_i32 s49, s26, s8
	s_delay_alu instid0(VALU_DEP_1)
	s_mul_hi_u32 s50, s26, s25
	s_mul_i32 s48, s48, s25
	s_add_i32 s49, s50, s49
	s_mul_i32 s26, s26, s25
	s_add_i32 s49, s49, s48
	s_mul_hi_u32 s50, s8, s26
	s_mul_i32 s51, s8, s26
	s_mul_hi_u32 s26, s25, s26
	s_mul_hi_u32 s52, s25, s49
	s_mul_i32 s25, s25, s49
	s_mul_hi_u32 s48, s8, s49
	s_add_u32 s25, s26, s25
	s_addc_u32 s26, 0, s52
	s_add_u32 s25, s25, s51
	s_mul_i32 s49, s8, s49
	s_addc_u32 s25, s26, s50
	s_addc_u32 s26, s48, 0
	s_add_u32 s25, s25, s49
	s_addc_u32 s26, 0, s26
	v_add_co_u32 v2, s25, v2, s25
	s_delay_alu instid0(VALU_DEP_1) | instskip(SKIP_1) | instid1(VALU_DEP_1)
	s_cmp_lg_u32 s25, 0
	s_addc_u32 s8, s8, s26
	v_readfirstlane_b32 s25, v2
	s_mul_i32 s48, s23, s8
	s_mul_hi_u32 s26, s23, s8
	s_mul_hi_u32 s49, s9, s8
	s_mul_i32 s8, s9, s8
	s_mul_hi_u32 s50, s23, s25
	s_mul_hi_u32 s51, s9, s25
	s_mul_i32 s25, s9, s25
	s_add_u32 s48, s50, s48
	s_addc_u32 s26, 0, s26
	s_add_u32 s25, s48, s25
	s_addc_u32 s25, s26, s51
	s_addc_u32 s26, s49, 0
	s_add_u32 s8, s25, s8
	s_addc_u32 s25, 0, s26
	s_mul_hi_u32 s26, s35, s8
	s_mul_i32 s8, s35, s8
	s_mul_i32 s25, s35, s25
	v_sub_co_u32 v2, s8, s23, s8
	s_add_i32 s26, s26, s25
	s_cmp_lg_u32 s8, 0
	s_delay_alu instid0(VALU_DEP_1) | instskip(SKIP_2) | instid1(VALU_DEP_1)
	v_sub_co_u32 v3, s8, v2, s35
	s_subb_u32 s25, s9, s26
	s_cmp_lg_u32 s8, 0
	v_cmp_le_u32_e32 vcc_lo, s35, v3
	v_sub_co_u32 v4, s8, v3, s35
	s_subb_u32 s26, s25, 0
	s_cmp_lg_u32 s8, 0
	v_cndmask_b32_e64 v5, 0, -1, vcc_lo
	s_subb_u32 s8, s26, 0
	s_cmp_eq_u32 s26, 0
	v_mov_b32_e32 v7, s8
	s_cselect_b32 vcc_lo, -1, 0
	s_cmp_eq_u32 s25, 0
	v_cndmask_b32_e32 v5, -1, v5, vcc_lo
	v_cmp_le_u32_e32 vcc_lo, s35, v2
	s_cselect_b32 s8, -1, 0
	v_cndmask_b32_e64 v6, 0, -1, vcc_lo
	s_delay_alu instid0(VALU_DEP_3) | instskip(NEXT) | instid1(VALU_DEP_2)
	v_cmp_ne_u32_e32 vcc_lo, 0, v5
	v_cndmask_b32_e64 v5, -1, v6, s8
	v_cndmask_b32_e32 v6, s26, v7, vcc_lo
	v_cndmask_b32_e32 v4, v3, v4, vcc_lo
	s_delay_alu instid0(VALU_DEP_3) | instskip(NEXT) | instid1(VALU_DEP_3)
	v_cmp_ne_u32_e32 vcc_lo, 0, v5
	v_cndmask_b32_e32 v3, s25, v6, vcc_lo
	s_delay_alu instid0(VALU_DEP_3)
	v_cndmask_b32_e32 v2, v2, v4, vcc_lo
	s_cbranch_execnz .LBB150_99
.LBB150_98:                             ;   in Loop: Header=BB150_18 Depth=1
	v_cvt_f32_u32_e32 v2, s35
	s_sub_i32 s8, 0, s35
	s_delay_alu instid0(VALU_DEP_1) | instskip(SKIP_2) | instid1(VALU_DEP_1)
	v_rcp_iflag_f32_e32 v2, v2
	s_waitcnt_depctr 0xfff
	v_mul_f32_e32 v2, 0x4f7ffffe, v2
	v_cvt_u32_f32_e32 v2, v2
	s_delay_alu instid0(VALU_DEP_1) | instskip(NEXT) | instid1(VALU_DEP_1)
	v_mul_lo_u32 v3, s8, v2
	v_mul_hi_u32 v3, v2, v3
	s_delay_alu instid0(VALU_DEP_1) | instskip(NEXT) | instid1(VALU_DEP_1)
	v_add_nc_u32_e32 v2, v2, v3
	v_mul_hi_u32 v2, s23, v2
	s_delay_alu instid0(VALU_DEP_1) | instskip(NEXT) | instid1(VALU_DEP_1)
	v_mul_lo_u32 v2, v2, s35
	v_sub_nc_u32_e32 v2, s23, v2
	s_delay_alu instid0(VALU_DEP_1) | instskip(SKIP_1) | instid1(VALU_DEP_2)
	v_subrev_nc_u32_e32 v3, s35, v2
	v_cmp_le_u32_e32 vcc_lo, s35, v2
	v_cndmask_b32_e32 v2, v2, v3, vcc_lo
	s_delay_alu instid0(VALU_DEP_1) | instskip(SKIP_1) | instid1(VALU_DEP_2)
	v_subrev_nc_u32_e32 v3, s35, v2
	v_cmp_le_u32_e32 vcc_lo, s35, v2
	v_cndmask_b32_e32 v12, v2, v3, vcc_lo
	s_delay_alu instid0(VALU_DEP_1)
	v_dual_mov_b32 v2, v12 :: v_dual_mov_b32 v3, v13
.LBB150_99:                             ;   in Loop: Header=BB150_18 Depth=1
	s_delay_alu instid0(VALU_DEP_1) | instskip(NEXT) | instid1(VALU_DEP_2)
	v_sub_co_u32 v4, vcc_lo, s23, v2
	v_sub_co_ci_u32_e32 v5, vcc_lo, s9, v3, vcc_lo
	s_mov_b32 s25, 0
	s_mov_b32 s8, exec_lo
                                        ; implicit-def: $vgpr3
	s_delay_alu instid0(VALU_DEP_1)
	v_cmpx_gt_u64_e64 v[4:5], v[0:1]
	s_cbranch_execz .LBB150_111
; %bb.100:                              ;   in Loop: Header=BB150_18 Depth=1
	v_dual_mov_b32 v8, v14 :: v_dual_mov_b32 v7, v1
	v_mov_b32_e32 v6, v0
	s_mov_b32 s9, 0
                                        ; implicit-def: $sgpr23
	s_set_inst_prefetch_distance 0x1
	s_branch .LBB150_102
	.p2align	6
.LBB150_101:                            ;   in Loop: Header=BB150_102 Depth=2
	s_or_b32 exec_lo, exec_lo, s25
	s_waitcnt lgkmcnt(0)
	s_barrier
	buffer_gl0_inv
	ds_load_b64 v[2:3], v13 offset:3072
	v_add_co_u32 v6, vcc_lo, v6, s35
	v_add_co_ci_u32_e32 v7, vcc_lo, 0, v7, vcc_lo
	v_add_nc_u32_e32 v8, s94, v8
	s_waitcnt lgkmcnt(0)
	s_barrier
	s_delay_alu instid0(VALU_DEP_2) | instskip(SKIP_2) | instid1(VALU_DEP_1)
	v_cmp_ge_u64_e32 vcc_lo, v[6:7], v[4:5]
	buffer_gl0_inv
	v_readfirstlane_b32 s25, v2
	s_cmp_lg_u32 s25, 0
	s_cselect_b32 s25, -1, 0
	s_delay_alu instid0(SALU_CYCLE_1) | instskip(NEXT) | instid1(SALU_CYCLE_1)
	s_or_b32 s26, vcc_lo, s25
	s_and_b32 s26, exec_lo, s26
	s_delay_alu instid0(SALU_CYCLE_1) | instskip(SKIP_2) | instid1(SALU_CYCLE_1)
	s_or_b32 s9, s26, s9
	s_and_not1_b32 s23, s23, exec_lo
	s_and_b32 s25, s25, exec_lo
	s_or_b32 s23, s23, s25
	s_and_not1_b32 exec_lo, exec_lo, s9
	s_cbranch_execz .LBB150_110
.LBB150_102:                            ;   Parent Loop BB150_18 Depth=1
                                        ; =>  This Inner Loop Header: Depth=2
	s_delay_alu instid0(VALU_DEP_1)
	v_cmp_gt_u64_e32 vcc_lo, s[18:19], v[6:7]
	v_mov_b32_e32 v17, 0
	s_and_saveexec_b32 s25, vcc_lo
	s_cbranch_execz .LBB150_104
; %bb.103:                              ;   in Loop: Header=BB150_102 Depth=2
	ds_load_b32 v17, v8
.LBB150_104:                            ;   in Loop: Header=BB150_102 Depth=2
	s_or_b32 exec_lo, exec_lo, s25
	s_and_saveexec_b32 s25, vcc_lo
	s_cbranch_execz .LBB150_101
; %bb.105:                              ;   in Loop: Header=BB150_102 Depth=2
	s_waitcnt lgkmcnt(0)
	v_xor_b32_e32 v2, 0x80000000, v17
	s_delay_alu instid0(VALU_DEP_1) | instskip(NEXT) | instid1(VALU_DEP_1)
	v_and_b32_e32 v2, v2, v22
	v_cmp_eq_u32_e32 vcc_lo, v2, v21
	s_and_b32 exec_lo, exec_lo, vcc_lo
	s_cbranch_execz .LBB150_101
; %bb.106:                              ;   in Loop: Header=BB150_102 Depth=2
	ds_store_b64 v13, v[16:17] offset:3072
	s_branch .LBB150_101
.LBB150_107:                            ;   in Loop: Header=BB150_18 Depth=1
	s_mov_b32 s25, 0
	s_mov_b32 s24, 0
                                        ; implicit-def: $sgpr70
                                        ; implicit-def: $sgpr74
                                        ; implicit-def: $sgpr23
                                        ; implicit-def: $vgpr8
                                        ; implicit-def: $vgpr4_vgpr5
                                        ; implicit-def: $vgpr21
                                        ; implicit-def: $vgpr22
                                        ; implicit-def: $vgpr3
	s_cbranch_execnz .LBB150_290
.LBB150_108:                            ;   in Loop: Header=BB150_18 Depth=1
	s_mov_b32 s18, s23
	s_mov_b32 s19, s23
	s_and_saveexec_b32 s7, s25
	s_cbranch_execnz .LBB150_486
	s_branch .LBB150_487
.LBB150_109:                            ;   in Loop: Header=BB150_18 Depth=1
	s_mov_b32 s23, -1
	s_mov_b32 s25, 0
                                        ; implicit-def: $sgpr70
                                        ; implicit-def: $vgpr3
	s_mov_b32 s74, s23
	s_cbranch_execnz .LBB150_112
	s_branch .LBB150_125
.LBB150_110:                            ;   in Loop: Header=BB150_18 Depth=1
	s_set_inst_prefetch_distance 0x2
	s_or_b32 exec_lo, exec_lo, s9
	s_delay_alu instid0(SALU_CYCLE_1)
	s_and_b32 s25, s23, exec_lo
.LBB150_111:                            ;   in Loop: Header=BB150_18 Depth=1
	s_or_b32 exec_lo, exec_lo, s8
	s_mov_b32 s70, -1
	s_mov_b32 s23, 0
	s_delay_alu instid0(SALU_CYCLE_1)
	s_mov_b32 s74, s23
	s_branch .LBB150_125
.LBB150_112:                            ;   in Loop: Header=BB150_18 Depth=1
	s_mov_b32 s26, s71
	s_delay_alu instid0(SALU_CYCLE_1)
	s_cmp_lg_u64 s[26:27], 0
	s_cbranch_scc0 .LBB150_154
; %bb.113:                              ;   in Loop: Header=BB150_18 Depth=1
	v_cvt_f32_u32_e32 v2, s35
	s_sub_u32 s18, 0, s35
	s_subb_u32 s19, 0, 0
	s_delay_alu instid0(VALU_DEP_1) | instskip(NEXT) | instid1(VALU_DEP_1)
	v_fmac_f32_e64 v2, 0, 0x4f800000
	v_rcp_f32_e32 v2, v2
	s_waitcnt_depctr 0xfff
	v_mul_f32_e32 v2, 0x5f7ffffc, v2
	s_delay_alu instid0(VALU_DEP_1) | instskip(NEXT) | instid1(VALU_DEP_1)
	v_mul_f32_e32 v3, 0x2f800000, v2
	v_trunc_f32_e32 v3, v3
	s_delay_alu instid0(VALU_DEP_1) | instskip(SKIP_1) | instid1(VALU_DEP_2)
	v_fmac_f32_e32 v2, 0xcf800000, v3
	v_cvt_u32_f32_e32 v3, v3
	v_cvt_u32_f32_e32 v2, v2
	s_delay_alu instid0(VALU_DEP_2) | instskip(NEXT) | instid1(VALU_DEP_2)
	v_readfirstlane_b32 s8, v3
	v_readfirstlane_b32 s9, v2
	s_delay_alu instid0(VALU_DEP_2) | instskip(NEXT) | instid1(VALU_DEP_1)
	s_mul_i32 s23, s18, s8
	s_mul_hi_u32 s26, s18, s9
	s_mul_i32 s25, s19, s9
	s_add_i32 s23, s26, s23
	s_mul_i32 s48, s18, s9
	s_add_i32 s23, s23, s25
	s_mul_hi_u32 s26, s9, s48
	s_mul_hi_u32 s49, s8, s48
	s_mul_i32 s25, s8, s48
	s_mul_hi_u32 s48, s9, s23
	s_mul_i32 s9, s9, s23
	s_mul_hi_u32 s50, s8, s23
	s_add_u32 s9, s26, s9
	s_addc_u32 s26, 0, s48
	s_add_u32 s9, s9, s25
	s_mul_i32 s23, s8, s23
	s_addc_u32 s9, s26, s49
	s_addc_u32 s25, s50, 0
	s_add_u32 s9, s9, s23
	s_addc_u32 s23, 0, s25
	v_add_co_u32 v2, s9, v2, s9
	s_delay_alu instid0(VALU_DEP_1) | instskip(SKIP_1) | instid1(VALU_DEP_1)
	s_cmp_lg_u32 s9, 0
	s_addc_u32 s8, s8, s23
	v_readfirstlane_b32 s9, v2
	s_mul_i32 s23, s18, s8
	s_delay_alu instid0(VALU_DEP_1)
	s_mul_hi_u32 s25, s18, s9
	s_mul_i32 s19, s19, s9
	s_add_i32 s23, s25, s23
	s_mul_i32 s18, s18, s9
	s_add_i32 s23, s23, s19
	s_mul_hi_u32 s25, s8, s18
	s_mul_i32 s26, s8, s18
	s_mul_hi_u32 s18, s9, s18
	s_mul_hi_u32 s48, s9, s23
	s_mul_i32 s9, s9, s23
	s_mul_hi_u32 s19, s8, s23
	s_add_u32 s9, s18, s9
	s_addc_u32 s18, 0, s48
	s_add_u32 s9, s9, s26
	s_mul_i32 s23, s8, s23
	s_addc_u32 s9, s18, s25
	s_addc_u32 s18, s19, 0
	s_add_u32 s9, s9, s23
	s_addc_u32 s18, 0, s18
	v_add_co_u32 v2, s9, v2, s9
	s_delay_alu instid0(VALU_DEP_1) | instskip(SKIP_1) | instid1(VALU_DEP_1)
	s_cmp_lg_u32 s9, 0
	s_addc_u32 s8, s8, s18
	v_readfirstlane_b32 s9, v2
	s_mul_i32 s19, s88, s8
	s_mul_hi_u32 s18, s88, s8
	s_mul_hi_u32 s23, s27, s8
	s_mul_i32 s8, s27, s8
	s_mul_hi_u32 s25, s88, s9
	s_mul_hi_u32 s26, s27, s9
	s_mul_i32 s9, s27, s9
	s_add_u32 s19, s25, s19
	s_addc_u32 s18, 0, s18
	s_add_u32 s9, s19, s9
	s_addc_u32 s9, s18, s26
	s_addc_u32 s18, s23, 0
	s_add_u32 s8, s9, s8
	s_addc_u32 s9, 0, s18
	s_mul_hi_u32 s18, s35, s8
	s_mul_i32 s8, s35, s8
	s_mul_i32 s9, s35, s9
	v_sub_co_u32 v2, s8, s88, s8
	s_add_i32 s18, s18, s9
	s_cmp_lg_u32 s8, 0
	s_delay_alu instid0(VALU_DEP_1) | instskip(SKIP_2) | instid1(VALU_DEP_1)
	v_sub_co_u32 v3, s8, v2, s35
	s_subb_u32 s9, s27, s18
	s_cmp_lg_u32 s8, 0
	v_cmp_le_u32_e32 vcc_lo, s35, v3
	v_sub_co_u32 v4, s8, v3, s35
	s_subb_u32 s18, s9, 0
	s_cmp_lg_u32 s8, 0
	v_cndmask_b32_e64 v5, 0, -1, vcc_lo
	s_subb_u32 s8, s18, 0
	s_cmp_eq_u32 s18, 0
	v_mov_b32_e32 v7, s8
	s_cselect_b32 vcc_lo, -1, 0
	s_cmp_eq_u32 s9, 0
	v_cndmask_b32_e32 v5, -1, v5, vcc_lo
	v_cmp_le_u32_e32 vcc_lo, s35, v2
	s_cselect_b32 s8, -1, 0
	v_cndmask_b32_e64 v6, 0, -1, vcc_lo
	s_delay_alu instid0(VALU_DEP_3) | instskip(NEXT) | instid1(VALU_DEP_2)
	v_cmp_ne_u32_e32 vcc_lo, 0, v5
	v_cndmask_b32_e64 v5, -1, v6, s8
	v_cndmask_b32_e32 v6, s18, v7, vcc_lo
	v_cndmask_b32_e32 v4, v3, v4, vcc_lo
	s_delay_alu instid0(VALU_DEP_3) | instskip(NEXT) | instid1(VALU_DEP_3)
	v_cmp_ne_u32_e32 vcc_lo, 0, v5
	v_cndmask_b32_e32 v3, s9, v6, vcc_lo
	s_delay_alu instid0(VALU_DEP_3)
	v_cndmask_b32_e32 v2, v2, v4, vcc_lo
	s_cbranch_execnz .LBB150_115
.LBB150_114:                            ;   in Loop: Header=BB150_18 Depth=1
	v_cvt_f32_u32_e32 v2, s35
	s_sub_i32 s8, 0, s35
	s_delay_alu instid0(VALU_DEP_1) | instskip(SKIP_2) | instid1(VALU_DEP_1)
	v_rcp_iflag_f32_e32 v2, v2
	s_waitcnt_depctr 0xfff
	v_mul_f32_e32 v2, 0x4f7ffffe, v2
	v_cvt_u32_f32_e32 v2, v2
	s_delay_alu instid0(VALU_DEP_1) | instskip(NEXT) | instid1(VALU_DEP_1)
	v_mul_lo_u32 v3, s8, v2
	v_mul_hi_u32 v3, v2, v3
	s_delay_alu instid0(VALU_DEP_1) | instskip(NEXT) | instid1(VALU_DEP_1)
	v_add_nc_u32_e32 v2, v2, v3
	v_mul_hi_u32 v2, s88, v2
	s_delay_alu instid0(VALU_DEP_1) | instskip(NEXT) | instid1(VALU_DEP_1)
	v_mul_lo_u32 v2, v2, s35
	v_sub_nc_u32_e32 v2, s88, v2
	s_delay_alu instid0(VALU_DEP_1) | instskip(SKIP_1) | instid1(VALU_DEP_2)
	v_subrev_nc_u32_e32 v3, s35, v2
	v_cmp_le_u32_e32 vcc_lo, s35, v2
	v_cndmask_b32_e32 v2, v2, v3, vcc_lo
	s_delay_alu instid0(VALU_DEP_1) | instskip(SKIP_1) | instid1(VALU_DEP_2)
	v_subrev_nc_u32_e32 v3, s35, v2
	v_cmp_le_u32_e32 vcc_lo, s35, v2
	v_cndmask_b32_e32 v12, v2, v3, vcc_lo
	s_delay_alu instid0(VALU_DEP_1)
	v_dual_mov_b32 v2, v12 :: v_dual_mov_b32 v3, v13
.LBB150_115:                            ;   in Loop: Header=BB150_18 Depth=1
	s_delay_alu instid0(VALU_DEP_1) | instskip(NEXT) | instid1(VALU_DEP_2)
	v_sub_co_u32 v4, vcc_lo, s88, v2
	v_sub_co_ci_u32_e32 v5, vcc_lo, s27, v3, vcc_lo
	s_mov_b32 s25, 0
	s_mov_b32 s9, exec_lo
                                        ; implicit-def: $vgpr3
	s_delay_alu instid0(VALU_DEP_1)
	v_cmpx_gt_u64_e64 v[4:5], v[0:1]
	s_cbranch_execz .LBB150_124
; %bb.116:                              ;   in Loop: Header=BB150_18 Depth=1
	v_dual_mov_b32 v7, v1 :: v_dual_mov_b32 v6, v0
	s_mov_b32 s18, 0
                                        ; implicit-def: $sgpr19
	s_branch .LBB150_118
.LBB150_117:                            ;   in Loop: Header=BB150_118 Depth=2
	s_or_b32 exec_lo, exec_lo, s8
	s_waitcnt vmcnt(0) lgkmcnt(0)
	s_barrier
	buffer_gl0_inv
	ds_load_b64 v[2:3], v13 offset:3072
	v_add_co_u32 v6, vcc_lo, v6, s35
	v_add_co_ci_u32_e32 v7, vcc_lo, 0, v7, vcc_lo
	s_waitcnt lgkmcnt(0)
	s_barrier
	buffer_gl0_inv
	v_cmp_ge_u64_e32 vcc_lo, v[6:7], v[4:5]
	v_readfirstlane_b32 s8, v2
	s_delay_alu instid0(VALU_DEP_1) | instskip(SKIP_1) | instid1(SALU_CYCLE_1)
	s_cmp_lg_u32 s8, 0
	s_cselect_b32 s8, -1, 0
	s_or_b32 s23, vcc_lo, s8
	s_delay_alu instid0(SALU_CYCLE_1) | instskip(NEXT) | instid1(SALU_CYCLE_1)
	s_and_b32 s23, exec_lo, s23
	s_or_b32 s18, s23, s18
	s_and_not1_b32 s19, s19, exec_lo
	s_and_b32 s8, s8, exec_lo
	s_delay_alu instid0(SALU_CYCLE_1)
	s_or_b32 s19, s19, s8
	s_and_not1_b32 exec_lo, exec_lo, s18
	s_cbranch_execz .LBB150_123
.LBB150_118:                            ;   Parent Loop BB150_18 Depth=1
                                        ; =>  This Inner Loop Header: Depth=2
	s_delay_alu instid0(VALU_DEP_1)
	v_cmp_gt_u64_e32 vcc_lo, s[36:37], v[6:7]
	v_mov_b32_e32 v17, 0
	s_and_saveexec_b32 s23, vcc_lo
	s_cbranch_execz .LBB150_120
; %bb.119:                              ;   in Loop: Header=BB150_118 Depth=2
	v_mul_lo_u32 v8, v7, s30
	v_mul_lo_u32 v9, v6, s31
	v_mad_u64_u32 v[2:3], null, v6, s30, 0
	s_delay_alu instid0(VALU_DEP_1) | instskip(NEXT) | instid1(VALU_DEP_1)
	v_add3_u32 v3, v3, v9, v8
	v_lshlrev_b64 v[2:3], 2, v[2:3]
	s_delay_alu instid0(VALU_DEP_1) | instskip(NEXT) | instid1(VALU_DEP_1)
	v_add_co_u32 v2, s8, s29, v2
	v_add_co_ci_u32_e64 v3, s8, s33, v3, s8
	global_load_b32 v17, v[2:3], off
.LBB150_120:                            ;   in Loop: Header=BB150_118 Depth=2
	s_or_b32 exec_lo, exec_lo, s23
	s_and_saveexec_b32 s8, vcc_lo
	s_cbranch_execz .LBB150_117
; %bb.121:                              ;   in Loop: Header=BB150_118 Depth=2
	s_waitcnt vmcnt(0)
	v_xor_b32_e32 v2, 0x80000000, v17
	s_delay_alu instid0(VALU_DEP_1) | instskip(NEXT) | instid1(VALU_DEP_1)
	v_and_b32_e32 v2, v2, v22
	v_cmp_eq_u32_e32 vcc_lo, v2, v21
	s_and_b32 exec_lo, exec_lo, vcc_lo
	s_cbranch_execz .LBB150_117
; %bb.122:                              ;   in Loop: Header=BB150_118 Depth=2
	ds_store_b64 v13, v[16:17] offset:3072
	s_branch .LBB150_117
.LBB150_123:                            ;   in Loop: Header=BB150_18 Depth=1
	s_or_b32 exec_lo, exec_lo, s18
	s_delay_alu instid0(SALU_CYCLE_1)
	s_and_b32 s25, s19, exec_lo
.LBB150_124:                            ;   in Loop: Header=BB150_18 Depth=1
	s_or_b32 exec_lo, exec_lo, s9
	s_mov_b32 s74, -1
	s_mov_b32 s23, 0
	s_mov_b32 s70, 0
.LBB150_125:                            ;   in Loop: Header=BB150_18 Depth=1
	s_or_not1_b32 s8, s25, exec_lo
.LBB150_126:                            ;   in Loop: Header=BB150_18 Depth=1
	s_or_b32 exec_lo, exec_lo, s24
	s_mov_b32 s75, 0
	s_mov_b32 s25, 0
	;; [unrolled: 1-line block ×3, first 2 shown]
                                        ; implicit-def: $vgpr8
                                        ; implicit-def: $vgpr4_vgpr5
	s_and_saveexec_b32 s76, s8
	s_cbranch_execz .LBB150_289
; %bb.127:                              ;   in Loop: Header=BB150_18 Depth=1
	v_mov_b32_e32 v4, 1
	v_dual_mov_b32 v5, 0 :: v_dual_mov_b32 v8, 1
	s_xor_b32 s9, s58, -1
	s_delay_alu instid0(SALU_CYCLE_1)
	s_and_saveexec_b32 s8, s9
	s_cbranch_execz .LBB150_137
; %bb.128:                              ;   in Loop: Header=BB150_18 Depth=1
	s_mov_b32 s18, exec_lo
                                        ; implicit-def: $sgpr19
                                        ; implicit-def: $sgpr9
	v_cmpx_ge_u64_e64 s[10:11], v[19:20]
	s_xor_b32 s18, exec_lo, s18
	s_cbranch_execz .LBB150_134
; %bb.129:                              ;   in Loop: Header=BB150_18 Depth=1
	ds_load_b64 v[4:5], v13 offset:5120
	s_waitcnt lgkmcnt(0)
	v_cmp_ne_u64_e32 vcc_lo, 0, v[4:5]
	s_cbranch_vccnz .LBB150_133
; %bb.130:                              ;   in Loop: Header=BB150_18 Depth=1
	s_and_saveexec_b32 s9, s5
	s_cbranch_execz .LBB150_132
; %bb.131:                              ;   in Loop: Header=BB150_18 Depth=1
	v_dual_mov_b32 v4, s10 :: v_dual_mov_b32 v5, s11
	ds_store_b64 v13, v[4:5] offset:5128
.LBB150_132:                            ;   in Loop: Header=BB150_18 Depth=1
	s_or_b32 exec_lo, exec_lo, s9
	s_waitcnt lgkmcnt(0)
	s_barrier
	buffer_gl0_inv
.LBB150_133:                            ;   in Loop: Header=BB150_18 Depth=1
	v_and_b32_e32 v21, s21, v21
	v_or_b32_e32 v22, s20, v22
	s_mov_b32 s9, 0
	s_mov_b32 s19, 8
.LBB150_134:                            ;   in Loop: Header=BB150_18 Depth=1
	s_or_saveexec_b32 s18, s18
	v_mov_b32_e32 v4, v19
	v_dual_mov_b32 v8, s19 :: v_dual_mov_b32 v5, v20
	s_xor_b32 exec_lo, exec_lo, s18
; %bb.135:                              ;   in Loop: Header=BB150_18 Depth=1
	v_sub_co_u32 v4, vcc_lo, v19, s10
	v_subrev_co_ci_u32_e32 v5, vcc_lo, s11, v20, vcc_lo
	v_mov_b32_e32 v8, 0
	s_or_b32 s9, s9, exec_lo
; %bb.136:                              ;   in Loop: Header=BB150_18 Depth=1
	s_or_b32 exec_lo, exec_lo, s18
	s_delay_alu instid0(SALU_CYCLE_1)
	s_and_b32 s24, s9, exec_lo
.LBB150_137:                            ;   in Loop: Header=BB150_18 Depth=1
	s_or_b32 exec_lo, exec_lo, s8
	s_mov_b32 s25, -1
                                        ; implicit-def: $sgpr9
                                        ; implicit-def: $sgpr18
                                        ; implicit-def: $sgpr19
	s_and_saveexec_b32 s8, s24
	s_delay_alu instid0(SALU_CYCLE_1)
	s_xor_b32 s24, exec_lo, s8
	s_cbranch_execz .LBB150_286
; %bb.138:                              ;   in Loop: Header=BB150_18 Depth=1
	v_cmp_eq_u64_e32 vcc_lo, 1, v[4:5]
	s_cmp_eq_u64 s[12:13], 1
                                        ; implicit-def: $sgpr25
                                        ; implicit-def: $sgpr78
                                        ; implicit-def: $sgpr77
	s_cselect_b32 s8, -1, 0
	s_delay_alu instid0(SALU_CYCLE_1)
	s_and_b32 s68, s8, vcc_lo
	s_mov_b32 s8, -1
	s_and_saveexec_b32 s58, s68
	s_cbranch_execz .LBB150_172
; %bb.139:                              ;   in Loop: Header=BB150_18 Depth=1
	ds_load_b64 v[2:3], v13 offset:5120
	s_waitcnt lgkmcnt(0)
	s_barrier
	buffer_gl0_inv
	v_readfirstlane_b32 s18, v2
	v_readfirstlane_b32 s19, v3
	s_and_saveexec_b32 s8, s6
	s_cbranch_execz .LBB150_141
; %bb.140:                              ;   in Loop: Header=BB150_18 Depth=1
	ds_store_b32 v28, v13
.LBB150_141:                            ;   in Loop: Header=BB150_18 Depth=1
	s_or_b32 exec_lo, exec_lo, s8
	s_lshl_b32 s8, 1, s22
	v_or_b32_e32 v22, s20, v22
	v_and_or_b32 v21, v21, s21, s8
	s_cmp_eq_u64 s[18:19], 0
	s_waitcnt lgkmcnt(0)
	s_barrier
	buffer_gl0_inv
	s_cbranch_scc1 .LBB150_155
; %bb.142:                              ;   in Loop: Header=BB150_18 Depth=1
	s_add_u32 s25, s86, s18
	s_addc_u32 s9, s87, s19
	s_mov_b32 s8, s71
	s_delay_alu instid0(SALU_CYCLE_1)
	s_cmp_lg_u64 s[8:9], 0
	s_cbranch_scc0 .LBB150_199
; %bb.143:                              ;   in Loop: Header=BB150_18 Depth=1
	v_cvt_f32_u32_e32 v2, s35
	s_sub_u32 s59, 0, s35
	s_subb_u32 s64, 0, 0
	s_delay_alu instid0(VALU_DEP_1) | instskip(NEXT) | instid1(VALU_DEP_1)
	v_fmac_f32_e64 v2, 0, 0x4f800000
	v_rcp_f32_e32 v2, v2
	s_waitcnt_depctr 0xfff
	v_mul_f32_e32 v2, 0x5f7ffffc, v2
	s_delay_alu instid0(VALU_DEP_1) | instskip(NEXT) | instid1(VALU_DEP_1)
	v_mul_f32_e32 v3, 0x2f800000, v2
	v_trunc_f32_e32 v3, v3
	s_delay_alu instid0(VALU_DEP_1) | instskip(SKIP_1) | instid1(VALU_DEP_2)
	v_fmac_f32_e32 v2, 0xcf800000, v3
	v_cvt_u32_f32_e32 v3, v3
	v_cvt_u32_f32_e32 v2, v2
	s_delay_alu instid0(VALU_DEP_2) | instskip(NEXT) | instid1(VALU_DEP_2)
	v_readfirstlane_b32 s8, v3
	v_readfirstlane_b32 s26, v2
	s_delay_alu instid0(VALU_DEP_2) | instskip(NEXT) | instid1(VALU_DEP_1)
	s_mul_i32 s65, s59, s8
	s_mul_hi_u32 s77, s59, s26
	s_mul_i32 s69, s64, s26
	s_add_i32 s65, s77, s65
	s_mul_i32 s78, s59, s26
	s_add_i32 s65, s65, s69
	s_mul_hi_u32 s77, s26, s78
	s_mul_hi_u32 s79, s8, s78
	s_mul_i32 s69, s8, s78
	s_mul_hi_u32 s78, s26, s65
	s_mul_i32 s26, s26, s65
	s_mul_hi_u32 s80, s8, s65
	s_add_u32 s26, s77, s26
	s_addc_u32 s77, 0, s78
	s_add_u32 s26, s26, s69
	s_mul_i32 s65, s8, s65
	s_addc_u32 s26, s77, s79
	s_addc_u32 s69, s80, 0
	s_add_u32 s26, s26, s65
	s_addc_u32 s65, 0, s69
	v_add_co_u32 v2, s26, v2, s26
	s_delay_alu instid0(VALU_DEP_1) | instskip(SKIP_1) | instid1(VALU_DEP_1)
	s_cmp_lg_u32 s26, 0
	s_addc_u32 s8, s8, s65
	v_readfirstlane_b32 s26, v2
	s_mul_i32 s65, s59, s8
	s_delay_alu instid0(VALU_DEP_1)
	s_mul_hi_u32 s69, s59, s26
	s_mul_i32 s64, s64, s26
	s_add_i32 s65, s69, s65
	s_mul_i32 s59, s59, s26
	s_add_i32 s65, s65, s64
	s_mul_hi_u32 s69, s8, s59
	s_mul_i32 s77, s8, s59
	s_mul_hi_u32 s59, s26, s59
	s_mul_hi_u32 s78, s26, s65
	s_mul_i32 s26, s26, s65
	s_mul_hi_u32 s64, s8, s65
	s_add_u32 s26, s59, s26
	s_addc_u32 s59, 0, s78
	s_add_u32 s26, s26, s77
	s_mul_i32 s65, s8, s65
	s_addc_u32 s26, s59, s69
	s_addc_u32 s59, s64, 0
	s_add_u32 s26, s26, s65
	s_addc_u32 s59, 0, s59
	v_add_co_u32 v2, s26, v2, s26
	s_delay_alu instid0(VALU_DEP_1) | instskip(SKIP_1) | instid1(VALU_DEP_1)
	s_cmp_lg_u32 s26, 0
	s_addc_u32 s8, s8, s59
	v_readfirstlane_b32 s26, v2
	s_mul_i32 s64, s25, s8
	s_mul_hi_u32 s59, s25, s8
	s_mul_hi_u32 s65, s9, s8
	s_mul_i32 s8, s9, s8
	s_mul_hi_u32 s69, s25, s26
	s_mul_hi_u32 s77, s9, s26
	s_mul_i32 s26, s9, s26
	s_add_u32 s64, s69, s64
	s_addc_u32 s59, 0, s59
	s_add_u32 s26, s64, s26
	s_addc_u32 s26, s59, s77
	s_addc_u32 s59, s65, 0
	s_add_u32 s8, s26, s8
	s_addc_u32 s26, 0, s59
	s_mul_hi_u32 s59, s35, s8
	s_mul_i32 s8, s35, s8
	s_mul_i32 s26, s35, s26
	v_sub_co_u32 v2, s8, s25, s8
	s_add_i32 s59, s59, s26
	s_cmp_lg_u32 s8, 0
	s_delay_alu instid0(VALU_DEP_1) | instskip(SKIP_3) | instid1(VALU_DEP_2)
	v_sub_co_u32 v3, s8, v2, s35
	s_subb_u32 s26, s9, s59
	s_cmp_lg_u32 s8, 0
	v_cmp_le_u32_e32 vcc_lo, s35, v2
	v_cmp_le_u32_e64 s8, s35, v3
	v_sub_co_u32 v6, s59, v3, s35
	s_subb_u32 s64, s26, 0
	s_cmp_lg_u32 s59, 0
	s_delay_alu instid0(VALU_DEP_2)
	v_cndmask_b32_e64 v7, 0, -1, s8
	s_subb_u32 s59, s64, 0
	s_cmp_eq_u32 s64, 0
	v_mov_b32_e32 v9, s59
	v_cndmask_b32_e64 v8, 0, -1, vcc_lo
	s_cselect_b32 vcc_lo, -1, 0
	s_cmp_eq_u32 s26, 0
	v_cndmask_b32_e32 v7, -1, v7, vcc_lo
	s_cselect_b32 vcc_lo, -1, 0
	v_cndmask_b32_e32 v8, -1, v8, vcc_lo
	s_delay_alu instid0(VALU_DEP_2) | instskip(NEXT) | instid1(VALU_DEP_2)
	v_cmp_ne_u32_e32 vcc_lo, 0, v7
	v_cmp_ne_u32_e64 s8, 0, v8
	v_cndmask_b32_e32 v7, s64, v9, vcc_lo
	v_cndmask_b32_e32 v6, v3, v6, vcc_lo
	s_delay_alu instid0(VALU_DEP_2) | instskip(NEXT) | instid1(VALU_DEP_2)
	v_cndmask_b32_e64 v3, s26, v7, s8
	v_cndmask_b32_e64 v2, v2, v6, s8
	s_cbranch_execnz .LBB150_145
.LBB150_144:                            ;   in Loop: Header=BB150_18 Depth=1
	v_cvt_f32_u32_e32 v2, s35
	s_sub_i32 s8, 0, s35
	s_delay_alu instid0(VALU_DEP_1) | instskip(SKIP_2) | instid1(VALU_DEP_1)
	v_rcp_iflag_f32_e32 v2, v2
	s_waitcnt_depctr 0xfff
	v_mul_f32_e32 v2, 0x4f7ffffe, v2
	v_cvt_u32_f32_e32 v2, v2
	s_delay_alu instid0(VALU_DEP_1) | instskip(NEXT) | instid1(VALU_DEP_1)
	v_mul_lo_u32 v3, s8, v2
	v_mul_hi_u32 v3, v2, v3
	s_delay_alu instid0(VALU_DEP_1) | instskip(NEXT) | instid1(VALU_DEP_1)
	v_add_nc_u32_e32 v2, v2, v3
	v_mul_hi_u32 v2, s25, v2
	s_delay_alu instid0(VALU_DEP_1) | instskip(NEXT) | instid1(VALU_DEP_1)
	v_mul_lo_u32 v2, v2, s35
	v_sub_nc_u32_e32 v2, s25, v2
	s_delay_alu instid0(VALU_DEP_1) | instskip(SKIP_1) | instid1(VALU_DEP_2)
	v_subrev_nc_u32_e32 v3, s35, v2
	v_cmp_le_u32_e32 vcc_lo, s35, v2
	v_cndmask_b32_e32 v2, v2, v3, vcc_lo
	s_delay_alu instid0(VALU_DEP_1) | instskip(SKIP_1) | instid1(VALU_DEP_2)
	v_subrev_nc_u32_e32 v3, s35, v2
	v_cmp_le_u32_e32 vcc_lo, s35, v2
	v_cndmask_b32_e32 v12, v2, v3, vcc_lo
	s_delay_alu instid0(VALU_DEP_1)
	v_dual_mov_b32 v2, v12 :: v_dual_mov_b32 v3, v13
.LBB150_145:                            ;   in Loop: Header=BB150_18 Depth=1
	s_delay_alu instid0(VALU_DEP_1) | instskip(NEXT) | instid1(VALU_DEP_2)
	v_sub_co_u32 v6, vcc_lo, s25, v2
	v_sub_co_ci_u32_e32 v7, vcc_lo, s9, v3, vcc_lo
	s_mov_b32 s26, 0
	s_mov_b32 s8, exec_lo
                                        ; implicit-def: $vgpr3
	s_delay_alu instid0(VALU_DEP_1)
	v_cmpx_gt_u64_e64 v[6:7], v[0:1]
	s_cbranch_execz .LBB150_157
; %bb.146:                              ;   in Loop: Header=BB150_18 Depth=1
	v_dual_mov_b32 v12, v14 :: v_dual_mov_b32 v9, v1
	v_mov_b32_e32 v8, v0
	s_mov_b32 s9, 0
                                        ; implicit-def: $sgpr25
	s_set_inst_prefetch_distance 0x1
	s_branch .LBB150_148
	.p2align	6
.LBB150_147:                            ;   in Loop: Header=BB150_148 Depth=2
	s_or_b32 exec_lo, exec_lo, s26
	s_waitcnt lgkmcnt(0)
	s_barrier
	buffer_gl0_inv
	ds_load_b64 v[2:3], v13 offset:3072
	v_add_co_u32 v8, vcc_lo, v8, s35
	v_add_co_ci_u32_e32 v9, vcc_lo, 0, v9, vcc_lo
	v_add_nc_u32_e32 v12, s94, v12
	s_waitcnt lgkmcnt(0)
	s_barrier
	s_delay_alu instid0(VALU_DEP_2) | instskip(SKIP_2) | instid1(VALU_DEP_1)
	v_cmp_ge_u64_e32 vcc_lo, v[8:9], v[6:7]
	buffer_gl0_inv
	v_readfirstlane_b32 s26, v2
	s_cmp_lg_u32 s26, 0
	s_cselect_b32 s26, -1, 0
	s_delay_alu instid0(SALU_CYCLE_1) | instskip(NEXT) | instid1(SALU_CYCLE_1)
	s_or_b32 s59, vcc_lo, s26
	s_and_b32 s59, exec_lo, s59
	s_delay_alu instid0(SALU_CYCLE_1) | instskip(SKIP_2) | instid1(SALU_CYCLE_1)
	s_or_b32 s9, s59, s9
	s_and_not1_b32 s25, s25, exec_lo
	s_and_b32 s26, s26, exec_lo
	s_or_b32 s25, s25, s26
	s_and_not1_b32 exec_lo, exec_lo, s9
	s_cbranch_execz .LBB150_156
.LBB150_148:                            ;   Parent Loop BB150_18 Depth=1
                                        ; =>  This Inner Loop Header: Depth=2
	s_delay_alu instid0(VALU_DEP_1)
	v_cmp_gt_u64_e32 vcc_lo, s[18:19], v[8:9]
	v_mov_b32_e32 v17, 0
	s_and_saveexec_b32 s26, vcc_lo
	s_cbranch_execz .LBB150_150
; %bb.149:                              ;   in Loop: Header=BB150_148 Depth=2
	ds_load_b32 v17, v12
.LBB150_150:                            ;   in Loop: Header=BB150_148 Depth=2
	s_or_b32 exec_lo, exec_lo, s26
	s_and_saveexec_b32 s26, vcc_lo
	s_cbranch_execz .LBB150_147
; %bb.151:                              ;   in Loop: Header=BB150_148 Depth=2
	s_waitcnt lgkmcnt(0)
	v_xor_b32_e32 v2, 0x80000000, v17
	s_delay_alu instid0(VALU_DEP_1) | instskip(NEXT) | instid1(VALU_DEP_1)
	v_and_b32_e32 v2, v2, v22
	v_cmp_eq_u32_e32 vcc_lo, v2, v21
	s_and_b32 exec_lo, exec_lo, vcc_lo
	s_cbranch_execz .LBB150_147
; %bb.152:                              ;   in Loop: Header=BB150_148 Depth=2
	ds_store_b64 v13, v[16:17] offset:3072
	s_branch .LBB150_147
.LBB150_153:                            ;   in Loop: Header=BB150_18 Depth=1
                                        ; implicit-def: $vgpr2_vgpr3
	s_branch .LBB150_98
.LBB150_154:                            ;   in Loop: Header=BB150_18 Depth=1
                                        ; implicit-def: $vgpr2_vgpr3
	s_branch .LBB150_114
.LBB150_155:                            ;   in Loop: Header=BB150_18 Depth=1
	s_mov_b32 s25, -1
	s_mov_b32 s26, 0
                                        ; implicit-def: $sgpr77
                                        ; implicit-def: $vgpr3
	s_mov_b32 s78, s25
	s_cbranch_execnz .LBB150_158
	s_branch .LBB150_171
.LBB150_156:                            ;   in Loop: Header=BB150_18 Depth=1
	s_set_inst_prefetch_distance 0x2
	s_or_b32 exec_lo, exec_lo, s9
	s_delay_alu instid0(SALU_CYCLE_1)
	s_and_b32 s26, s25, exec_lo
.LBB150_157:                            ;   in Loop: Header=BB150_18 Depth=1
	s_or_b32 exec_lo, exec_lo, s8
	s_mov_b32 s77, -1
	s_mov_b32 s25, 0
	s_delay_alu instid0(SALU_CYCLE_1)
	s_mov_b32 s78, s25
	s_branch .LBB150_171
.LBB150_158:                            ;   in Loop: Header=BB150_18 Depth=1
	s_mov_b32 s26, s71
	s_delay_alu instid0(SALU_CYCLE_1)
	s_cmp_lg_u64 s[26:27], 0
	s_cbranch_scc0 .LBB150_200
; %bb.159:                              ;   in Loop: Header=BB150_18 Depth=1
	v_cvt_f32_u32_e32 v2, s35
	s_sub_u32 s18, 0, s35
	s_subb_u32 s19, 0, 0
	s_delay_alu instid0(VALU_DEP_1) | instskip(NEXT) | instid1(VALU_DEP_1)
	v_fmac_f32_e64 v2, 0, 0x4f800000
	v_rcp_f32_e32 v2, v2
	s_waitcnt_depctr 0xfff
	v_mul_f32_e32 v2, 0x5f7ffffc, v2
	s_delay_alu instid0(VALU_DEP_1) | instskip(NEXT) | instid1(VALU_DEP_1)
	v_mul_f32_e32 v3, 0x2f800000, v2
	v_trunc_f32_e32 v3, v3
	s_delay_alu instid0(VALU_DEP_1) | instskip(SKIP_1) | instid1(VALU_DEP_2)
	v_fmac_f32_e32 v2, 0xcf800000, v3
	v_cvt_u32_f32_e32 v3, v3
	v_cvt_u32_f32_e32 v2, v2
	s_delay_alu instid0(VALU_DEP_2) | instskip(NEXT) | instid1(VALU_DEP_2)
	v_readfirstlane_b32 s8, v3
	v_readfirstlane_b32 s9, v2
	s_delay_alu instid0(VALU_DEP_2) | instskip(NEXT) | instid1(VALU_DEP_1)
	s_mul_i32 s25, s18, s8
	s_mul_hi_u32 s59, s18, s9
	s_mul_i32 s26, s19, s9
	s_add_i32 s25, s59, s25
	s_mul_i32 s64, s18, s9
	s_add_i32 s25, s25, s26
	s_mul_hi_u32 s59, s9, s64
	s_mul_hi_u32 s65, s8, s64
	s_mul_i32 s26, s8, s64
	s_mul_hi_u32 s64, s9, s25
	s_mul_i32 s9, s9, s25
	s_mul_hi_u32 s69, s8, s25
	s_add_u32 s9, s59, s9
	s_addc_u32 s59, 0, s64
	s_add_u32 s9, s9, s26
	s_mul_i32 s25, s8, s25
	s_addc_u32 s9, s59, s65
	s_addc_u32 s26, s69, 0
	s_add_u32 s9, s9, s25
	s_addc_u32 s25, 0, s26
	v_add_co_u32 v2, s9, v2, s9
	s_delay_alu instid0(VALU_DEP_1) | instskip(SKIP_1) | instid1(VALU_DEP_1)
	s_cmp_lg_u32 s9, 0
	s_addc_u32 s8, s8, s25
	v_readfirstlane_b32 s9, v2
	s_mul_i32 s25, s18, s8
	s_delay_alu instid0(VALU_DEP_1)
	s_mul_hi_u32 s26, s18, s9
	s_mul_i32 s19, s19, s9
	s_add_i32 s25, s26, s25
	s_mul_i32 s18, s18, s9
	s_add_i32 s25, s25, s19
	s_mul_hi_u32 s26, s8, s18
	s_mul_i32 s59, s8, s18
	s_mul_hi_u32 s18, s9, s18
	s_mul_hi_u32 s64, s9, s25
	s_mul_i32 s9, s9, s25
	s_mul_hi_u32 s19, s8, s25
	s_add_u32 s9, s18, s9
	s_addc_u32 s18, 0, s64
	s_add_u32 s9, s9, s59
	s_mul_i32 s25, s8, s25
	s_addc_u32 s9, s18, s26
	s_addc_u32 s18, s19, 0
	s_add_u32 s9, s9, s25
	s_addc_u32 s18, 0, s18
	v_add_co_u32 v2, s9, v2, s9
	s_delay_alu instid0(VALU_DEP_1) | instskip(SKIP_1) | instid1(VALU_DEP_1)
	s_cmp_lg_u32 s9, 0
	s_addc_u32 s8, s8, s18
	v_readfirstlane_b32 s9, v2
	s_mul_i32 s19, s88, s8
	s_mul_hi_u32 s18, s88, s8
	s_mul_hi_u32 s25, s27, s8
	s_mul_i32 s8, s27, s8
	s_mul_hi_u32 s26, s88, s9
	s_mul_hi_u32 s59, s27, s9
	s_mul_i32 s9, s27, s9
	s_add_u32 s19, s26, s19
	s_addc_u32 s18, 0, s18
	s_add_u32 s9, s19, s9
	s_addc_u32 s9, s18, s59
	s_addc_u32 s18, s25, 0
	s_add_u32 s8, s9, s8
	s_addc_u32 s9, 0, s18
	s_mul_hi_u32 s18, s35, s8
	s_mul_i32 s8, s35, s8
	s_mul_i32 s9, s35, s9
	v_sub_co_u32 v2, s8, s88, s8
	s_add_i32 s18, s18, s9
	s_cmp_lg_u32 s8, 0
	s_delay_alu instid0(VALU_DEP_1) | instskip(SKIP_3) | instid1(VALU_DEP_2)
	v_sub_co_u32 v3, s8, v2, s35
	s_subb_u32 s9, s27, s18
	s_cmp_lg_u32 s8, 0
	v_cmp_le_u32_e32 vcc_lo, s35, v2
	v_cmp_le_u32_e64 s8, s35, v3
	v_sub_co_u32 v6, s18, v3, s35
	s_subb_u32 s19, s9, 0
	s_cmp_lg_u32 s18, 0
	s_delay_alu instid0(VALU_DEP_2)
	v_cndmask_b32_e64 v7, 0, -1, s8
	s_subb_u32 s18, s19, 0
	s_cmp_eq_u32 s19, 0
	v_mov_b32_e32 v9, s18
	v_cndmask_b32_e64 v8, 0, -1, vcc_lo
	s_cselect_b32 vcc_lo, -1, 0
	s_cmp_eq_u32 s9, 0
	v_cndmask_b32_e32 v7, -1, v7, vcc_lo
	s_cselect_b32 vcc_lo, -1, 0
	v_cndmask_b32_e32 v8, -1, v8, vcc_lo
	s_delay_alu instid0(VALU_DEP_2) | instskip(NEXT) | instid1(VALU_DEP_2)
	v_cmp_ne_u32_e32 vcc_lo, 0, v7
	v_cmp_ne_u32_e64 s8, 0, v8
	v_cndmask_b32_e32 v7, s19, v9, vcc_lo
	v_cndmask_b32_e32 v6, v3, v6, vcc_lo
	s_delay_alu instid0(VALU_DEP_2) | instskip(NEXT) | instid1(VALU_DEP_2)
	v_cndmask_b32_e64 v3, s9, v7, s8
	v_cndmask_b32_e64 v2, v2, v6, s8
	s_cbranch_execnz .LBB150_161
.LBB150_160:                            ;   in Loop: Header=BB150_18 Depth=1
	v_cvt_f32_u32_e32 v2, s35
	s_sub_i32 s8, 0, s35
	s_delay_alu instid0(VALU_DEP_1) | instskip(SKIP_2) | instid1(VALU_DEP_1)
	v_rcp_iflag_f32_e32 v2, v2
	s_waitcnt_depctr 0xfff
	v_mul_f32_e32 v2, 0x4f7ffffe, v2
	v_cvt_u32_f32_e32 v2, v2
	s_delay_alu instid0(VALU_DEP_1) | instskip(NEXT) | instid1(VALU_DEP_1)
	v_mul_lo_u32 v3, s8, v2
	v_mul_hi_u32 v3, v2, v3
	s_delay_alu instid0(VALU_DEP_1) | instskip(NEXT) | instid1(VALU_DEP_1)
	v_add_nc_u32_e32 v2, v2, v3
	v_mul_hi_u32 v2, s88, v2
	s_delay_alu instid0(VALU_DEP_1) | instskip(NEXT) | instid1(VALU_DEP_1)
	v_mul_lo_u32 v2, v2, s35
	v_sub_nc_u32_e32 v2, s88, v2
	s_delay_alu instid0(VALU_DEP_1) | instskip(SKIP_1) | instid1(VALU_DEP_2)
	v_subrev_nc_u32_e32 v3, s35, v2
	v_cmp_le_u32_e32 vcc_lo, s35, v2
	v_cndmask_b32_e32 v2, v2, v3, vcc_lo
	s_delay_alu instid0(VALU_DEP_1) | instskip(SKIP_1) | instid1(VALU_DEP_2)
	v_subrev_nc_u32_e32 v3, s35, v2
	v_cmp_le_u32_e32 vcc_lo, s35, v2
	v_cndmask_b32_e32 v12, v2, v3, vcc_lo
	s_delay_alu instid0(VALU_DEP_1)
	v_dual_mov_b32 v2, v12 :: v_dual_mov_b32 v3, v13
.LBB150_161:                            ;   in Loop: Header=BB150_18 Depth=1
	s_delay_alu instid0(VALU_DEP_1) | instskip(NEXT) | instid1(VALU_DEP_2)
	v_sub_co_u32 v6, vcc_lo, s88, v2
	v_sub_co_ci_u32_e32 v7, vcc_lo, s27, v3, vcc_lo
	s_mov_b32 s26, 0
	s_mov_b32 s9, exec_lo
                                        ; implicit-def: $vgpr3
	s_delay_alu instid0(VALU_DEP_1)
	v_cmpx_gt_u64_e64 v[6:7], v[0:1]
	s_cbranch_execz .LBB150_170
; %bb.162:                              ;   in Loop: Header=BB150_18 Depth=1
	v_dual_mov_b32 v9, v1 :: v_dual_mov_b32 v8, v0
	s_mov_b32 s18, 0
                                        ; implicit-def: $sgpr19
	s_branch .LBB150_164
.LBB150_163:                            ;   in Loop: Header=BB150_164 Depth=2
	s_or_b32 exec_lo, exec_lo, s8
	s_waitcnt vmcnt(0) lgkmcnt(0)
	s_barrier
	buffer_gl0_inv
	ds_load_b64 v[2:3], v13 offset:3072
	v_add_co_u32 v8, vcc_lo, v8, s35
	v_add_co_ci_u32_e32 v9, vcc_lo, 0, v9, vcc_lo
	s_waitcnt lgkmcnt(0)
	s_barrier
	buffer_gl0_inv
	v_cmp_ge_u64_e32 vcc_lo, v[8:9], v[6:7]
	v_readfirstlane_b32 s8, v2
	s_delay_alu instid0(VALU_DEP_1) | instskip(SKIP_1) | instid1(SALU_CYCLE_1)
	s_cmp_lg_u32 s8, 0
	s_cselect_b32 s8, -1, 0
	s_or_b32 s25, vcc_lo, s8
	s_delay_alu instid0(SALU_CYCLE_1) | instskip(NEXT) | instid1(SALU_CYCLE_1)
	s_and_b32 s25, exec_lo, s25
	s_or_b32 s18, s25, s18
	s_and_not1_b32 s19, s19, exec_lo
	s_and_b32 s8, s8, exec_lo
	s_delay_alu instid0(SALU_CYCLE_1)
	s_or_b32 s19, s19, s8
	s_and_not1_b32 exec_lo, exec_lo, s18
	s_cbranch_execz .LBB150_169
.LBB150_164:                            ;   Parent Loop BB150_18 Depth=1
                                        ; =>  This Inner Loop Header: Depth=2
	s_delay_alu instid0(VALU_DEP_1)
	v_cmp_gt_u64_e32 vcc_lo, s[36:37], v[8:9]
	v_mov_b32_e32 v17, 0
	s_and_saveexec_b32 s25, vcc_lo
	s_cbranch_execz .LBB150_166
; %bb.165:                              ;   in Loop: Header=BB150_164 Depth=2
	v_mul_lo_u32 v12, v9, s30
	v_mul_lo_u32 v17, v8, s31
	v_mad_u64_u32 v[2:3], null, v8, s30, 0
	s_delay_alu instid0(VALU_DEP_1) | instskip(NEXT) | instid1(VALU_DEP_1)
	v_add3_u32 v3, v3, v17, v12
	v_lshlrev_b64 v[2:3], 2, v[2:3]
	s_delay_alu instid0(VALU_DEP_1) | instskip(NEXT) | instid1(VALU_DEP_1)
	v_add_co_u32 v2, s8, s29, v2
	v_add_co_ci_u32_e64 v3, s8, s33, v3, s8
	global_load_b32 v17, v[2:3], off
.LBB150_166:                            ;   in Loop: Header=BB150_164 Depth=2
	s_or_b32 exec_lo, exec_lo, s25
	s_and_saveexec_b32 s8, vcc_lo
	s_cbranch_execz .LBB150_163
; %bb.167:                              ;   in Loop: Header=BB150_164 Depth=2
	s_waitcnt vmcnt(0)
	v_xor_b32_e32 v2, 0x80000000, v17
	s_delay_alu instid0(VALU_DEP_1) | instskip(NEXT) | instid1(VALU_DEP_1)
	v_and_b32_e32 v2, v2, v22
	v_cmp_eq_u32_e32 vcc_lo, v2, v21
	s_and_b32 exec_lo, exec_lo, vcc_lo
	s_cbranch_execz .LBB150_163
; %bb.168:                              ;   in Loop: Header=BB150_164 Depth=2
	ds_store_b64 v13, v[16:17] offset:3072
	s_branch .LBB150_163
.LBB150_169:                            ;   in Loop: Header=BB150_18 Depth=1
	s_or_b32 exec_lo, exec_lo, s18
	s_delay_alu instid0(SALU_CYCLE_1)
	s_and_b32 s26, s19, exec_lo
.LBB150_170:                            ;   in Loop: Header=BB150_18 Depth=1
	s_or_b32 exec_lo, exec_lo, s9
	s_mov_b32 s78, -1
	s_mov_b32 s25, 0
	s_mov_b32 s77, 0
.LBB150_171:                            ;   in Loop: Header=BB150_18 Depth=1
	s_or_not1_b32 s8, s26, exec_lo
.LBB150_172:                            ;   in Loop: Header=BB150_18 Depth=1
	s_or_b32 exec_lo, exec_lo, s58
	s_mov_b32 s26, 0
                                        ; implicit-def: $vgpr8
	s_and_saveexec_b32 s79, s8
	s_cbranch_execz .LBB150_285
; %bb.173:                              ;   in Loop: Header=BB150_18 Depth=1
	v_mov_b32_e32 v6, 1
	v_dual_mov_b32 v7, 0 :: v_dual_mov_b32 v8, 1
	s_xor_b32 s9, s68, -1
	s_delay_alu instid0(SALU_CYCLE_1)
	s_and_saveexec_b32 s8, s9
	s_cbranch_execz .LBB150_183
; %bb.174:                              ;   in Loop: Header=BB150_18 Depth=1
	s_mov_b32 s18, exec_lo
                                        ; implicit-def: $sgpr19
                                        ; implicit-def: $sgpr9
	v_cmpx_ge_u64_e64 s[12:13], v[4:5]
	s_xor_b32 s18, exec_lo, s18
	s_cbranch_execz .LBB150_180
; %bb.175:                              ;   in Loop: Header=BB150_18 Depth=1
	ds_load_b64 v[6:7], v13 offset:5120
	s_waitcnt lgkmcnt(0)
	v_cmp_ne_u64_e32 vcc_lo, 0, v[6:7]
	s_cbranch_vccnz .LBB150_179
; %bb.176:                              ;   in Loop: Header=BB150_18 Depth=1
	s_and_saveexec_b32 s9, s5
	s_cbranch_execz .LBB150_178
; %bb.177:                              ;   in Loop: Header=BB150_18 Depth=1
	v_dual_mov_b32 v6, s12 :: v_dual_mov_b32 v7, s13
	ds_store_b64 v13, v[6:7] offset:5128
.LBB150_178:                            ;   in Loop: Header=BB150_18 Depth=1
	s_or_b32 exec_lo, exec_lo, s9
	s_waitcnt lgkmcnt(0)
	s_barrier
	buffer_gl0_inv
.LBB150_179:                            ;   in Loop: Header=BB150_18 Depth=1
	s_lshl_b32 s9, 1, s22
	v_or_b32_e32 v22, s20, v22
	v_and_or_b32 v21, v21, s21, s9
	s_mov_b32 s9, 0
	s_mov_b32 s19, 8
.LBB150_180:                            ;   in Loop: Header=BB150_18 Depth=1
	s_or_saveexec_b32 s18, s18
	v_mov_b32_e32 v8, s19
	s_xor_b32 exec_lo, exec_lo, s18
; %bb.181:                              ;   in Loop: Header=BB150_18 Depth=1
	v_sub_co_u32 v4, vcc_lo, v4, s12
	v_subrev_co_ci_u32_e32 v5, vcc_lo, s13, v5, vcc_lo
	v_mov_b32_e32 v8, 0
	s_or_b32 s9, s9, exec_lo
; %bb.182:                              ;   in Loop: Header=BB150_18 Depth=1
	s_or_b32 exec_lo, exec_lo, s18
	s_delay_alu instid0(VALU_DEP_2)
	v_dual_mov_b32 v7, v5 :: v_dual_mov_b32 v6, v4
	s_and_b32 s26, s9, exec_lo
.LBB150_183:                            ;   in Loop: Header=BB150_18 Depth=1
	s_or_b32 exec_lo, exec_lo, s8
	s_mov_b32 s8, -1
                                        ; implicit-def: $sgpr9
                                        ; implicit-def: $sgpr18
                                        ; implicit-def: $sgpr19
	s_and_saveexec_b32 s80, s26
	s_cbranch_execz .LBB150_284
; %bb.184:                              ;   in Loop: Header=BB150_18 Depth=1
	v_cmp_eq_u64_e32 vcc_lo, 1, v[6:7]
	s_cmp_eq_u64 s[14:15], 1
                                        ; implicit-def: $sgpr81
                                        ; implicit-def: $sgpr83
                                        ; implicit-def: $sgpr82
	s_cselect_b32 s8, -1, 0
	s_delay_alu instid0(SALU_CYCLE_1)
	s_and_b32 s69, s8, vcc_lo
	s_mov_b32 s8, -1
	s_and_saveexec_b32 s58, s69
	s_cbranch_execz .LBB150_218
; %bb.185:                              ;   in Loop: Header=BB150_18 Depth=1
	ds_load_b64 v[2:3], v13 offset:5120
	s_waitcnt lgkmcnt(0)
	s_barrier
	buffer_gl0_inv
	v_readfirstlane_b32 s18, v2
	v_readfirstlane_b32 s19, v3
	s_and_saveexec_b32 s8, s6
	s_cbranch_execz .LBB150_187
; %bb.186:                              ;   in Loop: Header=BB150_18 Depth=1
	ds_store_b32 v28, v13
.LBB150_187:                            ;   in Loop: Header=BB150_18 Depth=1
	s_or_b32 exec_lo, exec_lo, s8
	s_lshl_b32 s8, 2, s22
	v_or_b32_e32 v22, s20, v22
	v_and_or_b32 v21, v21, s21, s8
	s_cmp_eq_u64 s[18:19], 0
	s_waitcnt lgkmcnt(0)
	s_barrier
	buffer_gl0_inv
	s_cbranch_scc1 .LBB150_201
; %bb.188:                              ;   in Loop: Header=BB150_18 Depth=1
	s_add_u32 s26, s86, s18
	s_addc_u32 s9, s87, s19
	s_mov_b32 s8, s71
	s_delay_alu instid0(SALU_CYCLE_1)
	s_cmp_lg_u64 s[8:9], 0
	s_cbranch_scc0 .LBB150_236
; %bb.189:                              ;   in Loop: Header=BB150_18 Depth=1
	v_cvt_f32_u32_e32 v2, s35
	s_sub_u32 s64, 0, s35
	s_subb_u32 s65, 0, 0
	s_delay_alu instid0(VALU_DEP_1) | instskip(NEXT) | instid1(VALU_DEP_1)
	v_fmac_f32_e64 v2, 0, 0x4f800000
	v_rcp_f32_e32 v2, v2
	s_waitcnt_depctr 0xfff
	v_mul_f32_e32 v2, 0x5f7ffffc, v2
	s_delay_alu instid0(VALU_DEP_1) | instskip(NEXT) | instid1(VALU_DEP_1)
	v_mul_f32_e32 v3, 0x2f800000, v2
	v_trunc_f32_e32 v3, v3
	s_delay_alu instid0(VALU_DEP_1) | instskip(SKIP_1) | instid1(VALU_DEP_2)
	v_fmac_f32_e32 v2, 0xcf800000, v3
	v_cvt_u32_f32_e32 v3, v3
	v_cvt_u32_f32_e32 v2, v2
	s_delay_alu instid0(VALU_DEP_2) | instskip(NEXT) | instid1(VALU_DEP_2)
	v_readfirstlane_b32 s8, v3
	v_readfirstlane_b32 s59, v2
	s_delay_alu instid0(VALU_DEP_2) | instskip(NEXT) | instid1(VALU_DEP_1)
	s_mul_i32 s68, s64, s8
	s_mul_hi_u32 s82, s64, s59
	s_mul_i32 s81, s65, s59
	s_add_i32 s68, s82, s68
	s_mul_i32 s83, s64, s59
	s_add_i32 s68, s68, s81
	s_mul_hi_u32 s82, s59, s83
	s_mul_hi_u32 vcc_lo, s8, s83
	s_mul_i32 s81, s8, s83
	s_mul_hi_u32 s83, s59, s68
	s_mul_i32 s59, s59, s68
	s_mul_hi_u32 s48, s8, s68
	s_add_u32 s50, s82, s59
	s_addc_u32 s51, 0, s83
	s_add_u32 s50, s50, s81
	s_mul_i32 s49, s8, s68
	s_addc_u32 s50, s51, vcc_lo
	s_addc_u32 s48, s48, 0
	s_add_u32 s49, s50, s49
	s_addc_u32 s48, 0, s48
	v_add_co_u32 v2, s49, v2, s49
	s_delay_alu instid0(VALU_DEP_1) | instskip(SKIP_1) | instid1(VALU_DEP_1)
	s_cmp_lg_u32 s49, 0
	s_addc_u32 s8, s8, s48
	v_readfirstlane_b32 s49, v2
	s_mul_i32 s48, s64, s8
	s_delay_alu instid0(VALU_DEP_1)
	s_mul_hi_u32 s50, s64, s49
	s_mul_i32 s65, s65, s49
	s_add_i32 s48, s50, s48
	s_mul_i32 s64, s64, s49
	s_add_i32 s48, s48, s65
	s_mul_hi_u32 s59, s49, s64
	s_mul_hi_u32 s65, s49, s48
	s_mul_i32 s49, s49, s48
	s_mul_i32 s51, s8, s64
	s_add_u32 s49, s59, s49
	s_mul_hi_u32 s50, s8, s64
	s_addc_u32 s59, 0, s65
	s_mul_hi_u32 s64, s8, s48
	s_add_u32 s49, s49, s51
	s_mul_i32 s48, s8, s48
	s_addc_u32 s49, s59, s50
	s_addc_u32 s50, s64, 0
	s_add_u32 s48, s49, s48
	s_addc_u32 s49, 0, s50
	v_add_co_u32 v2, s48, v2, s48
	s_delay_alu instid0(VALU_DEP_1) | instskip(SKIP_1) | instid1(VALU_DEP_1)
	s_cmp_lg_u32 s48, 0
	s_addc_u32 s8, s8, s49
	v_readfirstlane_b32 s48, v2
	s_mul_i32 s50, s26, s8
	s_mul_hi_u32 s49, s26, s8
	s_mul_hi_u32 s51, s9, s8
	s_mul_i32 s8, s9, s8
	s_mul_hi_u32 s59, s26, s48
	s_mul_hi_u32 s64, s9, s48
	s_mul_i32 s48, s9, s48
	s_add_u32 s50, s59, s50
	s_addc_u32 s49, 0, s49
	s_add_u32 s48, s50, s48
	s_addc_u32 s48, s49, s64
	s_addc_u32 s49, s51, 0
	s_add_u32 s8, s48, s8
	s_addc_u32 s48, 0, s49
	s_mul_hi_u32 s49, s35, s8
	s_mul_i32 s8, s35, s8
	s_mul_i32 s48, s35, s48
	v_sub_co_u32 v2, s8, s26, s8
	s_add_i32 s49, s49, s48
	s_cmp_lg_u32 s8, 0
	s_delay_alu instid0(VALU_DEP_1) | instskip(SKIP_3) | instid1(VALU_DEP_2)
	v_sub_co_u32 v3, s8, v2, s35
	s_subb_u32 s48, s9, s49
	s_cmp_lg_u32 s8, 0
	v_cmp_le_u32_e32 vcc_lo, s35, v2
	v_cmp_le_u32_e64 s8, s35, v3
	v_sub_co_u32 v4, s49, v3, s35
	s_subb_u32 s50, s48, 0
	s_cmp_lg_u32 s49, 0
	s_delay_alu instid0(VALU_DEP_2)
	v_cndmask_b32_e64 v5, 0, -1, s8
	s_subb_u32 s49, s50, 0
	s_cmp_eq_u32 s50, 0
	v_mov_b32_e32 v9, s49
	v_cndmask_b32_e64 v8, 0, -1, vcc_lo
	s_cselect_b32 vcc_lo, -1, 0
	s_cmp_eq_u32 s48, 0
	v_cndmask_b32_e32 v5, -1, v5, vcc_lo
	s_cselect_b32 vcc_lo, -1, 0
	v_cndmask_b32_e32 v8, -1, v8, vcc_lo
	s_delay_alu instid0(VALU_DEP_2) | instskip(NEXT) | instid1(VALU_DEP_2)
	v_cmp_ne_u32_e32 vcc_lo, 0, v5
	v_cmp_ne_u32_e64 s8, 0, v8
	v_cndmask_b32_e32 v5, s50, v9, vcc_lo
	v_cndmask_b32_e32 v4, v3, v4, vcc_lo
	s_delay_alu instid0(VALU_DEP_2) | instskip(NEXT) | instid1(VALU_DEP_2)
	v_cndmask_b32_e64 v3, s48, v5, s8
	v_cndmask_b32_e64 v2, v2, v4, s8
	s_cbranch_execnz .LBB150_191
.LBB150_190:                            ;   in Loop: Header=BB150_18 Depth=1
	v_cvt_f32_u32_e32 v2, s35
	s_sub_i32 s8, 0, s35
	s_delay_alu instid0(VALU_DEP_1) | instskip(SKIP_2) | instid1(VALU_DEP_1)
	v_rcp_iflag_f32_e32 v2, v2
	s_waitcnt_depctr 0xfff
	v_mul_f32_e32 v2, 0x4f7ffffe, v2
	v_cvt_u32_f32_e32 v2, v2
	s_delay_alu instid0(VALU_DEP_1) | instskip(NEXT) | instid1(VALU_DEP_1)
	v_mul_lo_u32 v3, s8, v2
	v_mul_hi_u32 v3, v2, v3
	s_delay_alu instid0(VALU_DEP_1) | instskip(NEXT) | instid1(VALU_DEP_1)
	v_add_nc_u32_e32 v2, v2, v3
	v_mul_hi_u32 v2, s26, v2
	s_delay_alu instid0(VALU_DEP_1) | instskip(NEXT) | instid1(VALU_DEP_1)
	v_mul_lo_u32 v2, v2, s35
	v_sub_nc_u32_e32 v2, s26, v2
	s_delay_alu instid0(VALU_DEP_1) | instskip(SKIP_1) | instid1(VALU_DEP_2)
	v_subrev_nc_u32_e32 v3, s35, v2
	v_cmp_le_u32_e32 vcc_lo, s35, v2
	v_cndmask_b32_e32 v2, v2, v3, vcc_lo
	s_delay_alu instid0(VALU_DEP_1) | instskip(SKIP_1) | instid1(VALU_DEP_2)
	v_subrev_nc_u32_e32 v3, s35, v2
	v_cmp_le_u32_e32 vcc_lo, s35, v2
	v_cndmask_b32_e32 v12, v2, v3, vcc_lo
	s_delay_alu instid0(VALU_DEP_1)
	v_dual_mov_b32 v2, v12 :: v_dual_mov_b32 v3, v13
.LBB150_191:                            ;   in Loop: Header=BB150_18 Depth=1
	s_delay_alu instid0(VALU_DEP_1) | instskip(NEXT) | instid1(VALU_DEP_2)
	v_sub_co_u32 v4, vcc_lo, s26, v2
	v_sub_co_ci_u32_e32 v5, vcc_lo, s9, v3, vcc_lo
	s_mov_b32 s26, 0
	s_mov_b32 s8, exec_lo
                                        ; implicit-def: $vgpr3
	s_delay_alu instid0(VALU_DEP_1)
	v_cmpx_gt_u64_e64 v[4:5], v[0:1]
	s_cbranch_execz .LBB150_203
; %bb.192:                              ;   in Loop: Header=BB150_18 Depth=1
	v_dual_mov_b32 v12, v14 :: v_dual_mov_b32 v9, v1
	v_mov_b32_e32 v8, v0
	s_mov_b32 s9, 0
                                        ; implicit-def: $sgpr26
	s_set_inst_prefetch_distance 0x1
	s_branch .LBB150_194
	.p2align	6
.LBB150_193:                            ;   in Loop: Header=BB150_194 Depth=2
	s_or_b32 exec_lo, exec_lo, s59
	s_waitcnt lgkmcnt(0)
	s_barrier
	buffer_gl0_inv
	ds_load_b64 v[2:3], v13 offset:3072
	v_add_co_u32 v8, vcc_lo, v8, s35
	v_add_co_ci_u32_e32 v9, vcc_lo, 0, v9, vcc_lo
	v_add_nc_u32_e32 v12, s94, v12
	s_waitcnt lgkmcnt(0)
	s_barrier
	s_delay_alu instid0(VALU_DEP_2) | instskip(SKIP_2) | instid1(VALU_DEP_1)
	v_cmp_ge_u64_e32 vcc_lo, v[8:9], v[4:5]
	buffer_gl0_inv
	v_readfirstlane_b32 s48, v2
	s_cmp_lg_u32 s48, 0
	s_cselect_b32 s48, -1, 0
	s_delay_alu instid0(SALU_CYCLE_1) | instskip(NEXT) | instid1(SALU_CYCLE_1)
	s_or_b32 s49, vcc_lo, s48
	s_and_b32 s49, exec_lo, s49
	s_delay_alu instid0(SALU_CYCLE_1) | instskip(SKIP_2) | instid1(SALU_CYCLE_1)
	s_or_b32 s9, s49, s9
	s_and_not1_b32 s26, s26, exec_lo
	s_and_b32 s48, s48, exec_lo
	s_or_b32 s26, s26, s48
	s_and_not1_b32 exec_lo, exec_lo, s9
	s_cbranch_execz .LBB150_202
.LBB150_194:                            ;   Parent Loop BB150_18 Depth=1
                                        ; =>  This Inner Loop Header: Depth=2
	s_delay_alu instid0(VALU_DEP_1)
	v_cmp_gt_u64_e32 vcc_lo, s[18:19], v[8:9]
	v_mov_b32_e32 v17, 0
	s_and_saveexec_b32 s59, vcc_lo
	s_cbranch_execz .LBB150_196
; %bb.195:                              ;   in Loop: Header=BB150_194 Depth=2
	ds_load_b32 v17, v12
.LBB150_196:                            ;   in Loop: Header=BB150_194 Depth=2
	s_or_b32 exec_lo, exec_lo, s59
	s_and_saveexec_b32 s59, vcc_lo
	s_cbranch_execz .LBB150_193
; %bb.197:                              ;   in Loop: Header=BB150_194 Depth=2
	s_waitcnt lgkmcnt(0)
	v_xor_b32_e32 v2, 0x80000000, v17
	s_delay_alu instid0(VALU_DEP_1) | instskip(NEXT) | instid1(VALU_DEP_1)
	v_and_b32_e32 v2, v2, v22
	v_cmp_eq_u32_e32 vcc_lo, v2, v21
	s_and_b32 exec_lo, exec_lo, vcc_lo
	s_cbranch_execz .LBB150_193
; %bb.198:                              ;   in Loop: Header=BB150_194 Depth=2
	ds_store_b64 v13, v[16:17] offset:3072
	s_branch .LBB150_193
.LBB150_199:                            ;   in Loop: Header=BB150_18 Depth=1
                                        ; implicit-def: $vgpr2_vgpr3
	s_branch .LBB150_144
.LBB150_200:                            ;   in Loop: Header=BB150_18 Depth=1
                                        ; implicit-def: $vgpr2_vgpr3
	s_branch .LBB150_160
.LBB150_201:                            ;   in Loop: Header=BB150_18 Depth=1
	s_mov_b32 s81, -1
	s_mov_b32 s26, 0
                                        ; implicit-def: $sgpr82
                                        ; implicit-def: $vgpr3
	s_mov_b32 s83, s81
	s_cbranch_execnz .LBB150_204
	s_branch .LBB150_217
.LBB150_202:                            ;   in Loop: Header=BB150_18 Depth=1
	s_set_inst_prefetch_distance 0x2
	s_or_b32 exec_lo, exec_lo, s9
	s_delay_alu instid0(SALU_CYCLE_1)
	s_and_b32 s26, s26, exec_lo
.LBB150_203:                            ;   in Loop: Header=BB150_18 Depth=1
	s_or_b32 exec_lo, exec_lo, s8
	s_mov_b32 s82, -1
	s_mov_b32 s81, 0
	s_delay_alu instid0(SALU_CYCLE_1)
	s_mov_b32 s83, s81
	s_branch .LBB150_217
.LBB150_204:                            ;   in Loop: Header=BB150_18 Depth=1
	s_mov_b32 s26, s71
	s_delay_alu instid0(SALU_CYCLE_1)
	s_cmp_lg_u64 s[26:27], 0
	s_cbranch_scc0 .LBB150_237
; %bb.205:                              ;   in Loop: Header=BB150_18 Depth=1
	v_cvt_f32_u32_e32 v2, s35
	s_sub_u32 s18, 0, s35
	s_subb_u32 s19, 0, 0
	s_delay_alu instid0(VALU_DEP_1) | instskip(NEXT) | instid1(VALU_DEP_1)
	v_fmac_f32_e64 v2, 0, 0x4f800000
	v_rcp_f32_e32 v2, v2
	s_waitcnt_depctr 0xfff
	v_mul_f32_e32 v2, 0x5f7ffffc, v2
	s_delay_alu instid0(VALU_DEP_1) | instskip(NEXT) | instid1(VALU_DEP_1)
	v_mul_f32_e32 v3, 0x2f800000, v2
	v_trunc_f32_e32 v3, v3
	s_delay_alu instid0(VALU_DEP_1) | instskip(SKIP_1) | instid1(VALU_DEP_2)
	v_fmac_f32_e32 v2, 0xcf800000, v3
	v_cvt_u32_f32_e32 v3, v3
	v_cvt_u32_f32_e32 v2, v2
	s_delay_alu instid0(VALU_DEP_2) | instskip(NEXT) | instid1(VALU_DEP_2)
	v_readfirstlane_b32 s8, v3
	v_readfirstlane_b32 s9, v2
	s_delay_alu instid0(VALU_DEP_2) | instskip(NEXT) | instid1(VALU_DEP_1)
	s_mul_i32 s26, s18, s8
	s_mul_hi_u32 s49, s18, s9
	s_mul_i32 s48, s19, s9
	s_add_i32 s26, s49, s26
	s_mul_i32 s50, s18, s9
	s_add_i32 s26, s26, s48
	s_mul_hi_u32 s49, s9, s50
	s_mul_hi_u32 s51, s8, s50
	s_mul_i32 s48, s8, s50
	s_mul_hi_u32 s50, s9, s26
	s_mul_i32 s9, s9, s26
	s_mul_hi_u32 s59, s8, s26
	s_add_u32 s9, s49, s9
	s_addc_u32 s49, 0, s50
	s_add_u32 s9, s9, s48
	s_mul_i32 s26, s8, s26
	s_addc_u32 s9, s49, s51
	s_addc_u32 s48, s59, 0
	s_add_u32 s9, s9, s26
	s_addc_u32 s26, 0, s48
	v_add_co_u32 v2, s9, v2, s9
	s_delay_alu instid0(VALU_DEP_1) | instskip(SKIP_1) | instid1(VALU_DEP_1)
	s_cmp_lg_u32 s9, 0
	s_addc_u32 s8, s8, s26
	v_readfirstlane_b32 s9, v2
	s_mul_i32 s26, s18, s8
	s_delay_alu instid0(VALU_DEP_1)
	s_mul_hi_u32 s48, s18, s9
	s_mul_i32 s19, s19, s9
	s_add_i32 s26, s48, s26
	s_mul_i32 s18, s18, s9
	s_add_i32 s26, s26, s19
	s_mul_hi_u32 s48, s8, s18
	s_mul_i32 s49, s8, s18
	s_mul_hi_u32 s18, s9, s18
	s_mul_hi_u32 s50, s9, s26
	s_mul_i32 s9, s9, s26
	s_mul_hi_u32 s19, s8, s26
	s_add_u32 s9, s18, s9
	s_addc_u32 s18, 0, s50
	s_add_u32 s9, s9, s49
	s_mul_i32 s26, s8, s26
	s_addc_u32 s9, s18, s48
	s_addc_u32 s18, s19, 0
	s_add_u32 s9, s9, s26
	s_addc_u32 s18, 0, s18
	v_add_co_u32 v2, s9, v2, s9
	s_delay_alu instid0(VALU_DEP_1) | instskip(SKIP_1) | instid1(VALU_DEP_1)
	s_cmp_lg_u32 s9, 0
	s_addc_u32 s8, s8, s18
	v_readfirstlane_b32 s9, v2
	s_mul_i32 s19, s88, s8
	s_mul_hi_u32 s18, s88, s8
	s_mul_hi_u32 s26, s27, s8
	s_mul_i32 s8, s27, s8
	s_mul_hi_u32 s48, s88, s9
	s_mul_hi_u32 s49, s27, s9
	s_mul_i32 s9, s27, s9
	s_add_u32 s19, s48, s19
	s_addc_u32 s18, 0, s18
	s_add_u32 s9, s19, s9
	s_addc_u32 s9, s18, s49
	s_addc_u32 s18, s26, 0
	s_add_u32 s8, s9, s8
	s_addc_u32 s9, 0, s18
	s_mul_hi_u32 s18, s35, s8
	s_mul_i32 s8, s35, s8
	s_mul_i32 s9, s35, s9
	v_sub_co_u32 v2, s8, s88, s8
	s_add_i32 s18, s18, s9
	s_cmp_lg_u32 s8, 0
	s_delay_alu instid0(VALU_DEP_1) | instskip(SKIP_3) | instid1(VALU_DEP_2)
	v_sub_co_u32 v3, s8, v2, s35
	s_subb_u32 s9, s27, s18
	s_cmp_lg_u32 s8, 0
	v_cmp_le_u32_e32 vcc_lo, s35, v2
	v_cmp_le_u32_e64 s8, s35, v3
	v_sub_co_u32 v4, s18, v3, s35
	s_subb_u32 s19, s9, 0
	s_cmp_lg_u32 s18, 0
	s_delay_alu instid0(VALU_DEP_2)
	v_cndmask_b32_e64 v5, 0, -1, s8
	s_subb_u32 s18, s19, 0
	s_cmp_eq_u32 s19, 0
	v_mov_b32_e32 v9, s18
	v_cndmask_b32_e64 v8, 0, -1, vcc_lo
	s_cselect_b32 vcc_lo, -1, 0
	s_cmp_eq_u32 s9, 0
	v_cndmask_b32_e32 v5, -1, v5, vcc_lo
	s_cselect_b32 vcc_lo, -1, 0
	v_cndmask_b32_e32 v8, -1, v8, vcc_lo
	s_delay_alu instid0(VALU_DEP_2) | instskip(NEXT) | instid1(VALU_DEP_2)
	v_cmp_ne_u32_e32 vcc_lo, 0, v5
	v_cmp_ne_u32_e64 s8, 0, v8
	v_cndmask_b32_e32 v5, s19, v9, vcc_lo
	v_cndmask_b32_e32 v4, v3, v4, vcc_lo
	s_delay_alu instid0(VALU_DEP_2) | instskip(NEXT) | instid1(VALU_DEP_2)
	v_cndmask_b32_e64 v3, s9, v5, s8
	v_cndmask_b32_e64 v2, v2, v4, s8
	s_cbranch_execnz .LBB150_207
.LBB150_206:                            ;   in Loop: Header=BB150_18 Depth=1
	v_cvt_f32_u32_e32 v2, s35
	s_sub_i32 s8, 0, s35
	s_delay_alu instid0(VALU_DEP_1) | instskip(SKIP_2) | instid1(VALU_DEP_1)
	v_rcp_iflag_f32_e32 v2, v2
	s_waitcnt_depctr 0xfff
	v_mul_f32_e32 v2, 0x4f7ffffe, v2
	v_cvt_u32_f32_e32 v2, v2
	s_delay_alu instid0(VALU_DEP_1) | instskip(NEXT) | instid1(VALU_DEP_1)
	v_mul_lo_u32 v3, s8, v2
	v_mul_hi_u32 v3, v2, v3
	s_delay_alu instid0(VALU_DEP_1) | instskip(NEXT) | instid1(VALU_DEP_1)
	v_add_nc_u32_e32 v2, v2, v3
	v_mul_hi_u32 v2, s88, v2
	s_delay_alu instid0(VALU_DEP_1) | instskip(NEXT) | instid1(VALU_DEP_1)
	v_mul_lo_u32 v2, v2, s35
	v_sub_nc_u32_e32 v2, s88, v2
	s_delay_alu instid0(VALU_DEP_1) | instskip(SKIP_1) | instid1(VALU_DEP_2)
	v_subrev_nc_u32_e32 v3, s35, v2
	v_cmp_le_u32_e32 vcc_lo, s35, v2
	v_cndmask_b32_e32 v2, v2, v3, vcc_lo
	s_delay_alu instid0(VALU_DEP_1) | instskip(SKIP_1) | instid1(VALU_DEP_2)
	v_subrev_nc_u32_e32 v3, s35, v2
	v_cmp_le_u32_e32 vcc_lo, s35, v2
	v_cndmask_b32_e32 v12, v2, v3, vcc_lo
	s_delay_alu instid0(VALU_DEP_1)
	v_dual_mov_b32 v2, v12 :: v_dual_mov_b32 v3, v13
.LBB150_207:                            ;   in Loop: Header=BB150_18 Depth=1
	s_delay_alu instid0(VALU_DEP_1) | instskip(NEXT) | instid1(VALU_DEP_2)
	v_sub_co_u32 v4, vcc_lo, s88, v2
	v_sub_co_ci_u32_e32 v5, vcc_lo, s27, v3, vcc_lo
	s_mov_b32 s26, 0
	s_mov_b32 s9, exec_lo
                                        ; implicit-def: $vgpr3
	s_delay_alu instid0(VALU_DEP_1)
	v_cmpx_gt_u64_e64 v[4:5], v[0:1]
	s_cbranch_execz .LBB150_216
; %bb.208:                              ;   in Loop: Header=BB150_18 Depth=1
	v_dual_mov_b32 v9, v1 :: v_dual_mov_b32 v8, v0
	s_mov_b32 s18, 0
                                        ; implicit-def: $sgpr19
	s_branch .LBB150_210
.LBB150_209:                            ;   in Loop: Header=BB150_210 Depth=2
	s_or_b32 exec_lo, exec_lo, s8
	s_waitcnt vmcnt(0) lgkmcnt(0)
	s_barrier
	buffer_gl0_inv
	ds_load_b64 v[2:3], v13 offset:3072
	v_add_co_u32 v8, vcc_lo, v8, s35
	v_add_co_ci_u32_e32 v9, vcc_lo, 0, v9, vcc_lo
	s_waitcnt lgkmcnt(0)
	s_barrier
	buffer_gl0_inv
	v_cmp_ge_u64_e32 vcc_lo, v[8:9], v[4:5]
	v_readfirstlane_b32 s8, v2
	s_delay_alu instid0(VALU_DEP_1) | instskip(SKIP_1) | instid1(SALU_CYCLE_1)
	s_cmp_lg_u32 s8, 0
	s_cselect_b32 s8, -1, 0
	s_or_b32 s26, vcc_lo, s8
	s_delay_alu instid0(SALU_CYCLE_1) | instskip(NEXT) | instid1(SALU_CYCLE_1)
	s_and_b32 s26, exec_lo, s26
	s_or_b32 s18, s26, s18
	s_and_not1_b32 s19, s19, exec_lo
	s_and_b32 s8, s8, exec_lo
	s_delay_alu instid0(SALU_CYCLE_1)
	s_or_b32 s19, s19, s8
	s_and_not1_b32 exec_lo, exec_lo, s18
	s_cbranch_execz .LBB150_215
.LBB150_210:                            ;   Parent Loop BB150_18 Depth=1
                                        ; =>  This Inner Loop Header: Depth=2
	s_delay_alu instid0(VALU_DEP_1)
	v_cmp_gt_u64_e32 vcc_lo, s[36:37], v[8:9]
	v_mov_b32_e32 v17, 0
	s_and_saveexec_b32 s26, vcc_lo
	s_cbranch_execz .LBB150_212
; %bb.211:                              ;   in Loop: Header=BB150_210 Depth=2
	v_mul_lo_u32 v12, v9, s30
	v_mul_lo_u32 v17, v8, s31
	v_mad_u64_u32 v[2:3], null, v8, s30, 0
	s_delay_alu instid0(VALU_DEP_1) | instskip(NEXT) | instid1(VALU_DEP_1)
	v_add3_u32 v3, v3, v17, v12
	v_lshlrev_b64 v[2:3], 2, v[2:3]
	s_delay_alu instid0(VALU_DEP_1) | instskip(NEXT) | instid1(VALU_DEP_1)
	v_add_co_u32 v2, s8, s29, v2
	v_add_co_ci_u32_e64 v3, s8, s33, v3, s8
	global_load_b32 v17, v[2:3], off
.LBB150_212:                            ;   in Loop: Header=BB150_210 Depth=2
	s_or_b32 exec_lo, exec_lo, s26
	s_and_saveexec_b32 s8, vcc_lo
	s_cbranch_execz .LBB150_209
; %bb.213:                              ;   in Loop: Header=BB150_210 Depth=2
	s_waitcnt vmcnt(0)
	v_xor_b32_e32 v2, 0x80000000, v17
	s_delay_alu instid0(VALU_DEP_1) | instskip(NEXT) | instid1(VALU_DEP_1)
	v_and_b32_e32 v2, v2, v22
	v_cmp_eq_u32_e32 vcc_lo, v2, v21
	s_and_b32 exec_lo, exec_lo, vcc_lo
	s_cbranch_execz .LBB150_209
; %bb.214:                              ;   in Loop: Header=BB150_210 Depth=2
	ds_store_b64 v13, v[16:17] offset:3072
	s_branch .LBB150_209
.LBB150_215:                            ;   in Loop: Header=BB150_18 Depth=1
	s_or_b32 exec_lo, exec_lo, s18
	s_delay_alu instid0(SALU_CYCLE_1)
	s_and_b32 s26, s19, exec_lo
.LBB150_216:                            ;   in Loop: Header=BB150_18 Depth=1
	s_or_b32 exec_lo, exec_lo, s9
	s_mov_b32 s83, -1
	s_mov_b32 s81, 0
	s_mov_b32 s82, 0
.LBB150_217:                            ;   in Loop: Header=BB150_18 Depth=1
	s_or_not1_b32 s8, s26, exec_lo
.LBB150_218:                            ;   in Loop: Header=BB150_18 Depth=1
	s_or_b32 exec_lo, exec_lo, s58
	s_mov_b32 s26, 0
                                        ; implicit-def: $vgpr8
	s_and_saveexec_b32 s68, s8
	s_cbranch_execz .LBB150_283
; %bb.219:                              ;   in Loop: Header=BB150_18 Depth=1
	v_mov_b32_e32 v4, 1
	v_dual_mov_b32 v5, 0 :: v_dual_mov_b32 v8, 1
	s_xor_b32 s9, s69, -1
	s_delay_alu instid0(SALU_CYCLE_1)
	s_and_saveexec_b32 s8, s9
	s_cbranch_execz .LBB150_229
; %bb.220:                              ;   in Loop: Header=BB150_18 Depth=1
	s_mov_b32 s18, exec_lo
                                        ; implicit-def: $sgpr19
                                        ; implicit-def: $sgpr9
	v_cmpx_ge_u64_e64 s[14:15], v[6:7]
	s_xor_b32 s18, exec_lo, s18
	s_cbranch_execz .LBB150_226
; %bb.221:                              ;   in Loop: Header=BB150_18 Depth=1
	ds_load_b64 v[4:5], v13 offset:5120
	s_waitcnt lgkmcnt(0)
	v_cmp_ne_u64_e32 vcc_lo, 0, v[4:5]
	s_cbranch_vccnz .LBB150_225
; %bb.222:                              ;   in Loop: Header=BB150_18 Depth=1
	s_and_saveexec_b32 s9, s5
	s_cbranch_execz .LBB150_224
; %bb.223:                              ;   in Loop: Header=BB150_18 Depth=1
	v_dual_mov_b32 v4, s14 :: v_dual_mov_b32 v5, s15
	ds_store_b64 v13, v[4:5] offset:5128
.LBB150_224:                            ;   in Loop: Header=BB150_18 Depth=1
	s_or_b32 exec_lo, exec_lo, s9
	s_waitcnt lgkmcnt(0)
	s_barrier
	buffer_gl0_inv
.LBB150_225:                            ;   in Loop: Header=BB150_18 Depth=1
	s_lshl_b32 s9, 2, s22
	v_or_b32_e32 v22, s20, v22
	v_and_or_b32 v21, v21, s21, s9
	s_mov_b32 s9, 0
	s_mov_b32 s19, 8
.LBB150_226:                            ;   in Loop: Header=BB150_18 Depth=1
	s_or_saveexec_b32 s18, s18
	v_mov_b32_e32 v8, s19
	s_xor_b32 exec_lo, exec_lo, s18
; %bb.227:                              ;   in Loop: Header=BB150_18 Depth=1
	v_sub_co_u32 v6, vcc_lo, v6, s14
	v_subrev_co_ci_u32_e32 v7, vcc_lo, s15, v7, vcc_lo
	v_mov_b32_e32 v8, 0
	s_or_b32 s9, s9, exec_lo
; %bb.228:                              ;   in Loop: Header=BB150_18 Depth=1
	s_or_b32 exec_lo, exec_lo, s18
	s_delay_alu instid0(VALU_DEP_2)
	v_dual_mov_b32 v4, v6 :: v_dual_mov_b32 v5, v7
	s_and_b32 s26, s9, exec_lo
.LBB150_229:                            ;   in Loop: Header=BB150_18 Depth=1
	s_or_b32 exec_lo, exec_lo, s8
	s_mov_b32 s19, -1
                                        ; implicit-def: $sgpr8
                                        ; implicit-def: $sgpr18
                                        ; implicit-def: $sgpr9
	s_and_saveexec_b32 s69, s26
	s_cbranch_execz .LBB150_282
; %bb.230:                              ;   in Loop: Header=BB150_18 Depth=1
	v_cmp_eq_u64_e32 vcc_lo, 1, v[4:5]
	s_cmp_eq_u64 s[16:17], 1
	s_mov_b32 s26, -1
	s_cselect_b32 s8, -1, 0
                                        ; implicit-def: $sgpr18
                                        ; implicit-def: $sgpr9
	s_delay_alu instid0(SALU_CYCLE_1) | instskip(NEXT) | instid1(SALU_CYCLE_1)
	s_and_b32 s58, s8, vcc_lo
                                        ; implicit-def: $sgpr8
	s_and_saveexec_b32 s59, s58
	s_cbranch_execz .LBB150_269
; %bb.231:                              ;   in Loop: Header=BB150_18 Depth=1
	ds_load_b64 v[2:3], v13 offset:5120
	s_waitcnt lgkmcnt(0)
	s_barrier
	buffer_gl0_inv
	v_readfirstlane_b32 s18, v2
	v_readfirstlane_b32 s19, v3
	s_and_saveexec_b32 s8, s6
	s_cbranch_execz .LBB150_233
; %bb.232:                              ;   in Loop: Header=BB150_18 Depth=1
	ds_store_b32 v28, v13
.LBB150_233:                            ;   in Loop: Header=BB150_18 Depth=1
	s_or_b32 exec_lo, exec_lo, s8
	v_or_b32_e32 v21, s20, v21
	v_or_b32_e32 v22, s20, v22
	s_cmp_eq_u64 s[18:19], 0
	s_waitcnt lgkmcnt(0)
	s_barrier
	buffer_gl0_inv
	s_cbranch_scc1 .LBB150_238
; %bb.234:                              ;   in Loop: Header=BB150_18 Depth=1
	s_add_u32 s26, s86, s18
	s_addc_u32 s9, s87, s19
	s_mov_b32 s8, s71
	s_delay_alu instid0(SALU_CYCLE_1)
	s_cmp_lg_u64 s[8:9], 0
	s_cbranch_scc0 .LBB150_239
; %bb.235:                              ;   in Loop: Header=BB150_18 Depth=1
	v_cvt_f32_u32_e32 v2, s35
	s_sub_u32 s49, 0, s35
	s_subb_u32 s50, 0, 0
	s_delay_alu instid0(VALU_DEP_1) | instskip(NEXT) | instid1(VALU_DEP_1)
	v_fmac_f32_e64 v2, 0, 0x4f800000
	v_rcp_f32_e32 v2, v2
	s_waitcnt_depctr 0xfff
	v_mul_f32_e32 v2, 0x5f7ffffc, v2
	s_delay_alu instid0(VALU_DEP_1) | instskip(NEXT) | instid1(VALU_DEP_1)
	v_mul_f32_e32 v3, 0x2f800000, v2
	v_trunc_f32_e32 v3, v3
	s_delay_alu instid0(VALU_DEP_1) | instskip(SKIP_1) | instid1(VALU_DEP_2)
	v_fmac_f32_e32 v2, 0xcf800000, v3
	v_cvt_u32_f32_e32 v3, v3
	v_cvt_u32_f32_e32 v2, v2
	s_delay_alu instid0(VALU_DEP_2) | instskip(NEXT) | instid1(VALU_DEP_2)
	v_readfirstlane_b32 s8, v3
	v_readfirstlane_b32 s48, v2
	s_delay_alu instid0(VALU_DEP_2) | instskip(NEXT) | instid1(VALU_DEP_1)
	s_mul_i32 s51, s49, s8
	s_mul_hi_u32 s65, s49, s48
	s_mul_i32 s64, s50, s48
	s_add_i32 s51, s65, s51
	s_mul_i32 vcc_lo, s49, s48
	s_add_i32 s51, s51, s64
	s_mul_hi_u32 s65, s48, vcc_lo
	s_mul_hi_u32 s54, s48, s51
	s_mul_i32 s48, s48, s51
	s_mul_i32 s53, s8, vcc_lo
	s_add_u32 s48, s65, s48
	s_mul_hi_u32 s52, s8, vcc_lo
	s_addc_u32 s54, 0, s54
	s_mul_hi_u32 s55, s8, s51
	s_add_u32 s48, s48, s53
	s_mul_i32 s51, s8, s51
	s_addc_u32 s48, s54, s52
	s_addc_u32 s52, s55, 0
	s_add_u32 s48, s48, s51
	s_addc_u32 s51, 0, s52
	v_add_co_u32 v2, s48, v2, s48
	s_delay_alu instid0(VALU_DEP_1) | instskip(SKIP_1) | instid1(VALU_DEP_1)
	s_cmp_lg_u32 s48, 0
	s_addc_u32 s8, s8, s51
	v_readfirstlane_b32 s48, v2
	s_mul_i32 s51, s49, s8
	s_delay_alu instid0(VALU_DEP_1)
	s_mul_hi_u32 s52, s49, s48
	s_mul_i32 s50, s50, s48
	s_add_i32 s51, s52, s51
	s_mul_i32 s49, s49, s48
	s_add_i32 s51, s51, s50
	s_mul_hi_u32 s52, s8, s49
	s_mul_i32 s53, s8, s49
	s_mul_hi_u32 s49, s48, s49
	s_mul_hi_u32 s54, s48, s51
	s_mul_i32 s48, s48, s51
	s_mul_hi_u32 s50, s8, s51
	s_add_u32 s48, s49, s48
	s_addc_u32 s49, 0, s54
	s_add_u32 s48, s48, s53
	s_mul_i32 s51, s8, s51
	s_addc_u32 s48, s49, s52
	s_addc_u32 s49, s50, 0
	s_add_u32 s48, s48, s51
	s_addc_u32 s49, 0, s49
	v_add_co_u32 v2, s48, v2, s48
	s_delay_alu instid0(VALU_DEP_1) | instskip(SKIP_1) | instid1(VALU_DEP_1)
	s_cmp_lg_u32 s48, 0
	s_addc_u32 s8, s8, s49
	v_readfirstlane_b32 s48, v2
	s_mul_i32 s50, s26, s8
	s_mul_hi_u32 s49, s26, s8
	s_mul_hi_u32 s51, s9, s8
	s_mul_i32 s8, s9, s8
	s_mul_hi_u32 s52, s26, s48
	s_mul_hi_u32 s53, s9, s48
	s_mul_i32 s48, s9, s48
	s_add_u32 s50, s52, s50
	s_addc_u32 s49, 0, s49
	s_add_u32 s48, s50, s48
	s_addc_u32 s48, s49, s53
	s_addc_u32 s49, s51, 0
	s_add_u32 s8, s48, s8
	s_addc_u32 s48, 0, s49
	s_mul_hi_u32 s49, s35, s8
	s_mul_i32 s8, s35, s8
	s_mul_i32 s48, s35, s48
	v_sub_co_u32 v2, s8, s26, s8
	s_add_i32 s49, s49, s48
	s_cmp_lg_u32 s8, 0
	s_delay_alu instid0(VALU_DEP_1) | instskip(SKIP_3) | instid1(VALU_DEP_2)
	v_sub_co_u32 v3, s8, v2, s35
	s_subb_u32 s48, s9, s49
	s_cmp_lg_u32 s8, 0
	v_cmp_le_u32_e32 vcc_lo, s35, v2
	v_cmp_le_u32_e64 s8, s35, v3
	v_sub_co_u32 v6, s49, v3, s35
	s_subb_u32 s50, s48, 0
	s_cmp_lg_u32 s49, 0
	s_delay_alu instid0(VALU_DEP_2)
	v_cndmask_b32_e64 v7, 0, -1, s8
	s_subb_u32 s49, s50, 0
	s_cmp_eq_u32 s50, 0
	v_mov_b32_e32 v9, s49
	v_cndmask_b32_e64 v8, 0, -1, vcc_lo
	s_cselect_b32 vcc_lo, -1, 0
	s_cmp_eq_u32 s48, 0
	v_cndmask_b32_e32 v7, -1, v7, vcc_lo
	s_cselect_b32 vcc_lo, -1, 0
	v_cndmask_b32_e32 v8, -1, v8, vcc_lo
	s_delay_alu instid0(VALU_DEP_2) | instskip(NEXT) | instid1(VALU_DEP_2)
	v_cmp_ne_u32_e32 vcc_lo, 0, v7
	v_cmp_ne_u32_e64 s8, 0, v8
	v_cndmask_b32_e32 v7, s50, v9, vcc_lo
	v_cndmask_b32_e32 v6, v3, v6, vcc_lo
	s_delay_alu instid0(VALU_DEP_2) | instskip(NEXT) | instid1(VALU_DEP_2)
	v_cndmask_b32_e64 v3, s48, v7, s8
	v_cndmask_b32_e64 v2, v2, v6, s8
	s_mov_b32 s8, 0
	s_branch .LBB150_240
.LBB150_236:                            ;   in Loop: Header=BB150_18 Depth=1
                                        ; implicit-def: $vgpr2_vgpr3
	s_branch .LBB150_190
.LBB150_237:                            ;   in Loop: Header=BB150_18 Depth=1
                                        ; implicit-def: $vgpr2_vgpr3
	s_branch .LBB150_206
.LBB150_238:                            ;   in Loop: Header=BB150_18 Depth=1
	s_mov_b32 s8, -1
	s_mov_b32 s26, 0
                                        ; implicit-def: $sgpr9
                                        ; implicit-def: $vgpr3
	s_branch .LBB150_252
.LBB150_239:                            ;   in Loop: Header=BB150_18 Depth=1
	s_mov_b32 s8, -1
                                        ; implicit-def: $vgpr2_vgpr3
.LBB150_240:                            ;   in Loop: Header=BB150_18 Depth=1
	s_delay_alu instid0(SALU_CYCLE_1)
	s_and_not1_b32 vcc_lo, exec_lo, s8
	s_cbranch_vccnz .LBB150_242
; %bb.241:                              ;   in Loop: Header=BB150_18 Depth=1
	v_cvt_f32_u32_e32 v2, s35
	s_sub_i32 s8, 0, s35
	s_delay_alu instid0(VALU_DEP_1) | instskip(SKIP_2) | instid1(VALU_DEP_1)
	v_rcp_iflag_f32_e32 v2, v2
	s_waitcnt_depctr 0xfff
	v_mul_f32_e32 v2, 0x4f7ffffe, v2
	v_cvt_u32_f32_e32 v2, v2
	s_delay_alu instid0(VALU_DEP_1) | instskip(NEXT) | instid1(VALU_DEP_1)
	v_mul_lo_u32 v3, s8, v2
	v_mul_hi_u32 v3, v2, v3
	s_delay_alu instid0(VALU_DEP_1) | instskip(NEXT) | instid1(VALU_DEP_1)
	v_add_nc_u32_e32 v2, v2, v3
	v_mul_hi_u32 v2, s26, v2
	s_delay_alu instid0(VALU_DEP_1) | instskip(NEXT) | instid1(VALU_DEP_1)
	v_mul_lo_u32 v2, v2, s35
	v_sub_nc_u32_e32 v2, s26, v2
	s_delay_alu instid0(VALU_DEP_1) | instskip(SKIP_1) | instid1(VALU_DEP_2)
	v_subrev_nc_u32_e32 v3, s35, v2
	v_cmp_le_u32_e32 vcc_lo, s35, v2
	v_cndmask_b32_e32 v2, v2, v3, vcc_lo
	s_delay_alu instid0(VALU_DEP_1) | instskip(SKIP_1) | instid1(VALU_DEP_2)
	v_subrev_nc_u32_e32 v3, s35, v2
	v_cmp_le_u32_e32 vcc_lo, s35, v2
	v_cndmask_b32_e32 v12, v2, v3, vcc_lo
	s_delay_alu instid0(VALU_DEP_1)
	v_dual_mov_b32 v2, v12 :: v_dual_mov_b32 v3, v13
.LBB150_242:                            ;   in Loop: Header=BB150_18 Depth=1
	s_delay_alu instid0(VALU_DEP_1) | instskip(NEXT) | instid1(VALU_DEP_2)
	v_sub_co_u32 v6, vcc_lo, s26, v2
	v_sub_co_ci_u32_e32 v7, vcc_lo, s9, v3, vcc_lo
	s_mov_b32 s26, 0
	s_mov_b32 s8, exec_lo
                                        ; implicit-def: $vgpr3
	s_delay_alu instid0(VALU_DEP_1)
	v_cmpx_gt_u64_e64 v[6:7], v[0:1]
	s_cbranch_execz .LBB150_251
; %bb.243:                              ;   in Loop: Header=BB150_18 Depth=1
	v_dual_mov_b32 v12, v14 :: v_dual_mov_b32 v9, v1
	v_mov_b32_e32 v8, v0
	s_mov_b32 s9, 0
                                        ; implicit-def: $sgpr26
	s_set_inst_prefetch_distance 0x1
	s_branch .LBB150_245
	.p2align	6
.LBB150_244:                            ;   in Loop: Header=BB150_245 Depth=2
	s_or_b32 exec_lo, exec_lo, s64
	s_waitcnt lgkmcnt(0)
	s_barrier
	buffer_gl0_inv
	ds_load_b64 v[2:3], v13 offset:3072
	v_add_co_u32 v8, vcc_lo, v8, s35
	v_add_co_ci_u32_e32 v9, vcc_lo, 0, v9, vcc_lo
	v_add_nc_u32_e32 v12, s94, v12
	s_waitcnt lgkmcnt(0)
	s_barrier
	s_delay_alu instid0(VALU_DEP_2) | instskip(SKIP_2) | instid1(VALU_DEP_1)
	v_cmp_ge_u64_e32 vcc_lo, v[8:9], v[6:7]
	buffer_gl0_inv
	v_readfirstlane_b32 s48, v2
	s_cmp_lg_u32 s48, 0
	s_cselect_b32 s48, -1, 0
	s_delay_alu instid0(SALU_CYCLE_1) | instskip(NEXT) | instid1(SALU_CYCLE_1)
	s_or_b32 s49, vcc_lo, s48
	s_and_b32 s49, exec_lo, s49
	s_delay_alu instid0(SALU_CYCLE_1) | instskip(SKIP_2) | instid1(SALU_CYCLE_1)
	s_or_b32 s9, s49, s9
	s_and_not1_b32 s26, s26, exec_lo
	s_and_b32 s48, s48, exec_lo
	s_or_b32 s26, s26, s48
	s_and_not1_b32 exec_lo, exec_lo, s9
	s_cbranch_execz .LBB150_250
.LBB150_245:                            ;   Parent Loop BB150_18 Depth=1
                                        ; =>  This Inner Loop Header: Depth=2
	s_delay_alu instid0(VALU_DEP_1)
	v_cmp_gt_u64_e32 vcc_lo, s[18:19], v[8:9]
	v_mov_b32_e32 v17, 0
	s_and_saveexec_b32 s64, vcc_lo
	s_cbranch_execz .LBB150_247
; %bb.246:                              ;   in Loop: Header=BB150_245 Depth=2
	ds_load_b32 v17, v12
.LBB150_247:                            ;   in Loop: Header=BB150_245 Depth=2
	s_or_b32 exec_lo, exec_lo, s64
	s_and_saveexec_b32 s64, vcc_lo
	s_cbranch_execz .LBB150_244
; %bb.248:                              ;   in Loop: Header=BB150_245 Depth=2
	s_waitcnt lgkmcnt(0)
	v_xor_b32_e32 v2, 0x80000000, v17
	s_delay_alu instid0(VALU_DEP_1) | instskip(NEXT) | instid1(VALU_DEP_1)
	v_and_b32_e32 v2, v2, v22
	v_cmp_eq_u32_e32 vcc_lo, v2, v21
	s_and_b32 exec_lo, exec_lo, vcc_lo
	s_cbranch_execz .LBB150_244
; %bb.249:                              ;   in Loop: Header=BB150_245 Depth=2
	ds_store_b64 v13, v[16:17] offset:3072
	s_branch .LBB150_244
.LBB150_250:                            ;   in Loop: Header=BB150_18 Depth=1
	s_set_inst_prefetch_distance 0x2
	s_or_b32 exec_lo, exec_lo, s9
	s_delay_alu instid0(SALU_CYCLE_1)
	s_and_b32 s26, s26, exec_lo
.LBB150_251:                            ;   in Loop: Header=BB150_18 Depth=1
	s_or_b32 exec_lo, exec_lo, s8
	s_mov_b32 s9, -1
	s_mov_b32 s8, 0
.LBB150_252:                            ;   in Loop: Header=BB150_18 Depth=1
	s_delay_alu instid0(SALU_CYCLE_1)
	s_and_b32 vcc_lo, exec_lo, s8
	s_mov_b32 s18, s8
	s_cbranch_vccz .LBB150_268
; %bb.253:                              ;   in Loop: Header=BB150_18 Depth=1
	s_mov_b32 s26, s71
	s_delay_alu instid0(SALU_CYCLE_1)
	s_cmp_lg_u64 s[26:27], 0
	s_cbranch_scc0 .LBB150_255
; %bb.254:                              ;   in Loop: Header=BB150_18 Depth=1
	v_cvt_f32_u32_e32 v2, s35
	s_sub_u32 s18, 0, s35
	s_subb_u32 s19, 0, 0
	s_delay_alu instid0(VALU_DEP_1) | instskip(NEXT) | instid1(VALU_DEP_1)
	v_fmac_f32_e64 v2, 0, 0x4f800000
	v_rcp_f32_e32 v2, v2
	s_waitcnt_depctr 0xfff
	v_mul_f32_e32 v2, 0x5f7ffffc, v2
	s_delay_alu instid0(VALU_DEP_1) | instskip(NEXT) | instid1(VALU_DEP_1)
	v_mul_f32_e32 v3, 0x2f800000, v2
	v_trunc_f32_e32 v3, v3
	s_delay_alu instid0(VALU_DEP_1) | instskip(SKIP_1) | instid1(VALU_DEP_2)
	v_fmac_f32_e32 v2, 0xcf800000, v3
	v_cvt_u32_f32_e32 v3, v3
	v_cvt_u32_f32_e32 v2, v2
	s_delay_alu instid0(VALU_DEP_2) | instskip(NEXT) | instid1(VALU_DEP_2)
	v_readfirstlane_b32 s8, v3
	v_readfirstlane_b32 s9, v2
	s_delay_alu instid0(VALU_DEP_2) | instskip(NEXT) | instid1(VALU_DEP_1)
	s_mul_i32 s26, s18, s8
	s_mul_hi_u32 s49, s18, s9
	s_mul_i32 s48, s19, s9
	s_add_i32 s26, s49, s26
	s_mul_i32 s50, s18, s9
	s_add_i32 s26, s26, s48
	s_mul_hi_u32 s49, s9, s50
	s_mul_hi_u32 s51, s8, s50
	s_mul_i32 s48, s8, s50
	s_mul_hi_u32 s50, s9, s26
	s_mul_i32 s9, s9, s26
	s_mul_hi_u32 s52, s8, s26
	s_add_u32 s9, s49, s9
	s_addc_u32 s49, 0, s50
	s_add_u32 s9, s9, s48
	s_mul_i32 s26, s8, s26
	s_addc_u32 s9, s49, s51
	s_addc_u32 s48, s52, 0
	s_add_u32 s9, s9, s26
	s_addc_u32 s26, 0, s48
	v_add_co_u32 v2, s9, v2, s9
	s_delay_alu instid0(VALU_DEP_1) | instskip(SKIP_1) | instid1(VALU_DEP_1)
	s_cmp_lg_u32 s9, 0
	s_addc_u32 s8, s8, s26
	v_readfirstlane_b32 s9, v2
	s_mul_i32 s26, s18, s8
	s_delay_alu instid0(VALU_DEP_1)
	s_mul_hi_u32 s48, s18, s9
	s_mul_i32 s19, s19, s9
	s_add_i32 s26, s48, s26
	s_mul_i32 s18, s18, s9
	s_add_i32 s26, s26, s19
	s_mul_hi_u32 s48, s8, s18
	s_mul_i32 s49, s8, s18
	s_mul_hi_u32 s18, s9, s18
	s_mul_hi_u32 s50, s9, s26
	s_mul_i32 s9, s9, s26
	s_mul_hi_u32 s19, s8, s26
	s_add_u32 s9, s18, s9
	s_addc_u32 s18, 0, s50
	s_add_u32 s9, s9, s49
	s_mul_i32 s26, s8, s26
	s_addc_u32 s9, s18, s48
	s_addc_u32 s18, s19, 0
	s_add_u32 s9, s9, s26
	s_addc_u32 s18, 0, s18
	v_add_co_u32 v2, s9, v2, s9
	s_delay_alu instid0(VALU_DEP_1) | instskip(SKIP_1) | instid1(VALU_DEP_1)
	s_cmp_lg_u32 s9, 0
	s_addc_u32 s8, s8, s18
	v_readfirstlane_b32 s9, v2
	s_mul_i32 s19, s88, s8
	s_mul_hi_u32 s18, s88, s8
	s_mul_hi_u32 s26, s27, s8
	s_mul_i32 s8, s27, s8
	s_mul_hi_u32 s48, s88, s9
	s_mul_hi_u32 s49, s27, s9
	s_mul_i32 s9, s27, s9
	s_add_u32 s19, s48, s19
	s_addc_u32 s18, 0, s18
	s_add_u32 s9, s19, s9
	s_addc_u32 s9, s18, s49
	s_addc_u32 s18, s26, 0
	s_add_u32 s8, s9, s8
	s_addc_u32 s9, 0, s18
	s_mul_hi_u32 s18, s35, s8
	s_mul_i32 s8, s35, s8
	s_mul_i32 s9, s35, s9
	v_sub_co_u32 v2, s8, s88, s8
	s_add_i32 s18, s18, s9
	s_cmp_lg_u32 s8, 0
	s_delay_alu instid0(VALU_DEP_1) | instskip(SKIP_3) | instid1(VALU_DEP_2)
	v_sub_co_u32 v3, s8, v2, s35
	s_subb_u32 s9, s27, s18
	s_cmp_lg_u32 s8, 0
	v_cmp_le_u32_e32 vcc_lo, s35, v2
	v_cmp_le_u32_e64 s8, s35, v3
	v_sub_co_u32 v6, s18, v3, s35
	s_subb_u32 s19, s9, 0
	s_cmp_lg_u32 s18, 0
	s_delay_alu instid0(VALU_DEP_2)
	v_cndmask_b32_e64 v7, 0, -1, s8
	s_subb_u32 s18, s19, 0
	s_cmp_eq_u32 s19, 0
	v_mov_b32_e32 v9, s18
	v_cndmask_b32_e64 v8, 0, -1, vcc_lo
	s_cselect_b32 vcc_lo, -1, 0
	s_cmp_eq_u32 s9, 0
	v_cndmask_b32_e32 v7, -1, v7, vcc_lo
	s_cselect_b32 vcc_lo, -1, 0
	v_cndmask_b32_e32 v8, -1, v8, vcc_lo
	s_delay_alu instid0(VALU_DEP_2) | instskip(NEXT) | instid1(VALU_DEP_2)
	v_cmp_ne_u32_e32 vcc_lo, 0, v7
	v_cmp_ne_u32_e64 s8, 0, v8
	v_cndmask_b32_e32 v7, s19, v9, vcc_lo
	v_cndmask_b32_e32 v6, v3, v6, vcc_lo
	s_delay_alu instid0(VALU_DEP_2) | instskip(NEXT) | instid1(VALU_DEP_2)
	v_cndmask_b32_e64 v3, s9, v7, s8
	v_cndmask_b32_e64 v2, v2, v6, s8
	s_mov_b32 s8, 0
	s_branch .LBB150_256
.LBB150_255:                            ;   in Loop: Header=BB150_18 Depth=1
	s_mov_b32 s8, -1
                                        ; implicit-def: $vgpr2_vgpr3
.LBB150_256:                            ;   in Loop: Header=BB150_18 Depth=1
	s_delay_alu instid0(SALU_CYCLE_1)
	s_and_not1_b32 vcc_lo, exec_lo, s8
	s_cbranch_vccnz .LBB150_258
; %bb.257:                              ;   in Loop: Header=BB150_18 Depth=1
	v_cvt_f32_u32_e32 v2, s35
	s_sub_i32 s8, 0, s35
	s_delay_alu instid0(VALU_DEP_1) | instskip(SKIP_2) | instid1(VALU_DEP_1)
	v_rcp_iflag_f32_e32 v2, v2
	s_waitcnt_depctr 0xfff
	v_mul_f32_e32 v2, 0x4f7ffffe, v2
	v_cvt_u32_f32_e32 v2, v2
	s_delay_alu instid0(VALU_DEP_1) | instskip(NEXT) | instid1(VALU_DEP_1)
	v_mul_lo_u32 v3, s8, v2
	v_mul_hi_u32 v3, v2, v3
	s_delay_alu instid0(VALU_DEP_1) | instskip(NEXT) | instid1(VALU_DEP_1)
	v_add_nc_u32_e32 v2, v2, v3
	v_mul_hi_u32 v2, s88, v2
	s_delay_alu instid0(VALU_DEP_1) | instskip(NEXT) | instid1(VALU_DEP_1)
	v_mul_lo_u32 v2, v2, s35
	v_sub_nc_u32_e32 v2, s88, v2
	s_delay_alu instid0(VALU_DEP_1) | instskip(SKIP_1) | instid1(VALU_DEP_2)
	v_subrev_nc_u32_e32 v3, s35, v2
	v_cmp_le_u32_e32 vcc_lo, s35, v2
	v_cndmask_b32_e32 v2, v2, v3, vcc_lo
	s_delay_alu instid0(VALU_DEP_1) | instskip(SKIP_1) | instid1(VALU_DEP_2)
	v_subrev_nc_u32_e32 v3, s35, v2
	v_cmp_le_u32_e32 vcc_lo, s35, v2
	v_cndmask_b32_e32 v12, v2, v3, vcc_lo
	s_delay_alu instid0(VALU_DEP_1)
	v_dual_mov_b32 v2, v12 :: v_dual_mov_b32 v3, v13
.LBB150_258:                            ;   in Loop: Header=BB150_18 Depth=1
	s_delay_alu instid0(VALU_DEP_1) | instskip(NEXT) | instid1(VALU_DEP_2)
	v_sub_co_u32 v6, vcc_lo, s88, v2
	v_sub_co_ci_u32_e32 v7, vcc_lo, s27, v3, vcc_lo
	s_mov_b32 s26, 0
	s_mov_b32 s9, exec_lo
                                        ; implicit-def: $vgpr3
	s_delay_alu instid0(VALU_DEP_1)
	v_cmpx_gt_u64_e64 v[6:7], v[0:1]
	s_cbranch_execz .LBB150_267
; %bb.259:                              ;   in Loop: Header=BB150_18 Depth=1
	v_dual_mov_b32 v9, v1 :: v_dual_mov_b32 v8, v0
	s_mov_b32 s18, 0
                                        ; implicit-def: $sgpr19
	s_branch .LBB150_261
.LBB150_260:                            ;   in Loop: Header=BB150_261 Depth=2
	s_or_b32 exec_lo, exec_lo, s8
	s_waitcnt vmcnt(0) lgkmcnt(0)
	s_barrier
	buffer_gl0_inv
	ds_load_b64 v[2:3], v13 offset:3072
	v_add_co_u32 v8, vcc_lo, v8, s35
	v_add_co_ci_u32_e32 v9, vcc_lo, 0, v9, vcc_lo
	s_waitcnt lgkmcnt(0)
	s_barrier
	buffer_gl0_inv
	v_cmp_ge_u64_e32 vcc_lo, v[8:9], v[6:7]
	v_readfirstlane_b32 s8, v2
	s_delay_alu instid0(VALU_DEP_1) | instskip(SKIP_1) | instid1(SALU_CYCLE_1)
	s_cmp_lg_u32 s8, 0
	s_cselect_b32 s8, -1, 0
	s_or_b32 s26, vcc_lo, s8
	s_delay_alu instid0(SALU_CYCLE_1) | instskip(NEXT) | instid1(SALU_CYCLE_1)
	s_and_b32 s26, exec_lo, s26
	s_or_b32 s18, s26, s18
	s_and_not1_b32 s19, s19, exec_lo
	s_and_b32 s8, s8, exec_lo
	s_delay_alu instid0(SALU_CYCLE_1)
	s_or_b32 s19, s19, s8
	s_and_not1_b32 exec_lo, exec_lo, s18
	s_cbranch_execz .LBB150_266
.LBB150_261:                            ;   Parent Loop BB150_18 Depth=1
                                        ; =>  This Inner Loop Header: Depth=2
	s_delay_alu instid0(VALU_DEP_1)
	v_cmp_gt_u64_e32 vcc_lo, s[36:37], v[8:9]
	v_mov_b32_e32 v17, 0
	s_and_saveexec_b32 s26, vcc_lo
	s_cbranch_execz .LBB150_263
; %bb.262:                              ;   in Loop: Header=BB150_261 Depth=2
	v_mul_lo_u32 v12, v9, s30
	v_mul_lo_u32 v17, v8, s31
	v_mad_u64_u32 v[2:3], null, v8, s30, 0
	s_delay_alu instid0(VALU_DEP_1) | instskip(NEXT) | instid1(VALU_DEP_1)
	v_add3_u32 v3, v3, v17, v12
	v_lshlrev_b64 v[2:3], 2, v[2:3]
	s_delay_alu instid0(VALU_DEP_1) | instskip(NEXT) | instid1(VALU_DEP_1)
	v_add_co_u32 v2, s8, s29, v2
	v_add_co_ci_u32_e64 v3, s8, s33, v3, s8
	global_load_b32 v17, v[2:3], off
.LBB150_263:                            ;   in Loop: Header=BB150_261 Depth=2
	s_or_b32 exec_lo, exec_lo, s26
	s_and_saveexec_b32 s8, vcc_lo
	s_cbranch_execz .LBB150_260
; %bb.264:                              ;   in Loop: Header=BB150_261 Depth=2
	s_waitcnt vmcnt(0)
	v_xor_b32_e32 v2, 0x80000000, v17
	s_delay_alu instid0(VALU_DEP_1) | instskip(NEXT) | instid1(VALU_DEP_1)
	v_and_b32_e32 v2, v2, v22
	v_cmp_eq_u32_e32 vcc_lo, v2, v21
	s_and_b32 exec_lo, exec_lo, vcc_lo
	s_cbranch_execz .LBB150_260
; %bb.265:                              ;   in Loop: Header=BB150_261 Depth=2
	ds_store_b64 v13, v[16:17] offset:3072
	s_branch .LBB150_260
.LBB150_266:                            ;   in Loop: Header=BB150_18 Depth=1
	s_or_b32 exec_lo, exec_lo, s18
	s_delay_alu instid0(SALU_CYCLE_1)
	s_and_b32 s26, s19, exec_lo
.LBB150_267:                            ;   in Loop: Header=BB150_18 Depth=1
	s_or_b32 exec_lo, exec_lo, s9
	s_mov_b32 s18, -1
	s_mov_b32 s8, 0
	s_mov_b32 s9, 0
.LBB150_268:                            ;   in Loop: Header=BB150_18 Depth=1
	s_or_not1_b32 s26, s26, exec_lo
.LBB150_269:                            ;   in Loop: Header=BB150_18 Depth=1
	s_or_b32 exec_lo, exec_lo, s59
	s_mov_b32 s59, 0
                                        ; implicit-def: $vgpr8
                                        ; implicit-def: $vgpr6_vgpr7
	s_and_saveexec_b32 s19, s26
	s_cbranch_execz .LBB150_281
; %bb.270:                              ;   in Loop: Header=BB150_18 Depth=1
	v_mov_b32_e32 v6, 1
	v_dual_mov_b32 v7, 0 :: v_dual_mov_b32 v8, 1
	s_xor_b32 s48, s58, -1
	s_delay_alu instid0(SALU_CYCLE_1)
	s_and_saveexec_b32 s26, s48
	s_cbranch_execz .LBB150_280
; %bb.271:                              ;   in Loop: Header=BB150_18 Depth=1
                                        ; implicit-def: $sgpr59
	s_mov_b32 s48, exec_lo
	v_cmpx_ge_u64_e64 s[16:17], v[4:5]
	s_xor_b32 s58, exec_lo, s48
	s_cbranch_execz .LBB150_277
; %bb.272:                              ;   in Loop: Header=BB150_18 Depth=1
	ds_load_b64 v[6:7], v13 offset:5120
	s_waitcnt lgkmcnt(0)
	v_cmp_ne_u64_e32 vcc_lo, 0, v[6:7]
	s_cbranch_vccnz .LBB150_276
; %bb.273:                              ;   in Loop: Header=BB150_18 Depth=1
	s_and_saveexec_b32 s59, s5
	s_cbranch_execz .LBB150_275
; %bb.274:                              ;   in Loop: Header=BB150_18 Depth=1
	v_dual_mov_b32 v6, s16 :: v_dual_mov_b32 v7, s17
	ds_store_b64 v13, v[6:7] offset:5128
.LBB150_275:                            ;   in Loop: Header=BB150_18 Depth=1
	s_or_b32 exec_lo, exec_lo, s59
	s_waitcnt lgkmcnt(0)
	s_barrier
	buffer_gl0_inv
.LBB150_276:                            ;   in Loop: Header=BB150_18 Depth=1
	v_or_b32_e32 v21, s20, v21
	v_or_b32_e32 v22, s20, v22
	s_mov_b32 s59, 8
.LBB150_277:                            ;   in Loop: Header=BB150_18 Depth=1
	s_or_saveexec_b32 s58, s58
	v_mov_b32_e32 v8, s59
	s_xor_b32 exec_lo, exec_lo, s58
; %bb.278:                              ;   in Loop: Header=BB150_18 Depth=1
	v_sub_co_u32 v4, vcc_lo, v4, s16
	v_subrev_co_ci_u32_e32 v5, vcc_lo, s17, v5, vcc_lo
	v_mov_b32_e32 v8, 8
; %bb.279:                              ;   in Loop: Header=BB150_18 Depth=1
	s_or_b32 exec_lo, exec_lo, s58
	s_delay_alu instid0(VALU_DEP_2)
	v_dual_mov_b32 v7, v5 :: v_dual_mov_b32 v6, v4
.LBB150_280:                            ;   in Loop: Header=BB150_18 Depth=1
	s_or_b32 exec_lo, exec_lo, s26
	s_delay_alu instid0(SALU_CYCLE_1)
	s_mov_b32 s59, exec_lo
.LBB150_281:                            ;   in Loop: Header=BB150_18 Depth=1
	s_or_b32 exec_lo, exec_lo, s19
	s_delay_alu instid0(VALU_DEP_1)
	v_dual_mov_b32 v4, v6 :: v_dual_mov_b32 v5, v7
	s_or_not1_b32 s19, s59, exec_lo
.LBB150_282:                            ;   in Loop: Header=BB150_18 Depth=1
	s_or_b32 exec_lo, exec_lo, s69
	s_delay_alu instid0(SALU_CYCLE_1)
	s_and_not1_b32 s26, s81, exec_lo
	s_and_b32 s8, s8, exec_lo
	v_dual_mov_b32 v7, v5 :: v_dual_mov_b32 v6, v4
	s_or_b32 s81, s26, s8
	s_and_not1_b32 s8, s83, exec_lo
	s_and_b32 s18, s18, exec_lo
	s_and_not1_b32 s26, s82, exec_lo
	s_and_b32 s9, s9, exec_lo
	s_or_b32 s83, s8, s18
	s_or_b32 s82, s26, s9
	s_and_b32 s26, s19, exec_lo
.LBB150_283:                            ;   in Loop: Header=BB150_18 Depth=1
	s_or_b32 exec_lo, exec_lo, s68
	s_delay_alu instid0(SALU_CYCLE_1)
	s_and_b32 s19, s81, exec_lo
	s_and_b32 s18, s83, exec_lo
	s_and_b32 s9, s82, exec_lo
	s_or_not1_b32 s8, s26, exec_lo
.LBB150_284:                            ;   in Loop: Header=BB150_18 Depth=1
	s_or_b32 exec_lo, exec_lo, s80
	s_delay_alu instid0(SALU_CYCLE_1)
	s_and_not1_b32 s25, s25, exec_lo
	s_and_b32 s19, s19, exec_lo
	v_dual_mov_b32 v4, v6 :: v_dual_mov_b32 v5, v7
	s_or_b32 s25, s25, s19
	s_and_not1_b32 s19, s78, exec_lo
	s_and_b32 s18, s18, exec_lo
	s_and_not1_b32 s26, s77, exec_lo
	s_and_b32 s9, s9, exec_lo
	s_or_b32 s78, s19, s18
	s_or_b32 s77, s26, s9
	s_and_b32 s26, s8, exec_lo
.LBB150_285:                            ;   in Loop: Header=BB150_18 Depth=1
	s_or_b32 exec_lo, exec_lo, s79
	s_delay_alu instid0(SALU_CYCLE_1)
	s_and_b32 s19, s25, exec_lo
	s_and_b32 s18, s78, exec_lo
	;; [unrolled: 1-line block ×3, first 2 shown]
	s_or_not1_b32 s25, s26, exec_lo
.LBB150_286:                            ;   in Loop: Header=BB150_18 Depth=1
	s_or_b32 exec_lo, exec_lo, s24
	s_mov_b32 s8, 0
	s_mov_b32 s24, 0
	s_and_saveexec_b32 s26, s25
	s_delay_alu instid0(SALU_CYCLE_1)
	s_xor_b32 s25, exec_lo, s26
; %bb.287:                              ;   in Loop: Header=BB150_18 Depth=1
	v_cmp_ne_u32_e32 vcc_lo, 8, v8
	v_cmp_eq_u32_e64 s8, 8, v8
	s_and_not1_b32 s19, s19, exec_lo
	s_and_not1_b32 s18, s18, exec_lo
	;; [unrolled: 1-line block ×3, first 2 shown]
	s_and_b32 s24, vcc_lo, exec_lo
	s_and_b32 s8, s8, exec_lo
; %bb.288:                              ;   in Loop: Header=BB150_18 Depth=1
	s_or_b32 exec_lo, exec_lo, s25
	s_delay_alu instid0(SALU_CYCLE_1)
	s_and_not1_b32 s23, s23, exec_lo
	s_and_b32 s19, s19, exec_lo
	s_and_b32 s18, s18, exec_lo
	s_or_b32 s23, s23, s19
	s_and_not1_b32 s19, s74, exec_lo
	s_and_not1_b32 s25, s70, exec_lo
	s_and_b32 s9, s9, exec_lo
	s_or_b32 s74, s19, s18
	s_or_b32 s70, s25, s9
	s_and_b32 s24, s24, exec_lo
	s_and_b32 s25, s8, exec_lo
.LBB150_289:                            ;   in Loop: Header=BB150_18 Depth=1
	s_or_b32 exec_lo, exec_lo, s76
	s_delay_alu instid0(SALU_CYCLE_1)
	s_and_b32 vcc_lo, exec_lo, s75
	s_cbranch_vccz .LBB150_108
.LBB150_290:                            ;   in Loop: Header=BB150_18 Depth=1
	s_cmp_eq_u64 s[16:17], 1
                                        ; implicit-def: $sgpr18
                                        ; implicit-def: $sgpr19
                                        ; implicit-def: $sgpr23
	s_cselect_b32 s8, -1, 0
	s_delay_alu instid0(SALU_CYCLE_1)
	s_and_b32 s58, s8, s7
	s_mov_b32 s7, -1
	s_and_saveexec_b32 s59, s58
	s_cbranch_execz .LBB150_322
; %bb.291:                              ;   in Loop: Header=BB150_18 Depth=1
	ds_load_b64 v[2:3], v13 offset:5120
	s_waitcnt lgkmcnt(0)
	s_barrier
	buffer_gl0_inv
	v_readfirstlane_b32 s8, v2
	v_readfirstlane_b32 s9, v3
	s_and_saveexec_b32 s7, s6
	s_cbranch_execz .LBB150_293
; %bb.292:                              ;   in Loop: Header=BB150_18 Depth=1
	ds_store_b32 v28, v13
.LBB150_293:                            ;   in Loop: Header=BB150_18 Depth=1
	s_or_b32 exec_lo, exec_lo, s7
	v_or_b32_e32 v32, s20, v32
	v_or_b32_e32 v31, s20, v31
	s_cmp_eq_u64 s[8:9], 0
	s_waitcnt lgkmcnt(0)
	s_barrier
	buffer_gl0_inv
	s_cbranch_scc1 .LBB150_305
; %bb.294:                              ;   in Loop: Header=BB150_18 Depth=1
	s_add_u32 s23, s86, s8
	s_addc_u32 s19, s87, s9
	s_mov_b32 s18, s71
	s_delay_alu instid0(SALU_CYCLE_1)
	s_cmp_lg_u64 s[18:19], 0
	s_cbranch_scc0 .LBB150_349
; %bb.295:                              ;   in Loop: Header=BB150_18 Depth=1
	v_cvt_f32_u32_e32 v2, s35
	s_sub_u32 s26, 0, s35
	s_subb_u32 s64, 0, 0
	s_delay_alu instid0(VALU_DEP_1) | instskip(NEXT) | instid1(VALU_DEP_1)
	v_fmac_f32_e64 v2, 0, 0x4f800000
	v_rcp_f32_e32 v2, v2
	s_waitcnt_depctr 0xfff
	v_mul_f32_e32 v2, 0x5f7ffffc, v2
	s_delay_alu instid0(VALU_DEP_1) | instskip(NEXT) | instid1(VALU_DEP_1)
	v_mul_f32_e32 v3, 0x2f800000, v2
	v_trunc_f32_e32 v3, v3
	s_delay_alu instid0(VALU_DEP_1) | instskip(SKIP_1) | instid1(VALU_DEP_2)
	v_fmac_f32_e32 v2, 0xcf800000, v3
	v_cvt_u32_f32_e32 v3, v3
	v_cvt_u32_f32_e32 v2, v2
	s_delay_alu instid0(VALU_DEP_2) | instskip(NEXT) | instid1(VALU_DEP_2)
	v_readfirstlane_b32 s7, v3
	v_readfirstlane_b32 s18, v2
	s_delay_alu instid0(VALU_DEP_2) | instskip(NEXT) | instid1(VALU_DEP_1)
	s_mul_i32 s65, s26, s7
	s_mul_hi_u32 s69, s26, s18
	s_mul_i32 s68, s64, s18
	s_add_i32 s65, s69, s65
	s_mul_i32 s70, s26, s18
	s_add_i32 s65, s65, s68
	s_mul_hi_u32 s69, s18, s70
	s_mul_hi_u32 s74, s7, s70
	s_mul_i32 s68, s7, s70
	s_mul_hi_u32 s70, s18, s65
	s_mul_i32 s18, s18, s65
	s_mul_hi_u32 s75, s7, s65
	s_add_u32 s18, s69, s18
	s_addc_u32 s69, 0, s70
	s_add_u32 s18, s18, s68
	s_mul_i32 s65, s7, s65
	s_addc_u32 s18, s69, s74
	s_addc_u32 s68, s75, 0
	s_add_u32 s18, s18, s65
	s_addc_u32 s65, 0, s68
	v_add_co_u32 v2, s18, v2, s18
	s_delay_alu instid0(VALU_DEP_1) | instskip(SKIP_1) | instid1(VALU_DEP_1)
	s_cmp_lg_u32 s18, 0
	s_addc_u32 s7, s7, s65
	v_readfirstlane_b32 s18, v2
	s_mul_i32 s65, s26, s7
	s_delay_alu instid0(VALU_DEP_1)
	s_mul_hi_u32 s68, s26, s18
	s_mul_i32 s64, s64, s18
	s_add_i32 s65, s68, s65
	s_mul_i32 s26, s26, s18
	s_add_i32 s65, s65, s64
	s_mul_hi_u32 s68, s7, s26
	s_mul_i32 s69, s7, s26
	s_mul_hi_u32 s26, s18, s26
	s_mul_hi_u32 s70, s18, s65
	s_mul_i32 s18, s18, s65
	s_mul_hi_u32 s64, s7, s65
	s_add_u32 s18, s26, s18
	s_addc_u32 s26, 0, s70
	s_add_u32 s18, s18, s69
	s_mul_i32 s65, s7, s65
	s_addc_u32 s18, s26, s68
	s_addc_u32 s26, s64, 0
	s_add_u32 s18, s18, s65
	s_addc_u32 s26, 0, s26
	v_add_co_u32 v2, s18, v2, s18
	s_delay_alu instid0(VALU_DEP_1) | instskip(SKIP_1) | instid1(VALU_DEP_1)
	s_cmp_lg_u32 s18, 0
	s_addc_u32 s7, s7, s26
	v_readfirstlane_b32 s18, v2
	s_mul_i32 s64, s23, s7
	s_mul_hi_u32 s26, s23, s7
	s_mul_hi_u32 s65, s19, s7
	s_mul_i32 s7, s19, s7
	s_mul_hi_u32 s68, s23, s18
	s_mul_hi_u32 s69, s19, s18
	s_mul_i32 s18, s19, s18
	s_add_u32 s64, s68, s64
	s_addc_u32 s26, 0, s26
	s_add_u32 s18, s64, s18
	s_addc_u32 s18, s26, s69
	s_addc_u32 s26, s65, 0
	s_add_u32 s7, s18, s7
	s_addc_u32 s18, 0, s26
	s_mul_hi_u32 s26, s35, s7
	s_mul_i32 s7, s35, s7
	s_mul_i32 s18, s35, s18
	v_sub_co_u32 v2, s7, s23, s7
	s_add_i32 s26, s26, s18
	s_cmp_lg_u32 s7, 0
	s_delay_alu instid0(VALU_DEP_1) | instskip(SKIP_2) | instid1(VALU_DEP_1)
	v_sub_co_u32 v3, s7, v2, s35
	s_subb_u32 s18, s19, s26
	s_cmp_lg_u32 s7, 0
	v_cmp_le_u32_e32 vcc_lo, s35, v3
	v_sub_co_u32 v4, s7, v3, s35
	s_subb_u32 s26, s18, 0
	s_cmp_lg_u32 s7, 0
	v_cndmask_b32_e64 v5, 0, -1, vcc_lo
	s_subb_u32 s7, s26, 0
	s_cmp_eq_u32 s26, 0
	v_mov_b32_e32 v7, s7
	s_cselect_b32 vcc_lo, -1, 0
	s_cmp_eq_u32 s18, 0
	v_cndmask_b32_e32 v5, -1, v5, vcc_lo
	v_cmp_le_u32_e32 vcc_lo, s35, v2
	s_cselect_b32 s7, -1, 0
	v_cndmask_b32_e64 v6, 0, -1, vcc_lo
	s_delay_alu instid0(VALU_DEP_3) | instskip(NEXT) | instid1(VALU_DEP_2)
	v_cmp_ne_u32_e32 vcc_lo, 0, v5
	v_cndmask_b32_e64 v5, -1, v6, s7
	v_cndmask_b32_e32 v6, s26, v7, vcc_lo
	v_cndmask_b32_e32 v4, v3, v4, vcc_lo
	s_delay_alu instid0(VALU_DEP_3) | instskip(NEXT) | instid1(VALU_DEP_3)
	v_cmp_ne_u32_e32 vcc_lo, 0, v5
	v_cndmask_b32_e32 v3, s18, v6, vcc_lo
	s_delay_alu instid0(VALU_DEP_3)
	v_cndmask_b32_e32 v2, v2, v4, vcc_lo
	s_cbranch_execnz .LBB150_297
.LBB150_296:                            ;   in Loop: Header=BB150_18 Depth=1
	v_cvt_f32_u32_e32 v2, s35
	s_sub_i32 s7, 0, s35
	s_delay_alu instid0(VALU_DEP_1) | instskip(SKIP_2) | instid1(VALU_DEP_1)
	v_rcp_iflag_f32_e32 v2, v2
	s_waitcnt_depctr 0xfff
	v_mul_f32_e32 v2, 0x4f7ffffe, v2
	v_cvt_u32_f32_e32 v2, v2
	s_delay_alu instid0(VALU_DEP_1) | instskip(NEXT) | instid1(VALU_DEP_1)
	v_mul_lo_u32 v3, s7, v2
	v_mul_hi_u32 v3, v2, v3
	s_delay_alu instid0(VALU_DEP_1) | instskip(NEXT) | instid1(VALU_DEP_1)
	v_add_nc_u32_e32 v2, v2, v3
	v_mul_hi_u32 v2, s23, v2
	s_delay_alu instid0(VALU_DEP_1) | instskip(NEXT) | instid1(VALU_DEP_1)
	v_mul_lo_u32 v2, v2, s35
	v_sub_nc_u32_e32 v2, s23, v2
	s_delay_alu instid0(VALU_DEP_1) | instskip(SKIP_1) | instid1(VALU_DEP_2)
	v_subrev_nc_u32_e32 v3, s35, v2
	v_cmp_le_u32_e32 vcc_lo, s35, v2
	v_cndmask_b32_e32 v2, v2, v3, vcc_lo
	s_delay_alu instid0(VALU_DEP_1) | instskip(SKIP_1) | instid1(VALU_DEP_2)
	v_subrev_nc_u32_e32 v3, s35, v2
	v_cmp_le_u32_e32 vcc_lo, s35, v2
	v_cndmask_b32_e32 v12, v2, v3, vcc_lo
	s_delay_alu instid0(VALU_DEP_1)
	v_dual_mov_b32 v2, v12 :: v_dual_mov_b32 v3, v13
.LBB150_297:                            ;   in Loop: Header=BB150_18 Depth=1
	s_delay_alu instid0(VALU_DEP_1) | instskip(NEXT) | instid1(VALU_DEP_2)
	v_sub_co_u32 v2, vcc_lo, s23, v2
	v_sub_co_ci_u32_e32 v3, vcc_lo, s19, v3, vcc_lo
	s_mov_b32 s26, 0
	s_mov_b32 s7, exec_lo
                                        ; implicit-def: $vgpr18
	s_delay_alu instid0(VALU_DEP_1)
	v_cmpx_gt_u64_e64 v[2:3], v[0:1]
	s_cbranch_execz .LBB150_307
; %bb.298:                              ;   in Loop: Header=BB150_18 Depth=1
	v_dual_mov_b32 v6, v14 :: v_dual_mov_b32 v5, v1
	v_mov_b32_e32 v4, v0
	s_mov_b32 s18, 0
                                        ; implicit-def: $sgpr19
	s_set_inst_prefetch_distance 0x1
	s_branch .LBB150_300
	.p2align	6
.LBB150_299:                            ;   in Loop: Header=BB150_300 Depth=2
	s_or_b32 exec_lo, exec_lo, s23
	s_waitcnt lgkmcnt(0)
	s_barrier
	buffer_gl0_inv
	ds_load_b64 v[17:18], v13 offset:3072
	v_add_co_u32 v4, vcc_lo, v4, s35
	v_add_co_ci_u32_e32 v5, vcc_lo, 0, v5, vcc_lo
	v_add_nc_u32_e32 v6, s94, v6
	s_waitcnt lgkmcnt(0)
	s_barrier
	s_delay_alu instid0(VALU_DEP_2) | instskip(SKIP_2) | instid1(VALU_DEP_1)
	v_cmp_ge_u64_e32 vcc_lo, v[4:5], v[2:3]
	buffer_gl0_inv
	v_readfirstlane_b32 s23, v17
	s_cmp_lg_u32 s23, 0
	s_cselect_b32 s23, -1, 0
	s_delay_alu instid0(SALU_CYCLE_1) | instskip(NEXT) | instid1(SALU_CYCLE_1)
	s_or_b32 s26, vcc_lo, s23
	s_and_b32 s26, exec_lo, s26
	s_delay_alu instid0(SALU_CYCLE_1) | instskip(SKIP_2) | instid1(SALU_CYCLE_1)
	s_or_b32 s18, s26, s18
	s_and_not1_b32 s19, s19, exec_lo
	s_and_b32 s23, s23, exec_lo
	s_or_b32 s19, s19, s23
	s_and_not1_b32 exec_lo, exec_lo, s18
	s_cbranch_execz .LBB150_306
.LBB150_300:                            ;   Parent Loop BB150_18 Depth=1
                                        ; =>  This Inner Loop Header: Depth=2
	s_delay_alu instid0(VALU_DEP_1)
	v_cmp_gt_u64_e32 vcc_lo, s[8:9], v[4:5]
	v_mov_b32_e32 v17, 0
	s_and_saveexec_b32 s23, vcc_lo
	s_cbranch_execz .LBB150_302
; %bb.301:                              ;   in Loop: Header=BB150_300 Depth=2
	ds_load_b32 v17, v6
.LBB150_302:                            ;   in Loop: Header=BB150_300 Depth=2
	s_or_b32 exec_lo, exec_lo, s23
	s_and_saveexec_b32 s23, vcc_lo
	s_cbranch_execz .LBB150_299
; %bb.303:                              ;   in Loop: Header=BB150_300 Depth=2
	s_waitcnt lgkmcnt(0)
	v_xor_b32_e32 v7, 0x80000000, v17
	s_delay_alu instid0(VALU_DEP_1) | instskip(NEXT) | instid1(VALU_DEP_1)
	v_and_b32_e32 v7, v7, v31
	v_cmp_eq_u32_e32 vcc_lo, v7, v32
	s_and_b32 exec_lo, exec_lo, vcc_lo
	s_cbranch_execz .LBB150_299
; %bb.304:                              ;   in Loop: Header=BB150_300 Depth=2
	ds_store_b64 v13, v[16:17] offset:3072
	s_branch .LBB150_299
.LBB150_305:                            ;   in Loop: Header=BB150_18 Depth=1
	s_mov_b32 s18, -1
	s_mov_b32 s26, 0
                                        ; implicit-def: $sgpr19
                                        ; implicit-def: $vgpr18
	s_mov_b32 s23, s18
	s_cbranch_execnz .LBB150_308
	s_branch .LBB150_321
.LBB150_306:                            ;   in Loop: Header=BB150_18 Depth=1
	s_set_inst_prefetch_distance 0x2
	s_or_b32 exec_lo, exec_lo, s18
	s_delay_alu instid0(SALU_CYCLE_1)
	s_and_b32 s26, s19, exec_lo
.LBB150_307:                            ;   in Loop: Header=BB150_18 Depth=1
	s_or_b32 exec_lo, exec_lo, s7
	s_mov_b32 s18, 0
	s_mov_b32 s19, -1
	s_mov_b32 s23, s18
	s_branch .LBB150_321
.LBB150_308:                            ;   in Loop: Header=BB150_18 Depth=1
	s_mov_b32 s26, s71
	s_delay_alu instid0(SALU_CYCLE_1)
	s_cmp_lg_u64 s[26:27], 0
	s_cbranch_scc0 .LBB150_350
; %bb.309:                              ;   in Loop: Header=BB150_18 Depth=1
	v_cvt_f32_u32_e32 v2, s35
	s_sub_u32 s9, 0, s35
	s_subb_u32 s18, 0, 0
	s_delay_alu instid0(VALU_DEP_1) | instskip(NEXT) | instid1(VALU_DEP_1)
	v_fmac_f32_e64 v2, 0, 0x4f800000
	v_rcp_f32_e32 v2, v2
	s_waitcnt_depctr 0xfff
	v_mul_f32_e32 v2, 0x5f7ffffc, v2
	s_delay_alu instid0(VALU_DEP_1) | instskip(NEXT) | instid1(VALU_DEP_1)
	v_mul_f32_e32 v3, 0x2f800000, v2
	v_trunc_f32_e32 v3, v3
	s_delay_alu instid0(VALU_DEP_1) | instskip(SKIP_1) | instid1(VALU_DEP_2)
	v_fmac_f32_e32 v2, 0xcf800000, v3
	v_cvt_u32_f32_e32 v3, v3
	v_cvt_u32_f32_e32 v2, v2
	s_delay_alu instid0(VALU_DEP_2) | instskip(NEXT) | instid1(VALU_DEP_2)
	v_readfirstlane_b32 s7, v3
	v_readfirstlane_b32 s8, v2
	s_delay_alu instid0(VALU_DEP_2) | instskip(NEXT) | instid1(VALU_DEP_1)
	s_mul_i32 s19, s9, s7
	s_mul_hi_u32 s26, s9, s8
	s_mul_i32 s23, s18, s8
	s_add_i32 s19, s26, s19
	s_mul_i32 s64, s9, s8
	s_add_i32 s19, s19, s23
	s_mul_hi_u32 s26, s8, s64
	s_mul_hi_u32 s65, s7, s64
	s_mul_i32 s23, s7, s64
	s_mul_hi_u32 s64, s8, s19
	s_mul_i32 s8, s8, s19
	s_mul_hi_u32 s68, s7, s19
	s_add_u32 s8, s26, s8
	s_addc_u32 s26, 0, s64
	s_add_u32 s8, s8, s23
	s_mul_i32 s19, s7, s19
	s_addc_u32 s8, s26, s65
	s_addc_u32 s23, s68, 0
	s_add_u32 s8, s8, s19
	s_addc_u32 s19, 0, s23
	v_add_co_u32 v2, s8, v2, s8
	s_delay_alu instid0(VALU_DEP_1) | instskip(SKIP_1) | instid1(VALU_DEP_1)
	s_cmp_lg_u32 s8, 0
	s_addc_u32 s7, s7, s19
	v_readfirstlane_b32 s8, v2
	s_mul_i32 s19, s9, s7
	s_delay_alu instid0(VALU_DEP_1)
	s_mul_hi_u32 s23, s9, s8
	s_mul_i32 s18, s18, s8
	s_add_i32 s19, s23, s19
	s_mul_i32 s9, s9, s8
	s_add_i32 s19, s19, s18
	s_mul_hi_u32 s23, s7, s9
	s_mul_i32 s26, s7, s9
	s_mul_hi_u32 s9, s8, s9
	s_mul_hi_u32 s64, s8, s19
	s_mul_i32 s8, s8, s19
	s_mul_hi_u32 s18, s7, s19
	s_add_u32 s8, s9, s8
	s_addc_u32 s9, 0, s64
	s_add_u32 s8, s8, s26
	s_mul_i32 s19, s7, s19
	s_addc_u32 s8, s9, s23
	s_addc_u32 s9, s18, 0
	s_add_u32 s8, s8, s19
	s_addc_u32 s9, 0, s9
	v_add_co_u32 v2, s8, v2, s8
	s_delay_alu instid0(VALU_DEP_1) | instskip(SKIP_1) | instid1(VALU_DEP_1)
	s_cmp_lg_u32 s8, 0
	s_addc_u32 s7, s7, s9
	v_readfirstlane_b32 s8, v2
	s_mul_i32 s18, s88, s7
	s_mul_hi_u32 s9, s88, s7
	s_mul_hi_u32 s19, s27, s7
	s_mul_i32 s7, s27, s7
	s_mul_hi_u32 s23, s88, s8
	s_mul_hi_u32 s26, s27, s8
	s_mul_i32 s8, s27, s8
	s_add_u32 s18, s23, s18
	s_addc_u32 s9, 0, s9
	s_add_u32 s8, s18, s8
	s_addc_u32 s8, s9, s26
	s_addc_u32 s9, s19, 0
	s_add_u32 s7, s8, s7
	s_addc_u32 s8, 0, s9
	s_mul_hi_u32 s9, s35, s7
	s_mul_i32 s7, s35, s7
	s_mul_i32 s8, s35, s8
	v_sub_co_u32 v2, s7, s88, s7
	s_add_i32 s9, s9, s8
	s_cmp_lg_u32 s7, 0
	s_delay_alu instid0(VALU_DEP_1) | instskip(SKIP_2) | instid1(VALU_DEP_1)
	v_sub_co_u32 v3, s7, v2, s35
	s_subb_u32 s8, s27, s9
	s_cmp_lg_u32 s7, 0
	v_cmp_le_u32_e32 vcc_lo, s35, v3
	v_sub_co_u32 v4, s7, v3, s35
	s_subb_u32 s9, s8, 0
	s_cmp_lg_u32 s7, 0
	v_cndmask_b32_e64 v5, 0, -1, vcc_lo
	s_subb_u32 s7, s9, 0
	s_cmp_eq_u32 s9, 0
	v_mov_b32_e32 v7, s7
	s_cselect_b32 vcc_lo, -1, 0
	s_cmp_eq_u32 s8, 0
	v_cndmask_b32_e32 v5, -1, v5, vcc_lo
	v_cmp_le_u32_e32 vcc_lo, s35, v2
	s_cselect_b32 s7, -1, 0
	v_cndmask_b32_e64 v6, 0, -1, vcc_lo
	s_delay_alu instid0(VALU_DEP_3) | instskip(NEXT) | instid1(VALU_DEP_2)
	v_cmp_ne_u32_e32 vcc_lo, 0, v5
	v_cndmask_b32_e64 v5, -1, v6, s7
	v_cndmask_b32_e32 v6, s9, v7, vcc_lo
	v_cndmask_b32_e32 v4, v3, v4, vcc_lo
	s_delay_alu instid0(VALU_DEP_3) | instskip(NEXT) | instid1(VALU_DEP_3)
	v_cmp_ne_u32_e32 vcc_lo, 0, v5
	v_cndmask_b32_e32 v3, s8, v6, vcc_lo
	s_delay_alu instid0(VALU_DEP_3)
	v_cndmask_b32_e32 v2, v2, v4, vcc_lo
	s_cbranch_execnz .LBB150_311
.LBB150_310:                            ;   in Loop: Header=BB150_18 Depth=1
	v_cvt_f32_u32_e32 v2, s35
	s_sub_i32 s7, 0, s35
	s_delay_alu instid0(VALU_DEP_1) | instskip(SKIP_2) | instid1(VALU_DEP_1)
	v_rcp_iflag_f32_e32 v2, v2
	s_waitcnt_depctr 0xfff
	v_mul_f32_e32 v2, 0x4f7ffffe, v2
	v_cvt_u32_f32_e32 v2, v2
	s_delay_alu instid0(VALU_DEP_1) | instskip(NEXT) | instid1(VALU_DEP_1)
	v_mul_lo_u32 v3, s7, v2
	v_mul_hi_u32 v3, v2, v3
	s_delay_alu instid0(VALU_DEP_1) | instskip(NEXT) | instid1(VALU_DEP_1)
	v_add_nc_u32_e32 v2, v2, v3
	v_mul_hi_u32 v2, s88, v2
	s_delay_alu instid0(VALU_DEP_1) | instskip(NEXT) | instid1(VALU_DEP_1)
	v_mul_lo_u32 v2, v2, s35
	v_sub_nc_u32_e32 v2, s88, v2
	s_delay_alu instid0(VALU_DEP_1) | instskip(SKIP_1) | instid1(VALU_DEP_2)
	v_subrev_nc_u32_e32 v3, s35, v2
	v_cmp_le_u32_e32 vcc_lo, s35, v2
	v_cndmask_b32_e32 v2, v2, v3, vcc_lo
	s_delay_alu instid0(VALU_DEP_1) | instskip(SKIP_1) | instid1(VALU_DEP_2)
	v_subrev_nc_u32_e32 v3, s35, v2
	v_cmp_le_u32_e32 vcc_lo, s35, v2
	v_cndmask_b32_e32 v12, v2, v3, vcc_lo
	s_delay_alu instid0(VALU_DEP_1)
	v_dual_mov_b32 v2, v12 :: v_dual_mov_b32 v3, v13
.LBB150_311:                            ;   in Loop: Header=BB150_18 Depth=1
	s_delay_alu instid0(VALU_DEP_1) | instskip(NEXT) | instid1(VALU_DEP_2)
	v_sub_co_u32 v2, vcc_lo, s88, v2
	v_sub_co_ci_u32_e32 v3, vcc_lo, s27, v3, vcc_lo
	s_mov_b32 s26, 0
	s_mov_b32 s8, exec_lo
                                        ; implicit-def: $vgpr18
	s_delay_alu instid0(VALU_DEP_1)
	v_cmpx_gt_u64_e64 v[2:3], v[0:1]
	s_cbranch_execz .LBB150_320
; %bb.312:                              ;   in Loop: Header=BB150_18 Depth=1
	v_dual_mov_b32 v5, v1 :: v_dual_mov_b32 v4, v0
	s_mov_b32 s9, 0
                                        ; implicit-def: $sgpr18
	s_branch .LBB150_314
.LBB150_313:                            ;   in Loop: Header=BB150_314 Depth=2
	s_or_b32 exec_lo, exec_lo, s7
	s_waitcnt vmcnt(0) lgkmcnt(0)
	s_barrier
	buffer_gl0_inv
	ds_load_b64 v[17:18], v13 offset:3072
	v_add_co_u32 v4, vcc_lo, v4, s35
	v_add_co_ci_u32_e32 v5, vcc_lo, 0, v5, vcc_lo
	s_waitcnt lgkmcnt(0)
	s_barrier
	buffer_gl0_inv
	v_cmp_ge_u64_e32 vcc_lo, v[4:5], v[2:3]
	v_readfirstlane_b32 s7, v17
	s_delay_alu instid0(VALU_DEP_1) | instskip(SKIP_1) | instid1(SALU_CYCLE_1)
	s_cmp_lg_u32 s7, 0
	s_cselect_b32 s7, -1, 0
	s_or_b32 s19, vcc_lo, s7
	s_delay_alu instid0(SALU_CYCLE_1) | instskip(NEXT) | instid1(SALU_CYCLE_1)
	s_and_b32 s19, exec_lo, s19
	s_or_b32 s9, s19, s9
	s_and_not1_b32 s18, s18, exec_lo
	s_and_b32 s7, s7, exec_lo
	s_delay_alu instid0(SALU_CYCLE_1)
	s_or_b32 s18, s18, s7
	s_and_not1_b32 exec_lo, exec_lo, s9
	s_cbranch_execz .LBB150_319
.LBB150_314:                            ;   Parent Loop BB150_18 Depth=1
                                        ; =>  This Inner Loop Header: Depth=2
	s_delay_alu instid0(VALU_DEP_1)
	v_cmp_gt_u64_e32 vcc_lo, s[36:37], v[4:5]
	v_mov_b32_e32 v17, 0
	s_and_saveexec_b32 s19, vcc_lo
	s_cbranch_execz .LBB150_316
; %bb.315:                              ;   in Loop: Header=BB150_314 Depth=2
	v_mul_lo_u32 v8, v5, s30
	v_mul_lo_u32 v9, v4, s31
	v_mad_u64_u32 v[6:7], null, v4, s30, 0
	s_delay_alu instid0(VALU_DEP_1) | instskip(NEXT) | instid1(VALU_DEP_1)
	v_add3_u32 v7, v7, v9, v8
	v_lshlrev_b64 v[6:7], 2, v[6:7]
	s_delay_alu instid0(VALU_DEP_1) | instskip(NEXT) | instid1(VALU_DEP_1)
	v_add_co_u32 v6, s7, s29, v6
	v_add_co_ci_u32_e64 v7, s7, s33, v7, s7
	global_load_b32 v17, v[6:7], off
.LBB150_316:                            ;   in Loop: Header=BB150_314 Depth=2
	s_or_b32 exec_lo, exec_lo, s19
	s_and_saveexec_b32 s7, vcc_lo
	s_cbranch_execz .LBB150_313
; %bb.317:                              ;   in Loop: Header=BB150_314 Depth=2
	s_waitcnt vmcnt(0)
	v_xor_b32_e32 v6, 0x80000000, v17
	s_delay_alu instid0(VALU_DEP_1) | instskip(NEXT) | instid1(VALU_DEP_1)
	v_and_b32_e32 v6, v6, v31
	v_cmp_eq_u32_e32 vcc_lo, v6, v32
	s_and_b32 exec_lo, exec_lo, vcc_lo
	s_cbranch_execz .LBB150_313
; %bb.318:                              ;   in Loop: Header=BB150_314 Depth=2
	ds_store_b64 v13, v[16:17] offset:3072
	s_branch .LBB150_313
.LBB150_319:                            ;   in Loop: Header=BB150_18 Depth=1
	s_or_b32 exec_lo, exec_lo, s9
	s_delay_alu instid0(SALU_CYCLE_1)
	s_and_b32 s26, s18, exec_lo
.LBB150_320:                            ;   in Loop: Header=BB150_18 Depth=1
	s_or_b32 exec_lo, exec_lo, s8
	s_mov_b32 s19, 0
	s_mov_b32 s18, -1
	s_mov_b32 s23, 0
.LBB150_321:                            ;   in Loop: Header=BB150_18 Depth=1
	s_or_not1_b32 s7, s26, exec_lo
.LBB150_322:                            ;   in Loop: Header=BB150_18 Depth=1
	s_or_b32 exec_lo, exec_lo, s59
                                        ; implicit-def: $vgpr8
                                        ; implicit-def: $vgpr4_vgpr5
                                        ; implicit-def: $vgpr21
                                        ; implicit-def: $vgpr22
                                        ; implicit-def: $vgpr3
	s_and_saveexec_b32 s70, s7
	s_cbranch_execz .LBB150_485
; %bb.323:                              ;   in Loop: Header=BB150_18 Depth=1
	v_mov_b32_e32 v4, 1
	v_dual_mov_b32 v5, 0 :: v_dual_mov_b32 v8, 1
	s_xor_b32 s8, s58, -1
	s_mov_b32 s26, 0
	s_and_saveexec_b32 s7, s8
	s_cbranch_execz .LBB150_333
; %bb.324:                              ;   in Loop: Header=BB150_18 Depth=1
	s_mov_b32 s9, exec_lo
                                        ; implicit-def: $sgpr26
                                        ; implicit-def: $sgpr8
	v_cmpx_ge_u64_e64 s[16:17], v[19:20]
	s_xor_b32 s9, exec_lo, s9
	s_cbranch_execz .LBB150_330
; %bb.325:                              ;   in Loop: Header=BB150_18 Depth=1
	ds_load_b64 v[2:3], v13 offset:5120
	s_waitcnt lgkmcnt(0)
	v_cmp_ne_u64_e32 vcc_lo, 0, v[2:3]
	s_cbranch_vccnz .LBB150_329
; %bb.326:                              ;   in Loop: Header=BB150_18 Depth=1
	s_and_saveexec_b32 s8, s5
	s_cbranch_execz .LBB150_328
; %bb.327:                              ;   in Loop: Header=BB150_18 Depth=1
	v_dual_mov_b32 v2, s16 :: v_dual_mov_b32 v3, s17
	ds_store_b64 v13, v[2:3] offset:5128
.LBB150_328:                            ;   in Loop: Header=BB150_18 Depth=1
	s_or_b32 exec_lo, exec_lo, s8
	s_waitcnt lgkmcnt(0)
	s_barrier
	buffer_gl0_inv
.LBB150_329:                            ;   in Loop: Header=BB150_18 Depth=1
	v_or_b32_e32 v32, s20, v32
	v_or_b32_e32 v31, s20, v31
	s_mov_b32 s8, 0
	s_mov_b32 s26, 5
.LBB150_330:                            ;   in Loop: Header=BB150_18 Depth=1
	s_or_saveexec_b32 s9, s9
	v_mov_b32_e32 v8, s26
	s_xor_b32 exec_lo, exec_lo, s9
; %bb.331:                              ;   in Loop: Header=BB150_18 Depth=1
	v_sub_co_u32 v19, vcc_lo, v19, s16
	v_subrev_co_ci_u32_e32 v20, vcc_lo, s17, v20, vcc_lo
	v_mov_b32_e32 v8, 0
	s_or_b32 s8, s8, exec_lo
; %bb.332:                              ;   in Loop: Header=BB150_18 Depth=1
	s_or_b32 exec_lo, exec_lo, s9
	s_delay_alu instid0(VALU_DEP_2)
	v_dual_mov_b32 v4, v19 :: v_dual_mov_b32 v5, v20
	s_and_b32 s26, s8, exec_lo
.LBB150_333:                            ;   in Loop: Header=BB150_18 Depth=1
	s_or_b32 exec_lo, exec_lo, s7
	s_mov_b32 s17, -1
                                        ; implicit-def: $sgpr8
                                        ; implicit-def: $sgpr9
                                        ; implicit-def: $sgpr16
	s_and_saveexec_b32 s7, s26
	s_delay_alu instid0(SALU_CYCLE_1)
	s_xor_b32 s74, exec_lo, s7
	s_cbranch_execz .LBB150_482
; %bb.334:                              ;   in Loop: Header=BB150_18 Depth=1
	v_cmp_eq_u64_e32 vcc_lo, 1, v[4:5]
	s_cmp_eq_u64 s[14:15], 1
                                        ; implicit-def: $sgpr16
                                        ; implicit-def: $sgpr17
                                        ; implicit-def: $sgpr75
	s_cselect_b32 s7, -1, 0
	s_delay_alu instid0(SALU_CYCLE_1)
	s_and_b32 s58, s7, vcc_lo
	s_mov_b32 s7, -1
	s_and_saveexec_b32 s59, s58
	s_cbranch_execz .LBB150_368
; %bb.335:                              ;   in Loop: Header=BB150_18 Depth=1
	ds_load_b64 v[2:3], v13 offset:5120
	s_waitcnt lgkmcnt(0)
	s_barrier
	buffer_gl0_inv
	v_readfirstlane_b32 s8, v2
	v_readfirstlane_b32 s9, v3
	s_and_saveexec_b32 s7, s6
	s_cbranch_execz .LBB150_337
; %bb.336:                              ;   in Loop: Header=BB150_18 Depth=1
	ds_store_b32 v28, v13
.LBB150_337:                            ;   in Loop: Header=BB150_18 Depth=1
	s_or_b32 exec_lo, exec_lo, s7
	s_lshl_b32 s7, 2, s22
	v_or_b32_e32 v31, s20, v31
	v_and_or_b32 v32, v32, s21, s7
	s_cmp_eq_u64 s[8:9], 0
	s_waitcnt lgkmcnt(0)
	s_barrier
	buffer_gl0_inv
	s_cbranch_scc1 .LBB150_351
; %bb.338:                              ;   in Loop: Header=BB150_18 Depth=1
	s_add_u32 s26, s86, s8
	s_addc_u32 s17, s87, s9
	s_mov_b32 s16, s71
	s_delay_alu instid0(SALU_CYCLE_1)
	s_cmp_lg_u64 s[16:17], 0
	s_cbranch_scc0 .LBB150_395
; %bb.339:                              ;   in Loop: Header=BB150_18 Depth=1
	v_cvt_f32_u32_e32 v2, s35
	s_sub_u32 s64, 0, s35
	s_subb_u32 s65, 0, 0
	s_delay_alu instid0(VALU_DEP_1) | instskip(NEXT) | instid1(VALU_DEP_1)
	v_fmac_f32_e64 v2, 0, 0x4f800000
	v_rcp_f32_e32 v2, v2
	s_waitcnt_depctr 0xfff
	v_mul_f32_e32 v2, 0x5f7ffffc, v2
	s_delay_alu instid0(VALU_DEP_1) | instskip(NEXT) | instid1(VALU_DEP_1)
	v_mul_f32_e32 v3, 0x2f800000, v2
	v_trunc_f32_e32 v3, v3
	s_delay_alu instid0(VALU_DEP_1) | instskip(SKIP_1) | instid1(VALU_DEP_2)
	v_fmac_f32_e32 v2, 0xcf800000, v3
	v_cvt_u32_f32_e32 v3, v3
	v_cvt_u32_f32_e32 v2, v2
	s_delay_alu instid0(VALU_DEP_2) | instskip(NEXT) | instid1(VALU_DEP_2)
	v_readfirstlane_b32 s7, v3
	v_readfirstlane_b32 s16, v2
	s_delay_alu instid0(VALU_DEP_2) | instskip(NEXT) | instid1(VALU_DEP_1)
	s_mul_i32 s68, s64, s7
	s_mul_hi_u32 s75, s64, s16
	s_mul_i32 s69, s65, s16
	s_add_i32 s68, s75, s68
	s_mul_i32 s76, s64, s16
	s_add_i32 s68, s68, s69
	s_mul_hi_u32 s75, s16, s76
	s_mul_hi_u32 s77, s7, s76
	s_mul_i32 s69, s7, s76
	s_mul_hi_u32 s76, s16, s68
	s_mul_i32 s16, s16, s68
	s_mul_hi_u32 s78, s7, s68
	s_add_u32 s16, s75, s16
	s_addc_u32 s75, 0, s76
	s_add_u32 s16, s16, s69
	s_mul_i32 s68, s7, s68
	s_addc_u32 s16, s75, s77
	s_addc_u32 s69, s78, 0
	s_add_u32 s16, s16, s68
	s_addc_u32 s68, 0, s69
	v_add_co_u32 v2, s16, v2, s16
	s_delay_alu instid0(VALU_DEP_1) | instskip(SKIP_1) | instid1(VALU_DEP_1)
	s_cmp_lg_u32 s16, 0
	s_addc_u32 s7, s7, s68
	v_readfirstlane_b32 s16, v2
	s_mul_i32 s68, s64, s7
	s_delay_alu instid0(VALU_DEP_1)
	s_mul_hi_u32 s69, s64, s16
	s_mul_i32 s65, s65, s16
	s_add_i32 s68, s69, s68
	s_mul_i32 s64, s64, s16
	s_add_i32 s68, s68, s65
	s_mul_hi_u32 s69, s7, s64
	s_mul_i32 s75, s7, s64
	s_mul_hi_u32 s64, s16, s64
	s_mul_hi_u32 s76, s16, s68
	s_mul_i32 s16, s16, s68
	s_mul_hi_u32 s65, s7, s68
	s_add_u32 s16, s64, s16
	s_addc_u32 s64, 0, s76
	s_add_u32 s16, s16, s75
	s_mul_i32 s68, s7, s68
	s_addc_u32 s16, s64, s69
	s_addc_u32 s64, s65, 0
	s_add_u32 s16, s16, s68
	s_addc_u32 s64, 0, s64
	v_add_co_u32 v2, s16, v2, s16
	s_delay_alu instid0(VALU_DEP_1) | instskip(SKIP_1) | instid1(VALU_DEP_1)
	s_cmp_lg_u32 s16, 0
	s_addc_u32 s7, s7, s64
	v_readfirstlane_b32 s16, v2
	s_mul_i32 s65, s26, s7
	s_mul_hi_u32 s64, s26, s7
	s_mul_hi_u32 s68, s17, s7
	s_mul_i32 s7, s17, s7
	s_mul_hi_u32 s69, s26, s16
	s_mul_hi_u32 s75, s17, s16
	s_mul_i32 s16, s17, s16
	s_add_u32 s65, s69, s65
	s_addc_u32 s64, 0, s64
	s_add_u32 s16, s65, s16
	s_addc_u32 s16, s64, s75
	s_addc_u32 s64, s68, 0
	s_add_u32 s7, s16, s7
	s_addc_u32 s16, 0, s64
	s_mul_hi_u32 s64, s35, s7
	s_mul_i32 s7, s35, s7
	s_mul_i32 s16, s35, s16
	v_sub_co_u32 v2, s7, s26, s7
	s_add_i32 s64, s64, s16
	s_cmp_lg_u32 s7, 0
	s_delay_alu instid0(VALU_DEP_1) | instskip(SKIP_3) | instid1(VALU_DEP_2)
	v_sub_co_u32 v3, s7, v2, s35
	s_subb_u32 s16, s17, s64
	s_cmp_lg_u32 s7, 0
	v_cmp_le_u32_e32 vcc_lo, s35, v2
	v_cmp_le_u32_e64 s7, s35, v3
	v_sub_co_u32 v6, s64, v3, s35
	s_subb_u32 s65, s16, 0
	s_cmp_lg_u32 s64, 0
	s_delay_alu instid0(VALU_DEP_2)
	v_cndmask_b32_e64 v7, 0, -1, s7
	s_subb_u32 s64, s65, 0
	s_cmp_eq_u32 s65, 0
	v_mov_b32_e32 v9, s64
	v_cndmask_b32_e64 v8, 0, -1, vcc_lo
	s_cselect_b32 vcc_lo, -1, 0
	s_cmp_eq_u32 s16, 0
	v_cndmask_b32_e32 v7, -1, v7, vcc_lo
	s_cselect_b32 vcc_lo, -1, 0
	v_cndmask_b32_e32 v8, -1, v8, vcc_lo
	s_delay_alu instid0(VALU_DEP_2) | instskip(NEXT) | instid1(VALU_DEP_2)
	v_cmp_ne_u32_e32 vcc_lo, 0, v7
	v_cmp_ne_u32_e64 s7, 0, v8
	v_cndmask_b32_e32 v7, s65, v9, vcc_lo
	v_cndmask_b32_e32 v6, v3, v6, vcc_lo
	s_delay_alu instid0(VALU_DEP_2) | instskip(NEXT) | instid1(VALU_DEP_2)
	v_cndmask_b32_e64 v3, s16, v7, s7
	v_cndmask_b32_e64 v2, v2, v6, s7
	s_cbranch_execnz .LBB150_341
.LBB150_340:                            ;   in Loop: Header=BB150_18 Depth=1
	v_cvt_f32_u32_e32 v2, s35
	s_sub_i32 s7, 0, s35
	s_delay_alu instid0(VALU_DEP_1) | instskip(SKIP_2) | instid1(VALU_DEP_1)
	v_rcp_iflag_f32_e32 v2, v2
	s_waitcnt_depctr 0xfff
	v_mul_f32_e32 v2, 0x4f7ffffe, v2
	v_cvt_u32_f32_e32 v2, v2
	s_delay_alu instid0(VALU_DEP_1) | instskip(NEXT) | instid1(VALU_DEP_1)
	v_mul_lo_u32 v3, s7, v2
	v_mul_hi_u32 v3, v2, v3
	s_delay_alu instid0(VALU_DEP_1) | instskip(NEXT) | instid1(VALU_DEP_1)
	v_add_nc_u32_e32 v2, v2, v3
	v_mul_hi_u32 v2, s26, v2
	s_delay_alu instid0(VALU_DEP_1) | instskip(NEXT) | instid1(VALU_DEP_1)
	v_mul_lo_u32 v2, v2, s35
	v_sub_nc_u32_e32 v2, s26, v2
	s_delay_alu instid0(VALU_DEP_1) | instskip(SKIP_1) | instid1(VALU_DEP_2)
	v_subrev_nc_u32_e32 v3, s35, v2
	v_cmp_le_u32_e32 vcc_lo, s35, v2
	v_cndmask_b32_e32 v2, v2, v3, vcc_lo
	s_delay_alu instid0(VALU_DEP_1) | instskip(SKIP_1) | instid1(VALU_DEP_2)
	v_subrev_nc_u32_e32 v3, s35, v2
	v_cmp_le_u32_e32 vcc_lo, s35, v2
	v_cndmask_b32_e32 v12, v2, v3, vcc_lo
	s_delay_alu instid0(VALU_DEP_1)
	v_dual_mov_b32 v2, v12 :: v_dual_mov_b32 v3, v13
.LBB150_341:                            ;   in Loop: Header=BB150_18 Depth=1
	s_delay_alu instid0(VALU_DEP_1) | instskip(NEXT) | instid1(VALU_DEP_2)
	v_sub_co_u32 v2, vcc_lo, s26, v2
	v_sub_co_ci_u32_e32 v3, vcc_lo, s17, v3, vcc_lo
	s_mov_b32 s26, 0
	s_mov_b32 s7, exec_lo
                                        ; implicit-def: $vgpr18
	s_delay_alu instid0(VALU_DEP_1)
	v_cmpx_gt_u64_e64 v[2:3], v[0:1]
	s_cbranch_execz .LBB150_353
; %bb.342:                              ;   in Loop: Header=BB150_18 Depth=1
	v_dual_mov_b32 v8, v14 :: v_dual_mov_b32 v7, v1
	v_mov_b32_e32 v6, v0
	s_mov_b32 s16, 0
                                        ; implicit-def: $sgpr17
	s_set_inst_prefetch_distance 0x1
	s_branch .LBB150_344
	.p2align	6
.LBB150_343:                            ;   in Loop: Header=BB150_344 Depth=2
	s_or_b32 exec_lo, exec_lo, s26
	s_waitcnt lgkmcnt(0)
	s_barrier
	buffer_gl0_inv
	ds_load_b64 v[17:18], v13 offset:3072
	v_add_co_u32 v6, vcc_lo, v6, s35
	v_add_co_ci_u32_e32 v7, vcc_lo, 0, v7, vcc_lo
	v_add_nc_u32_e32 v8, s94, v8
	s_waitcnt lgkmcnt(0)
	s_barrier
	s_delay_alu instid0(VALU_DEP_2) | instskip(SKIP_2) | instid1(VALU_DEP_1)
	v_cmp_ge_u64_e32 vcc_lo, v[6:7], v[2:3]
	buffer_gl0_inv
	v_readfirstlane_b32 s26, v17
	s_cmp_lg_u32 s26, 0
	s_cselect_b32 s26, -1, 0
	s_delay_alu instid0(SALU_CYCLE_1) | instskip(NEXT) | instid1(SALU_CYCLE_1)
	s_or_b32 s64, vcc_lo, s26
	s_and_b32 s64, exec_lo, s64
	s_delay_alu instid0(SALU_CYCLE_1) | instskip(SKIP_2) | instid1(SALU_CYCLE_1)
	s_or_b32 s16, s64, s16
	s_and_not1_b32 s17, s17, exec_lo
	s_and_b32 s26, s26, exec_lo
	s_or_b32 s17, s17, s26
	s_and_not1_b32 exec_lo, exec_lo, s16
	s_cbranch_execz .LBB150_352
.LBB150_344:                            ;   Parent Loop BB150_18 Depth=1
                                        ; =>  This Inner Loop Header: Depth=2
	s_delay_alu instid0(VALU_DEP_1)
	v_cmp_gt_u64_e32 vcc_lo, s[8:9], v[6:7]
	v_mov_b32_e32 v17, 0
	s_and_saveexec_b32 s26, vcc_lo
	s_cbranch_execz .LBB150_346
; %bb.345:                              ;   in Loop: Header=BB150_344 Depth=2
	ds_load_b32 v17, v8
.LBB150_346:                            ;   in Loop: Header=BB150_344 Depth=2
	s_or_b32 exec_lo, exec_lo, s26
	s_and_saveexec_b32 s26, vcc_lo
	s_cbranch_execz .LBB150_343
; %bb.347:                              ;   in Loop: Header=BB150_344 Depth=2
	s_waitcnt lgkmcnt(0)
	v_xor_b32_e32 v9, 0x80000000, v17
	s_delay_alu instid0(VALU_DEP_1) | instskip(NEXT) | instid1(VALU_DEP_1)
	v_and_b32_e32 v9, v9, v31
	v_cmp_eq_u32_e32 vcc_lo, v9, v32
	s_and_b32 exec_lo, exec_lo, vcc_lo
	s_cbranch_execz .LBB150_343
; %bb.348:                              ;   in Loop: Header=BB150_344 Depth=2
	ds_store_b64 v13, v[16:17] offset:3072
	s_branch .LBB150_343
.LBB150_349:                            ;   in Loop: Header=BB150_18 Depth=1
                                        ; implicit-def: $vgpr2_vgpr3
	s_branch .LBB150_296
.LBB150_350:                            ;   in Loop: Header=BB150_18 Depth=1
                                        ; implicit-def: $vgpr2_vgpr3
	s_branch .LBB150_310
.LBB150_351:                            ;   in Loop: Header=BB150_18 Depth=1
	s_mov_b32 s16, -1
	s_mov_b32 s26, 0
                                        ; implicit-def: $sgpr17
                                        ; implicit-def: $vgpr18
	s_mov_b32 s75, s16
	s_cbranch_execnz .LBB150_354
	s_branch .LBB150_367
.LBB150_352:                            ;   in Loop: Header=BB150_18 Depth=1
	s_set_inst_prefetch_distance 0x2
	s_or_b32 exec_lo, exec_lo, s16
	s_delay_alu instid0(SALU_CYCLE_1)
	s_and_b32 s26, s17, exec_lo
.LBB150_353:                            ;   in Loop: Header=BB150_18 Depth=1
	s_or_b32 exec_lo, exec_lo, s7
	s_mov_b32 s16, 0
	s_mov_b32 s17, -1
	s_mov_b32 s75, s16
	s_branch .LBB150_367
.LBB150_354:                            ;   in Loop: Header=BB150_18 Depth=1
	s_mov_b32 s26, s71
	s_delay_alu instid0(SALU_CYCLE_1)
	s_cmp_lg_u64 s[26:27], 0
	s_cbranch_scc0 .LBB150_396
; %bb.355:                              ;   in Loop: Header=BB150_18 Depth=1
	v_cvt_f32_u32_e32 v2, s35
	s_sub_u32 s9, 0, s35
	s_subb_u32 s16, 0, 0
	s_delay_alu instid0(VALU_DEP_1) | instskip(NEXT) | instid1(VALU_DEP_1)
	v_fmac_f32_e64 v2, 0, 0x4f800000
	v_rcp_f32_e32 v2, v2
	s_waitcnt_depctr 0xfff
	v_mul_f32_e32 v2, 0x5f7ffffc, v2
	s_delay_alu instid0(VALU_DEP_1) | instskip(NEXT) | instid1(VALU_DEP_1)
	v_mul_f32_e32 v3, 0x2f800000, v2
	v_trunc_f32_e32 v3, v3
	s_delay_alu instid0(VALU_DEP_1) | instskip(SKIP_1) | instid1(VALU_DEP_2)
	v_fmac_f32_e32 v2, 0xcf800000, v3
	v_cvt_u32_f32_e32 v3, v3
	v_cvt_u32_f32_e32 v2, v2
	s_delay_alu instid0(VALU_DEP_2) | instskip(NEXT) | instid1(VALU_DEP_2)
	v_readfirstlane_b32 s7, v3
	v_readfirstlane_b32 s8, v2
	s_delay_alu instid0(VALU_DEP_2) | instskip(NEXT) | instid1(VALU_DEP_1)
	s_mul_i32 s17, s9, s7
	s_mul_hi_u32 s64, s9, s8
	s_mul_i32 s26, s16, s8
	s_add_i32 s17, s64, s17
	s_mul_i32 s65, s9, s8
	s_add_i32 s17, s17, s26
	s_mul_hi_u32 s64, s8, s65
	s_mul_hi_u32 s68, s7, s65
	s_mul_i32 s26, s7, s65
	s_mul_hi_u32 s65, s8, s17
	s_mul_i32 s8, s8, s17
	s_mul_hi_u32 s69, s7, s17
	s_add_u32 s8, s64, s8
	s_addc_u32 s64, 0, s65
	s_add_u32 s8, s8, s26
	s_mul_i32 s17, s7, s17
	s_addc_u32 s8, s64, s68
	s_addc_u32 s26, s69, 0
	s_add_u32 s8, s8, s17
	s_addc_u32 s17, 0, s26
	v_add_co_u32 v2, s8, v2, s8
	s_delay_alu instid0(VALU_DEP_1) | instskip(SKIP_1) | instid1(VALU_DEP_1)
	s_cmp_lg_u32 s8, 0
	s_addc_u32 s7, s7, s17
	v_readfirstlane_b32 s8, v2
	s_mul_i32 s17, s9, s7
	s_delay_alu instid0(VALU_DEP_1)
	s_mul_hi_u32 s26, s9, s8
	s_mul_i32 s16, s16, s8
	s_add_i32 s17, s26, s17
	s_mul_i32 s9, s9, s8
	s_add_i32 s17, s17, s16
	s_mul_hi_u32 s26, s7, s9
	s_mul_i32 s64, s7, s9
	s_mul_hi_u32 s9, s8, s9
	s_mul_hi_u32 s65, s8, s17
	s_mul_i32 s8, s8, s17
	s_mul_hi_u32 s16, s7, s17
	s_add_u32 s8, s9, s8
	s_addc_u32 s9, 0, s65
	s_add_u32 s8, s8, s64
	s_mul_i32 s17, s7, s17
	s_addc_u32 s8, s9, s26
	s_addc_u32 s9, s16, 0
	s_add_u32 s8, s8, s17
	s_addc_u32 s9, 0, s9
	v_add_co_u32 v2, s8, v2, s8
	s_delay_alu instid0(VALU_DEP_1) | instskip(SKIP_1) | instid1(VALU_DEP_1)
	s_cmp_lg_u32 s8, 0
	s_addc_u32 s7, s7, s9
	v_readfirstlane_b32 s8, v2
	s_mul_i32 s16, s88, s7
	s_mul_hi_u32 s9, s88, s7
	s_mul_hi_u32 s17, s27, s7
	s_mul_i32 s7, s27, s7
	s_mul_hi_u32 s26, s88, s8
	s_mul_hi_u32 s64, s27, s8
	s_mul_i32 s8, s27, s8
	s_add_u32 s16, s26, s16
	s_addc_u32 s9, 0, s9
	s_add_u32 s8, s16, s8
	s_addc_u32 s8, s9, s64
	s_addc_u32 s9, s17, 0
	s_add_u32 s7, s8, s7
	s_addc_u32 s8, 0, s9
	s_mul_hi_u32 s9, s35, s7
	s_mul_i32 s7, s35, s7
	s_mul_i32 s8, s35, s8
	v_sub_co_u32 v2, s7, s88, s7
	s_add_i32 s9, s9, s8
	s_cmp_lg_u32 s7, 0
	s_delay_alu instid0(VALU_DEP_1) | instskip(SKIP_2) | instid1(VALU_DEP_1)
	v_sub_co_u32 v3, s7, v2, s35
	s_subb_u32 s8, s27, s9
	s_cmp_lg_u32 s7, 0
	v_cmp_le_u32_e32 vcc_lo, s35, v3
	v_sub_co_u32 v6, s7, v3, s35
	s_subb_u32 s9, s8, 0
	s_cmp_lg_u32 s7, 0
	v_cndmask_b32_e64 v7, 0, -1, vcc_lo
	s_subb_u32 s7, s9, 0
	s_cmp_eq_u32 s9, 0
	v_mov_b32_e32 v9, s7
	s_cselect_b32 vcc_lo, -1, 0
	s_cmp_eq_u32 s8, 0
	v_cndmask_b32_e32 v7, -1, v7, vcc_lo
	v_cmp_le_u32_e32 vcc_lo, s35, v2
	s_cselect_b32 s7, -1, 0
	v_cndmask_b32_e64 v8, 0, -1, vcc_lo
	s_delay_alu instid0(VALU_DEP_3) | instskip(NEXT) | instid1(VALU_DEP_2)
	v_cmp_ne_u32_e32 vcc_lo, 0, v7
	v_cndmask_b32_e64 v7, -1, v8, s7
	v_cndmask_b32_e32 v8, s9, v9, vcc_lo
	v_cndmask_b32_e32 v6, v3, v6, vcc_lo
	s_delay_alu instid0(VALU_DEP_3) | instskip(NEXT) | instid1(VALU_DEP_3)
	v_cmp_ne_u32_e32 vcc_lo, 0, v7
	v_cndmask_b32_e32 v3, s8, v8, vcc_lo
	s_delay_alu instid0(VALU_DEP_3)
	v_cndmask_b32_e32 v2, v2, v6, vcc_lo
	s_cbranch_execnz .LBB150_357
.LBB150_356:                            ;   in Loop: Header=BB150_18 Depth=1
	v_cvt_f32_u32_e32 v2, s35
	s_sub_i32 s7, 0, s35
	s_delay_alu instid0(VALU_DEP_1) | instskip(SKIP_2) | instid1(VALU_DEP_1)
	v_rcp_iflag_f32_e32 v2, v2
	s_waitcnt_depctr 0xfff
	v_mul_f32_e32 v2, 0x4f7ffffe, v2
	v_cvt_u32_f32_e32 v2, v2
	s_delay_alu instid0(VALU_DEP_1) | instskip(NEXT) | instid1(VALU_DEP_1)
	v_mul_lo_u32 v3, s7, v2
	v_mul_hi_u32 v3, v2, v3
	s_delay_alu instid0(VALU_DEP_1) | instskip(NEXT) | instid1(VALU_DEP_1)
	v_add_nc_u32_e32 v2, v2, v3
	v_mul_hi_u32 v2, s88, v2
	s_delay_alu instid0(VALU_DEP_1) | instskip(NEXT) | instid1(VALU_DEP_1)
	v_mul_lo_u32 v2, v2, s35
	v_sub_nc_u32_e32 v2, s88, v2
	s_delay_alu instid0(VALU_DEP_1) | instskip(SKIP_1) | instid1(VALU_DEP_2)
	v_subrev_nc_u32_e32 v3, s35, v2
	v_cmp_le_u32_e32 vcc_lo, s35, v2
	v_cndmask_b32_e32 v2, v2, v3, vcc_lo
	s_delay_alu instid0(VALU_DEP_1) | instskip(SKIP_1) | instid1(VALU_DEP_2)
	v_subrev_nc_u32_e32 v3, s35, v2
	v_cmp_le_u32_e32 vcc_lo, s35, v2
	v_cndmask_b32_e32 v12, v2, v3, vcc_lo
	s_delay_alu instid0(VALU_DEP_1)
	v_dual_mov_b32 v2, v12 :: v_dual_mov_b32 v3, v13
.LBB150_357:                            ;   in Loop: Header=BB150_18 Depth=1
	s_delay_alu instid0(VALU_DEP_1) | instskip(NEXT) | instid1(VALU_DEP_2)
	v_sub_co_u32 v2, vcc_lo, s88, v2
	v_sub_co_ci_u32_e32 v3, vcc_lo, s27, v3, vcc_lo
	s_mov_b32 s26, 0
	s_mov_b32 s8, exec_lo
                                        ; implicit-def: $vgpr18
	s_delay_alu instid0(VALU_DEP_1)
	v_cmpx_gt_u64_e64 v[2:3], v[0:1]
	s_cbranch_execz .LBB150_366
; %bb.358:                              ;   in Loop: Header=BB150_18 Depth=1
	v_dual_mov_b32 v7, v1 :: v_dual_mov_b32 v6, v0
	s_mov_b32 s9, 0
                                        ; implicit-def: $sgpr16
	s_branch .LBB150_360
.LBB150_359:                            ;   in Loop: Header=BB150_360 Depth=2
	s_or_b32 exec_lo, exec_lo, s7
	s_waitcnt vmcnt(0) lgkmcnt(0)
	s_barrier
	buffer_gl0_inv
	ds_load_b64 v[17:18], v13 offset:3072
	v_add_co_u32 v6, vcc_lo, v6, s35
	v_add_co_ci_u32_e32 v7, vcc_lo, 0, v7, vcc_lo
	s_waitcnt lgkmcnt(0)
	s_barrier
	buffer_gl0_inv
	v_cmp_ge_u64_e32 vcc_lo, v[6:7], v[2:3]
	v_readfirstlane_b32 s7, v17
	s_delay_alu instid0(VALU_DEP_1) | instskip(SKIP_1) | instid1(SALU_CYCLE_1)
	s_cmp_lg_u32 s7, 0
	s_cselect_b32 s7, -1, 0
	s_or_b32 s17, vcc_lo, s7
	s_delay_alu instid0(SALU_CYCLE_1) | instskip(NEXT) | instid1(SALU_CYCLE_1)
	s_and_b32 s17, exec_lo, s17
	s_or_b32 s9, s17, s9
	s_and_not1_b32 s16, s16, exec_lo
	s_and_b32 s7, s7, exec_lo
	s_delay_alu instid0(SALU_CYCLE_1)
	s_or_b32 s16, s16, s7
	s_and_not1_b32 exec_lo, exec_lo, s9
	s_cbranch_execz .LBB150_365
.LBB150_360:                            ;   Parent Loop BB150_18 Depth=1
                                        ; =>  This Inner Loop Header: Depth=2
	s_delay_alu instid0(VALU_DEP_1)
	v_cmp_gt_u64_e32 vcc_lo, s[36:37], v[6:7]
	v_mov_b32_e32 v17, 0
	s_and_saveexec_b32 s17, vcc_lo
	s_cbranch_execz .LBB150_362
; %bb.361:                              ;   in Loop: Header=BB150_360 Depth=2
	v_mul_lo_u32 v12, v7, s30
	v_mul_lo_u32 v17, v6, s31
	v_mad_u64_u32 v[8:9], null, v6, s30, 0
	s_delay_alu instid0(VALU_DEP_1) | instskip(NEXT) | instid1(VALU_DEP_1)
	v_add3_u32 v9, v9, v17, v12
	v_lshlrev_b64 v[8:9], 2, v[8:9]
	s_delay_alu instid0(VALU_DEP_1) | instskip(NEXT) | instid1(VALU_DEP_1)
	v_add_co_u32 v8, s7, s29, v8
	v_add_co_ci_u32_e64 v9, s7, s33, v9, s7
	global_load_b32 v17, v[8:9], off
.LBB150_362:                            ;   in Loop: Header=BB150_360 Depth=2
	s_or_b32 exec_lo, exec_lo, s17
	s_and_saveexec_b32 s7, vcc_lo
	s_cbranch_execz .LBB150_359
; %bb.363:                              ;   in Loop: Header=BB150_360 Depth=2
	s_waitcnt vmcnt(0)
	v_xor_b32_e32 v8, 0x80000000, v17
	s_delay_alu instid0(VALU_DEP_1) | instskip(NEXT) | instid1(VALU_DEP_1)
	v_and_b32_e32 v8, v8, v31
	v_cmp_eq_u32_e32 vcc_lo, v8, v32
	s_and_b32 exec_lo, exec_lo, vcc_lo
	s_cbranch_execz .LBB150_359
; %bb.364:                              ;   in Loop: Header=BB150_360 Depth=2
	ds_store_b64 v13, v[16:17] offset:3072
	s_branch .LBB150_359
.LBB150_365:                            ;   in Loop: Header=BB150_18 Depth=1
	s_or_b32 exec_lo, exec_lo, s9
	s_delay_alu instid0(SALU_CYCLE_1)
	s_and_b32 s26, s16, exec_lo
.LBB150_366:                            ;   in Loop: Header=BB150_18 Depth=1
	s_or_b32 exec_lo, exec_lo, s8
	s_mov_b32 s17, 0
	s_mov_b32 s16, -1
	s_mov_b32 s75, 0
.LBB150_367:                            ;   in Loop: Header=BB150_18 Depth=1
	s_or_not1_b32 s7, s26, exec_lo
.LBB150_368:                            ;   in Loop: Header=BB150_18 Depth=1
	s_or_b32 exec_lo, exec_lo, s59
	s_mov_b32 s26, 0
                                        ; implicit-def: $vgpr8
	s_and_saveexec_b32 s76, s7
	s_cbranch_execz .LBB150_481
; %bb.369:                              ;   in Loop: Header=BB150_18 Depth=1
	v_mov_b32_e32 v2, 1
	v_dual_mov_b32 v3, 0 :: v_dual_mov_b32 v8, 1
	s_xor_b32 s8, s58, -1
	s_delay_alu instid0(SALU_CYCLE_1)
	s_and_saveexec_b32 s7, s8
	s_cbranch_execz .LBB150_379
; %bb.370:                              ;   in Loop: Header=BB150_18 Depth=1
	s_mov_b32 s9, exec_lo
                                        ; implicit-def: $sgpr26
                                        ; implicit-def: $sgpr8
	v_cmpx_ge_u64_e64 s[14:15], v[4:5]
	s_xor_b32 s9, exec_lo, s9
	s_cbranch_execz .LBB150_376
; %bb.371:                              ;   in Loop: Header=BB150_18 Depth=1
	ds_load_b64 v[2:3], v13 offset:5120
	s_waitcnt lgkmcnt(0)
	v_cmp_ne_u64_e32 vcc_lo, 0, v[2:3]
	s_cbranch_vccnz .LBB150_375
; %bb.372:                              ;   in Loop: Header=BB150_18 Depth=1
	s_and_saveexec_b32 s8, s5
	s_cbranch_execz .LBB150_374
; %bb.373:                              ;   in Loop: Header=BB150_18 Depth=1
	v_dual_mov_b32 v2, s14 :: v_dual_mov_b32 v3, s15
	ds_store_b64 v13, v[2:3] offset:5128
.LBB150_374:                            ;   in Loop: Header=BB150_18 Depth=1
	s_or_b32 exec_lo, exec_lo, s8
	s_waitcnt lgkmcnt(0)
	s_barrier
	buffer_gl0_inv
.LBB150_375:                            ;   in Loop: Header=BB150_18 Depth=1
	s_lshl_b32 s8, 2, s22
	v_or_b32_e32 v31, s20, v31
	v_and_or_b32 v32, v32, s21, s8
	s_mov_b32 s8, 0
	s_mov_b32 s26, 5
.LBB150_376:                            ;   in Loop: Header=BB150_18 Depth=1
	s_or_saveexec_b32 s9, s9
	v_mov_b32_e32 v8, s26
	s_xor_b32 exec_lo, exec_lo, s9
; %bb.377:                              ;   in Loop: Header=BB150_18 Depth=1
	v_sub_co_u32 v4, vcc_lo, v4, s14
	v_subrev_co_ci_u32_e32 v5, vcc_lo, s15, v5, vcc_lo
	v_mov_b32_e32 v8, 0
	s_or_b32 s8, s8, exec_lo
; %bb.378:                              ;   in Loop: Header=BB150_18 Depth=1
	s_or_b32 exec_lo, exec_lo, s9
	s_delay_alu instid0(VALU_DEP_2)
	v_dual_mov_b32 v2, v4 :: v_dual_mov_b32 v3, v5
	s_and_b32 s26, s8, exec_lo
.LBB150_379:                            ;   in Loop: Header=BB150_18 Depth=1
	s_or_b32 exec_lo, exec_lo, s7
	s_mov_b32 s7, -1
                                        ; implicit-def: $sgpr8
                                        ; implicit-def: $sgpr9
                                        ; implicit-def: $sgpr14
	s_and_saveexec_b32 s77, s26
	s_cbranch_execz .LBB150_480
; %bb.380:                              ;   in Loop: Header=BB150_18 Depth=1
	v_cmp_eq_u64_e32 vcc_lo, 1, v[2:3]
	s_cmp_eq_u64 s[12:13], 1
                                        ; implicit-def: $sgpr14
                                        ; implicit-def: $sgpr15
                                        ; implicit-def: $sgpr78
	s_cselect_b32 s7, -1, 0
	s_delay_alu instid0(SALU_CYCLE_1)
	s_and_b32 s68, s7, vcc_lo
	s_mov_b32 s7, -1
	s_and_saveexec_b32 s58, s68
	s_cbranch_execz .LBB150_414
; %bb.381:                              ;   in Loop: Header=BB150_18 Depth=1
	ds_load_b64 v[4:5], v13 offset:5120
	s_waitcnt lgkmcnt(0)
	s_barrier
	buffer_gl0_inv
	v_readfirstlane_b32 s8, v4
	v_readfirstlane_b32 s9, v5
	s_and_saveexec_b32 s7, s6
	s_cbranch_execz .LBB150_383
; %bb.382:                              ;   in Loop: Header=BB150_18 Depth=1
	ds_store_b32 v28, v13
.LBB150_383:                            ;   in Loop: Header=BB150_18 Depth=1
	s_or_b32 exec_lo, exec_lo, s7
	s_lshl_b32 s7, 1, s22
	v_or_b32_e32 v31, s20, v31
	v_and_or_b32 v32, v32, s21, s7
	s_cmp_eq_u64 s[8:9], 0
	s_waitcnt lgkmcnt(0)
	s_barrier
	buffer_gl0_inv
	s_cbranch_scc1 .LBB150_397
; %bb.384:                              ;   in Loop: Header=BB150_18 Depth=1
	s_add_u32 s26, s86, s8
	s_addc_u32 s15, s87, s9
	s_mov_b32 s14, s71
	s_delay_alu instid0(SALU_CYCLE_1)
	s_cmp_lg_u64 s[14:15], 0
	s_cbranch_scc0 .LBB150_432
; %bb.385:                              ;   in Loop: Header=BB150_18 Depth=1
	v_cvt_f32_u32_e32 v4, s35
	s_sub_u32 s59, 0, s35
	s_subb_u32 s64, 0, 0
	s_delay_alu instid0(VALU_DEP_1) | instskip(NEXT) | instid1(VALU_DEP_1)
	v_fmac_f32_e64 v4, 0, 0x4f800000
	v_rcp_f32_e32 v4, v4
	s_waitcnt_depctr 0xfff
	v_mul_f32_e32 v4, 0x5f7ffffc, v4
	s_delay_alu instid0(VALU_DEP_1) | instskip(NEXT) | instid1(VALU_DEP_1)
	v_mul_f32_e32 v5, 0x2f800000, v4
	v_trunc_f32_e32 v5, v5
	s_delay_alu instid0(VALU_DEP_1) | instskip(SKIP_1) | instid1(VALU_DEP_2)
	v_fmac_f32_e32 v4, 0xcf800000, v5
	v_cvt_u32_f32_e32 v5, v5
	v_cvt_u32_f32_e32 v4, v4
	s_delay_alu instid0(VALU_DEP_2) | instskip(NEXT) | instid1(VALU_DEP_2)
	v_readfirstlane_b32 s7, v5
	v_readfirstlane_b32 s14, v4
	s_delay_alu instid0(VALU_DEP_2) | instskip(NEXT) | instid1(VALU_DEP_1)
	s_mul_i32 s65, s59, s7
	s_mul_hi_u32 s78, s59, s14
	s_mul_i32 s69, s64, s14
	s_add_i32 s65, s78, s65
	s_mul_i32 s79, s59, s14
	s_add_i32 s65, s65, s69
	s_mul_hi_u32 s78, s14, s79
	s_mul_hi_u32 s80, s7, s79
	s_mul_i32 s69, s7, s79
	s_mul_hi_u32 s79, s14, s65
	s_mul_i32 s14, s14, s65
	s_mul_hi_u32 s81, s7, s65
	s_add_u32 s14, s78, s14
	s_addc_u32 s78, 0, s79
	s_add_u32 s14, s14, s69
	s_mul_i32 s65, s7, s65
	s_addc_u32 s14, s78, s80
	s_addc_u32 s69, s81, 0
	s_add_u32 s14, s14, s65
	s_addc_u32 s65, 0, s69
	v_add_co_u32 v4, s14, v4, s14
	s_delay_alu instid0(VALU_DEP_1) | instskip(SKIP_1) | instid1(VALU_DEP_1)
	s_cmp_lg_u32 s14, 0
	s_addc_u32 s7, s7, s65
	v_readfirstlane_b32 s14, v4
	s_mul_i32 s65, s59, s7
	s_delay_alu instid0(VALU_DEP_1)
	s_mul_hi_u32 s69, s59, s14
	s_mul_i32 s64, s64, s14
	s_add_i32 s65, s69, s65
	s_mul_i32 s59, s59, s14
	s_add_i32 s65, s65, s64
	s_mul_hi_u32 s69, s7, s59
	s_mul_i32 s78, s7, s59
	s_mul_hi_u32 s59, s14, s59
	s_mul_hi_u32 s79, s14, s65
	s_mul_i32 s14, s14, s65
	s_mul_hi_u32 s64, s7, s65
	s_add_u32 s14, s59, s14
	s_addc_u32 s59, 0, s79
	s_add_u32 s14, s14, s78
	s_mul_i32 s65, s7, s65
	s_addc_u32 s14, s59, s69
	s_addc_u32 s59, s64, 0
	s_add_u32 s14, s14, s65
	s_addc_u32 s59, 0, s59
	v_add_co_u32 v4, s14, v4, s14
	s_delay_alu instid0(VALU_DEP_1) | instskip(SKIP_1) | instid1(VALU_DEP_1)
	s_cmp_lg_u32 s14, 0
	s_addc_u32 s7, s7, s59
	v_readfirstlane_b32 s14, v4
	s_mul_i32 s64, s26, s7
	s_mul_hi_u32 s59, s26, s7
	s_mul_hi_u32 s65, s15, s7
	s_mul_i32 s7, s15, s7
	s_mul_hi_u32 s69, s26, s14
	s_mul_hi_u32 s78, s15, s14
	s_mul_i32 s14, s15, s14
	s_add_u32 s64, s69, s64
	s_addc_u32 s59, 0, s59
	s_add_u32 s14, s64, s14
	s_addc_u32 s14, s59, s78
	s_addc_u32 s59, s65, 0
	s_add_u32 s7, s14, s7
	s_addc_u32 s14, 0, s59
	s_mul_hi_u32 s59, s35, s7
	s_mul_i32 s7, s35, s7
	s_mul_i32 s14, s35, s14
	v_sub_co_u32 v4, s7, s26, s7
	s_add_i32 s59, s59, s14
	s_cmp_lg_u32 s7, 0
	s_delay_alu instid0(VALU_DEP_1) | instskip(SKIP_3) | instid1(VALU_DEP_2)
	v_sub_co_u32 v5, s7, v4, s35
	s_subb_u32 s14, s15, s59
	s_cmp_lg_u32 s7, 0
	v_cmp_le_u32_e32 vcc_lo, s35, v4
	v_cmp_le_u32_e64 s7, s35, v5
	v_sub_co_u32 v6, s59, v5, s35
	s_subb_u32 s64, s14, 0
	s_cmp_lg_u32 s59, 0
	s_delay_alu instid0(VALU_DEP_2)
	v_cndmask_b32_e64 v7, 0, -1, s7
	s_subb_u32 s59, s64, 0
	s_cmp_eq_u32 s64, 0
	v_mov_b32_e32 v9, s59
	v_cndmask_b32_e64 v8, 0, -1, vcc_lo
	s_cselect_b32 vcc_lo, -1, 0
	s_cmp_eq_u32 s14, 0
	v_cndmask_b32_e32 v7, -1, v7, vcc_lo
	s_cselect_b32 vcc_lo, -1, 0
	v_cndmask_b32_e32 v8, -1, v8, vcc_lo
	s_delay_alu instid0(VALU_DEP_2) | instskip(NEXT) | instid1(VALU_DEP_2)
	v_cmp_ne_u32_e32 vcc_lo, 0, v7
	v_cmp_ne_u32_e64 s7, 0, v8
	v_cndmask_b32_e32 v7, s64, v9, vcc_lo
	v_cndmask_b32_e32 v6, v5, v6, vcc_lo
	s_delay_alu instid0(VALU_DEP_2) | instskip(NEXT) | instid1(VALU_DEP_2)
	v_cndmask_b32_e64 v5, s14, v7, s7
	v_cndmask_b32_e64 v4, v4, v6, s7
	s_cbranch_execnz .LBB150_387
.LBB150_386:                            ;   in Loop: Header=BB150_18 Depth=1
	v_cvt_f32_u32_e32 v4, s35
	s_sub_i32 s7, 0, s35
	s_delay_alu instid0(VALU_DEP_1) | instskip(SKIP_2) | instid1(VALU_DEP_1)
	v_rcp_iflag_f32_e32 v4, v4
	s_waitcnt_depctr 0xfff
	v_mul_f32_e32 v4, 0x4f7ffffe, v4
	v_cvt_u32_f32_e32 v4, v4
	s_delay_alu instid0(VALU_DEP_1) | instskip(NEXT) | instid1(VALU_DEP_1)
	v_mul_lo_u32 v5, s7, v4
	v_mul_hi_u32 v5, v4, v5
	s_delay_alu instid0(VALU_DEP_1) | instskip(NEXT) | instid1(VALU_DEP_1)
	v_add_nc_u32_e32 v4, v4, v5
	v_mul_hi_u32 v4, s26, v4
	s_delay_alu instid0(VALU_DEP_1) | instskip(NEXT) | instid1(VALU_DEP_1)
	v_mul_lo_u32 v4, v4, s35
	v_sub_nc_u32_e32 v4, s26, v4
	s_delay_alu instid0(VALU_DEP_1) | instskip(SKIP_1) | instid1(VALU_DEP_2)
	v_subrev_nc_u32_e32 v5, s35, v4
	v_cmp_le_u32_e32 vcc_lo, s35, v4
	v_cndmask_b32_e32 v4, v4, v5, vcc_lo
	s_delay_alu instid0(VALU_DEP_1) | instskip(SKIP_1) | instid1(VALU_DEP_2)
	v_subrev_nc_u32_e32 v5, s35, v4
	v_cmp_le_u32_e32 vcc_lo, s35, v4
	v_cndmask_b32_e32 v12, v4, v5, vcc_lo
	s_delay_alu instid0(VALU_DEP_1)
	v_dual_mov_b32 v4, v12 :: v_dual_mov_b32 v5, v13
.LBB150_387:                            ;   in Loop: Header=BB150_18 Depth=1
	s_delay_alu instid0(VALU_DEP_1) | instskip(NEXT) | instid1(VALU_DEP_2)
	v_sub_co_u32 v4, vcc_lo, s26, v4
	v_sub_co_ci_u32_e32 v5, vcc_lo, s15, v5, vcc_lo
	s_mov_b32 s26, 0
	s_mov_b32 s7, exec_lo
                                        ; implicit-def: $vgpr18
	s_delay_alu instid0(VALU_DEP_1)
	v_cmpx_gt_u64_e64 v[4:5], v[0:1]
	s_cbranch_execz .LBB150_399
; %bb.388:                              ;   in Loop: Header=BB150_18 Depth=1
	v_dual_mov_b32 v8, v14 :: v_dual_mov_b32 v7, v1
	v_mov_b32_e32 v6, v0
	s_mov_b32 s14, 0
                                        ; implicit-def: $sgpr15
	s_set_inst_prefetch_distance 0x1
	s_branch .LBB150_390
	.p2align	6
.LBB150_389:                            ;   in Loop: Header=BB150_390 Depth=2
	s_or_b32 exec_lo, exec_lo, s26
	s_waitcnt lgkmcnt(0)
	s_barrier
	buffer_gl0_inv
	ds_load_b64 v[17:18], v13 offset:3072
	v_add_co_u32 v6, vcc_lo, v6, s35
	v_add_co_ci_u32_e32 v7, vcc_lo, 0, v7, vcc_lo
	v_add_nc_u32_e32 v8, s94, v8
	s_waitcnt lgkmcnt(0)
	s_barrier
	s_delay_alu instid0(VALU_DEP_2) | instskip(SKIP_2) | instid1(VALU_DEP_1)
	v_cmp_ge_u64_e32 vcc_lo, v[6:7], v[4:5]
	buffer_gl0_inv
	v_readfirstlane_b32 s26, v17
	s_cmp_lg_u32 s26, 0
	s_cselect_b32 s26, -1, 0
	s_delay_alu instid0(SALU_CYCLE_1) | instskip(NEXT) | instid1(SALU_CYCLE_1)
	s_or_b32 s59, vcc_lo, s26
	s_and_b32 s59, exec_lo, s59
	s_delay_alu instid0(SALU_CYCLE_1) | instskip(SKIP_2) | instid1(SALU_CYCLE_1)
	s_or_b32 s14, s59, s14
	s_and_not1_b32 s15, s15, exec_lo
	s_and_b32 s26, s26, exec_lo
	s_or_b32 s15, s15, s26
	s_and_not1_b32 exec_lo, exec_lo, s14
	s_cbranch_execz .LBB150_398
.LBB150_390:                            ;   Parent Loop BB150_18 Depth=1
                                        ; =>  This Inner Loop Header: Depth=2
	s_delay_alu instid0(VALU_DEP_1)
	v_cmp_gt_u64_e32 vcc_lo, s[8:9], v[6:7]
	v_mov_b32_e32 v17, 0
	s_and_saveexec_b32 s26, vcc_lo
	s_cbranch_execz .LBB150_392
; %bb.391:                              ;   in Loop: Header=BB150_390 Depth=2
	ds_load_b32 v17, v8
.LBB150_392:                            ;   in Loop: Header=BB150_390 Depth=2
	s_or_b32 exec_lo, exec_lo, s26
	s_and_saveexec_b32 s26, vcc_lo
	s_cbranch_execz .LBB150_389
; %bb.393:                              ;   in Loop: Header=BB150_390 Depth=2
	s_waitcnt lgkmcnt(0)
	v_xor_b32_e32 v9, 0x80000000, v17
	s_delay_alu instid0(VALU_DEP_1) | instskip(NEXT) | instid1(VALU_DEP_1)
	v_and_b32_e32 v9, v9, v31
	v_cmp_eq_u32_e32 vcc_lo, v9, v32
	s_and_b32 exec_lo, exec_lo, vcc_lo
	s_cbranch_execz .LBB150_389
; %bb.394:                              ;   in Loop: Header=BB150_390 Depth=2
	ds_store_b64 v13, v[16:17] offset:3072
	s_branch .LBB150_389
.LBB150_395:                            ;   in Loop: Header=BB150_18 Depth=1
                                        ; implicit-def: $vgpr2_vgpr3
	s_branch .LBB150_340
.LBB150_396:                            ;   in Loop: Header=BB150_18 Depth=1
                                        ; implicit-def: $vgpr2_vgpr3
	s_branch .LBB150_356
.LBB150_397:                            ;   in Loop: Header=BB150_18 Depth=1
	s_mov_b32 s14, -1
	s_mov_b32 s26, 0
                                        ; implicit-def: $sgpr15
                                        ; implicit-def: $vgpr18
	s_mov_b32 s78, s14
	s_cbranch_execnz .LBB150_400
	s_branch .LBB150_413
.LBB150_398:                            ;   in Loop: Header=BB150_18 Depth=1
	s_set_inst_prefetch_distance 0x2
	s_or_b32 exec_lo, exec_lo, s14
	s_delay_alu instid0(SALU_CYCLE_1)
	s_and_b32 s26, s15, exec_lo
.LBB150_399:                            ;   in Loop: Header=BB150_18 Depth=1
	s_or_b32 exec_lo, exec_lo, s7
	s_mov_b32 s14, 0
	s_mov_b32 s15, -1
	s_mov_b32 s78, s14
	s_branch .LBB150_413
.LBB150_400:                            ;   in Loop: Header=BB150_18 Depth=1
	s_mov_b32 s26, s71
	s_delay_alu instid0(SALU_CYCLE_1)
	s_cmp_lg_u64 s[26:27], 0
	s_cbranch_scc0 .LBB150_433
; %bb.401:                              ;   in Loop: Header=BB150_18 Depth=1
	v_cvt_f32_u32_e32 v4, s35
	s_sub_u32 s9, 0, s35
	s_subb_u32 s14, 0, 0
	s_delay_alu instid0(VALU_DEP_1) | instskip(NEXT) | instid1(VALU_DEP_1)
	v_fmac_f32_e64 v4, 0, 0x4f800000
	v_rcp_f32_e32 v4, v4
	s_waitcnt_depctr 0xfff
	v_mul_f32_e32 v4, 0x5f7ffffc, v4
	s_delay_alu instid0(VALU_DEP_1) | instskip(NEXT) | instid1(VALU_DEP_1)
	v_mul_f32_e32 v5, 0x2f800000, v4
	v_trunc_f32_e32 v5, v5
	s_delay_alu instid0(VALU_DEP_1) | instskip(SKIP_1) | instid1(VALU_DEP_2)
	v_fmac_f32_e32 v4, 0xcf800000, v5
	v_cvt_u32_f32_e32 v5, v5
	v_cvt_u32_f32_e32 v4, v4
	s_delay_alu instid0(VALU_DEP_2) | instskip(NEXT) | instid1(VALU_DEP_2)
	v_readfirstlane_b32 s7, v5
	v_readfirstlane_b32 s8, v4
	s_delay_alu instid0(VALU_DEP_2) | instskip(NEXT) | instid1(VALU_DEP_1)
	s_mul_i32 s15, s9, s7
	s_mul_hi_u32 s59, s9, s8
	s_mul_i32 s26, s14, s8
	s_add_i32 s15, s59, s15
	s_mul_i32 s64, s9, s8
	s_add_i32 s15, s15, s26
	s_mul_hi_u32 s59, s8, s64
	s_mul_hi_u32 s65, s7, s64
	s_mul_i32 s26, s7, s64
	s_mul_hi_u32 s64, s8, s15
	s_mul_i32 s8, s8, s15
	s_mul_hi_u32 s69, s7, s15
	s_add_u32 s8, s59, s8
	s_addc_u32 s59, 0, s64
	s_add_u32 s8, s8, s26
	s_mul_i32 s15, s7, s15
	s_addc_u32 s8, s59, s65
	s_addc_u32 s26, s69, 0
	s_add_u32 s8, s8, s15
	s_addc_u32 s15, 0, s26
	v_add_co_u32 v4, s8, v4, s8
	s_delay_alu instid0(VALU_DEP_1) | instskip(SKIP_1) | instid1(VALU_DEP_1)
	s_cmp_lg_u32 s8, 0
	s_addc_u32 s7, s7, s15
	v_readfirstlane_b32 s8, v4
	s_mul_i32 s15, s9, s7
	s_delay_alu instid0(VALU_DEP_1)
	s_mul_hi_u32 s26, s9, s8
	s_mul_i32 s14, s14, s8
	s_add_i32 s15, s26, s15
	s_mul_i32 s9, s9, s8
	s_add_i32 s15, s15, s14
	s_mul_hi_u32 s26, s7, s9
	s_mul_i32 s59, s7, s9
	s_mul_hi_u32 s9, s8, s9
	s_mul_hi_u32 s64, s8, s15
	s_mul_i32 s8, s8, s15
	s_mul_hi_u32 s14, s7, s15
	s_add_u32 s8, s9, s8
	s_addc_u32 s9, 0, s64
	s_add_u32 s8, s8, s59
	s_mul_i32 s15, s7, s15
	s_addc_u32 s8, s9, s26
	s_addc_u32 s9, s14, 0
	s_add_u32 s8, s8, s15
	s_addc_u32 s9, 0, s9
	v_add_co_u32 v4, s8, v4, s8
	s_delay_alu instid0(VALU_DEP_1) | instskip(SKIP_1) | instid1(VALU_DEP_1)
	s_cmp_lg_u32 s8, 0
	s_addc_u32 s7, s7, s9
	v_readfirstlane_b32 s8, v4
	s_mul_i32 s14, s88, s7
	s_mul_hi_u32 s9, s88, s7
	s_mul_hi_u32 s15, s27, s7
	s_mul_i32 s7, s27, s7
	s_mul_hi_u32 s26, s88, s8
	s_mul_hi_u32 s59, s27, s8
	s_mul_i32 s8, s27, s8
	s_add_u32 s14, s26, s14
	s_addc_u32 s9, 0, s9
	s_add_u32 s8, s14, s8
	s_addc_u32 s8, s9, s59
	s_addc_u32 s9, s15, 0
	s_add_u32 s7, s8, s7
	s_addc_u32 s8, 0, s9
	s_mul_hi_u32 s9, s35, s7
	s_mul_i32 s7, s35, s7
	s_mul_i32 s8, s35, s8
	v_sub_co_u32 v4, s7, s88, s7
	s_add_i32 s9, s9, s8
	s_cmp_lg_u32 s7, 0
	s_delay_alu instid0(VALU_DEP_1) | instskip(SKIP_3) | instid1(VALU_DEP_2)
	v_sub_co_u32 v5, s7, v4, s35
	s_subb_u32 s8, s27, s9
	s_cmp_lg_u32 s7, 0
	v_cmp_le_u32_e32 vcc_lo, s35, v4
	v_cmp_le_u32_e64 s7, s35, v5
	v_sub_co_u32 v6, s9, v5, s35
	s_subb_u32 s14, s8, 0
	s_cmp_lg_u32 s9, 0
	s_delay_alu instid0(VALU_DEP_2)
	v_cndmask_b32_e64 v7, 0, -1, s7
	s_subb_u32 s9, s14, 0
	s_cmp_eq_u32 s14, 0
	v_mov_b32_e32 v9, s9
	v_cndmask_b32_e64 v8, 0, -1, vcc_lo
	s_cselect_b32 vcc_lo, -1, 0
	s_cmp_eq_u32 s8, 0
	v_cndmask_b32_e32 v7, -1, v7, vcc_lo
	s_cselect_b32 vcc_lo, -1, 0
	v_cndmask_b32_e32 v8, -1, v8, vcc_lo
	s_delay_alu instid0(VALU_DEP_2) | instskip(NEXT) | instid1(VALU_DEP_2)
	v_cmp_ne_u32_e32 vcc_lo, 0, v7
	v_cmp_ne_u32_e64 s7, 0, v8
	v_cndmask_b32_e32 v7, s14, v9, vcc_lo
	v_cndmask_b32_e32 v6, v5, v6, vcc_lo
	s_delay_alu instid0(VALU_DEP_2) | instskip(NEXT) | instid1(VALU_DEP_2)
	v_cndmask_b32_e64 v5, s8, v7, s7
	v_cndmask_b32_e64 v4, v4, v6, s7
	s_cbranch_execnz .LBB150_403
.LBB150_402:                            ;   in Loop: Header=BB150_18 Depth=1
	v_cvt_f32_u32_e32 v4, s35
	s_sub_i32 s7, 0, s35
	s_delay_alu instid0(VALU_DEP_1) | instskip(SKIP_2) | instid1(VALU_DEP_1)
	v_rcp_iflag_f32_e32 v4, v4
	s_waitcnt_depctr 0xfff
	v_mul_f32_e32 v4, 0x4f7ffffe, v4
	v_cvt_u32_f32_e32 v4, v4
	s_delay_alu instid0(VALU_DEP_1) | instskip(NEXT) | instid1(VALU_DEP_1)
	v_mul_lo_u32 v5, s7, v4
	v_mul_hi_u32 v5, v4, v5
	s_delay_alu instid0(VALU_DEP_1) | instskip(NEXT) | instid1(VALU_DEP_1)
	v_add_nc_u32_e32 v4, v4, v5
	v_mul_hi_u32 v4, s88, v4
	s_delay_alu instid0(VALU_DEP_1) | instskip(NEXT) | instid1(VALU_DEP_1)
	v_mul_lo_u32 v4, v4, s35
	v_sub_nc_u32_e32 v4, s88, v4
	s_delay_alu instid0(VALU_DEP_1) | instskip(SKIP_1) | instid1(VALU_DEP_2)
	v_subrev_nc_u32_e32 v5, s35, v4
	v_cmp_le_u32_e32 vcc_lo, s35, v4
	v_cndmask_b32_e32 v4, v4, v5, vcc_lo
	s_delay_alu instid0(VALU_DEP_1) | instskip(SKIP_1) | instid1(VALU_DEP_2)
	v_subrev_nc_u32_e32 v5, s35, v4
	v_cmp_le_u32_e32 vcc_lo, s35, v4
	v_cndmask_b32_e32 v12, v4, v5, vcc_lo
	s_delay_alu instid0(VALU_DEP_1)
	v_dual_mov_b32 v4, v12 :: v_dual_mov_b32 v5, v13
.LBB150_403:                            ;   in Loop: Header=BB150_18 Depth=1
	s_delay_alu instid0(VALU_DEP_1) | instskip(NEXT) | instid1(VALU_DEP_2)
	v_sub_co_u32 v4, vcc_lo, s88, v4
	v_sub_co_ci_u32_e32 v5, vcc_lo, s27, v5, vcc_lo
	s_mov_b32 s26, 0
	s_mov_b32 s8, exec_lo
                                        ; implicit-def: $vgpr18
	s_delay_alu instid0(VALU_DEP_1)
	v_cmpx_gt_u64_e64 v[4:5], v[0:1]
	s_cbranch_execz .LBB150_412
; %bb.404:                              ;   in Loop: Header=BB150_18 Depth=1
	v_dual_mov_b32 v7, v1 :: v_dual_mov_b32 v6, v0
	s_mov_b32 s9, 0
                                        ; implicit-def: $sgpr14
	s_branch .LBB150_406
.LBB150_405:                            ;   in Loop: Header=BB150_406 Depth=2
	s_or_b32 exec_lo, exec_lo, s7
	s_waitcnt vmcnt(0) lgkmcnt(0)
	s_barrier
	buffer_gl0_inv
	ds_load_b64 v[17:18], v13 offset:3072
	v_add_co_u32 v6, vcc_lo, v6, s35
	v_add_co_ci_u32_e32 v7, vcc_lo, 0, v7, vcc_lo
	s_waitcnt lgkmcnt(0)
	s_barrier
	buffer_gl0_inv
	v_cmp_ge_u64_e32 vcc_lo, v[6:7], v[4:5]
	v_readfirstlane_b32 s7, v17
	s_delay_alu instid0(VALU_DEP_1) | instskip(SKIP_1) | instid1(SALU_CYCLE_1)
	s_cmp_lg_u32 s7, 0
	s_cselect_b32 s7, -1, 0
	s_or_b32 s15, vcc_lo, s7
	s_delay_alu instid0(SALU_CYCLE_1) | instskip(NEXT) | instid1(SALU_CYCLE_1)
	s_and_b32 s15, exec_lo, s15
	s_or_b32 s9, s15, s9
	s_and_not1_b32 s14, s14, exec_lo
	s_and_b32 s7, s7, exec_lo
	s_delay_alu instid0(SALU_CYCLE_1)
	s_or_b32 s14, s14, s7
	s_and_not1_b32 exec_lo, exec_lo, s9
	s_cbranch_execz .LBB150_411
.LBB150_406:                            ;   Parent Loop BB150_18 Depth=1
                                        ; =>  This Inner Loop Header: Depth=2
	s_delay_alu instid0(VALU_DEP_1)
	v_cmp_gt_u64_e32 vcc_lo, s[36:37], v[6:7]
	v_mov_b32_e32 v17, 0
	s_and_saveexec_b32 s15, vcc_lo
	s_cbranch_execz .LBB150_408
; %bb.407:                              ;   in Loop: Header=BB150_406 Depth=2
	v_mul_lo_u32 v12, v7, s30
	v_mul_lo_u32 v17, v6, s31
	v_mad_u64_u32 v[8:9], null, v6, s30, 0
	s_delay_alu instid0(VALU_DEP_1) | instskip(NEXT) | instid1(VALU_DEP_1)
	v_add3_u32 v9, v9, v17, v12
	v_lshlrev_b64 v[8:9], 2, v[8:9]
	s_delay_alu instid0(VALU_DEP_1) | instskip(NEXT) | instid1(VALU_DEP_1)
	v_add_co_u32 v8, s7, s29, v8
	v_add_co_ci_u32_e64 v9, s7, s33, v9, s7
	global_load_b32 v17, v[8:9], off
.LBB150_408:                            ;   in Loop: Header=BB150_406 Depth=2
	s_or_b32 exec_lo, exec_lo, s15
	s_and_saveexec_b32 s7, vcc_lo
	s_cbranch_execz .LBB150_405
; %bb.409:                              ;   in Loop: Header=BB150_406 Depth=2
	s_waitcnt vmcnt(0)
	v_xor_b32_e32 v8, 0x80000000, v17
	s_delay_alu instid0(VALU_DEP_1) | instskip(NEXT) | instid1(VALU_DEP_1)
	v_and_b32_e32 v8, v8, v31
	v_cmp_eq_u32_e32 vcc_lo, v8, v32
	s_and_b32 exec_lo, exec_lo, vcc_lo
	s_cbranch_execz .LBB150_405
; %bb.410:                              ;   in Loop: Header=BB150_406 Depth=2
	ds_store_b64 v13, v[16:17] offset:3072
	s_branch .LBB150_405
.LBB150_411:                            ;   in Loop: Header=BB150_18 Depth=1
	s_or_b32 exec_lo, exec_lo, s9
	s_delay_alu instid0(SALU_CYCLE_1)
	s_and_b32 s26, s14, exec_lo
.LBB150_412:                            ;   in Loop: Header=BB150_18 Depth=1
	s_or_b32 exec_lo, exec_lo, s8
	s_mov_b32 s15, 0
	s_mov_b32 s14, -1
	s_mov_b32 s78, 0
.LBB150_413:                            ;   in Loop: Header=BB150_18 Depth=1
	s_or_not1_b32 s7, s26, exec_lo
.LBB150_414:                            ;   in Loop: Header=BB150_18 Depth=1
	s_or_b32 exec_lo, exec_lo, s58
	s_mov_b32 s26, 0
                                        ; implicit-def: $vgpr8
	s_and_saveexec_b32 s79, s7
	s_cbranch_execz .LBB150_479
; %bb.415:                              ;   in Loop: Header=BB150_18 Depth=1
	v_mov_b32_e32 v4, 1
	v_dual_mov_b32 v5, 0 :: v_dual_mov_b32 v8, 1
	s_xor_b32 s8, s68, -1
	s_delay_alu instid0(SALU_CYCLE_1)
	s_and_saveexec_b32 s7, s8
	s_cbranch_execz .LBB150_425
; %bb.416:                              ;   in Loop: Header=BB150_18 Depth=1
	s_mov_b32 s9, exec_lo
                                        ; implicit-def: $sgpr26
                                        ; implicit-def: $sgpr8
	v_cmpx_ge_u64_e64 s[12:13], v[2:3]
	s_xor_b32 s9, exec_lo, s9
	s_cbranch_execz .LBB150_422
; %bb.417:                              ;   in Loop: Header=BB150_18 Depth=1
	ds_load_b64 v[4:5], v13 offset:5120
	s_waitcnt lgkmcnt(0)
	v_cmp_ne_u64_e32 vcc_lo, 0, v[4:5]
	s_cbranch_vccnz .LBB150_421
; %bb.418:                              ;   in Loop: Header=BB150_18 Depth=1
	s_and_saveexec_b32 s8, s5
	s_cbranch_execz .LBB150_420
; %bb.419:                              ;   in Loop: Header=BB150_18 Depth=1
	v_dual_mov_b32 v4, s12 :: v_dual_mov_b32 v5, s13
	ds_store_b64 v13, v[4:5] offset:5128
.LBB150_420:                            ;   in Loop: Header=BB150_18 Depth=1
	s_or_b32 exec_lo, exec_lo, s8
	s_waitcnt lgkmcnt(0)
	s_barrier
	buffer_gl0_inv
.LBB150_421:                            ;   in Loop: Header=BB150_18 Depth=1
	s_lshl_b32 s8, 1, s22
	v_or_b32_e32 v31, s20, v31
	v_and_or_b32 v32, v32, s21, s8
	s_mov_b32 s8, 0
	s_mov_b32 s26, 5
.LBB150_422:                            ;   in Loop: Header=BB150_18 Depth=1
	s_or_saveexec_b32 s9, s9
	v_mov_b32_e32 v8, s26
	s_xor_b32 exec_lo, exec_lo, s9
; %bb.423:                              ;   in Loop: Header=BB150_18 Depth=1
	v_sub_co_u32 v2, vcc_lo, v2, s12
	v_subrev_co_ci_u32_e32 v3, vcc_lo, s13, v3, vcc_lo
	v_mov_b32_e32 v8, 0
	s_or_b32 s8, s8, exec_lo
; %bb.424:                              ;   in Loop: Header=BB150_18 Depth=1
	s_or_b32 exec_lo, exec_lo, s9
	s_delay_alu instid0(VALU_DEP_2)
	v_dual_mov_b32 v5, v3 :: v_dual_mov_b32 v4, v2
	s_and_b32 s26, s8, exec_lo
.LBB150_425:                            ;   in Loop: Header=BB150_18 Depth=1
	s_or_b32 exec_lo, exec_lo, s7
	s_mov_b32 s12, -1
                                        ; implicit-def: $sgpr7
                                        ; implicit-def: $sgpr8
                                        ; implicit-def: $sgpr9
	s_and_saveexec_b32 s22, s26
	s_cbranch_execz .LBB150_478
; %bb.426:                              ;   in Loop: Header=BB150_18 Depth=1
	v_cmp_eq_u64_e32 vcc_lo, 1, v[4:5]
	s_cmp_eq_u64 s[10:11], 1
	s_mov_b32 s13, -1
	s_cselect_b32 s7, -1, 0
                                        ; implicit-def: $sgpr8
                                        ; implicit-def: $sgpr9
	s_delay_alu instid0(SALU_CYCLE_1) | instskip(NEXT) | instid1(SALU_CYCLE_1)
	s_and_b32 s58, s7, vcc_lo
                                        ; implicit-def: $sgpr7
	s_and_saveexec_b32 s59, s58
	s_cbranch_execz .LBB150_465
; %bb.427:                              ;   in Loop: Header=BB150_18 Depth=1
	ds_load_b64 v[2:3], v13 offset:5120
	s_waitcnt lgkmcnt(0)
	s_barrier
	buffer_gl0_inv
	v_readfirstlane_b32 s8, v2
	v_readfirstlane_b32 s9, v3
	s_and_saveexec_b32 s7, s6
	s_cbranch_execz .LBB150_429
; %bb.428:                              ;   in Loop: Header=BB150_18 Depth=1
	ds_store_b32 v28, v13
.LBB150_429:                            ;   in Loop: Header=BB150_18 Depth=1
	s_or_b32 exec_lo, exec_lo, s7
	v_and_b32_e32 v32, s21, v32
	v_or_b32_e32 v31, s20, v31
	s_cmp_eq_u64 s[8:9], 0
	s_waitcnt lgkmcnt(0)
	s_barrier
	buffer_gl0_inv
	s_cbranch_scc1 .LBB150_434
; %bb.430:                              ;   in Loop: Header=BB150_18 Depth=1
	s_add_u32 s26, s86, s8
	s_addc_u32 s13, s87, s9
	s_mov_b32 s12, s71
	s_delay_alu instid0(SALU_CYCLE_1)
	s_cmp_lg_u64 s[12:13], 0
	s_cbranch_scc0 .LBB150_435
; %bb.431:                              ;   in Loop: Header=BB150_18 Depth=1
	v_cvt_f32_u32_e32 v2, s35
	s_sub_u32 s64, 0, s35
	s_subb_u32 s65, 0, 0
	s_delay_alu instid0(VALU_DEP_1) | instskip(NEXT) | instid1(VALU_DEP_1)
	v_fmac_f32_e64 v2, 0, 0x4f800000
	v_rcp_f32_e32 v2, v2
	s_waitcnt_depctr 0xfff
	v_mul_f32_e32 v2, 0x5f7ffffc, v2
	s_delay_alu instid0(VALU_DEP_1) | instskip(NEXT) | instid1(VALU_DEP_1)
	v_mul_f32_e32 v3, 0x2f800000, v2
	v_trunc_f32_e32 v3, v3
	s_delay_alu instid0(VALU_DEP_1) | instskip(SKIP_1) | instid1(VALU_DEP_2)
	v_fmac_f32_e32 v2, 0xcf800000, v3
	v_cvt_u32_f32_e32 v3, v3
	v_cvt_u32_f32_e32 v2, v2
	s_delay_alu instid0(VALU_DEP_2) | instskip(NEXT) | instid1(VALU_DEP_2)
	v_readfirstlane_b32 s7, v3
	v_readfirstlane_b32 s12, v2
	s_delay_alu instid0(VALU_DEP_2) | instskip(NEXT) | instid1(VALU_DEP_1)
	s_mul_i32 s68, s64, s7
	s_mul_hi_u32 s80, s64, s12
	s_mul_i32 s69, s65, s12
	s_add_i32 s68, s80, s68
	s_mul_i32 s81, s64, s12
	s_add_i32 s68, s68, s69
	s_mul_hi_u32 s80, s12, s81
	s_mul_hi_u32 s82, s7, s81
	s_mul_i32 s69, s7, s81
	s_mul_hi_u32 s81, s12, s68
	s_mul_i32 s12, s12, s68
	s_mul_hi_u32 s83, s7, s68
	s_add_u32 s12, s80, s12
	s_addc_u32 s80, 0, s81
	s_add_u32 s12, s12, s69
	s_mul_i32 s68, s7, s68
	s_addc_u32 s12, s80, s82
	s_addc_u32 s69, s83, 0
	s_add_u32 s12, s12, s68
	s_addc_u32 s68, 0, s69
	v_add_co_u32 v2, s12, v2, s12
	s_delay_alu instid0(VALU_DEP_1) | instskip(SKIP_1) | instid1(VALU_DEP_1)
	s_cmp_lg_u32 s12, 0
	s_addc_u32 s7, s7, s68
	v_readfirstlane_b32 s12, v2
	s_mul_i32 s68, s64, s7
	s_delay_alu instid0(VALU_DEP_1)
	s_mul_hi_u32 s69, s64, s12
	s_mul_i32 s65, s65, s12
	s_add_i32 s68, s69, s68
	s_mul_i32 s64, s64, s12
	s_add_i32 s68, s68, s65
	s_mul_hi_u32 s69, s7, s64
	s_mul_i32 s80, s7, s64
	s_mul_hi_u32 s64, s12, s64
	s_mul_hi_u32 s81, s12, s68
	s_mul_i32 s12, s12, s68
	s_mul_hi_u32 s65, s7, s68
	s_add_u32 s12, s64, s12
	s_addc_u32 s64, 0, s81
	s_add_u32 s12, s12, s80
	s_mul_i32 s68, s7, s68
	s_addc_u32 s12, s64, s69
	s_addc_u32 s64, s65, 0
	s_add_u32 s12, s12, s68
	s_addc_u32 s64, 0, s64
	v_add_co_u32 v2, s12, v2, s12
	s_delay_alu instid0(VALU_DEP_1) | instskip(SKIP_1) | instid1(VALU_DEP_1)
	s_cmp_lg_u32 s12, 0
	s_addc_u32 s7, s7, s64
	v_readfirstlane_b32 s12, v2
	s_mul_i32 s65, s26, s7
	s_mul_hi_u32 s64, s26, s7
	s_mul_hi_u32 s68, s13, s7
	s_mul_i32 s7, s13, s7
	s_mul_hi_u32 s69, s26, s12
	s_mul_hi_u32 s80, s13, s12
	s_mul_i32 s12, s13, s12
	s_add_u32 s65, s69, s65
	s_addc_u32 s64, 0, s64
	s_add_u32 s12, s65, s12
	s_addc_u32 s12, s64, s80
	s_addc_u32 s64, s68, 0
	s_add_u32 s7, s12, s7
	s_addc_u32 s12, 0, s64
	s_mul_hi_u32 s64, s35, s7
	s_mul_i32 s7, s35, s7
	s_mul_i32 s12, s35, s12
	v_sub_co_u32 v2, s7, s26, s7
	s_add_i32 s64, s64, s12
	s_cmp_lg_u32 s7, 0
	s_delay_alu instid0(VALU_DEP_1) | instskip(SKIP_3) | instid1(VALU_DEP_2)
	v_sub_co_u32 v3, s7, v2, s35
	s_subb_u32 s12, s13, s64
	s_cmp_lg_u32 s7, 0
	v_cmp_le_u32_e32 vcc_lo, s35, v2
	v_cmp_le_u32_e64 s7, s35, v3
	v_sub_co_u32 v6, s64, v3, s35
	s_subb_u32 s65, s12, 0
	s_cmp_lg_u32 s64, 0
	s_delay_alu instid0(VALU_DEP_2)
	v_cndmask_b32_e64 v7, 0, -1, s7
	s_subb_u32 s64, s65, 0
	s_cmp_eq_u32 s65, 0
	v_mov_b32_e32 v9, s64
	v_cndmask_b32_e64 v8, 0, -1, vcc_lo
	s_cselect_b32 vcc_lo, -1, 0
	s_cmp_eq_u32 s12, 0
	v_cndmask_b32_e32 v7, -1, v7, vcc_lo
	s_cselect_b32 vcc_lo, -1, 0
	v_cndmask_b32_e32 v8, -1, v8, vcc_lo
	s_delay_alu instid0(VALU_DEP_2) | instskip(NEXT) | instid1(VALU_DEP_2)
	v_cmp_ne_u32_e32 vcc_lo, 0, v7
	v_cmp_ne_u32_e64 s7, 0, v8
	v_cndmask_b32_e32 v7, s65, v9, vcc_lo
	v_cndmask_b32_e32 v6, v3, v6, vcc_lo
	s_delay_alu instid0(VALU_DEP_2) | instskip(NEXT) | instid1(VALU_DEP_2)
	v_cndmask_b32_e64 v3, s12, v7, s7
	v_cndmask_b32_e64 v2, v2, v6, s7
	s_mov_b32 s7, 0
	s_branch .LBB150_436
.LBB150_432:                            ;   in Loop: Header=BB150_18 Depth=1
                                        ; implicit-def: $vgpr4_vgpr5
	s_branch .LBB150_386
.LBB150_433:                            ;   in Loop: Header=BB150_18 Depth=1
                                        ; implicit-def: $vgpr4_vgpr5
	s_branch .LBB150_402
.LBB150_434:                            ;   in Loop: Header=BB150_18 Depth=1
	s_mov_b32 s7, -1
	s_mov_b32 s12, 0
                                        ; implicit-def: $sgpr8
                                        ; implicit-def: $vgpr18
	s_branch .LBB150_448
.LBB150_435:                            ;   in Loop: Header=BB150_18 Depth=1
	s_mov_b32 s7, -1
                                        ; implicit-def: $vgpr2_vgpr3
.LBB150_436:                            ;   in Loop: Header=BB150_18 Depth=1
	s_delay_alu instid0(SALU_CYCLE_1)
	s_and_not1_b32 vcc_lo, exec_lo, s7
	s_cbranch_vccnz .LBB150_438
; %bb.437:                              ;   in Loop: Header=BB150_18 Depth=1
	v_cvt_f32_u32_e32 v2, s35
	s_sub_i32 s7, 0, s35
	s_delay_alu instid0(VALU_DEP_1) | instskip(SKIP_2) | instid1(VALU_DEP_1)
	v_rcp_iflag_f32_e32 v2, v2
	s_waitcnt_depctr 0xfff
	v_mul_f32_e32 v2, 0x4f7ffffe, v2
	v_cvt_u32_f32_e32 v2, v2
	s_delay_alu instid0(VALU_DEP_1) | instskip(NEXT) | instid1(VALU_DEP_1)
	v_mul_lo_u32 v3, s7, v2
	v_mul_hi_u32 v3, v2, v3
	s_delay_alu instid0(VALU_DEP_1) | instskip(NEXT) | instid1(VALU_DEP_1)
	v_add_nc_u32_e32 v2, v2, v3
	v_mul_hi_u32 v2, s26, v2
	s_delay_alu instid0(VALU_DEP_1) | instskip(NEXT) | instid1(VALU_DEP_1)
	v_mul_lo_u32 v2, v2, s35
	v_sub_nc_u32_e32 v2, s26, v2
	s_delay_alu instid0(VALU_DEP_1) | instskip(SKIP_1) | instid1(VALU_DEP_2)
	v_subrev_nc_u32_e32 v3, s35, v2
	v_cmp_le_u32_e32 vcc_lo, s35, v2
	v_cndmask_b32_e32 v2, v2, v3, vcc_lo
	s_delay_alu instid0(VALU_DEP_1) | instskip(SKIP_1) | instid1(VALU_DEP_2)
	v_subrev_nc_u32_e32 v3, s35, v2
	v_cmp_le_u32_e32 vcc_lo, s35, v2
	v_cndmask_b32_e32 v12, v2, v3, vcc_lo
	s_delay_alu instid0(VALU_DEP_1)
	v_dual_mov_b32 v2, v12 :: v_dual_mov_b32 v3, v13
.LBB150_438:                            ;   in Loop: Header=BB150_18 Depth=1
	s_delay_alu instid0(VALU_DEP_1) | instskip(NEXT) | instid1(VALU_DEP_2)
	v_sub_co_u32 v2, vcc_lo, s26, v2
	v_sub_co_ci_u32_e32 v3, vcc_lo, s13, v3, vcc_lo
	s_mov_b32 s12, 0
	s_mov_b32 s7, exec_lo
                                        ; implicit-def: $vgpr18
	s_delay_alu instid0(VALU_DEP_1)
	v_cmpx_gt_u64_e64 v[2:3], v[0:1]
	s_cbranch_execz .LBB150_447
; %bb.439:                              ;   in Loop: Header=BB150_18 Depth=1
	v_dual_mov_b32 v8, v14 :: v_dual_mov_b32 v7, v1
	v_mov_b32_e32 v6, v0
                                        ; implicit-def: $sgpr13
	s_set_inst_prefetch_distance 0x1
	s_branch .LBB150_441
	.p2align	6
.LBB150_440:                            ;   in Loop: Header=BB150_441 Depth=2
	s_or_b32 exec_lo, exec_lo, s26
	s_waitcnt lgkmcnt(0)
	s_barrier
	buffer_gl0_inv
	ds_load_b64 v[17:18], v13 offset:3072
	v_add_co_u32 v6, vcc_lo, v6, s35
	v_add_co_ci_u32_e32 v7, vcc_lo, 0, v7, vcc_lo
	v_add_nc_u32_e32 v8, s94, v8
	s_waitcnt lgkmcnt(0)
	s_barrier
	s_delay_alu instid0(VALU_DEP_2) | instskip(SKIP_2) | instid1(VALU_DEP_1)
	v_cmp_ge_u64_e32 vcc_lo, v[6:7], v[2:3]
	buffer_gl0_inv
	v_readfirstlane_b32 s26, v17
	s_cmp_lg_u32 s26, 0
	s_cselect_b32 s26, -1, 0
	s_delay_alu instid0(SALU_CYCLE_1) | instskip(NEXT) | instid1(SALU_CYCLE_1)
	s_or_b32 s64, vcc_lo, s26
	s_and_b32 s64, exec_lo, s64
	s_delay_alu instid0(SALU_CYCLE_1) | instskip(SKIP_2) | instid1(SALU_CYCLE_1)
	s_or_b32 s12, s64, s12
	s_and_not1_b32 s13, s13, exec_lo
	s_and_b32 s26, s26, exec_lo
	s_or_b32 s13, s13, s26
	s_and_not1_b32 exec_lo, exec_lo, s12
	s_cbranch_execz .LBB150_446
.LBB150_441:                            ;   Parent Loop BB150_18 Depth=1
                                        ; =>  This Inner Loop Header: Depth=2
	s_delay_alu instid0(VALU_DEP_1)
	v_cmp_gt_u64_e32 vcc_lo, s[8:9], v[6:7]
	v_mov_b32_e32 v17, 0
	s_and_saveexec_b32 s26, vcc_lo
	s_cbranch_execz .LBB150_443
; %bb.442:                              ;   in Loop: Header=BB150_441 Depth=2
	ds_load_b32 v17, v8
.LBB150_443:                            ;   in Loop: Header=BB150_441 Depth=2
	s_or_b32 exec_lo, exec_lo, s26
	s_and_saveexec_b32 s26, vcc_lo
	s_cbranch_execz .LBB150_440
; %bb.444:                              ;   in Loop: Header=BB150_441 Depth=2
	s_waitcnt lgkmcnt(0)
	v_xor_b32_e32 v9, 0x80000000, v17
	s_delay_alu instid0(VALU_DEP_1) | instskip(NEXT) | instid1(VALU_DEP_1)
	v_and_b32_e32 v9, v9, v31
	v_cmp_eq_u32_e32 vcc_lo, v9, v32
	s_and_b32 exec_lo, exec_lo, vcc_lo
	s_cbranch_execz .LBB150_440
; %bb.445:                              ;   in Loop: Header=BB150_441 Depth=2
	ds_store_b64 v13, v[16:17] offset:3072
	s_branch .LBB150_440
.LBB150_446:                            ;   in Loop: Header=BB150_18 Depth=1
	s_set_inst_prefetch_distance 0x2
	s_or_b32 exec_lo, exec_lo, s12
	s_delay_alu instid0(SALU_CYCLE_1)
	s_and_b32 s12, s13, exec_lo
.LBB150_447:                            ;   in Loop: Header=BB150_18 Depth=1
	s_or_b32 exec_lo, exec_lo, s7
	s_mov_b32 s7, 0
	s_mov_b32 s8, -1
.LBB150_448:                            ;   in Loop: Header=BB150_18 Depth=1
	s_and_b32 vcc_lo, exec_lo, s7
	s_mov_b32 s9, s7
	s_cbranch_vccz .LBB150_464
; %bb.449:                              ;   in Loop: Header=BB150_18 Depth=1
	s_mov_b32 s26, s71
	s_delay_alu instid0(SALU_CYCLE_1)
	s_cmp_lg_u64 s[26:27], 0
	s_cbranch_scc0 .LBB150_451
; %bb.450:                              ;   in Loop: Header=BB150_18 Depth=1
	v_cvt_f32_u32_e32 v2, s35
	s_sub_u32 s9, 0, s35
	s_subb_u32 s12, 0, 0
	s_delay_alu instid0(VALU_DEP_1) | instskip(NEXT) | instid1(VALU_DEP_1)
	v_fmac_f32_e64 v2, 0, 0x4f800000
	v_rcp_f32_e32 v2, v2
	s_waitcnt_depctr 0xfff
	v_mul_f32_e32 v2, 0x5f7ffffc, v2
	s_delay_alu instid0(VALU_DEP_1) | instskip(NEXT) | instid1(VALU_DEP_1)
	v_mul_f32_e32 v3, 0x2f800000, v2
	v_trunc_f32_e32 v3, v3
	s_delay_alu instid0(VALU_DEP_1) | instskip(SKIP_1) | instid1(VALU_DEP_2)
	v_fmac_f32_e32 v2, 0xcf800000, v3
	v_cvt_u32_f32_e32 v3, v3
	v_cvt_u32_f32_e32 v2, v2
	s_delay_alu instid0(VALU_DEP_2) | instskip(NEXT) | instid1(VALU_DEP_2)
	v_readfirstlane_b32 s7, v3
	v_readfirstlane_b32 s8, v2
	s_delay_alu instid0(VALU_DEP_2) | instskip(NEXT) | instid1(VALU_DEP_1)
	s_mul_i32 s13, s9, s7
	s_mul_hi_u32 s64, s9, s8
	s_mul_i32 s26, s12, s8
	s_add_i32 s13, s64, s13
	s_mul_i32 s65, s9, s8
	s_add_i32 s13, s13, s26
	s_mul_hi_u32 s64, s8, s65
	s_mul_hi_u32 s68, s7, s65
	s_mul_i32 s26, s7, s65
	s_mul_hi_u32 s65, s8, s13
	s_mul_i32 s8, s8, s13
	s_mul_hi_u32 s69, s7, s13
	s_add_u32 s8, s64, s8
	s_addc_u32 s64, 0, s65
	s_add_u32 s8, s8, s26
	s_mul_i32 s13, s7, s13
	s_addc_u32 s8, s64, s68
	s_addc_u32 s26, s69, 0
	s_add_u32 s8, s8, s13
	s_addc_u32 s13, 0, s26
	v_add_co_u32 v2, s8, v2, s8
	s_delay_alu instid0(VALU_DEP_1) | instskip(SKIP_1) | instid1(VALU_DEP_1)
	s_cmp_lg_u32 s8, 0
	s_addc_u32 s7, s7, s13
	v_readfirstlane_b32 s8, v2
	s_mul_i32 s13, s9, s7
	s_delay_alu instid0(VALU_DEP_1)
	s_mul_hi_u32 s26, s9, s8
	s_mul_i32 s12, s12, s8
	s_add_i32 s13, s26, s13
	s_mul_i32 s9, s9, s8
	s_add_i32 s13, s13, s12
	s_mul_hi_u32 s26, s7, s9
	s_mul_i32 s64, s7, s9
	s_mul_hi_u32 s9, s8, s9
	s_mul_hi_u32 s65, s8, s13
	s_mul_i32 s8, s8, s13
	s_mul_hi_u32 s12, s7, s13
	s_add_u32 s8, s9, s8
	s_addc_u32 s9, 0, s65
	s_add_u32 s8, s8, s64
	s_mul_i32 s13, s7, s13
	s_addc_u32 s8, s9, s26
	s_addc_u32 s9, s12, 0
	s_add_u32 s8, s8, s13
	s_addc_u32 s9, 0, s9
	v_add_co_u32 v2, s8, v2, s8
	s_delay_alu instid0(VALU_DEP_1) | instskip(SKIP_1) | instid1(VALU_DEP_1)
	s_cmp_lg_u32 s8, 0
	s_addc_u32 s7, s7, s9
	v_readfirstlane_b32 s8, v2
	s_mul_i32 s12, s88, s7
	s_mul_hi_u32 s9, s88, s7
	s_mul_hi_u32 s13, s27, s7
	s_mul_i32 s7, s27, s7
	s_mul_hi_u32 s26, s88, s8
	s_mul_hi_u32 s64, s27, s8
	s_mul_i32 s8, s27, s8
	s_add_u32 s12, s26, s12
	s_addc_u32 s9, 0, s9
	s_add_u32 s8, s12, s8
	s_addc_u32 s8, s9, s64
	s_addc_u32 s9, s13, 0
	s_add_u32 s7, s8, s7
	s_addc_u32 s8, 0, s9
	s_mul_hi_u32 s9, s35, s7
	s_mul_i32 s7, s35, s7
	s_mul_i32 s8, s35, s8
	v_sub_co_u32 v2, s7, s88, s7
	s_add_i32 s9, s9, s8
	s_cmp_lg_u32 s7, 0
	s_delay_alu instid0(VALU_DEP_1) | instskip(SKIP_3) | instid1(VALU_DEP_2)
	v_sub_co_u32 v3, s7, v2, s35
	s_subb_u32 s8, s27, s9
	s_cmp_lg_u32 s7, 0
	v_cmp_le_u32_e32 vcc_lo, s35, v2
	v_cmp_le_u32_e64 s7, s35, v3
	v_sub_co_u32 v6, s9, v3, s35
	s_subb_u32 s12, s8, 0
	s_cmp_lg_u32 s9, 0
	s_delay_alu instid0(VALU_DEP_2)
	v_cndmask_b32_e64 v7, 0, -1, s7
	s_subb_u32 s9, s12, 0
	s_cmp_eq_u32 s12, 0
	v_mov_b32_e32 v9, s9
	v_cndmask_b32_e64 v8, 0, -1, vcc_lo
	s_cselect_b32 vcc_lo, -1, 0
	s_cmp_eq_u32 s8, 0
	v_cndmask_b32_e32 v7, -1, v7, vcc_lo
	s_cselect_b32 vcc_lo, -1, 0
	v_cndmask_b32_e32 v8, -1, v8, vcc_lo
	s_delay_alu instid0(VALU_DEP_2) | instskip(NEXT) | instid1(VALU_DEP_2)
	v_cmp_ne_u32_e32 vcc_lo, 0, v7
	v_cmp_ne_u32_e64 s7, 0, v8
	v_cndmask_b32_e32 v7, s12, v9, vcc_lo
	v_cndmask_b32_e32 v6, v3, v6, vcc_lo
	s_delay_alu instid0(VALU_DEP_2) | instskip(NEXT) | instid1(VALU_DEP_2)
	v_cndmask_b32_e64 v3, s8, v7, s7
	v_cndmask_b32_e64 v2, v2, v6, s7
	s_mov_b32 s7, 0
	s_branch .LBB150_452
.LBB150_451:                            ;   in Loop: Header=BB150_18 Depth=1
	s_mov_b32 s7, -1
                                        ; implicit-def: $vgpr2_vgpr3
.LBB150_452:                            ;   in Loop: Header=BB150_18 Depth=1
	s_delay_alu instid0(SALU_CYCLE_1)
	s_and_not1_b32 vcc_lo, exec_lo, s7
	s_cbranch_vccnz .LBB150_454
; %bb.453:                              ;   in Loop: Header=BB150_18 Depth=1
	v_cvt_f32_u32_e32 v2, s35
	s_sub_i32 s7, 0, s35
	s_delay_alu instid0(VALU_DEP_1) | instskip(SKIP_2) | instid1(VALU_DEP_1)
	v_rcp_iflag_f32_e32 v2, v2
	s_waitcnt_depctr 0xfff
	v_mul_f32_e32 v2, 0x4f7ffffe, v2
	v_cvt_u32_f32_e32 v2, v2
	s_delay_alu instid0(VALU_DEP_1) | instskip(NEXT) | instid1(VALU_DEP_1)
	v_mul_lo_u32 v3, s7, v2
	v_mul_hi_u32 v3, v2, v3
	s_delay_alu instid0(VALU_DEP_1) | instskip(NEXT) | instid1(VALU_DEP_1)
	v_add_nc_u32_e32 v2, v2, v3
	v_mul_hi_u32 v2, s88, v2
	s_delay_alu instid0(VALU_DEP_1) | instskip(NEXT) | instid1(VALU_DEP_1)
	v_mul_lo_u32 v2, v2, s35
	v_sub_nc_u32_e32 v2, s88, v2
	s_delay_alu instid0(VALU_DEP_1) | instskip(SKIP_1) | instid1(VALU_DEP_2)
	v_subrev_nc_u32_e32 v3, s35, v2
	v_cmp_le_u32_e32 vcc_lo, s35, v2
	v_cndmask_b32_e32 v2, v2, v3, vcc_lo
	s_delay_alu instid0(VALU_DEP_1) | instskip(SKIP_1) | instid1(VALU_DEP_2)
	v_subrev_nc_u32_e32 v3, s35, v2
	v_cmp_le_u32_e32 vcc_lo, s35, v2
	v_cndmask_b32_e32 v12, v2, v3, vcc_lo
	s_delay_alu instid0(VALU_DEP_1)
	v_dual_mov_b32 v2, v12 :: v_dual_mov_b32 v3, v13
.LBB150_454:                            ;   in Loop: Header=BB150_18 Depth=1
	s_delay_alu instid0(VALU_DEP_1) | instskip(NEXT) | instid1(VALU_DEP_2)
	v_sub_co_u32 v2, vcc_lo, s88, v2
	v_sub_co_ci_u32_e32 v3, vcc_lo, s27, v3, vcc_lo
	s_mov_b32 s12, 0
	s_mov_b32 s8, exec_lo
                                        ; implicit-def: $vgpr18
	s_delay_alu instid0(VALU_DEP_1)
	v_cmpx_gt_u64_e64 v[2:3], v[0:1]
	s_cbranch_execz .LBB150_463
; %bb.455:                              ;   in Loop: Header=BB150_18 Depth=1
	v_dual_mov_b32 v7, v1 :: v_dual_mov_b32 v6, v0
	s_mov_b32 s9, 0
                                        ; implicit-def: $sgpr12
	s_branch .LBB150_457
.LBB150_456:                            ;   in Loop: Header=BB150_457 Depth=2
	s_or_b32 exec_lo, exec_lo, s7
	s_waitcnt vmcnt(0) lgkmcnt(0)
	s_barrier
	buffer_gl0_inv
	ds_load_b64 v[17:18], v13 offset:3072
	v_add_co_u32 v6, vcc_lo, v6, s35
	v_add_co_ci_u32_e32 v7, vcc_lo, 0, v7, vcc_lo
	s_waitcnt lgkmcnt(0)
	s_barrier
	buffer_gl0_inv
	v_cmp_ge_u64_e32 vcc_lo, v[6:7], v[2:3]
	v_readfirstlane_b32 s7, v17
	s_delay_alu instid0(VALU_DEP_1) | instskip(SKIP_1) | instid1(SALU_CYCLE_1)
	s_cmp_lg_u32 s7, 0
	s_cselect_b32 s7, -1, 0
	s_or_b32 s13, vcc_lo, s7
	s_delay_alu instid0(SALU_CYCLE_1) | instskip(NEXT) | instid1(SALU_CYCLE_1)
	s_and_b32 s13, exec_lo, s13
	s_or_b32 s9, s13, s9
	s_and_not1_b32 s12, s12, exec_lo
	s_and_b32 s7, s7, exec_lo
	s_delay_alu instid0(SALU_CYCLE_1)
	s_or_b32 s12, s12, s7
	s_and_not1_b32 exec_lo, exec_lo, s9
	s_cbranch_execz .LBB150_462
.LBB150_457:                            ;   Parent Loop BB150_18 Depth=1
                                        ; =>  This Inner Loop Header: Depth=2
	s_delay_alu instid0(VALU_DEP_1)
	v_cmp_gt_u64_e32 vcc_lo, s[36:37], v[6:7]
	v_mov_b32_e32 v17, 0
	s_and_saveexec_b32 s13, vcc_lo
	s_cbranch_execz .LBB150_459
; %bb.458:                              ;   in Loop: Header=BB150_457 Depth=2
	v_mul_lo_u32 v12, v7, s30
	v_mul_lo_u32 v17, v6, s31
	v_mad_u64_u32 v[8:9], null, v6, s30, 0
	s_delay_alu instid0(VALU_DEP_1) | instskip(NEXT) | instid1(VALU_DEP_1)
	v_add3_u32 v9, v9, v17, v12
	v_lshlrev_b64 v[8:9], 2, v[8:9]
	s_delay_alu instid0(VALU_DEP_1) | instskip(NEXT) | instid1(VALU_DEP_1)
	v_add_co_u32 v8, s7, s29, v8
	v_add_co_ci_u32_e64 v9, s7, s33, v9, s7
	global_load_b32 v17, v[8:9], off
.LBB150_459:                            ;   in Loop: Header=BB150_457 Depth=2
	s_or_b32 exec_lo, exec_lo, s13
	s_and_saveexec_b32 s7, vcc_lo
	s_cbranch_execz .LBB150_456
; %bb.460:                              ;   in Loop: Header=BB150_457 Depth=2
	s_waitcnt vmcnt(0)
	v_xor_b32_e32 v8, 0x80000000, v17
	s_delay_alu instid0(VALU_DEP_1) | instskip(NEXT) | instid1(VALU_DEP_1)
	v_and_b32_e32 v8, v8, v31
	v_cmp_eq_u32_e32 vcc_lo, v8, v32
	s_and_b32 exec_lo, exec_lo, vcc_lo
	s_cbranch_execz .LBB150_456
; %bb.461:                              ;   in Loop: Header=BB150_457 Depth=2
	ds_store_b64 v13, v[16:17] offset:3072
	s_branch .LBB150_456
.LBB150_462:                            ;   in Loop: Header=BB150_18 Depth=1
	s_or_b32 exec_lo, exec_lo, s9
	s_delay_alu instid0(SALU_CYCLE_1)
	s_and_b32 s12, s12, exec_lo
.LBB150_463:                            ;   in Loop: Header=BB150_18 Depth=1
	s_or_b32 exec_lo, exec_lo, s8
	s_mov_b32 s8, 0
	s_mov_b32 s7, -1
	s_mov_b32 s9, 0
.LBB150_464:                            ;   in Loop: Header=BB150_18 Depth=1
	s_or_not1_b32 s13, s12, exec_lo
.LBB150_465:                            ;   in Loop: Header=BB150_18 Depth=1
	s_or_b32 exec_lo, exec_lo, s59
	s_mov_b32 s26, 0
                                        ; implicit-def: $vgpr8
                                        ; implicit-def: $vgpr2_vgpr3
	s_and_saveexec_b32 s12, s13
	s_cbranch_execz .LBB150_477
; %bb.466:                              ;   in Loop: Header=BB150_18 Depth=1
	v_mov_b32_e32 v2, 1
	v_dual_mov_b32 v3, 0 :: v_dual_mov_b32 v8, 1
	s_xor_b32 s26, s58, -1
	s_delay_alu instid0(SALU_CYCLE_1)
	s_and_saveexec_b32 s13, s26
	s_cbranch_execz .LBB150_476
; %bb.467:                              ;   in Loop: Header=BB150_18 Depth=1
	s_mov_b32 s26, exec_lo
                                        ; implicit-def: $sgpr58
	v_cmpx_ge_u64_e64 s[10:11], v[4:5]
	s_xor_b32 s26, exec_lo, s26
	s_cbranch_execz .LBB150_473
; %bb.468:                              ;   in Loop: Header=BB150_18 Depth=1
	ds_load_b64 v[2:3], v13 offset:5120
	s_waitcnt lgkmcnt(0)
	v_cmp_ne_u64_e32 vcc_lo, 0, v[2:3]
	s_cbranch_vccnz .LBB150_472
; %bb.469:                              ;   in Loop: Header=BB150_18 Depth=1
	s_and_saveexec_b32 s58, s5
	s_cbranch_execz .LBB150_471
; %bb.470:                              ;   in Loop: Header=BB150_18 Depth=1
	v_dual_mov_b32 v2, s10 :: v_dual_mov_b32 v3, s11
	ds_store_b64 v13, v[2:3] offset:5128
.LBB150_471:                            ;   in Loop: Header=BB150_18 Depth=1
	s_or_b32 exec_lo, exec_lo, s58
	s_waitcnt lgkmcnt(0)
	s_barrier
	buffer_gl0_inv
.LBB150_472:                            ;   in Loop: Header=BB150_18 Depth=1
	v_and_b32_e32 v32, s21, v32
	v_or_b32_e32 v31, s20, v31
	s_mov_b32 s58, 5
.LBB150_473:                            ;   in Loop: Header=BB150_18 Depth=1
	s_or_saveexec_b32 s20, s26
	v_mov_b32_e32 v8, s58
	s_xor_b32 exec_lo, exec_lo, s20
; %bb.474:                              ;   in Loop: Header=BB150_18 Depth=1
	v_sub_co_u32 v4, vcc_lo, v4, s10
	v_subrev_co_ci_u32_e32 v5, vcc_lo, s11, v5, vcc_lo
	v_mov_b32_e32 v8, 5
; %bb.475:                              ;   in Loop: Header=BB150_18 Depth=1
	s_or_b32 exec_lo, exec_lo, s20
	s_delay_alu instid0(VALU_DEP_2)
	v_dual_mov_b32 v2, v4 :: v_dual_mov_b32 v3, v5
.LBB150_476:                            ;   in Loop: Header=BB150_18 Depth=1
	s_or_b32 exec_lo, exec_lo, s13
	s_delay_alu instid0(SALU_CYCLE_1)
	s_mov_b32 s26, exec_lo
.LBB150_477:                            ;   in Loop: Header=BB150_18 Depth=1
	s_or_b32 exec_lo, exec_lo, s12
	s_delay_alu instid0(VALU_DEP_1)
	v_dual_mov_b32 v5, v3 :: v_dual_mov_b32 v4, v2
	s_or_not1_b32 s12, s26, exec_lo
.LBB150_478:                            ;   in Loop: Header=BB150_18 Depth=1
	s_or_b32 exec_lo, exec_lo, s22
	s_delay_alu instid0(SALU_CYCLE_1)
	s_and_not1_b32 s10, s14, exec_lo
	s_and_b32 s7, s7, exec_lo
	s_and_b32 s8, s8, exec_lo
	s_or_b32 s14, s10, s7
	s_and_not1_b32 s7, s15, exec_lo
	s_and_not1_b32 s10, s78, exec_lo
	s_and_b32 s9, s9, exec_lo
	v_dual_mov_b32 v2, v4 :: v_dual_mov_b32 v3, v5
	s_or_b32 s15, s7, s8
	s_or_b32 s78, s10, s9
	s_and_b32 s26, s12, exec_lo
.LBB150_479:                            ;   in Loop: Header=BB150_18 Depth=1
	s_or_b32 exec_lo, exec_lo, s79
	s_delay_alu instid0(SALU_CYCLE_1)
	s_and_b32 s14, s14, exec_lo
	s_and_b32 s9, s15, exec_lo
	;; [unrolled: 1-line block ×3, first 2 shown]
	s_or_not1_b32 s7, s26, exec_lo
.LBB150_480:                            ;   in Loop: Header=BB150_18 Depth=1
	s_or_b32 exec_lo, exec_lo, s77
	s_delay_alu instid0(SALU_CYCLE_1)
	s_and_not1_b32 s10, s16, exec_lo
	s_and_b32 s11, s14, exec_lo
	s_and_b32 s9, s9, exec_lo
	s_or_b32 s16, s10, s11
	s_and_not1_b32 s10, s17, exec_lo
	s_and_not1_b32 s11, s75, exec_lo
	s_and_b32 s8, s8, exec_lo
	v_dual_mov_b32 v5, v3 :: v_dual_mov_b32 v4, v2
	s_or_b32 s17, s10, s9
	s_or_b32 s75, s11, s8
	s_and_b32 s26, s7, exec_lo
.LBB150_481:                            ;   in Loop: Header=BB150_18 Depth=1
	s_or_b32 exec_lo, exec_lo, s76
	s_delay_alu instid0(SALU_CYCLE_1)
	s_and_b32 s16, s16, exec_lo
	s_and_b32 s9, s17, exec_lo
	;; [unrolled: 1-line block ×3, first 2 shown]
	s_or_not1_b32 s17, s26, exec_lo
.LBB150_482:                            ;   in Loop: Header=BB150_18 Depth=1
	s_or_b32 exec_lo, exec_lo, s74
	s_mov_b32 s7, s25
	s_mov_b32 s10, s24
	s_and_saveexec_b32 s11, s17
; %bb.483:                              ;   in Loop: Header=BB150_18 Depth=1
	v_cmp_eq_u32_e32 vcc_lo, 5, v8
	v_cmp_ne_u32_e64 s7, 5, v8
	s_and_not1_b32 s10, s24, exec_lo
	s_and_not1_b32 s12, s25, exec_lo
	;; [unrolled: 1-line block ×3, first 2 shown]
	s_and_b32 s13, vcc_lo, exec_lo
	s_and_b32 s7, s7, exec_lo
	s_and_not1_b32 s9, s9, exec_lo
	s_and_not1_b32 s8, s8, exec_lo
	s_or_b32 s10, s10, s7
	s_or_b32 s7, s12, s13
; %bb.484:                              ;   in Loop: Header=BB150_18 Depth=1
	s_or_b32 exec_lo, exec_lo, s11
	s_delay_alu instid0(SALU_CYCLE_1)
	s_and_not1_b32 s11, s18, exec_lo
	s_and_b32 s12, s16, exec_lo
	s_and_b32 s9, s9, exec_lo
	s_or_b32 s18, s11, s12
	s_and_not1_b32 s11, s19, exec_lo
	s_and_not1_b32 s12, s23, exec_lo
	s_and_b32 s8, s8, exec_lo
	v_dual_mov_b32 v21, v32 :: v_dual_mov_b32 v22, v31
	v_mov_b32_e32 v3, v18
	s_or_b32 s19, s11, s9
	s_or_b32 s23, s12, s8
	s_and_not1_b32 s8, s24, exec_lo
	s_and_b32 s9, s10, exec_lo
	s_and_not1_b32 s10, s25, exec_lo
	s_and_b32 s7, s7, exec_lo
	s_or_b32 s24, s8, s9
	s_or_b32 s25, s10, s7
.LBB150_485:                            ;   in Loop: Header=BB150_18 Depth=1
	s_or_b32 exec_lo, exec_lo, s70
	s_mov_b32 s74, s23
	s_mov_b32 s70, s23
	s_and_saveexec_b32 s7, s25
.LBB150_486:                            ;   in Loop: Header=BB150_18 Depth=1
	v_mov_b32_e32 v8, 0
	s_and_not1_b32 s23, s23, exec_lo
	s_and_not1_b32 s18, s18, exec_lo
	;; [unrolled: 1-line block ×5, first 2 shown]
	s_or_b32 s24, s24, exec_lo
.LBB150_487:                            ;   in Loop: Header=BB150_18 Depth=1
	s_or_b32 exec_lo, exec_lo, s7
	s_delay_alu instid0(SALU_CYCLE_1)
	s_and_not1_b32 s7, s67, exec_lo
	s_and_b32 s9, s23, exec_lo
	s_and_not1_b32 s10, s104, exec_lo
	s_or_b32 s67, s7, s9
	s_and_not1_b32 s7, s66, exec_lo
	s_and_b32 s9, s18, exec_lo
	s_and_b32 s11, s19, exec_lo
	s_or_b32 s66, s7, s9
	s_or_b32 s104, s10, s11
	s_and_not1_b32 s7, vcc_hi, exec_lo
	s_and_b32 s9, s74, exec_lo
	s_and_not1_b32 s10, s103, exec_lo
	s_and_b32 s11, s70, exec_lo
	s_mov_b32 s8, -1
	s_or_b32 vcc_hi, s7, s9
	s_or_b32 s103, s10, s11
                                        ; implicit-def: $vgpr31
                                        ; implicit-def: $vgpr32
                                        ; implicit-def: $vgpr19_vgpr20
                                        ; implicit-def: $vgpr18
	s_and_saveexec_b32 s7, s24
	s_delay_alu instid0(SALU_CYCLE_1)
	s_xor_b32 s7, exec_lo, s7
	s_cbranch_execz .LBB150_17
; %bb.488:                              ;   in Loop: Header=BB150_18 Depth=1
	s_mov_b32 s9, -1
	s_mov_b32 s10, exec_lo
	v_cmpx_eq_u32_e32 0, v8
	s_cbranch_execz .LBB150_16
; %bb.489:                              ;   in Loop: Header=BB150_18 Depth=1
	s_xor_b32 s97, s97, 1
	s_add_i32 s11, s101, -2
	s_cmp_eq_u32 s101, 0
	s_mov_b32 s101, s11
	s_cselect_b32 s8, -1, 0
	s_xor_b32 s9, exec_lo, -1
	s_or_not1_b32 s8, s8, exec_lo
	s_branch .LBB150_16
.LBB150_490:
	s_or_b32 exec_lo, exec_lo, s95
	s_xor_b32 s7, s102, -1
	s_xor_b32 s9, s99, -1
	;; [unrolled: 1-line block ×5, first 2 shown]
	s_mov_b32 s8, 0
	s_and_saveexec_b32 s12, s11
	s_delay_alu instid0(SALU_CYCLE_1)
	s_xor_b32 s12, exec_lo, s12
	s_cbranch_execz .LBB150_547
; %bb.491:
	s_and_saveexec_b32 s11, s10
	s_delay_alu instid0(SALU_CYCLE_1)
	s_xor_b32 s13, exec_lo, s11
	s_cbranch_execz .LBB150_545
; %bb.492:
	s_and_saveexec_b32 s10, s9
	s_delay_alu instid0(SALU_CYCLE_1)
	s_xor_b32 s14, exec_lo, s10
	s_cbranch_execz .LBB150_543
; %bb.493:
	s_and_saveexec_b32 s9, s7
	s_delay_alu instid0(SALU_CYCLE_1)
	s_xor_b32 s15, exec_lo, s9
	s_cbranch_execz .LBB150_541
; %bb.494:
	s_and_saveexec_b32 s7, s6
	s_delay_alu instid0(SALU_CYCLE_1)
	s_xor_b32 s6, exec_lo, s7
; %bb.495:
	v_xor_b32_e32 v3, 0x80000000, v21
; %bb.496:
	s_or_b32 exec_lo, exec_lo, s6
	s_and_saveexec_b32 s6, s5
	s_cbranch_execz .LBB150_498
; %bb.497:
	v_mov_b32_e32 v4, 0
	s_delay_alu instid0(VALU_DEP_1)
	v_mov_b32_e32 v5, v4
	ds_store_b64 v4, v[4:5] offset:5136
.LBB150_498:
	s_or_b32 exec_lo, exec_lo, s6
	v_mov_b32_e32 v2, 0
	s_waitcnt lgkmcnt(0)
	s_barrier
	buffer_gl0_inv
	s_and_saveexec_b32 s5, s4
	s_cbranch_execz .LBB150_500
; %bb.499:
	global_load_b32 v2, v[10:11], off
.LBB150_500:
	s_or_b32 exec_lo, exec_lo, s5
	s_clause 0x2
	s_load_b64 s[26:27], s[0:1], 0x450
	s_load_b128 s[48:51], s[0:1], 0x298
	s_load_b64 s[24:25], s[0:1], 0x2a8
	s_add_u32 s5, s36, 31
	s_addc_u32 s7, s37, 0
	s_and_b32 s6, s5, 0xffffffe0
	s_mul_i32 s5, s62, s47
	s_mul_hi_u32 s8, s62, s46
	s_mul_i32 s9, s62, s46
	s_add_i32 s8, s8, s5
	s_sub_u32 s16, s34, s9
	s_subb_u32 s8, 0, s8
	s_mul_i32 s18, s56, s42
	s_mul_i32 s20, s60, s44
	s_waitcnt lgkmcnt(0)
	s_mul_i32 s5, s16, s27
	s_mul_hi_u32 s9, s16, s26
	s_mul_i32 s8, s8, s26
	s_add_i32 s5, s9, s5
	s_mul_i32 s9, s28, s40
	s_add_i32 s17, s5, s8
	s_mul_i32 s5, s28, s41
	s_mul_hi_u32 s8, s28, s40
	s_mul_hi_u32 s11, s28, s48
	s_add_i32 s8, s8, s5
	s_sub_u32 s5, s56, s9
	s_subb_u32 s8, s57, s8
	s_mul_i32 s9, s5, s51
	s_mul_hi_u32 s10, s5, s50
	s_mul_i32 s8, s8, s50
	s_add_i32 s9, s10, s9
	s_mul_i32 s10, s28, s49
	s_add_i32 s9, s9, s8
	s_add_i32 s11, s11, s10
	s_mul_i32 s8, s56, s43
	s_mul_hi_u32 s10, s56, s42
	s_load_b128 s[40:43], s[0:1], 0x440
	s_add_i32 s10, s10, s8
	s_sub_u32 s18, s34, s18
	s_subb_u32 s10, 0, s10
	s_mul_i32 s8, s18, s25
	s_mul_hi_u32 s19, s18, s24
	s_mul_i32 s10, s10, s24
	s_mul_i32 s18, s18, s24
	s_load_b64 s[24:25], s[0:1], 0x1c8
	s_add_i32 s19, s19, s8
	s_mul_i32 s8, s5, s50
	s_add_i32 s19, s19, s10
	s_mul_i32 s5, s60, s45
	s_mul_hi_u32 s10, s60, s44
	s_mul_i32 s16, s16, s26
	s_add_i32 s5, s10, s5
	s_sub_u32 s20, s62, s20
	s_subb_u32 s5, s63, s5
	s_mul_i32 s10, s28, s48
	s_waitcnt lgkmcnt(0)
	s_mul_i32 s21, s20, s43
	s_mul_hi_u32 s22, s20, s42
	s_mul_i32 s5, s5, s42
	s_add_i32 s21, s22, s21
	s_mul_hi_u32 s22, s60, s40
	s_add_i32 s21, s21, s5
	s_mul_i32 s5, s60, s41
	s_lshl_b64 s[10:11], s[10:11], 2
	s_add_i32 s23, s22, s5
	s_add_u32 s5, s24, s10
	s_addc_u32 s10, s25, s11
	s_lshl_b64 s[8:9], s[8:9], 2
	s_mul_i32 s22, s60, s40
	s_add_u32 s5, s5, s8
	s_addc_u32 s24, s10, s9
	s_clause 0x1
	s_load_b64 s[8:9], s[0:1], 0x368
	s_load_b64 s[10:11], s[0:1], 0x510
	s_lshl_b64 s[18:19], s[18:19], 2
	s_mul_i32 s20, s20, s42
	s_add_u32 s1, s5, s18
	s_addc_u32 s5, s24, s19
	s_lshl_b64 s[18:19], s[22:23], 3
	v_readlane_b32 s22, v37, 0
	v_readlane_b32 s23, v37, 1
	s_delay_alu instid0(VALU_DEP_2) | instskip(NEXT) | instid1(VALU_DEP_1)
	s_add_u32 s0, s22, s18
	s_addc_u32 s22, s23, s19
	s_lshl_b64 s[18:19], s[20:21], 3
	s_mov_b32 s20, exec_lo
	s_add_u32 s0, s0, s18
	s_addc_u32 s18, s22, s19
	s_lshl_b64 s[16:17], s[16:17], 3
	s_mov_b32 s19, 0
	s_add_u32 s16, s0, s16
	s_addc_u32 s17, s18, s17
	s_mov_b32 s0, -1
	s_mov_b32 s18, 0
	v_cmpx_gt_u64_e64 s[6:7], v[0:1]
	s_cbranch_execz .LBB150_516
; %bb.501:
	v_mov_b32_e32 v13, v1
	v_xor_b32_e32 v16, 0x80000000, v3
	v_dual_mov_b32 v5, 0 :: v_dual_mov_b32 v12, v0
                                        ; implicit-def: $sgpr21
                                        ; implicit-def: $vgpr8_vgpr9
	s_branch .LBB150_503
.LBB150_502:                            ;   in Loop: Header=BB150_503 Depth=1
	s_or_b32 exec_lo, exec_lo, s22
	s_xor_b32 s22, s24, -1
	s_and_b32 s0, exec_lo, s0
	v_dual_mov_b32 v2, v17 :: v_dual_mov_b32 v13, v7
	s_or_b32 s18, s0, s18
	v_mov_b32_e32 v12, v6
	s_and_not1_b32 s0, s21, exec_lo
	s_and_b32 s21, s22, exec_lo
	s_delay_alu instid0(SALU_CYCLE_1)
	s_or_b32 s21, s0, s21
	s_and_not1_b32 exec_lo, exec_lo, s18
	s_cbranch_execz .LBB150_515
.LBB150_503:                            ; =>This Inner Loop Header: Depth=1
	s_delay_alu instid0(VALU_DEP_1) | instskip(SKIP_3) | instid1(VALU_DEP_2)
	v_add_co_u32 v6, vcc_lo, v12, s35
	v_add_co_ci_u32_e32 v7, vcc_lo, 0, v13, vcc_lo
	v_mov_b32_e32 v17, 0
	s_mov_b32 s0, exec_lo
	v_cmpx_gt_u64_e64 s[36:37], v[6:7]
	s_cbranch_execz .LBB150_505
; %bb.504:                              ;   in Loop: Header=BB150_503 Depth=1
	v_mul_lo_u32 v4, v7, s30
	v_mul_lo_u32 v17, v6, s31
	v_mad_u64_u32 v[14:15], null, v6, s30, 0
	s_delay_alu instid0(VALU_DEP_1) | instskip(NEXT) | instid1(VALU_DEP_1)
	v_add3_u32 v15, v15, v17, v4
	v_lshlrev_b64 v[14:15], 2, v[14:15]
	s_delay_alu instid0(VALU_DEP_1) | instskip(NEXT) | instid1(VALU_DEP_2)
	v_add_co_u32 v14, vcc_lo, s29, v14
	v_add_co_ci_u32_e32 v15, vcc_lo, s33, v15, vcc_lo
	global_load_b32 v17, v[14:15], off
.LBB150_505:                            ;   in Loop: Header=BB150_503 Depth=1
	s_or_b32 exec_lo, exec_lo, s0
	s_waitcnt vmcnt(0)
	v_xor_b32_e32 v4, 0x80000000, v2
	s_delay_alu instid0(VALU_DEP_1) | instskip(SKIP_4) | instid1(VALU_DEP_2)
	v_cmp_gt_u32_e32 vcc_lo, v4, v16
	v_cndmask_b32_e64 v14, 0, 1, vcc_lo
	v_cmp_lt_u32_e32 vcc_lo, v4, v16
	v_cndmask_b32_e64 v4, 0, 1, vcc_lo
	v_cmp_gt_u64_e32 vcc_lo, s[36:37], v[12:13]
	v_cndmask_b32_e64 v4, v4, v14, s3
	s_delay_alu instid0(VALU_DEP_1) | instskip(NEXT) | instid1(VALU_DEP_1)
	v_and_b32_e32 v4, 1, v4
	v_cmp_eq_u32_e64 s0, 1, v4
	s_delay_alu instid0(VALU_DEP_1) | instskip(NEXT) | instid1(SALU_CYCLE_1)
	s_and_b32 s23, vcc_lo, s0
	v_cndmask_b32_e64 v4, 0, 1, s23
	s_delay_alu instid0(VALU_DEP_1) | instskip(SKIP_2) | instid1(SALU_CYCLE_1)
	v_cmp_ne_u32_e32 vcc_lo, 0, v4
	s_cmp_lg_u32 vcc_lo, 0
	s_cselect_b32 s0, -1, 0
	s_and_b32 s0, s2, s0
	s_delay_alu instid0(SALU_CYCLE_1)
	s_and_saveexec_b32 s22, s0
	s_cbranch_execz .LBB150_509
; %bb.506:                              ;   in Loop: Header=BB150_503 Depth=1
	s_mov_b32 s26, exec_lo
	s_bcnt1_i32_b32 s24, vcc_lo
	v_mbcnt_lo_u32_b32 v14, s26, 0
	s_mov_b32 s25, exec_lo
                                        ; implicit-def: $vgpr8_vgpr9
	s_delay_alu instid0(VALU_DEP_1)
	v_cmpx_eq_u32_e32 0, v14
	s_cbranch_execz .LBB150_508
; %bb.507:                              ;   in Loop: Header=BB150_503 Depth=1
	s_bcnt1_i32_b32 s0, s26
	s_delay_alu instid0(SALU_CYCLE_1) | instskip(NEXT) | instid1(SALU_CYCLE_1)
	s_mul_i32 s0, s24, s0
	v_mov_b32_e32 v4, s0
	s_waitcnt lgkmcnt(0)
	ds_add_rtn_u64 v[8:9], v5, v[4:5] offset:5136
.LBB150_508:                            ;   in Loop: Header=BB150_503 Depth=1
	s_or_b32 exec_lo, exec_lo, s25
	s_waitcnt lgkmcnt(0)
	v_readfirstlane_b32 s27, v9
	v_readfirstlane_b32 s26, v8
	s_delay_alu instid0(VALU_DEP_1)
	v_mad_u64_u32 v[8:9], null, s24, v14, s[26:27]
.LBB150_509:                            ;   in Loop: Header=BB150_503 Depth=1
	s_or_b32 exec_lo, exec_lo, s22
	s_waitcnt lgkmcnt(0)
	ds_bpermute_b32 v8, v5, v8
	ds_bpermute_b32 v9, v5, v9
	s_mov_b32 s0, -1
	s_mov_b32 s25, -1
                                        ; implicit-def: $sgpr24
	s_and_saveexec_b32 s22, s23
	s_cbranch_execz .LBB150_513
; %bb.510:                              ;   in Loop: Header=BB150_503 Depth=1
	v_and_b32_e32 v4, vcc_lo, v25
	s_mov_b32 s23, 0
	s_mov_b32 s24, exec_lo
	s_delay_alu instid0(VALU_DEP_1) | instskip(SKIP_1) | instid1(VALU_DEP_1)
	v_bcnt_u32_b32 v4, v4, 0
	s_waitcnt lgkmcnt(0)
	v_add_co_u32 v14, vcc_lo, v8, v4
	v_add_co_ci_u32_e32 v15, vcc_lo, 0, v9, vcc_lo
	s_delay_alu instid0(VALU_DEP_1)
	v_cmpx_gt_u64_e64 s[38:39], v[14:15]
	s_cbranch_execz .LBB150_512
; %bb.511:                              ;   in Loop: Header=BB150_503 Depth=1
	v_mul_lo_u32 v4, v15, s8
	v_mul_lo_u32 v22, v14, s9
	v_mad_u64_u32 v[18:19], null, v14, s8, 0
	v_mul_lo_u32 v15, v15, s10
	v_mul_lo_u32 v23, v14, s11
	v_mad_u64_u32 v[20:21], null, v14, s10, 0
	s_mov_b32 s23, exec_lo
	s_delay_alu instid0(VALU_DEP_4) | instskip(NEXT) | instid1(VALU_DEP_2)
	v_add3_u32 v19, v19, v22, v4
	v_add3_u32 v21, v21, v23, v15
	s_delay_alu instid0(VALU_DEP_2) | instskip(NEXT) | instid1(VALU_DEP_2)
	v_lshlrev_b64 v[14:15], 2, v[18:19]
	v_lshlrev_b64 v[18:19], 3, v[20:21]
	s_delay_alu instid0(VALU_DEP_2) | instskip(NEXT) | instid1(VALU_DEP_3)
	v_add_co_u32 v14, vcc_lo, s1, v14
	v_add_co_ci_u32_e32 v15, vcc_lo, s5, v15, vcc_lo
	s_delay_alu instid0(VALU_DEP_3) | instskip(NEXT) | instid1(VALU_DEP_4)
	v_add_co_u32 v18, vcc_lo, s16, v18
	v_add_co_ci_u32_e32 v19, vcc_lo, s17, v19, vcc_lo
	global_store_b32 v[14:15], v2, off
	global_store_b64 v[18:19], v[12:13], off
.LBB150_512:                            ;   in Loop: Header=BB150_503 Depth=1
	s_or_b32 exec_lo, exec_lo, s24
	s_mov_b32 s24, -1
	s_or_not1_b32 s25, s23, exec_lo
.LBB150_513:                            ;   in Loop: Header=BB150_503 Depth=1
	s_or_b32 exec_lo, exec_lo, s22
	s_and_saveexec_b32 s22, s25
	s_cbranch_execz .LBB150_502
; %bb.514:                              ;   in Loop: Header=BB150_503 Depth=1
	v_cmp_le_u64_e32 vcc_lo, s[6:7], v[6:7]
	s_and_not1_b32 s24, s24, exec_lo
	s_or_not1_b32 s0, vcc_lo, exec_lo
	s_branch .LBB150_502
.LBB150_515:
	s_or_b32 exec_lo, exec_lo, s18
	s_delay_alu instid0(SALU_CYCLE_1)
	s_mov_b32 s18, exec_lo
	s_or_not1_b32 s0, s21, exec_lo
.LBB150_516:
	s_or_b32 exec_lo, exec_lo, s20
	s_and_saveexec_b32 s3, s0
	s_cbranch_execz .LBB150_539
; %bb.517:
	s_waitcnt vmcnt(0)
	v_dual_mov_b32 v5, 0 :: v_dual_mov_b32 v2, 0
	s_waitcnt lgkmcnt(0)
	s_waitcnt_vscnt null, 0x0
	s_barrier
	buffer_gl0_inv
	s_and_saveexec_b32 s0, s4
	s_cbranch_execz .LBB150_519
; %bb.518:
	global_load_b32 v2, v[10:11], off
.LBB150_519:
	s_or_b32 exec_lo, exec_lo, s0
	s_mov_b32 s19, 0
                                        ; implicit-def: $sgpr4
                                        ; implicit-def: $sgpr20
                                        ; implicit-def: $sgpr21
                                        ; implicit-def: $vgpr6_vgpr7
	s_branch .LBB150_522
.LBB150_520:                            ;   in Loop: Header=BB150_522 Depth=1
	s_or_b32 exec_lo, exec_lo, s24
	v_dual_mov_b32 v0, v8 :: v_dual_mov_b32 v1, v9
	s_and_not1_b32 s0, s21, exec_lo
	s_and_b32 s21, s26, exec_lo
	s_and_not1_b32 s20, s20, exec_lo
	s_and_b32 s23, s23, exec_lo
	s_or_b32 s21, s0, s21
	s_or_b32 s20, s20, s23
.LBB150_521:                            ;   in Loop: Header=BB150_522 Depth=1
	s_or_b32 exec_lo, exec_lo, s22
	s_xor_b32 s0, s21, -1
	s_and_b32 s22, exec_lo, s20
	s_delay_alu instid0(SALU_CYCLE_1) | instskip(SKIP_2) | instid1(SALU_CYCLE_1)
	s_or_b32 s19, s22, s19
	s_and_not1_b32 s4, s4, exec_lo
	s_and_b32 s0, s0, exec_lo
	s_or_b32 s4, s4, s0
	s_and_not1_b32 exec_lo, exec_lo, s19
	s_cbranch_execz .LBB150_537
.LBB150_522:                            ; =>This Inner Loop Header: Depth=1
	s_or_b32 s21, s21, exec_lo
	s_or_b32 s20, s20, exec_lo
	s_mov_b32 s22, exec_lo
	v_cmpx_gt_u64_e64 s[6:7], v[0:1]
	s_cbranch_execz .LBB150_521
; %bb.523:                              ;   in Loop: Header=BB150_522 Depth=1
	v_add_co_u32 v8, vcc_lo, v0, s35
	v_add_co_ci_u32_e32 v9, vcc_lo, 0, v1, vcc_lo
	v_mov_b32_e32 v12, 0
	s_mov_b32 s0, exec_lo
	s_delay_alu instid0(VALU_DEP_2)
	v_cmpx_gt_u64_e64 s[36:37], v[8:9]
	s_cbranch_execz .LBB150_525
; %bb.524:                              ;   in Loop: Header=BB150_522 Depth=1
	v_mul_lo_u32 v4, v9, s30
	v_mul_lo_u32 v12, v8, s31
	v_mad_u64_u32 v[10:11], null, v8, s30, 0
	s_delay_alu instid0(VALU_DEP_1) | instskip(NEXT) | instid1(VALU_DEP_1)
	v_add3_u32 v11, v11, v12, v4
	v_lshlrev_b64 v[10:11], 2, v[10:11]
	s_delay_alu instid0(VALU_DEP_1) | instskip(NEXT) | instid1(VALU_DEP_2)
	v_add_co_u32 v10, vcc_lo, s29, v10
	v_add_co_ci_u32_e32 v11, vcc_lo, s33, v11, vcc_lo
	global_load_b32 v12, v[10:11], off
.LBB150_525:                            ;   in Loop: Header=BB150_522 Depth=1
	s_or_b32 exec_lo, exec_lo, s0
	v_cmp_gt_u64_e32 vcc_lo, s[36:37], v[0:1]
	s_waitcnt vmcnt(0)
	v_cmp_eq_u32_e64 s0, v2, v3
	s_delay_alu instid0(VALU_DEP_1) | instskip(NEXT) | instid1(SALU_CYCLE_1)
	s_and_b32 s24, vcc_lo, s0
	v_cndmask_b32_e64 v4, 0, 1, s24
	s_delay_alu instid0(VALU_DEP_1) | instskip(SKIP_2) | instid1(SALU_CYCLE_1)
	v_cmp_ne_u32_e32 vcc_lo, 0, v4
	s_cmp_lg_u32 vcc_lo, 0
	s_cselect_b32 s0, -1, 0
	s_and_b32 s0, s2, s0
	s_delay_alu instid0(SALU_CYCLE_1)
	s_and_saveexec_b32 s23, s0
	s_cbranch_execz .LBB150_529
; %bb.526:                              ;   in Loop: Header=BB150_522 Depth=1
	s_mov_b32 s27, exec_lo
	s_bcnt1_i32_b32 s25, vcc_lo
	v_mbcnt_lo_u32_b32 v10, s27, 0
	s_mov_b32 s26, exec_lo
                                        ; implicit-def: $vgpr6_vgpr7
	s_delay_alu instid0(VALU_DEP_1)
	v_cmpx_eq_u32_e32 0, v10
	s_cbranch_execz .LBB150_528
; %bb.527:                              ;   in Loop: Header=BB150_522 Depth=1
	s_bcnt1_i32_b32 s0, s27
	s_delay_alu instid0(SALU_CYCLE_1) | instskip(NEXT) | instid1(SALU_CYCLE_1)
	s_mul_i32 s0, s25, s0
	v_mov_b32_e32 v4, s0
	ds_add_rtn_u64 v[6:7], v5, v[4:5] offset:5136
.LBB150_528:                            ;   in Loop: Header=BB150_522 Depth=1
	s_or_b32 exec_lo, exec_lo, s26
	s_waitcnt lgkmcnt(0)
	v_readfirstlane_b32 s27, v7
	v_readfirstlane_b32 s26, v6
	s_delay_alu instid0(VALU_DEP_1)
	v_mad_u64_u32 v[6:7], null, s25, v10, s[26:27]
.LBB150_529:                            ;   in Loop: Header=BB150_522 Depth=1
	s_or_b32 exec_lo, exec_lo, s23
	ds_bpermute_b32 v6, v5, v6
	ds_bpermute_b32 v7, v5, v7
	s_cmp_eq_u32 vcc_lo, 0
	s_mov_b32 s23, -1
	s_cselect_b32 s25, -1, 0
	s_mov_b32 s26, -1
	s_waitcnt lgkmcnt(0)
	v_cmp_gt_u64_e64 s0, s[38:39], v[6:7]
	s_delay_alu instid0(VALU_DEP_1) | instskip(SKIP_3) | instid1(SALU_CYCLE_1)
	s_or_b32 s0, s25, s0
	s_mov_b32 s25, -1
	v_cndmask_b32_e64 v2, v2, v12, s0
	s_and_b32 s27, s24, s0
	s_and_saveexec_b32 s24, s27
	s_cbranch_execz .LBB150_535
; %bb.530:                              ;   in Loop: Header=BB150_522 Depth=1
	v_and_b32_e32 v2, vcc_lo, v25
	v_sub_co_u32 v10, vcc_lo, s38, v6
	v_sub_co_ci_u32_e32 v11, vcc_lo, s39, v7, vcc_lo
	s_delay_alu instid0(VALU_DEP_3) | instskip(SKIP_2) | instid1(VALU_DEP_1)
	v_bcnt_u32_b32 v4, v2, 0
	s_mov_b32 s27, -1
	s_mov_b32 s26, exec_lo
	v_cmp_le_u64_e64 s25, v[10:11], v[4:5]
	v_cmpx_gt_u64_e64 v[10:11], v[4:5]
	s_cbranch_execz .LBB150_534
; %bb.531:                              ;   in Loop: Header=BB150_522 Depth=1
	v_add_co_u32 v10, vcc_lo, v6, v4
	v_add_co_ci_u32_e32 v11, vcc_lo, 0, v7, vcc_lo
	s_delay_alu instid0(VALU_DEP_4) | instskip(SKIP_1) | instid1(VALU_DEP_1)
	s_mov_b32 s28, s25
	s_mov_b32 s27, exec_lo
	v_cmpx_gt_u64_e64 s[38:39], v[10:11]
	s_cbranch_execz .LBB150_533
; %bb.532:                              ;   in Loop: Header=BB150_522 Depth=1
	v_mul_lo_u32 v2, v11, s8
	v_mul_lo_u32 v4, v10, s9
	v_mad_u64_u32 v[13:14], null, v10, s8, 0
	v_mul_lo_u32 v11, v11, s10
	v_mul_lo_u32 v17, v10, s11
	v_mad_u64_u32 v[15:16], null, v10, s10, 0
	s_or_b32 s28, s25, exec_lo
	s_delay_alu instid0(VALU_DEP_4) | instskip(NEXT) | instid1(VALU_DEP_2)
	v_add3_u32 v14, v14, v4, v2
	v_add3_u32 v16, v16, v17, v11
	s_delay_alu instid0(VALU_DEP_2) | instskip(NEXT) | instid1(VALU_DEP_2)
	v_lshlrev_b64 v[10:11], 2, v[13:14]
	v_lshlrev_b64 v[13:14], 3, v[15:16]
	s_delay_alu instid0(VALU_DEP_2) | instskip(NEXT) | instid1(VALU_DEP_3)
	v_add_co_u32 v10, vcc_lo, s1, v10
	v_add_co_ci_u32_e32 v11, vcc_lo, s5, v11, vcc_lo
	s_delay_alu instid0(VALU_DEP_3) | instskip(NEXT) | instid1(VALU_DEP_4)
	v_add_co_u32 v13, vcc_lo, s16, v13
	v_add_co_ci_u32_e32 v14, vcc_lo, s17, v14, vcc_lo
	global_store_b32 v[10:11], v3, off
	global_store_b64 v[13:14], v[0:1], off
.LBB150_533:                            ;   in Loop: Header=BB150_522 Depth=1
	s_or_b32 exec_lo, exec_lo, s27
	s_delay_alu instid0(SALU_CYCLE_1)
	s_and_not1_b32 s25, s25, exec_lo
	s_and_b32 s28, s28, exec_lo
	s_xor_b32 s27, exec_lo, -1
	s_or_b32 s25, s25, s28
.LBB150_534:                            ;   in Loop: Header=BB150_522 Depth=1
	s_or_b32 exec_lo, exec_lo, s26
	v_mov_b32_e32 v2, v12
	s_or_not1_b32 s26, s27, exec_lo
	s_or_b32 s0, s0, exec_lo
	s_or_not1_b32 s25, s25, exec_lo
.LBB150_535:                            ;   in Loop: Header=BB150_522 Depth=1
	s_or_b32 exec_lo, exec_lo, s24
	s_and_saveexec_b32 s24, s25
	s_cbranch_execz .LBB150_520
; %bb.536:                              ;   in Loop: Header=BB150_522 Depth=1
	s_xor_b32 s0, s0, -1
	s_or_b32 s26, s26, exec_lo
	s_or_not1_b32 s23, s0, exec_lo
	s_branch .LBB150_520
.LBB150_537:
	s_or_b32 exec_lo, exec_lo, s19
	s_mov_b32 s0, 0
	s_and_saveexec_b32 s1, s4
	s_delay_alu instid0(SALU_CYCLE_1)
	s_xor_b32 s1, exec_lo, s1
	s_cbranch_execnz .LBB150_569
.LBB150_538:
	s_or_b32 exec_lo, exec_lo, s1
	s_delay_alu instid0(SALU_CYCLE_1)
	s_and_b32 s19, s0, exec_lo
	s_and_not1_b32 s18, s18, exec_lo
.LBB150_539:
	s_or_b32 exec_lo, exec_lo, s3
	s_and_saveexec_b32 s0, s18
	s_delay_alu instid0(SALU_CYCLE_1)
	s_xor_b32 s0, exec_lo, s0
	s_cbranch_execnz .LBB150_565
.LBB150_540:
	s_or_b32 exec_lo, exec_lo, s0
	s_waitcnt lgkmcnt(0)
	s_and_b32 s8, s19, exec_lo
.LBB150_541:
	s_and_not1_saveexec_b32 s0, s15
	s_cbranch_execnz .LBB150_561
.LBB150_542:
	s_or_b32 exec_lo, exec_lo, s0
	s_delay_alu instid0(SALU_CYCLE_1)
	s_and_b32 s8, s8, exec_lo
.LBB150_543:
	s_and_not1_saveexec_b32 s0, s14
	s_cbranch_execnz .LBB150_557
.LBB150_544:
	s_or_b32 exec_lo, exec_lo, s0
	s_delay_alu instid0(SALU_CYCLE_1)
	s_and_b32 s8, s8, exec_lo
.LBB150_545:
	s_and_not1_saveexec_b32 s0, s13
	s_cbranch_execnz .LBB150_553
.LBB150_546:
	s_or_b32 exec_lo, exec_lo, s0
	s_delay_alu instid0(SALU_CYCLE_1)
	s_and_b32 s8, s8, exec_lo
.LBB150_547:
	s_and_not1_saveexec_b32 s0, s12
	s_cbranch_execnz .LBB150_551
; %bb.548:
	s_or_b32 exec_lo, exec_lo, s0
	s_and_saveexec_b32 s0, s8
.LBB150_549:
	; divergent unreachable
.LBB150_550:
	s_nop 0
	s_sendmsg sendmsg(MSG_DEALLOC_VGPRS)
	s_endpgm
.LBB150_551:
	s_cbranch_execnz .LBB150_555
; %bb.552:
	s_or_b32 s8, s8, exec_lo
	s_or_b32 exec_lo, exec_lo, s0
	s_and_saveexec_b32 s0, s8
	s_cbranch_execnz .LBB150_549
	s_branch .LBB150_550
.LBB150_553:
	s_cbranch_execnz .LBB150_559
; %bb.554:
	s_or_b32 s8, s8, exec_lo
	s_branch .LBB150_546
.LBB150_555:
	s_trap 2
	s_sendmsg_rtn_b32 s0, sendmsg(MSG_RTN_GET_DOORBELL)
	s_mov_b32 ttmp2, m0
	s_waitcnt lgkmcnt(0)
	s_and_b32 s0, s0, 0x3ff
	s_delay_alu instid0(SALU_CYCLE_1) | instskip(NEXT) | instid1(SALU_CYCLE_1)
	s_bitset1_b32 s0, 10
	s_mov_b32 m0, s0
	s_sendmsg sendmsg(MSG_INTERRUPT)
	s_mov_b32 m0, ttmp2
.LBB150_556:                            ; =>This Inner Loop Header: Depth=1
	s_sethalt 5
	s_branch .LBB150_556
.LBB150_557:
	s_cbranch_execnz .LBB150_563
; %bb.558:
	s_or_b32 s8, s8, exec_lo
	s_branch .LBB150_544
.LBB150_559:
	s_trap 2
	s_sendmsg_rtn_b32 s0, sendmsg(MSG_RTN_GET_DOORBELL)
	s_mov_b32 ttmp2, m0
	s_waitcnt lgkmcnt(0)
	s_and_b32 s0, s0, 0x3ff
	s_delay_alu instid0(SALU_CYCLE_1) | instskip(NEXT) | instid1(SALU_CYCLE_1)
	s_bitset1_b32 s0, 10
	s_mov_b32 m0, s0
	s_sendmsg sendmsg(MSG_INTERRUPT)
	s_mov_b32 m0, ttmp2
.LBB150_560:                            ; =>This Inner Loop Header: Depth=1
	s_sethalt 5
	s_branch .LBB150_560
.LBB150_561:
	s_cbranch_execnz .LBB150_567
; %bb.562:
	s_or_b32 s8, s8, exec_lo
	s_branch .LBB150_542
.LBB150_563:
	s_trap 2
	s_sendmsg_rtn_b32 s0, sendmsg(MSG_RTN_GET_DOORBELL)
	s_mov_b32 ttmp2, m0
	s_waitcnt lgkmcnt(0)
	s_and_b32 s0, s0, 0x3ff
	s_delay_alu instid0(SALU_CYCLE_1) | instskip(NEXT) | instid1(SALU_CYCLE_1)
	s_bitset1_b32 s0, 10
	s_mov_b32 m0, s0
	s_sendmsg sendmsg(MSG_INTERRUPT)
	s_mov_b32 m0, ttmp2
.LBB150_564:                            ; =>This Inner Loop Header: Depth=1
	s_sethalt 5
	s_branch .LBB150_564
.LBB150_565:
	s_cbranch_execnz .LBB150_571
; %bb.566:
	s_or_b32 s19, s19, exec_lo
	s_branch .LBB150_540
.LBB150_567:
	s_trap 2
	s_sendmsg_rtn_b32 s0, sendmsg(MSG_RTN_GET_DOORBELL)
	s_mov_b32 ttmp2, m0
	s_waitcnt lgkmcnt(0)
	s_and_b32 s0, s0, 0x3ff
	s_delay_alu instid0(SALU_CYCLE_1) | instskip(NEXT) | instid1(SALU_CYCLE_1)
	s_bitset1_b32 s0, 10
	s_mov_b32 m0, s0
	s_sendmsg sendmsg(MSG_INTERRUPT)
	s_mov_b32 m0, ttmp2
.LBB150_568:                            ; =>This Inner Loop Header: Depth=1
	s_sethalt 5
	s_branch .LBB150_568
.LBB150_569:
	s_cbranch_execnz .LBB150_573
; %bb.570:
	s_mov_b32 s0, exec_lo
	s_branch .LBB150_538
.LBB150_571:
	s_trap 2
	s_sendmsg_rtn_b32 s0, sendmsg(MSG_RTN_GET_DOORBELL)
	s_mov_b32 ttmp2, m0
	s_waitcnt lgkmcnt(0)
	s_and_b32 s0, s0, 0x3ff
	s_delay_alu instid0(SALU_CYCLE_1) | instskip(NEXT) | instid1(SALU_CYCLE_1)
	s_bitset1_b32 s0, 10
	s_mov_b32 m0, s0
	s_sendmsg sendmsg(MSG_INTERRUPT)
	s_mov_b32 m0, ttmp2
.LBB150_572:                            ; =>This Inner Loop Header: Depth=1
	s_sethalt 5
	s_branch .LBB150_572
.LBB150_573:
	s_trap 2
	s_sendmsg_rtn_b32 s0, sendmsg(MSG_RTN_GET_DOORBELL)
	s_mov_b32 ttmp2, m0
	s_waitcnt lgkmcnt(0)
	s_and_b32 s0, s0, 0x3ff
	s_delay_alu instid0(SALU_CYCLE_1) | instskip(NEXT) | instid1(SALU_CYCLE_1)
	s_bitset1_b32 s0, 10
	s_mov_b32 m0, s0
	s_sendmsg sendmsg(MSG_INTERRUPT)
	s_mov_b32 m0, ttmp2
.LBB150_574:                            ; =>This Inner Loop Header: Depth=1
	s_sethalt 5
	s_branch .LBB150_574
	.section	.rodata,"a",@progbits
	.p2align	6, 0x0
	.amdhsa_kernel _ZN2at6native6sbtopk10gatherTopKIimLi3ELb0EEEvNS_4cuda6detail10TensorInfoIKT_T0_EES8_S8_bS8_S8_NS5_IS6_S8_EES8_NS5_IlS8_EES8_PS6_
		.amdhsa_group_segment_fixed_size 5152
		.amdhsa_private_segment_fixed_size 0
		.amdhsa_kernarg_size 1568
		.amdhsa_user_sgpr_count 13
		.amdhsa_user_sgpr_dispatch_ptr 0
		.amdhsa_user_sgpr_queue_ptr 0
		.amdhsa_user_sgpr_kernarg_segment_ptr 1
		.amdhsa_user_sgpr_dispatch_id 0
		.amdhsa_user_sgpr_private_segment_size 0
		.amdhsa_wavefront_size32 1
		.amdhsa_uses_dynamic_stack 0
		.amdhsa_enable_private_segment 0
		.amdhsa_system_sgpr_workgroup_id_x 1
		.amdhsa_system_sgpr_workgroup_id_y 1
		.amdhsa_system_sgpr_workgroup_id_z 1
		.amdhsa_system_sgpr_workgroup_info 0
		.amdhsa_system_vgpr_workitem_id 0
		.amdhsa_next_free_vgpr 38
		.amdhsa_next_free_sgpr 105
		.amdhsa_reserve_vcc 1
		.amdhsa_float_round_mode_32 0
		.amdhsa_float_round_mode_16_64 0
		.amdhsa_float_denorm_mode_32 3
		.amdhsa_float_denorm_mode_16_64 3
		.amdhsa_dx10_clamp 1
		.amdhsa_ieee_mode 1
		.amdhsa_fp16_overflow 0
		.amdhsa_workgroup_processor_mode 1
		.amdhsa_memory_ordered 1
		.amdhsa_forward_progress 0
		.amdhsa_shared_vgpr_count 0
		.amdhsa_exception_fp_ieee_invalid_op 0
		.amdhsa_exception_fp_denorm_src 0
		.amdhsa_exception_fp_ieee_div_zero 0
		.amdhsa_exception_fp_ieee_overflow 0
		.amdhsa_exception_fp_ieee_underflow 0
		.amdhsa_exception_fp_ieee_inexact 0
		.amdhsa_exception_int_div_zero 0
	.end_amdhsa_kernel
	.section	.text._ZN2at6native6sbtopk10gatherTopKIimLi3ELb0EEEvNS_4cuda6detail10TensorInfoIKT_T0_EES8_S8_bS8_S8_NS5_IS6_S8_EES8_NS5_IlS8_EES8_PS6_,"axG",@progbits,_ZN2at6native6sbtopk10gatherTopKIimLi3ELb0EEEvNS_4cuda6detail10TensorInfoIKT_T0_EES8_S8_bS8_S8_NS5_IS6_S8_EES8_NS5_IlS8_EES8_PS6_,comdat
.Lfunc_end150:
	.size	_ZN2at6native6sbtopk10gatherTopKIimLi3ELb0EEEvNS_4cuda6detail10TensorInfoIKT_T0_EES8_S8_bS8_S8_NS5_IS6_S8_EES8_NS5_IlS8_EES8_PS6_, .Lfunc_end150-_ZN2at6native6sbtopk10gatherTopKIimLi3ELb0EEEvNS_4cuda6detail10TensorInfoIKT_T0_EES8_S8_bS8_S8_NS5_IS6_S8_EES8_NS5_IlS8_EES8_PS6_
                                        ; -- End function
	.section	.AMDGPU.csdata,"",@progbits
; Kernel info:
; codeLenInByte = 29636
; NumSgprs: 107
; NumVgprs: 38
; ScratchSize: 0
; MemoryBound: 0
; FloatMode: 240
; IeeeMode: 1
; LDSByteSize: 5152 bytes/workgroup (compile time only)
; SGPRBlocks: 13
; VGPRBlocks: 4
; NumSGPRsForWavesPerEU: 107
; NumVGPRsForWavesPerEU: 38
; Occupancy: 16
; WaveLimiterHint : 1
; COMPUTE_PGM_RSRC2:SCRATCH_EN: 0
; COMPUTE_PGM_RSRC2:USER_SGPR: 13
; COMPUTE_PGM_RSRC2:TRAP_HANDLER: 0
; COMPUTE_PGM_RSRC2:TGID_X_EN: 1
; COMPUTE_PGM_RSRC2:TGID_Y_EN: 1
; COMPUTE_PGM_RSRC2:TGID_Z_EN: 1
; COMPUTE_PGM_RSRC2:TIDIG_COMP_CNT: 0
	.section	.text._ZN2at6native6mbtopk23computeBlockDigitCountsIimjLin1EEEvNS_4cuda6detail10TensorInfoIKT_T0_EEjPjjS8_iijT1_PSB_Ps,"axG",@progbits,_ZN2at6native6mbtopk23computeBlockDigitCountsIimjLin1EEEvNS_4cuda6detail10TensorInfoIKT_T0_EEjPjjS8_iijT1_PSB_Ps,comdat
	.protected	_ZN2at6native6mbtopk23computeBlockDigitCountsIimjLin1EEEvNS_4cuda6detail10TensorInfoIKT_T0_EEjPjjS8_iijT1_PSB_Ps ; -- Begin function _ZN2at6native6mbtopk23computeBlockDigitCountsIimjLin1EEEvNS_4cuda6detail10TensorInfoIKT_T0_EEjPjjS8_iijT1_PSB_Ps
	.globl	_ZN2at6native6mbtopk23computeBlockDigitCountsIimjLin1EEEvNS_4cuda6detail10TensorInfoIKT_T0_EEjPjjS8_iijT1_PSB_Ps
	.p2align	8
	.type	_ZN2at6native6mbtopk23computeBlockDigitCountsIimjLin1EEEvNS_4cuda6detail10TensorInfoIKT_T0_EEjPjjS8_iijT1_PSB_Ps,@function
_ZN2at6native6mbtopk23computeBlockDigitCountsIimjLin1EEEvNS_4cuda6detail10TensorInfoIKT_T0_EEjPjjS8_iijT1_PSB_Ps: ; @_ZN2at6native6mbtopk23computeBlockDigitCountsIimjLin1EEEvNS_4cuda6detail10TensorInfoIKT_T0_EEjPjjS8_iijT1_PSB_Ps
; %bb.0:
	s_clause 0x2
	s_load_b128 s[8:11], s[0:1], 0x1c0
	s_load_b32 s5, s[0:1], 0x1b0
	s_load_b64 s[2:3], s[0:1], 0x1e0
	s_waitcnt lgkmcnt(0)
	v_cvt_f32_u32_e32 v1, s10
	s_sub_i32 s6, 0, s10
	s_mul_i32 s3, s3, s15
	s_delay_alu instid0(SALU_CYCLE_1) | instskip(NEXT) | instid1(VALU_DEP_1)
	s_add_i32 s3, s3, s14
	v_rcp_iflag_f32_e32 v1, v1
	s_mul_i32 s24, s3, s2
	s_delay_alu instid0(SALU_CYCLE_1) | instskip(SKIP_3) | instid1(VALU_DEP_1)
	s_add_i32 s24, s24, s13
	s_mov_b32 s13, 0
	s_waitcnt_depctr 0xfff
	v_mul_f32_e32 v1, 0x4f7ffffe, v1
	v_cvt_u32_f32_e32 v1, v1
	s_delay_alu instid0(VALU_DEP_1) | instskip(NEXT) | instid1(VALU_DEP_1)
	v_readfirstlane_b32 s4, v1
	s_mul_i32 s6, s6, s4
	s_delay_alu instid0(SALU_CYCLE_1) | instskip(NEXT) | instid1(SALU_CYCLE_1)
	s_mul_hi_u32 s2, s4, s6
	s_add_i32 s4, s4, s2
	s_delay_alu instid0(SALU_CYCLE_1) | instskip(NEXT) | instid1(SALU_CYCLE_1)
	s_mul_hi_u32 s2, s24, s4
	s_mul_i32 s3, s2, s10
	s_add_i32 s4, s2, 1
	s_sub_i32 s3, s24, s3
	s_delay_alu instid0(SALU_CYCLE_1)
	s_sub_i32 s6, s3, s10
	s_cmp_ge_u32 s3, s10
	s_cselect_b32 s2, s4, s2
	s_cselect_b32 s3, s6, s3
	s_add_i32 s4, s2, 1
	s_cmp_ge_u32 s3, s10
	s_cselect_b32 s12, s4, s2
	s_delay_alu instid0(SALU_CYCLE_1)
	s_cmp_ge_u32 s12, s5
	s_cbranch_scc1 .LBB151_32
; %bb.1:
	s_clause 0x1
	s_load_b128 s[4:7], s[0:1], 0x1d0
	s_load_b32 s15, s[0:1], 0x198
	s_lshl_b64 s[2:3], s[12:13], 2
	s_mov_b64 s[18:19], s[12:13]
	s_waitcnt lgkmcnt(0)
	s_add_u32 s4, s4, s2
	s_addc_u32 s5, s5, s3
	s_cmp_lt_i32 s15, 2
	s_mov_b64 s[2:3], 0
	s_cbranch_scc1 .LBB151_9
; %bb.2:
	s_mov_b32 s14, 0
	s_add_i32 s2, s15, -1
	s_mov_b32 s3, s14
	s_add_i32 s13, s15, 1
	s_lshl_b64 s[2:3], s[2:3], 3
	s_delay_alu instid0(SALU_CYCLE_1)
	s_add_u32 s2, s2, s0
	s_addc_u32 s3, s3, s1
	s_add_u32 s16, s2, 8
	s_addc_u32 s17, s3, 0
	s_mov_b64 s[2:3], 0
.LBB151_3:                              ; =>This Inner Loop Header: Depth=1
	s_load_b64 s[20:21], s[16:17], 0x0
	s_waitcnt lgkmcnt(0)
	s_or_b64 s[22:23], s[18:19], s[20:21]
	s_delay_alu instid0(SALU_CYCLE_1) | instskip(NEXT) | instid1(SALU_CYCLE_1)
	s_mov_b32 s15, s23
                                        ; implicit-def: $sgpr22_sgpr23
	s_cmp_lg_u64 s[14:15], 0
	s_mov_b32 s15, -1
	s_cbranch_scc0 .LBB151_5
; %bb.4:                                ;   in Loop: Header=BB151_3 Depth=1
	v_cvt_f32_u32_e32 v1, s20
	v_cvt_f32_u32_e32 v2, s21
	s_sub_u32 s23, 0, s20
	s_subb_u32 s25, 0, s21
	s_waitcnt_depctr 0xfff
	v_fmac_f32_e32 v1, 0x4f800000, v2
	s_delay_alu instid0(VALU_DEP_1) | instskip(SKIP_2) | instid1(VALU_DEP_1)
	v_rcp_f32_e32 v1, v1
	s_waitcnt_depctr 0xfff
	v_mul_f32_e32 v1, 0x5f7ffffc, v1
	v_mul_f32_e32 v2, 0x2f800000, v1
	s_delay_alu instid0(VALU_DEP_1) | instskip(NEXT) | instid1(VALU_DEP_1)
	v_trunc_f32_e32 v2, v2
	v_fmac_f32_e32 v1, 0xcf800000, v2
	v_cvt_u32_f32_e32 v2, v2
	s_delay_alu instid0(VALU_DEP_2) | instskip(NEXT) | instid1(VALU_DEP_2)
	v_cvt_u32_f32_e32 v1, v1
	v_readfirstlane_b32 s15, v2
	s_delay_alu instid0(VALU_DEP_2) | instskip(NEXT) | instid1(VALU_DEP_2)
	v_readfirstlane_b32 s22, v1
	s_mul_i32 s26, s23, s15
	s_delay_alu instid0(VALU_DEP_1)
	s_mul_hi_u32 s28, s23, s22
	s_mul_i32 s27, s25, s22
	s_add_i32 s26, s28, s26
	s_mul_i32 s29, s23, s22
	s_add_i32 s26, s26, s27
	s_mul_hi_u32 s28, s22, s29
	s_mul_hi_u32 s30, s15, s29
	s_mul_i32 s27, s15, s29
	s_mul_hi_u32 s29, s22, s26
	s_mul_i32 s22, s22, s26
	s_mul_hi_u32 s31, s15, s26
	s_add_u32 s22, s28, s22
	s_addc_u32 s28, 0, s29
	s_add_u32 s22, s22, s27
	s_mul_i32 s26, s15, s26
	s_addc_u32 s22, s28, s30
	s_addc_u32 s27, s31, 0
	s_add_u32 s22, s22, s26
	s_addc_u32 s26, 0, s27
	v_add_co_u32 v1, s22, v1, s22
	s_delay_alu instid0(VALU_DEP_1) | instskip(SKIP_1) | instid1(VALU_DEP_1)
	s_cmp_lg_u32 s22, 0
	s_addc_u32 s15, s15, s26
	v_readfirstlane_b32 s22, v1
	s_mul_i32 s26, s23, s15
	s_delay_alu instid0(VALU_DEP_1)
	s_mul_hi_u32 s27, s23, s22
	s_mul_i32 s25, s25, s22
	s_add_i32 s26, s27, s26
	s_mul_i32 s23, s23, s22
	s_add_i32 s26, s26, s25
	s_mul_hi_u32 s27, s15, s23
	s_mul_i32 s28, s15, s23
	s_mul_hi_u32 s23, s22, s23
	s_mul_hi_u32 s29, s22, s26
	s_mul_i32 s22, s22, s26
	s_mul_hi_u32 s25, s15, s26
	s_add_u32 s22, s23, s22
	s_addc_u32 s23, 0, s29
	s_add_u32 s22, s22, s28
	s_mul_i32 s26, s15, s26
	s_addc_u32 s22, s23, s27
	s_addc_u32 s23, s25, 0
	s_add_u32 s22, s22, s26
	s_addc_u32 s23, 0, s23
	v_add_co_u32 v1, s22, v1, s22
	s_delay_alu instid0(VALU_DEP_1) | instskip(SKIP_1) | instid1(VALU_DEP_1)
	s_cmp_lg_u32 s22, 0
	s_addc_u32 s15, s15, s23
	v_readfirstlane_b32 s22, v1
	s_mul_i32 s25, s18, s15
	s_mul_hi_u32 s23, s18, s15
	s_mul_hi_u32 s26, s19, s15
	s_mul_i32 s15, s19, s15
	s_mul_hi_u32 s27, s18, s22
	s_mul_hi_u32 s28, s19, s22
	s_mul_i32 s22, s19, s22
	s_add_u32 s25, s27, s25
	s_addc_u32 s23, 0, s23
	s_add_u32 s22, s25, s22
	s_addc_u32 s22, s23, s28
	s_addc_u32 s23, s26, 0
	s_add_u32 s22, s22, s15
	s_addc_u32 s23, 0, s23
	s_mul_hi_u32 s15, s20, s22
	s_mul_i32 s26, s20, s23
	s_mul_i32 s27, s20, s22
	s_add_i32 s15, s15, s26
	v_sub_co_u32 v1, s26, s18, s27
	s_mul_i32 s25, s21, s22
	s_delay_alu instid0(SALU_CYCLE_1) | instskip(NEXT) | instid1(VALU_DEP_1)
	s_add_i32 s15, s15, s25
	v_sub_co_u32 v2, s27, v1, s20
	s_sub_i32 s25, s19, s15
	s_cmp_lg_u32 s26, 0
	s_subb_u32 s25, s25, s21
	s_cmp_lg_u32 s27, 0
	v_readfirstlane_b32 s27, v2
	s_subb_u32 s25, s25, 0
	s_delay_alu instid0(SALU_CYCLE_1) | instskip(SKIP_1) | instid1(VALU_DEP_1)
	s_cmp_ge_u32 s25, s21
	s_cselect_b32 s28, -1, 0
	s_cmp_ge_u32 s27, s20
	s_cselect_b32 s27, -1, 0
	s_cmp_eq_u32 s25, s21
	s_cselect_b32 s25, s27, s28
	s_add_u32 s27, s22, 1
	s_addc_u32 s28, s23, 0
	s_add_u32 s29, s22, 2
	s_addc_u32 s30, s23, 0
	s_cmp_lg_u32 s25, 0
	s_cselect_b32 s25, s29, s27
	s_cselect_b32 s27, s30, s28
	s_cmp_lg_u32 s26, 0
	v_readfirstlane_b32 s26, v1
	s_subb_u32 s15, s19, s15
	s_delay_alu instid0(SALU_CYCLE_1) | instskip(SKIP_1) | instid1(VALU_DEP_1)
	s_cmp_ge_u32 s15, s21
	s_cselect_b32 s28, -1, 0
	s_cmp_ge_u32 s26, s20
	s_cselect_b32 s26, -1, 0
	s_cmp_eq_u32 s15, s21
	s_cselect_b32 s15, s26, s28
	s_delay_alu instid0(SALU_CYCLE_1)
	s_cmp_lg_u32 s15, 0
	s_mov_b32 s15, 0
	s_cselect_b32 s23, s27, s23
	s_cselect_b32 s22, s25, s22
.LBB151_5:                              ;   in Loop: Header=BB151_3 Depth=1
	s_and_not1_b32 vcc_lo, exec_lo, s15
	s_cbranch_vccnz .LBB151_7
; %bb.6:                                ;   in Loop: Header=BB151_3 Depth=1
	v_cvt_f32_u32_e32 v1, s20
	s_sub_i32 s22, 0, s20
	s_waitcnt_depctr 0xfff
	v_rcp_iflag_f32_e32 v1, v1
	s_waitcnt_depctr 0xfff
	v_mul_f32_e32 v1, 0x4f7ffffe, v1
	s_delay_alu instid0(VALU_DEP_1) | instskip(NEXT) | instid1(VALU_DEP_1)
	v_cvt_u32_f32_e32 v1, v1
	v_readfirstlane_b32 s15, v1
	s_delay_alu instid0(VALU_DEP_1) | instskip(NEXT) | instid1(SALU_CYCLE_1)
	s_mul_i32 s22, s22, s15
	s_mul_hi_u32 s22, s15, s22
	s_delay_alu instid0(SALU_CYCLE_1) | instskip(NEXT) | instid1(SALU_CYCLE_1)
	s_add_i32 s15, s15, s22
	s_mul_hi_u32 s15, s18, s15
	s_delay_alu instid0(SALU_CYCLE_1) | instskip(SKIP_2) | instid1(SALU_CYCLE_1)
	s_mul_i32 s22, s15, s20
	s_add_i32 s23, s15, 1
	s_sub_i32 s22, s18, s22
	s_sub_i32 s25, s22, s20
	s_cmp_ge_u32 s22, s20
	s_cselect_b32 s15, s23, s15
	s_cselect_b32 s22, s25, s22
	s_add_i32 s23, s15, 1
	s_cmp_ge_u32 s22, s20
	s_cselect_b32 s22, s23, s15
	s_mov_b32 s23, s14
.LBB151_7:                              ;   in Loop: Header=BB151_3 Depth=1
	s_load_b64 s[26:27], s[16:17], 0xc8
	s_mul_i32 s15, s22, s21
	s_mul_hi_u32 s21, s22, s20
	s_mul_i32 s25, s23, s20
	s_add_i32 s15, s21, s15
	s_mul_i32 s20, s22, s20
	s_add_i32 s15, s15, s25
	s_sub_u32 s18, s18, s20
	s_subb_u32 s15, s19, s15
	s_waitcnt lgkmcnt(0)
	s_mul_i32 s15, s26, s15
	s_mul_hi_u32 s19, s26, s18
	s_mul_i32 s20, s27, s18
	s_add_i32 s15, s19, s15
	s_mul_i32 s18, s26, s18
	s_add_i32 s15, s15, s20
	s_add_u32 s2, s18, s2
	s_addc_u32 s3, s15, s3
	s_add_i32 s13, s13, -1
	s_add_u32 s16, s16, -8
	s_addc_u32 s17, s17, -1
	s_cmp_gt_u32 s13, 2
	s_cbranch_scc0 .LBB151_10
; %bb.8:                                ;   in Loop: Header=BB151_3 Depth=1
	s_mov_b64 s[18:19], s[22:23]
	s_branch .LBB151_3
.LBB151_9:
	s_mov_b64 s[22:23], s[18:19]
.LBB151_10:
	s_load_b32 s13, s[4:5], 0x0
	v_cmp_gt_u32_e32 vcc_lo, 0x100, v0
	v_lshlrev_b32_e32 v1, 2, v0
	s_and_saveexec_b32 s4, vcc_lo
	s_cbranch_execz .LBB151_12
; %bb.11:
	v_mov_b32_e32 v2, 0
	ds_store_b32 v1, v2
.LBB151_12:
	s_or_b32 exec_lo, exec_lo, s4
	s_load_b32 s14, s[0:1], 0x1a0
	s_mul_i32 s4, s12, s10
	s_waitcnt lgkmcnt(0)
	s_sub_i32 s4, s24, s4
	s_barrier
	s_mul_i32 s5, s9, s4
	s_add_i32 s4, s4, 1
	s_lshl_b32 s12, s5, 8
	buffer_gl0_inv
	s_sub_i32 s5, s14, s12
	s_delay_alu instid0(SALU_CYCLE_1) | instskip(SKIP_4) | instid1(VALU_DEP_1)
	s_add_u32 s5, s5, 0xff
	s_addc_u32 s15, 0, 0
	s_cmp_lt_u32 s4, s10
	v_alignbit_b32 v2, s15, s5, 8
	s_mov_b32 s10, 0
	v_readfirstlane_b32 s5, v2
	s_delay_alu instid0(VALU_DEP_1) | instskip(NEXT) | instid1(SALU_CYCLE_1)
	s_cselect_b32 s9, s9, s5
	s_cmp_lt_i32 s9, 1
	s_cbranch_scc1 .LBB151_28
; %bb.13:
	s_clause 0x2
	s_load_b64 s[16:17], s[0:1], 0xd0
	s_load_b64 s[4:5], s[0:1], 0x1b8
	;; [unrolled: 1-line block ×3, first 2 shown]
	v_add_nc_u32_e32 v2, s12, v0
	s_waitcnt lgkmcnt(0)
	s_mul_i32 s15, s16, s23
	s_mul_hi_u32 s18, s16, s22
	s_mul_i32 s17, s17, s22
	s_add_i32 s15, s18, s15
	s_mul_i32 s16, s16, s22
	s_add_i32 s17, s15, s17
	s_delay_alu instid0(SALU_CYCLE_1) | instskip(NEXT) | instid1(SALU_CYCLE_1)
	s_lshl_b64 s[16:17], s[16:17], 2
	s_add_u32 s15, s0, s16
	s_addc_u32 s16, s1, s17
	s_lshl_b64 s[0:1], s[2:3], 2
	s_delay_alu instid0(SALU_CYCLE_1)
	s_add_u32 s2, s15, s0
	s_addc_u32 s3, s16, s1
	s_and_b32 s1, s8, 0xff
	s_cmp_eq_u32 s9, 1
	s_cbranch_scc1 .LBB151_23
; %bb.14:
	v_dual_mov_b32 v3, 1 :: v_dual_mov_b32 v4, v2
	s_and_b32 s8, s9, 0x7ffffffe
	s_branch .LBB151_16
.LBB151_15:                             ;   in Loop: Header=BB151_16 Depth=1
	s_or_b32 exec_lo, exec_lo, s12
	v_add_nc_u32_e32 v4, 0x200, v4
	s_add_i32 s10, s10, 2
	s_delay_alu instid0(SALU_CYCLE_1)
	s_cmp_eq_u32 s8, s10
	s_cbranch_scc1 .LBB151_22
.LBB151_16:                             ; =>This Inner Loop Header: Depth=1
	s_mov_b32 s12, exec_lo
	s_delay_alu instid0(VALU_DEP_1)
	v_cmpx_gt_u32_e64 s14, v4
	s_cbranch_execz .LBB151_19
; %bb.17:                               ;   in Loop: Header=BB151_16 Depth=1
	v_mad_u64_u32 v[5:6], null, v4, s4, 0
	s_delay_alu instid0(VALU_DEP_1) | instskip(NEXT) | instid1(VALU_DEP_1)
	v_mad_u64_u32 v[7:8], null, v4, s5, v[6:7]
	v_mov_b32_e32 v6, v7
	s_delay_alu instid0(VALU_DEP_1) | instskip(NEXT) | instid1(VALU_DEP_1)
	v_lshlrev_b64 v[5:6], 2, v[5:6]
	v_add_co_u32 v5, s0, s2, v5
	s_delay_alu instid0(VALU_DEP_1) | instskip(SKIP_3) | instid1(VALU_DEP_1)
	v_add_co_ci_u32_e64 v6, s0, s3, v6, s0
	global_load_b32 v5, v[5:6], off
	s_waitcnt vmcnt(0)
	v_xor_b32_e32 v5, 0x80000000, v5
	v_xor_b32_e32 v6, s13, v5
	s_delay_alu instid0(VALU_DEP_1) | instskip(NEXT) | instid1(VALU_DEP_1)
	v_and_b32_e32 v6, s11, v6
	v_cmp_eq_u32_e64 s0, 0, v6
	s_delay_alu instid0(VALU_DEP_1)
	s_and_b32 exec_lo, exec_lo, s0
	s_cbranch_execz .LBB151_19
; %bb.18:                               ;   in Loop: Header=BB151_16 Depth=1
	v_bfe_u32 v5, v5, s1, 8
	s_delay_alu instid0(VALU_DEP_1)
	v_lshlrev_b32_e32 v5, 2, v5
	ds_add_u32 v5, v3
.LBB151_19:                             ;   in Loop: Header=BB151_16 Depth=1
	s_or_b32 exec_lo, exec_lo, s12
	v_add_nc_u32_e32 v5, 0x100, v4
	s_mov_b32 s12, exec_lo
	s_delay_alu instid0(VALU_DEP_1)
	v_cmpx_gt_u32_e64 s14, v5
	s_cbranch_execz .LBB151_15
; %bb.20:                               ;   in Loop: Header=BB151_16 Depth=1
	v_mad_u64_u32 v[6:7], null, v5, s4, 0
	s_delay_alu instid0(VALU_DEP_1) | instskip(NEXT) | instid1(VALU_DEP_1)
	v_mad_u64_u32 v[8:9], null, v5, s5, v[7:8]
	v_mov_b32_e32 v7, v8
	s_delay_alu instid0(VALU_DEP_1) | instskip(NEXT) | instid1(VALU_DEP_1)
	v_lshlrev_b64 v[5:6], 2, v[6:7]
	v_add_co_u32 v5, s0, s2, v5
	s_delay_alu instid0(VALU_DEP_1) | instskip(SKIP_3) | instid1(VALU_DEP_1)
	v_add_co_ci_u32_e64 v6, s0, s3, v6, s0
	global_load_b32 v5, v[5:6], off
	s_waitcnt vmcnt(0)
	v_xor_b32_e32 v5, 0x80000000, v5
	v_xor_b32_e32 v6, s13, v5
	s_delay_alu instid0(VALU_DEP_1) | instskip(NEXT) | instid1(VALU_DEP_1)
	v_and_b32_e32 v6, s11, v6
	v_cmp_eq_u32_e64 s0, 0, v6
	s_delay_alu instid0(VALU_DEP_1)
	s_and_b32 exec_lo, exec_lo, s0
	s_cbranch_execz .LBB151_15
; %bb.21:                               ;   in Loop: Header=BB151_16 Depth=1
	v_bfe_u32 v5, v5, s1, 8
	s_delay_alu instid0(VALU_DEP_1)
	v_lshlrev_b32_e32 v5, 2, v5
	ds_add_u32 v5, v3
	s_branch .LBB151_15
.LBB151_22:
	s_lshl_b32 s10, s8, 8
.LBB151_23:
	s_bitcmp0_b32 s9, 0
	s_cbranch_scc1 .LBB151_28
; %bb.24:
	v_add_nc_u32_e32 v2, s10, v2
	s_mov_b32 s8, exec_lo
	s_delay_alu instid0(VALU_DEP_1)
	v_cmpx_gt_u32_e64 s14, v2
	s_cbranch_execz .LBB151_27
; %bb.25:
	v_mad_u64_u32 v[3:4], null, v2, s4, 0
	s_delay_alu instid0(VALU_DEP_1) | instskip(NEXT) | instid1(VALU_DEP_1)
	v_mad_u64_u32 v[5:6], null, v2, s5, v[4:5]
	v_mov_b32_e32 v4, v5
	s_delay_alu instid0(VALU_DEP_1) | instskip(NEXT) | instid1(VALU_DEP_1)
	v_lshlrev_b64 v[2:3], 2, v[3:4]
	v_add_co_u32 v2, s0, s2, v2
	s_delay_alu instid0(VALU_DEP_1) | instskip(SKIP_3) | instid1(VALU_DEP_1)
	v_add_co_ci_u32_e64 v3, s0, s3, v3, s0
	global_load_b32 v2, v[2:3], off
	s_waitcnt vmcnt(0)
	v_xor_b32_e32 v2, 0x80000000, v2
	v_xor_b32_e32 v3, s13, v2
	s_delay_alu instid0(VALU_DEP_1) | instskip(NEXT) | instid1(VALU_DEP_1)
	v_and_b32_e32 v3, s11, v3
	v_cmp_eq_u32_e64 s0, 0, v3
	s_delay_alu instid0(VALU_DEP_1)
	s_and_b32 exec_lo, exec_lo, s0
	s_cbranch_execz .LBB151_27
; %bb.26:
	v_bfe_u32 v2, v2, s1, 8
	s_delay_alu instid0(VALU_DEP_1)
	v_dual_mov_b32 v3, 1 :: v_dual_lshlrev_b32 v2, 2, v2
	ds_add_u32 v2, v3
.LBB151_27:
	s_or_b32 exec_lo, exec_lo, s8
.LBB151_28:
	v_mov_b32_e32 v2, 0
	s_waitcnt lgkmcnt(0)
	s_barrier
	buffer_gl0_inv
	s_and_saveexec_b32 s0, vcc_lo
	s_cbranch_execz .LBB151_30
; %bb.29:
	ds_load_b32 v2, v1
.LBB151_30:
	s_or_b32 exec_lo, exec_lo, s0
	s_and_saveexec_b32 s0, vcc_lo
	s_cbranch_execz .LBB151_32
; %bb.31:
	v_lshl_or_b32 v0, s24, 8, v0
	v_mov_b32_e32 v1, 0
	s_delay_alu instid0(VALU_DEP_1) | instskip(NEXT) | instid1(VALU_DEP_1)
	v_lshlrev_b64 v[0:1], 1, v[0:1]
	v_add_co_u32 v0, vcc_lo, s6, v0
	s_delay_alu instid0(VALU_DEP_2)
	v_add_co_ci_u32_e32 v1, vcc_lo, s7, v1, vcc_lo
	s_waitcnt lgkmcnt(0)
	global_store_b16 v[0:1], v2, off
.LBB151_32:
	s_nop 0
	s_sendmsg sendmsg(MSG_DEALLOC_VGPRS)
	s_endpgm
	.section	.rodata,"a",@progbits
	.p2align	6, 0x0
	.amdhsa_kernel _ZN2at6native6mbtopk23computeBlockDigitCountsIimjLin1EEEvNS_4cuda6detail10TensorInfoIKT_T0_EEjPjjS8_iijT1_PSB_Ps
		.amdhsa_group_segment_fixed_size 1024
		.amdhsa_private_segment_fixed_size 0
		.amdhsa_kernarg_size 736
		.amdhsa_user_sgpr_count 13
		.amdhsa_user_sgpr_dispatch_ptr 0
		.amdhsa_user_sgpr_queue_ptr 0
		.amdhsa_user_sgpr_kernarg_segment_ptr 1
		.amdhsa_user_sgpr_dispatch_id 0
		.amdhsa_user_sgpr_private_segment_size 0
		.amdhsa_wavefront_size32 1
		.amdhsa_uses_dynamic_stack 0
		.amdhsa_enable_private_segment 0
		.amdhsa_system_sgpr_workgroup_id_x 1
		.amdhsa_system_sgpr_workgroup_id_y 1
		.amdhsa_system_sgpr_workgroup_id_z 1
		.amdhsa_system_sgpr_workgroup_info 0
		.amdhsa_system_vgpr_workitem_id 0
		.amdhsa_next_free_vgpr 10
		.amdhsa_next_free_sgpr 32
		.amdhsa_reserve_vcc 1
		.amdhsa_float_round_mode_32 0
		.amdhsa_float_round_mode_16_64 0
		.amdhsa_float_denorm_mode_32 3
		.amdhsa_float_denorm_mode_16_64 3
		.amdhsa_dx10_clamp 1
		.amdhsa_ieee_mode 1
		.amdhsa_fp16_overflow 0
		.amdhsa_workgroup_processor_mode 1
		.amdhsa_memory_ordered 1
		.amdhsa_forward_progress 0
		.amdhsa_shared_vgpr_count 0
		.amdhsa_exception_fp_ieee_invalid_op 0
		.amdhsa_exception_fp_denorm_src 0
		.amdhsa_exception_fp_ieee_div_zero 0
		.amdhsa_exception_fp_ieee_overflow 0
		.amdhsa_exception_fp_ieee_underflow 0
		.amdhsa_exception_fp_ieee_inexact 0
		.amdhsa_exception_int_div_zero 0
	.end_amdhsa_kernel
	.section	.text._ZN2at6native6mbtopk23computeBlockDigitCountsIimjLin1EEEvNS_4cuda6detail10TensorInfoIKT_T0_EEjPjjS8_iijT1_PSB_Ps,"axG",@progbits,_ZN2at6native6mbtopk23computeBlockDigitCountsIimjLin1EEEvNS_4cuda6detail10TensorInfoIKT_T0_EEjPjjS8_iijT1_PSB_Ps,comdat
.Lfunc_end151:
	.size	_ZN2at6native6mbtopk23computeBlockDigitCountsIimjLin1EEEvNS_4cuda6detail10TensorInfoIKT_T0_EEjPjjS8_iijT1_PSB_Ps, .Lfunc_end151-_ZN2at6native6mbtopk23computeBlockDigitCountsIimjLin1EEEvNS_4cuda6detail10TensorInfoIKT_T0_EEjPjjS8_iijT1_PSB_Ps
                                        ; -- End function
	.section	.AMDGPU.csdata,"",@progbits
; Kernel info:
; codeLenInByte = 1996
; NumSgprs: 34
; NumVgprs: 10
; ScratchSize: 0
; MemoryBound: 0
; FloatMode: 240
; IeeeMode: 1
; LDSByteSize: 1024 bytes/workgroup (compile time only)
; SGPRBlocks: 4
; VGPRBlocks: 1
; NumSGPRsForWavesPerEU: 34
; NumVGPRsForWavesPerEU: 10
; Occupancy: 16
; WaveLimiterHint : 0
; COMPUTE_PGM_RSRC2:SCRATCH_EN: 0
; COMPUTE_PGM_RSRC2:USER_SGPR: 13
; COMPUTE_PGM_RSRC2:TRAP_HANDLER: 0
; COMPUTE_PGM_RSRC2:TGID_X_EN: 1
; COMPUTE_PGM_RSRC2:TGID_Y_EN: 1
; COMPUTE_PGM_RSRC2:TGID_Z_EN: 1
; COMPUTE_PGM_RSRC2:TIDIG_COMP_CNT: 0
	.section	.text._ZN2at6native6mbtopk10gatherTopKIimLin1EEEvNS_4cuda6detail10TensorInfoIKT_T0_EES8_S8_bjS8_NS5_IS6_S8_EES8_NS5_IlS8_EES8_jjPS6_PjSD_j,"axG",@progbits,_ZN2at6native6mbtopk10gatherTopKIimLin1EEEvNS_4cuda6detail10TensorInfoIKT_T0_EES8_S8_bjS8_NS5_IS6_S8_EES8_NS5_IlS8_EES8_jjPS6_PjSD_j,comdat
	.protected	_ZN2at6native6mbtopk10gatherTopKIimLin1EEEvNS_4cuda6detail10TensorInfoIKT_T0_EES8_S8_bjS8_NS5_IS6_S8_EES8_NS5_IlS8_EES8_jjPS6_PjSD_j ; -- Begin function _ZN2at6native6mbtopk10gatherTopKIimLin1EEEvNS_4cuda6detail10TensorInfoIKT_T0_EES8_S8_bjS8_NS5_IS6_S8_EES8_NS5_IlS8_EES8_jjPS6_PjSD_j
	.globl	_ZN2at6native6mbtopk10gatherTopKIimLin1EEEvNS_4cuda6detail10TensorInfoIKT_T0_EES8_S8_bjS8_NS5_IS6_S8_EES8_NS5_IlS8_EES8_jjPS6_PjSD_j
	.p2align	8
	.type	_ZN2at6native6mbtopk10gatherTopKIimLin1EEEvNS_4cuda6detail10TensorInfoIKT_T0_EES8_S8_bjS8_NS5_IS6_S8_EES8_NS5_IlS8_EES8_jjPS6_PjSD_j,@function
_ZN2at6native6mbtopk10gatherTopKIimLin1EEEvNS_4cuda6detail10TensorInfoIKT_T0_EES8_S8_bjS8_NS5_IS6_S8_EES8_NS5_IlS8_EES8_jjPS6_PjSD_j: ; @_ZN2at6native6mbtopk10gatherTopKIimLin1EEEvNS_4cuda6detail10TensorInfoIKT_T0_EES8_S8_bjS8_NS5_IS6_S8_EES8_NS5_IlS8_EES8_jjPS6_PjSD_j
; %bb.0:
	s_clause 0x1
	s_load_b64 s[2:3], s[0:1], 0x538
	s_load_b32 s4, s[0:1], 0x530
	s_waitcnt lgkmcnt(0)
	s_mul_i32 s3, s3, s15
	s_delay_alu instid0(SALU_CYCLE_1) | instskip(NEXT) | instid1(SALU_CYCLE_1)
	s_add_i32 s3, s3, s14
	s_mul_i32 s3, s3, s2
	s_delay_alu instid0(SALU_CYCLE_1) | instskip(NEXT) | instid1(SALU_CYCLE_1)
	s_add_i32 s3, s3, s13
	s_cmp_ge_u32 s3, s4
	s_cbranch_scc1 .LBB152_67
; %bb.1:
	s_load_b64 s[16:17], s[0:1], 0x510
	s_waitcnt lgkmcnt(0)
	v_cvt_f32_u32_e32 v1, s17
	s_sub_i32 s4, 0, s17
	s_lshl_b32 s33, s16, 8
	s_delay_alu instid0(VALU_DEP_1) | instskip(SKIP_2) | instid1(VALU_DEP_1)
	v_rcp_iflag_f32_e32 v1, v1
	s_waitcnt_depctr 0xfff
	v_mul_f32_e32 v1, 0x4f7ffffe, v1
	v_cvt_u32_f32_e32 v1, v1
	s_delay_alu instid0(VALU_DEP_1) | instskip(NEXT) | instid1(VALU_DEP_1)
	v_readfirstlane_b32 s2, v1
	s_mul_i32 s4, s4, s2
	s_delay_alu instid0(SALU_CYCLE_1) | instskip(NEXT) | instid1(SALU_CYCLE_1)
	s_mul_hi_u32 s4, s2, s4
	s_add_i32 s2, s2, s4
	s_load_b128 s[4:7], s[0:1], 0x1a0
	s_mul_hi_u32 s2, s3, s2
	s_delay_alu instid0(SALU_CYCLE_1) | instskip(SKIP_2) | instid1(SALU_CYCLE_1)
	s_mul_i32 s8, s2, s17
	s_add_i32 s9, s2, 1
	s_sub_i32 s8, s3, s8
	s_sub_i32 s10, s8, s17
	s_cmp_ge_u32 s8, s17
	s_cselect_b32 s2, s9, s2
	s_cselect_b32 s8, s10, s8
	s_add_i32 s9, s2, 1
	s_cmp_ge_u32 s8, s17
	s_cselect_b32 s2, s9, s2
	s_delay_alu instid0(SALU_CYCLE_1) | instskip(NEXT) | instid1(SALU_CYCLE_1)
	s_mul_i32 s20, s2, s17
	s_sub_i32 s50, s3, s20
	s_delay_alu instid0(SALU_CYCLE_1) | instskip(NEXT) | instid1(SALU_CYCLE_1)
	s_add_i32 s3, s50, 1
	s_cmp_lt_u32 s3, s17
	s_mov_b32 s3, 0
	s_cbranch_scc1 .LBB152_3
; %bb.2:
	s_mul_i32 s8, s50, s33
	s_waitcnt lgkmcnt(0)
	s_sub_u32 s8, s4, s8
	s_subb_u32 s9, s5, 0
	s_add_u32 s8, s8, 0xff
	s_addc_u32 s9, s9, 0
	s_delay_alu instid0(SALU_CYCLE_1) | instskip(NEXT) | instid1(SALU_CYCLE_1)
	s_ashr_i32 s10, s9, 31
	s_lshr_b32 s10, s10, 24
	s_delay_alu instid0(SALU_CYCLE_1) | instskip(SKIP_1) | instid1(SALU_CYCLE_1)
	s_add_u32 s8, s8, s10
	s_addc_u32 s9, s9, 0
	v_alignbit_b32 v1, s9, s8, 8
	s_delay_alu instid0(VALU_DEP_1)
	v_readfirstlane_b32 s16, v1
.LBB152_3:
	s_load_b32 s9, s[0:1], 0x198
	s_mov_b64 s[18:19], 0
	s_mov_b64 s[22:23], s[2:3]
	s_waitcnt lgkmcnt(0)
	s_cmp_lt_i32 s9, 2
	s_cbranch_scc1 .LBB152_11
; %bb.4:
	s_mov_b32 s8, 0
	s_add_i32 s10, s9, -1
	s_mov_b32 s11, s8
	s_add_i32 s21, s9, 1
	s_lshl_b64 s[10:11], s[10:11], 3
	s_mov_b64 s[12:13], s[2:3]
	s_add_u32 s9, s10, s0
	s_addc_u32 s11, s11, s1
	s_add_u32 s10, s9, 8
	s_addc_u32 s11, s11, 0
.LBB152_5:                              ; =>This Inner Loop Header: Depth=1
	s_load_b64 s[14:15], s[10:11], 0x0
	s_waitcnt lgkmcnt(0)
	s_or_b64 s[22:23], s[12:13], s[14:15]
	s_delay_alu instid0(SALU_CYCLE_1) | instskip(NEXT) | instid1(SALU_CYCLE_1)
	s_mov_b32 s9, s23
                                        ; implicit-def: $sgpr22_sgpr23
	s_cmp_lg_u64 s[8:9], 0
	s_mov_b32 s9, -1
	s_cbranch_scc0 .LBB152_7
; %bb.6:                                ;   in Loop: Header=BB152_5 Depth=1
	v_cvt_f32_u32_e32 v1, s14
	v_cvt_f32_u32_e32 v2, s15
	s_sub_u32 s23, 0, s14
	s_subb_u32 s24, 0, s15
	s_waitcnt_depctr 0xfff
	v_fmac_f32_e32 v1, 0x4f800000, v2
	s_delay_alu instid0(VALU_DEP_1) | instskip(SKIP_2) | instid1(VALU_DEP_1)
	v_rcp_f32_e32 v1, v1
	s_waitcnt_depctr 0xfff
	v_mul_f32_e32 v1, 0x5f7ffffc, v1
	v_mul_f32_e32 v2, 0x2f800000, v1
	s_delay_alu instid0(VALU_DEP_1) | instskip(NEXT) | instid1(VALU_DEP_1)
	v_trunc_f32_e32 v2, v2
	v_fmac_f32_e32 v1, 0xcf800000, v2
	v_cvt_u32_f32_e32 v2, v2
	s_delay_alu instid0(VALU_DEP_2) | instskip(NEXT) | instid1(VALU_DEP_2)
	v_cvt_u32_f32_e32 v1, v1
	v_readfirstlane_b32 s9, v2
	s_delay_alu instid0(VALU_DEP_2) | instskip(NEXT) | instid1(VALU_DEP_2)
	v_readfirstlane_b32 s22, v1
	s_mul_i32 s25, s23, s9
	s_delay_alu instid0(VALU_DEP_1)
	s_mul_hi_u32 s27, s23, s22
	s_mul_i32 s26, s24, s22
	s_add_i32 s25, s27, s25
	s_mul_i32 s28, s23, s22
	s_add_i32 s25, s25, s26
	s_mul_hi_u32 s27, s22, s28
	s_mul_hi_u32 s29, s9, s28
	s_mul_i32 s26, s9, s28
	s_mul_hi_u32 s28, s22, s25
	s_mul_i32 s22, s22, s25
	s_mul_hi_u32 s30, s9, s25
	s_add_u32 s22, s27, s22
	s_addc_u32 s27, 0, s28
	s_add_u32 s22, s22, s26
	s_mul_i32 s25, s9, s25
	s_addc_u32 s22, s27, s29
	s_addc_u32 s26, s30, 0
	s_add_u32 s22, s22, s25
	s_addc_u32 s25, 0, s26
	v_add_co_u32 v1, s22, v1, s22
	s_delay_alu instid0(VALU_DEP_1) | instskip(SKIP_1) | instid1(VALU_DEP_1)
	s_cmp_lg_u32 s22, 0
	s_addc_u32 s9, s9, s25
	v_readfirstlane_b32 s22, v1
	s_mul_i32 s25, s23, s9
	s_delay_alu instid0(VALU_DEP_1)
	s_mul_hi_u32 s26, s23, s22
	s_mul_i32 s24, s24, s22
	s_add_i32 s25, s26, s25
	s_mul_i32 s23, s23, s22
	s_add_i32 s25, s25, s24
	s_mul_hi_u32 s26, s9, s23
	s_mul_i32 s27, s9, s23
	s_mul_hi_u32 s23, s22, s23
	s_mul_hi_u32 s28, s22, s25
	s_mul_i32 s22, s22, s25
	s_mul_hi_u32 s24, s9, s25
	s_add_u32 s22, s23, s22
	s_addc_u32 s23, 0, s28
	s_add_u32 s22, s22, s27
	s_mul_i32 s25, s9, s25
	s_addc_u32 s22, s23, s26
	s_addc_u32 s23, s24, 0
	s_add_u32 s22, s22, s25
	s_addc_u32 s23, 0, s23
	v_add_co_u32 v1, s22, v1, s22
	s_delay_alu instid0(VALU_DEP_1) | instskip(SKIP_1) | instid1(VALU_DEP_1)
	s_cmp_lg_u32 s22, 0
	s_addc_u32 s9, s9, s23
	v_readfirstlane_b32 s22, v1
	s_mul_i32 s24, s12, s9
	s_mul_hi_u32 s23, s12, s9
	s_mul_hi_u32 s25, s13, s9
	s_mul_i32 s9, s13, s9
	s_mul_hi_u32 s26, s12, s22
	s_mul_hi_u32 s27, s13, s22
	s_mul_i32 s22, s13, s22
	s_add_u32 s24, s26, s24
	s_addc_u32 s23, 0, s23
	s_add_u32 s22, s24, s22
	s_addc_u32 s22, s23, s27
	s_addc_u32 s23, s25, 0
	s_add_u32 s22, s22, s9
	s_addc_u32 s23, 0, s23
	s_mul_hi_u32 s9, s14, s22
	s_mul_i32 s25, s14, s23
	s_mul_i32 s26, s14, s22
	s_add_i32 s9, s9, s25
	v_sub_co_u32 v1, s25, s12, s26
	s_mul_i32 s24, s15, s22
	s_delay_alu instid0(SALU_CYCLE_1) | instskip(NEXT) | instid1(VALU_DEP_1)
	s_add_i32 s9, s9, s24
	v_sub_co_u32 v2, s26, v1, s14
	s_sub_i32 s24, s13, s9
	s_cmp_lg_u32 s25, 0
	s_subb_u32 s24, s24, s15
	s_cmp_lg_u32 s26, 0
	v_readfirstlane_b32 s26, v2
	s_subb_u32 s24, s24, 0
	s_delay_alu instid0(SALU_CYCLE_1) | instskip(SKIP_1) | instid1(VALU_DEP_1)
	s_cmp_ge_u32 s24, s15
	s_cselect_b32 s27, -1, 0
	s_cmp_ge_u32 s26, s14
	s_cselect_b32 s26, -1, 0
	s_cmp_eq_u32 s24, s15
	s_cselect_b32 s24, s26, s27
	s_add_u32 s26, s22, 1
	s_addc_u32 s27, s23, 0
	s_add_u32 s28, s22, 2
	s_addc_u32 s29, s23, 0
	s_cmp_lg_u32 s24, 0
	s_cselect_b32 s24, s28, s26
	s_cselect_b32 s26, s29, s27
	s_cmp_lg_u32 s25, 0
	v_readfirstlane_b32 s25, v1
	s_subb_u32 s9, s13, s9
	s_delay_alu instid0(SALU_CYCLE_1) | instskip(SKIP_1) | instid1(VALU_DEP_1)
	s_cmp_ge_u32 s9, s15
	s_cselect_b32 s27, -1, 0
	s_cmp_ge_u32 s25, s14
	s_cselect_b32 s25, -1, 0
	s_cmp_eq_u32 s9, s15
	s_cselect_b32 s9, s25, s27
	s_delay_alu instid0(SALU_CYCLE_1)
	s_cmp_lg_u32 s9, 0
	s_mov_b32 s9, 0
	s_cselect_b32 s23, s26, s23
	s_cselect_b32 s22, s24, s22
.LBB152_7:                              ;   in Loop: Header=BB152_5 Depth=1
	s_and_not1_b32 vcc_lo, exec_lo, s9
	s_cbranch_vccnz .LBB152_9
; %bb.8:                                ;   in Loop: Header=BB152_5 Depth=1
	v_cvt_f32_u32_e32 v1, s14
	s_sub_i32 s22, 0, s14
	s_waitcnt_depctr 0xfff
	v_rcp_iflag_f32_e32 v1, v1
	s_waitcnt_depctr 0xfff
	v_mul_f32_e32 v1, 0x4f7ffffe, v1
	s_delay_alu instid0(VALU_DEP_1) | instskip(NEXT) | instid1(VALU_DEP_1)
	v_cvt_u32_f32_e32 v1, v1
	v_readfirstlane_b32 s9, v1
	s_delay_alu instid0(VALU_DEP_1) | instskip(NEXT) | instid1(SALU_CYCLE_1)
	s_mul_i32 s22, s22, s9
	s_mul_hi_u32 s22, s9, s22
	s_delay_alu instid0(SALU_CYCLE_1) | instskip(NEXT) | instid1(SALU_CYCLE_1)
	s_add_i32 s9, s9, s22
	s_mul_hi_u32 s9, s12, s9
	s_delay_alu instid0(SALU_CYCLE_1) | instskip(SKIP_2) | instid1(SALU_CYCLE_1)
	s_mul_i32 s22, s9, s14
	s_add_i32 s23, s9, 1
	s_sub_i32 s22, s12, s22
	s_sub_i32 s24, s22, s14
	s_cmp_ge_u32 s22, s14
	s_cselect_b32 s9, s23, s9
	s_cselect_b32 s22, s24, s22
	s_add_i32 s23, s9, 1
	s_cmp_ge_u32 s22, s14
	s_cselect_b32 s22, s23, s9
	s_mov_b32 s23, s8
.LBB152_9:                              ;   in Loop: Header=BB152_5 Depth=1
	s_load_b64 s[24:25], s[10:11], 0xc8
	s_mul_i32 s9, s22, s15
	s_mul_hi_u32 s15, s22, s14
	s_mul_i32 s26, s23, s14
	s_add_i32 s9, s15, s9
	s_mul_i32 s14, s22, s14
	s_add_i32 s9, s9, s26
	s_sub_u32 s12, s12, s14
	s_subb_u32 s9, s13, s9
	s_waitcnt lgkmcnt(0)
	s_mul_i32 s9, s24, s9
	s_mul_hi_u32 s13, s24, s12
	s_mul_i32 s14, s25, s12
	s_add_i32 s9, s13, s9
	s_mul_i32 s12, s24, s12
	s_add_i32 s9, s9, s14
	s_add_u32 s18, s12, s18
	s_addc_u32 s19, s9, s19
	s_add_i32 s21, s21, -1
	s_add_u32 s10, s10, -8
	s_addc_u32 s11, s11, -1
	s_cmp_gt_u32 s21, 2
	s_cbranch_scc0 .LBB152_11
; %bb.10:                               ;   in Loop: Header=BB152_5 Depth=1
	s_mov_b64 s[12:13], s[22:23]
	s_branch .LBB152_5
.LBB152_11:
	s_clause 0x1
	s_load_b32 s11, s[0:1], 0x358
	s_load_b64 s[26:27], s[0:1], 0xd0
	s_add_u32 s8, s0, 0x1c0
	s_addc_u32 s9, s1, 0
	s_mov_b64 s[24:25], 0
	s_mov_b64 s[28:29], s[2:3]
	s_waitcnt lgkmcnt(0)
	s_cmp_lt_i32 s11, 2
	s_cbranch_scc1 .LBB152_19
; %bb.12:
	s_mov_b32 s10, 0
	s_add_i32 s12, s11, -1
	s_mov_b32 s13, s10
	s_add_i32 s21, s11, 1
	s_lshl_b64 s[12:13], s[12:13], 3
	s_mov_b64 s[14:15], s[2:3]
	s_add_u32 s11, s12, s8
	s_addc_u32 s13, s13, s9
	s_add_u32 s12, s11, 8
	s_addc_u32 s13, s13, 0
.LBB152_13:                             ; =>This Inner Loop Header: Depth=1
	s_load_b64 s[30:31], s[12:13], 0x0
	s_waitcnt lgkmcnt(0)
	s_or_b64 s[28:29], s[14:15], s[30:31]
	s_delay_alu instid0(SALU_CYCLE_1) | instskip(NEXT) | instid1(SALU_CYCLE_1)
	s_mov_b32 s11, s29
                                        ; implicit-def: $sgpr28_sgpr29
	s_cmp_lg_u64 s[10:11], 0
	s_mov_b32 s11, -1
	s_cbranch_scc0 .LBB152_15
; %bb.14:                               ;   in Loop: Header=BB152_13 Depth=1
	v_cvt_f32_u32_e32 v1, s30
	v_cvt_f32_u32_e32 v2, s31
	s_sub_u32 s29, 0, s30
	s_subb_u32 s34, 0, s31
	s_waitcnt_depctr 0xfff
	v_fmac_f32_e32 v1, 0x4f800000, v2
	s_delay_alu instid0(VALU_DEP_1) | instskip(SKIP_2) | instid1(VALU_DEP_1)
	v_rcp_f32_e32 v1, v1
	s_waitcnt_depctr 0xfff
	v_mul_f32_e32 v1, 0x5f7ffffc, v1
	v_mul_f32_e32 v2, 0x2f800000, v1
	s_delay_alu instid0(VALU_DEP_1) | instskip(NEXT) | instid1(VALU_DEP_1)
	v_trunc_f32_e32 v2, v2
	v_fmac_f32_e32 v1, 0xcf800000, v2
	v_cvt_u32_f32_e32 v2, v2
	s_delay_alu instid0(VALU_DEP_2) | instskip(NEXT) | instid1(VALU_DEP_2)
	v_cvt_u32_f32_e32 v1, v1
	v_readfirstlane_b32 s11, v2
	s_delay_alu instid0(VALU_DEP_2) | instskip(NEXT) | instid1(VALU_DEP_2)
	v_readfirstlane_b32 s28, v1
	s_mul_i32 s35, s29, s11
	s_delay_alu instid0(VALU_DEP_1)
	s_mul_hi_u32 s37, s29, s28
	s_mul_i32 s36, s34, s28
	s_add_i32 s35, s37, s35
	s_mul_i32 s38, s29, s28
	s_add_i32 s35, s35, s36
	s_mul_hi_u32 s37, s28, s38
	s_mul_hi_u32 s39, s11, s38
	s_mul_i32 s36, s11, s38
	s_mul_hi_u32 s38, s28, s35
	s_mul_i32 s28, s28, s35
	s_mul_hi_u32 s40, s11, s35
	s_add_u32 s28, s37, s28
	s_addc_u32 s37, 0, s38
	s_add_u32 s28, s28, s36
	s_mul_i32 s35, s11, s35
	s_addc_u32 s28, s37, s39
	s_addc_u32 s36, s40, 0
	s_add_u32 s28, s28, s35
	s_addc_u32 s35, 0, s36
	v_add_co_u32 v1, s28, v1, s28
	s_delay_alu instid0(VALU_DEP_1) | instskip(SKIP_1) | instid1(VALU_DEP_1)
	s_cmp_lg_u32 s28, 0
	s_addc_u32 s11, s11, s35
	v_readfirstlane_b32 s28, v1
	s_mul_i32 s35, s29, s11
	s_delay_alu instid0(VALU_DEP_1)
	s_mul_hi_u32 s36, s29, s28
	s_mul_i32 s34, s34, s28
	s_add_i32 s35, s36, s35
	s_mul_i32 s29, s29, s28
	s_add_i32 s35, s35, s34
	s_mul_hi_u32 s36, s11, s29
	s_mul_i32 s37, s11, s29
	s_mul_hi_u32 s29, s28, s29
	s_mul_hi_u32 s38, s28, s35
	s_mul_i32 s28, s28, s35
	s_mul_hi_u32 s34, s11, s35
	s_add_u32 s28, s29, s28
	s_addc_u32 s29, 0, s38
	s_add_u32 s28, s28, s37
	s_mul_i32 s35, s11, s35
	s_addc_u32 s28, s29, s36
	s_addc_u32 s29, s34, 0
	s_add_u32 s28, s28, s35
	s_addc_u32 s29, 0, s29
	v_add_co_u32 v1, s28, v1, s28
	s_delay_alu instid0(VALU_DEP_1) | instskip(SKIP_1) | instid1(VALU_DEP_1)
	s_cmp_lg_u32 s28, 0
	s_addc_u32 s11, s11, s29
	v_readfirstlane_b32 s28, v1
	s_mul_i32 s34, s14, s11
	s_mul_hi_u32 s29, s14, s11
	s_mul_hi_u32 s35, s15, s11
	s_mul_i32 s11, s15, s11
	s_mul_hi_u32 s36, s14, s28
	s_mul_hi_u32 s37, s15, s28
	s_mul_i32 s28, s15, s28
	s_add_u32 s34, s36, s34
	s_addc_u32 s29, 0, s29
	s_add_u32 s28, s34, s28
	s_addc_u32 s28, s29, s37
	s_addc_u32 s29, s35, 0
	s_add_u32 s28, s28, s11
	s_addc_u32 s29, 0, s29
	s_mul_hi_u32 s11, s30, s28
	s_mul_i32 s35, s30, s29
	s_mul_i32 s36, s30, s28
	s_add_i32 s11, s11, s35
	v_sub_co_u32 v1, s35, s14, s36
	s_mul_i32 s34, s31, s28
	s_delay_alu instid0(SALU_CYCLE_1) | instskip(NEXT) | instid1(VALU_DEP_1)
	s_add_i32 s11, s11, s34
	v_sub_co_u32 v2, s36, v1, s30
	s_sub_i32 s34, s15, s11
	s_cmp_lg_u32 s35, 0
	s_subb_u32 s34, s34, s31
	s_cmp_lg_u32 s36, 0
	v_readfirstlane_b32 s36, v2
	s_subb_u32 s34, s34, 0
	s_delay_alu instid0(SALU_CYCLE_1) | instskip(SKIP_1) | instid1(VALU_DEP_1)
	s_cmp_ge_u32 s34, s31
	s_cselect_b32 s37, -1, 0
	s_cmp_ge_u32 s36, s30
	s_cselect_b32 s36, -1, 0
	s_cmp_eq_u32 s34, s31
	s_cselect_b32 s34, s36, s37
	s_add_u32 s36, s28, 1
	s_addc_u32 s37, s29, 0
	s_add_u32 s38, s28, 2
	s_addc_u32 s39, s29, 0
	s_cmp_lg_u32 s34, 0
	s_cselect_b32 s34, s38, s36
	s_cselect_b32 s36, s39, s37
	s_cmp_lg_u32 s35, 0
	v_readfirstlane_b32 s35, v1
	s_subb_u32 s11, s15, s11
	s_delay_alu instid0(SALU_CYCLE_1) | instskip(SKIP_1) | instid1(VALU_DEP_1)
	s_cmp_ge_u32 s11, s31
	s_cselect_b32 s37, -1, 0
	s_cmp_ge_u32 s35, s30
	s_cselect_b32 s35, -1, 0
	s_cmp_eq_u32 s11, s31
	s_cselect_b32 s11, s35, s37
	s_delay_alu instid0(SALU_CYCLE_1)
	s_cmp_lg_u32 s11, 0
	s_mov_b32 s11, 0
	s_cselect_b32 s29, s36, s29
	s_cselect_b32 s28, s34, s28
.LBB152_15:                             ;   in Loop: Header=BB152_13 Depth=1
	s_and_not1_b32 vcc_lo, exec_lo, s11
	s_cbranch_vccnz .LBB152_17
; %bb.16:                               ;   in Loop: Header=BB152_13 Depth=1
	v_cvt_f32_u32_e32 v1, s30
	s_sub_i32 s28, 0, s30
	s_waitcnt_depctr 0xfff
	v_rcp_iflag_f32_e32 v1, v1
	s_waitcnt_depctr 0xfff
	v_mul_f32_e32 v1, 0x4f7ffffe, v1
	s_delay_alu instid0(VALU_DEP_1) | instskip(NEXT) | instid1(VALU_DEP_1)
	v_cvt_u32_f32_e32 v1, v1
	v_readfirstlane_b32 s11, v1
	s_delay_alu instid0(VALU_DEP_1) | instskip(NEXT) | instid1(SALU_CYCLE_1)
	s_mul_i32 s28, s28, s11
	s_mul_hi_u32 s28, s11, s28
	s_delay_alu instid0(SALU_CYCLE_1) | instskip(NEXT) | instid1(SALU_CYCLE_1)
	s_add_i32 s11, s11, s28
	s_mul_hi_u32 s11, s14, s11
	s_delay_alu instid0(SALU_CYCLE_1) | instskip(SKIP_2) | instid1(SALU_CYCLE_1)
	s_mul_i32 s28, s11, s30
	s_add_i32 s29, s11, 1
	s_sub_i32 s28, s14, s28
	s_sub_i32 s34, s28, s30
	s_cmp_ge_u32 s28, s30
	s_cselect_b32 s11, s29, s11
	s_cselect_b32 s28, s34, s28
	s_add_i32 s29, s11, 1
	s_cmp_ge_u32 s28, s30
	s_cselect_b32 s28, s29, s11
	s_mov_b32 s29, s10
.LBB152_17:                             ;   in Loop: Header=BB152_13 Depth=1
	s_load_b64 s[34:35], s[12:13], 0xc8
	s_mul_i32 s11, s28, s31
	s_mul_hi_u32 s31, s28, s30
	s_mul_i32 s36, s29, s30
	s_add_i32 s11, s31, s11
	s_mul_i32 s30, s28, s30
	s_add_i32 s11, s11, s36
	s_sub_u32 s14, s14, s30
	s_subb_u32 s11, s15, s11
	s_waitcnt lgkmcnt(0)
	s_mul_i32 s11, s34, s11
	s_mul_hi_u32 s15, s34, s14
	s_mul_i32 s30, s35, s14
	s_add_i32 s11, s15, s11
	s_mul_i32 s14, s34, s14
	s_add_i32 s11, s11, s30
	s_add_u32 s24, s14, s24
	s_addc_u32 s25, s11, s25
	s_add_i32 s21, s21, -1
	s_add_u32 s12, s12, -8
	s_addc_u32 s13, s13, -1
	s_cmp_gt_u32 s21, 2
	s_cbranch_scc0 .LBB152_19
; %bb.18:                               ;   in Loop: Header=BB152_13 Depth=1
	s_mov_b64 s[14:15], s[28:29]
	s_branch .LBB152_13
.LBB152_19:
	s_clause 0x1
	s_load_b32 s11, s[0:1], 0x500
	s_load_b64 s[34:35], s[8:9], 0xd0
	s_add_u32 s9, s0, 0x368
	s_addc_u32 s10, s1, 0
	s_mov_b64 s[30:31], 0
	s_waitcnt lgkmcnt(0)
	s_cmp_lt_i32 s11, 2
	s_cbranch_scc1 .LBB152_27
; %bb.20:
	s_mov_b32 s8, 0
	s_add_i32 s12, s11, -1
	s_mov_b32 s13, s8
	s_add_i32 s21, s11, 1
	s_lshl_b64 s[12:13], s[12:13], 3
	s_delay_alu instid0(SALU_CYCLE_1)
	s_add_u32 s9, s12, s9
	s_addc_u32 s11, s13, s10
	s_add_u32 s10, s9, 8
	s_addc_u32 s11, s11, 0
	s_mov_b64 s[12:13], s[2:3]
.LBB152_21:                             ; =>This Inner Loop Header: Depth=1
	s_load_b64 s[14:15], s[10:11], 0x0
	s_waitcnt lgkmcnt(0)
	s_or_b64 s[36:37], s[12:13], s[14:15]
	s_delay_alu instid0(SALU_CYCLE_1) | instskip(NEXT) | instid1(SALU_CYCLE_1)
	s_mov_b32 s9, s37
                                        ; implicit-def: $sgpr36_sgpr37
	s_cmp_lg_u64 s[8:9], 0
	s_mov_b32 s9, -1
	s_cbranch_scc0 .LBB152_23
; %bb.22:                               ;   in Loop: Header=BB152_21 Depth=1
	v_cvt_f32_u32_e32 v1, s14
	v_cvt_f32_u32_e32 v2, s15
	s_sub_u32 s37, 0, s14
	s_subb_u32 s38, 0, s15
	s_waitcnt_depctr 0xfff
	v_fmac_f32_e32 v1, 0x4f800000, v2
	s_delay_alu instid0(VALU_DEP_1) | instskip(SKIP_2) | instid1(VALU_DEP_1)
	v_rcp_f32_e32 v1, v1
	s_waitcnt_depctr 0xfff
	v_mul_f32_e32 v1, 0x5f7ffffc, v1
	v_mul_f32_e32 v2, 0x2f800000, v1
	s_delay_alu instid0(VALU_DEP_1) | instskip(NEXT) | instid1(VALU_DEP_1)
	v_trunc_f32_e32 v2, v2
	v_fmac_f32_e32 v1, 0xcf800000, v2
	v_cvt_u32_f32_e32 v2, v2
	s_delay_alu instid0(VALU_DEP_2) | instskip(NEXT) | instid1(VALU_DEP_2)
	v_cvt_u32_f32_e32 v1, v1
	v_readfirstlane_b32 s9, v2
	s_delay_alu instid0(VALU_DEP_2) | instskip(NEXT) | instid1(VALU_DEP_2)
	v_readfirstlane_b32 s36, v1
	s_mul_i32 s39, s37, s9
	s_delay_alu instid0(VALU_DEP_1)
	s_mul_hi_u32 s41, s37, s36
	s_mul_i32 s40, s38, s36
	s_add_i32 s39, s41, s39
	s_mul_i32 s42, s37, s36
	s_add_i32 s39, s39, s40
	s_mul_hi_u32 s41, s36, s42
	s_mul_hi_u32 s43, s9, s42
	s_mul_i32 s40, s9, s42
	s_mul_hi_u32 s42, s36, s39
	s_mul_i32 s36, s36, s39
	s_mul_hi_u32 s44, s9, s39
	s_add_u32 s36, s41, s36
	s_addc_u32 s41, 0, s42
	s_add_u32 s36, s36, s40
	s_mul_i32 s39, s9, s39
	s_addc_u32 s36, s41, s43
	s_addc_u32 s40, s44, 0
	s_add_u32 s36, s36, s39
	s_addc_u32 s39, 0, s40
	v_add_co_u32 v1, s36, v1, s36
	s_delay_alu instid0(VALU_DEP_1) | instskip(SKIP_1) | instid1(VALU_DEP_1)
	s_cmp_lg_u32 s36, 0
	s_addc_u32 s9, s9, s39
	v_readfirstlane_b32 s36, v1
	s_mul_i32 s39, s37, s9
	s_delay_alu instid0(VALU_DEP_1)
	s_mul_hi_u32 s40, s37, s36
	s_mul_i32 s38, s38, s36
	s_add_i32 s39, s40, s39
	s_mul_i32 s37, s37, s36
	s_add_i32 s39, s39, s38
	s_mul_hi_u32 s40, s9, s37
	s_mul_i32 s41, s9, s37
	s_mul_hi_u32 s37, s36, s37
	s_mul_hi_u32 s42, s36, s39
	s_mul_i32 s36, s36, s39
	s_mul_hi_u32 s38, s9, s39
	s_add_u32 s36, s37, s36
	s_addc_u32 s37, 0, s42
	s_add_u32 s36, s36, s41
	s_mul_i32 s39, s9, s39
	s_addc_u32 s36, s37, s40
	s_addc_u32 s37, s38, 0
	s_add_u32 s36, s36, s39
	s_addc_u32 s37, 0, s37
	v_add_co_u32 v1, s36, v1, s36
	s_delay_alu instid0(VALU_DEP_1) | instskip(SKIP_1) | instid1(VALU_DEP_1)
	s_cmp_lg_u32 s36, 0
	s_addc_u32 s9, s9, s37
	v_readfirstlane_b32 s36, v1
	s_mul_i32 s38, s12, s9
	s_mul_hi_u32 s37, s12, s9
	s_mul_hi_u32 s39, s13, s9
	s_mul_i32 s9, s13, s9
	s_mul_hi_u32 s40, s12, s36
	s_mul_hi_u32 s41, s13, s36
	s_mul_i32 s36, s13, s36
	s_add_u32 s38, s40, s38
	s_addc_u32 s37, 0, s37
	s_add_u32 s36, s38, s36
	s_addc_u32 s36, s37, s41
	s_addc_u32 s37, s39, 0
	s_add_u32 s36, s36, s9
	s_addc_u32 s37, 0, s37
	s_mul_hi_u32 s9, s14, s36
	s_mul_i32 s39, s14, s37
	s_mul_i32 s40, s14, s36
	s_add_i32 s9, s9, s39
	v_sub_co_u32 v1, s39, s12, s40
	s_mul_i32 s38, s15, s36
	s_delay_alu instid0(SALU_CYCLE_1) | instskip(NEXT) | instid1(VALU_DEP_1)
	s_add_i32 s9, s9, s38
	v_sub_co_u32 v2, s40, v1, s14
	s_sub_i32 s38, s13, s9
	s_cmp_lg_u32 s39, 0
	s_subb_u32 s38, s38, s15
	s_cmp_lg_u32 s40, 0
	v_readfirstlane_b32 s40, v2
	s_subb_u32 s38, s38, 0
	s_delay_alu instid0(SALU_CYCLE_1) | instskip(SKIP_1) | instid1(VALU_DEP_1)
	s_cmp_ge_u32 s38, s15
	s_cselect_b32 s41, -1, 0
	s_cmp_ge_u32 s40, s14
	s_cselect_b32 s40, -1, 0
	s_cmp_eq_u32 s38, s15
	s_cselect_b32 s38, s40, s41
	s_add_u32 s40, s36, 1
	s_addc_u32 s41, s37, 0
	s_add_u32 s42, s36, 2
	s_addc_u32 s43, s37, 0
	s_cmp_lg_u32 s38, 0
	s_cselect_b32 s38, s42, s40
	s_cselect_b32 s40, s43, s41
	s_cmp_lg_u32 s39, 0
	v_readfirstlane_b32 s39, v1
	s_subb_u32 s9, s13, s9
	s_delay_alu instid0(SALU_CYCLE_1) | instskip(SKIP_1) | instid1(VALU_DEP_1)
	s_cmp_ge_u32 s9, s15
	s_cselect_b32 s41, -1, 0
	s_cmp_ge_u32 s39, s14
	s_cselect_b32 s39, -1, 0
	s_cmp_eq_u32 s9, s15
	s_cselect_b32 s9, s39, s41
	s_delay_alu instid0(SALU_CYCLE_1)
	s_cmp_lg_u32 s9, 0
	s_mov_b32 s9, 0
	s_cselect_b32 s37, s40, s37
	s_cselect_b32 s36, s38, s36
.LBB152_23:                             ;   in Loop: Header=BB152_21 Depth=1
	s_and_not1_b32 vcc_lo, exec_lo, s9
	s_cbranch_vccnz .LBB152_25
; %bb.24:                               ;   in Loop: Header=BB152_21 Depth=1
	v_cvt_f32_u32_e32 v1, s14
	s_sub_i32 s36, 0, s14
	s_waitcnt_depctr 0xfff
	v_rcp_iflag_f32_e32 v1, v1
	s_waitcnt_depctr 0xfff
	v_mul_f32_e32 v1, 0x4f7ffffe, v1
	s_delay_alu instid0(VALU_DEP_1) | instskip(NEXT) | instid1(VALU_DEP_1)
	v_cvt_u32_f32_e32 v1, v1
	v_readfirstlane_b32 s9, v1
	s_delay_alu instid0(VALU_DEP_1) | instskip(NEXT) | instid1(SALU_CYCLE_1)
	s_mul_i32 s36, s36, s9
	s_mul_hi_u32 s36, s9, s36
	s_delay_alu instid0(SALU_CYCLE_1) | instskip(NEXT) | instid1(SALU_CYCLE_1)
	s_add_i32 s9, s9, s36
	s_mul_hi_u32 s9, s12, s9
	s_delay_alu instid0(SALU_CYCLE_1) | instskip(SKIP_2) | instid1(SALU_CYCLE_1)
	s_mul_i32 s36, s9, s14
	s_add_i32 s37, s9, 1
	s_sub_i32 s36, s12, s36
	s_sub_i32 s38, s36, s14
	s_cmp_ge_u32 s36, s14
	s_cselect_b32 s9, s37, s9
	s_cselect_b32 s36, s38, s36
	s_add_i32 s37, s9, 1
	s_cmp_ge_u32 s36, s14
	s_cselect_b32 s36, s37, s9
	s_mov_b32 s37, s8
.LBB152_25:                             ;   in Loop: Header=BB152_21 Depth=1
	s_load_b64 s[38:39], s[10:11], 0xc8
	s_mul_i32 s9, s36, s15
	s_mul_hi_u32 s15, s36, s14
	s_mul_i32 s40, s37, s14
	s_add_i32 s9, s15, s9
	s_mul_i32 s14, s36, s14
	s_add_i32 s9, s9, s40
	s_sub_u32 s12, s12, s14
	s_subb_u32 s9, s13, s9
	s_waitcnt lgkmcnt(0)
	s_mul_i32 s9, s38, s9
	s_mul_hi_u32 s13, s38, s12
	s_mul_i32 s14, s39, s12
	s_add_i32 s9, s13, s9
	s_mul_i32 s12, s38, s12
	s_add_i32 s9, s9, s14
	s_add_u32 s30, s12, s30
	s_addc_u32 s31, s9, s31
	s_add_i32 s21, s21, -1
	s_add_u32 s10, s10, -8
	s_addc_u32 s11, s11, -1
	s_cmp_gt_u32 s21, 2
	s_cbranch_scc0 .LBB152_28
; %bb.26:                               ;   in Loop: Header=BB152_21 Depth=1
	s_mov_b64 s[12:13], s[36:37]
	s_branch .LBB152_21
.LBB152_27:
	s_mov_b64 s[36:37], s[2:3]
.LBB152_28:
	s_load_b128 s[8:11], s[0:1], 0x518
	s_lshl_b64 s[2:3], s[2:3], 2
	s_clause 0x1
	s_load_b64 s[42:43], s[0:1], 0x0
	s_load_b64 s[38:39], s[0:1], 0x1c0
	s_mov_b32 s21, 0
	s_waitcnt lgkmcnt(0)
	s_add_u32 s2, s8, s2
	s_addc_u32 s3, s9, s3
	s_clause 0x1
	s_load_b64 s[40:41], s[0:1], 0x438
	s_load_b64 s[8:9], s[0:1], 0x368
	s_load_b32 s51, s[2:3], 0x0
	v_cmp_ne_u32_e64 s2, 0, v0
	v_cmp_eq_u32_e64 s3, 0, v0
	s_delay_alu instid0(VALU_DEP_1)
	s_and_saveexec_b32 s52, s3
	s_cbranch_execz .LBB152_44
; %bb.29:
	s_load_b64 s[44:45], s[0:1], 0x528
	s_lshl_b64 s[46:47], s[20:21], 2
	s_mov_b32 s20, 0
	s_add_u32 s12, s10, s46
	s_addc_u32 s13, s11, s47
	s_mov_b32 s53, 0
	s_waitcnt lgkmcnt(0)
	s_add_u32 s14, s44, s46
	s_addc_u32 s15, s45, s47
	s_cmp_lt_u32 s17, 4
	s_cbranch_scc1 .LBB152_41
; %bb.30:
	s_mov_b32 s54, 0
.LBB152_31:                             ; =>This Inner Loop Header: Depth=1
	s_add_u32 s12, s10, s46
	s_addc_u32 s13, s11, s47
	s_add_u32 s48, s44, s46
	s_load_b128 s[12:15], s[12:13], 0x0
	s_addc_u32 s49, s45, s47
	s_cmp_ge_u32 s54, s50
	s_cbranch_scc0 .LBB152_38
; %bb.32:                               ;   in Loop: Header=BB152_31 Depth=1
	s_add_i32 s55, s54, 1
	s_delay_alu instid0(SALU_CYCLE_1)
	s_cmp_ge_u32 s55, s50
	s_cbranch_scc0 .LBB152_39
.LBB152_33:                             ;   in Loop: Header=BB152_31 Depth=1
	s_add_i32 s55, s55, 1
	s_delay_alu instid0(SALU_CYCLE_1)
	s_cmp_ge_u32 s55, s50
	s_cbranch_scc0 .LBB152_40
.LBB152_34:                             ;   in Loop: Header=BB152_31 Depth=1
	s_add_i32 s55, s55, 1
	s_delay_alu instid0(SALU_CYCLE_1)
	s_cmp_ge_u32 s55, s50
	s_cbranch_scc1 .LBB152_36
.LBB152_35:                             ;   in Loop: Header=BB152_31 Depth=1
	s_load_b32 s48, s[48:49], 0xc
	s_waitcnt lgkmcnt(0)
	s_add_i32 s21, s21, s15
	s_add_i32 s20, s48, s20
.LBB152_36:                             ;   in Loop: Header=BB152_31 Depth=1
	s_waitcnt lgkmcnt(0)
	s_add_i32 s12, s12, s53
	s_delay_alu instid0(SALU_CYCLE_1) | instskip(NEXT) | instid1(SALU_CYCLE_1)
	s_add_i32 s12, s12, s13
	s_add_i32 s12, s12, s14
	s_delay_alu instid0(SALU_CYCLE_1)
	s_add_i32 s53, s12, s15
	s_add_u32 s10, s10, 16
	s_addc_u32 s11, s11, 0
	s_add_u32 s44, s44, 16
	s_addc_u32 s45, s45, 0
	s_add_i32 s49, s55, 4
	s_add_u32 s14, s44, s46
	s_addc_u32 s15, s45, s47
	s_add_u32 s12, s10, s46
	s_addc_u32 s13, s11, s47
	s_add_i32 s48, s55, 1
	s_cmp_ge_u32 s49, s17
	s_cbranch_scc1 .LBB152_42
; %bb.37:                               ;   in Loop: Header=BB152_31 Depth=1
	s_mov_b32 s54, s48
	s_branch .LBB152_31
.LBB152_38:                             ;   in Loop: Header=BB152_31 Depth=1
	s_load_b32 s55, s[48:49], 0x0
	s_waitcnt lgkmcnt(0)
	s_add_i32 s21, s12, s21
	s_add_i32 s20, s55, s20
	;; [unrolled: 1-line block ×3, first 2 shown]
	s_delay_alu instid0(SALU_CYCLE_1)
	s_cmp_ge_u32 s55, s50
	s_cbranch_scc1 .LBB152_33
.LBB152_39:                             ;   in Loop: Header=BB152_31 Depth=1
	s_load_b32 s56, s[48:49], 0x4
	s_waitcnt lgkmcnt(0)
	s_add_i32 s21, s21, s13
	s_add_i32 s20, s56, s20
	;; [unrolled: 1-line block ×3, first 2 shown]
	s_delay_alu instid0(SALU_CYCLE_1)
	s_cmp_ge_u32 s55, s50
	s_cbranch_scc1 .LBB152_34
.LBB152_40:                             ;   in Loop: Header=BB152_31 Depth=1
	s_load_b32 s56, s[48:49], 0x8
	s_waitcnt lgkmcnt(0)
	s_add_i32 s21, s21, s14
	s_add_i32 s20, s56, s20
	;; [unrolled: 1-line block ×3, first 2 shown]
	s_delay_alu instid0(SALU_CYCLE_1)
	s_cmp_ge_u32 s55, s50
	s_cbranch_scc0 .LBB152_35
	s_branch .LBB152_36
.LBB152_41:
	s_mov_b32 s10, 0
	s_delay_alu instid0(SALU_CYCLE_1)
	s_cmp_ge_u32 s10, s17
	s_cbranch_scc0 .LBB152_65
	s_branch .LBB152_43
.LBB152_42:
	s_add_i32 s10, s54, 4
	s_delay_alu instid0(SALU_CYCLE_1)
	s_cmp_ge_u32 s10, s17
	s_cbranch_scc0 .LBB152_65
.LBB152_43:
	v_dual_mov_b32 v1, s20 :: v_dual_mov_b32 v2, s53
	v_dual_mov_b32 v3, s21 :: v_dual_mov_b32 v4, 0
	ds_store_b96 v4, v[1:3] offset:1056
.LBB152_44:
	s_or_b32 exec_lo, exec_lo, s52
	s_cmp_eq_u32 s16, 0
	s_waitcnt lgkmcnt(0)
	s_barrier
	buffer_gl0_inv
	s_cbranch_scc1 .LBB152_67
; %bb.45:
	s_mul_i32 s10, s34, s29
	s_mul_hi_u32 s11, s34, s28
	s_mul_hi_u32 s12, s26, s22
	s_add_i32 s10, s11, s10
	s_mul_i32 s11, s26, s23
	s_mul_i32 s13, s35, s28
	s_add_i32 s12, s12, s11
	s_mul_i32 s14, s27, s22
	v_dual_mov_b32 v5, 0 :: v_dual_add_nc_u32 v4, -1, v0
	s_add_i32 s11, s10, s13
	s_add_i32 s13, s12, s14
	s_mul_i32 s10, s40, s37
	s_mul_hi_u32 s14, s40, s36
	s_mul_i32 s12, s26, s22
	s_add_i32 s10, s14, s10
	s_mul_i32 s14, s41, s36
	s_lshl_b64 s[12:13], s[12:13], 2
	s_add_i32 s21, s10, s14
	ds_load_b96 v[1:3], v5 offset:1056
	s_add_u32 s14, s42, s12
	s_addc_u32 s15, s43, s13
	s_lshl_b64 s[12:13], s[18:19], 2
	s_mul_i32 s10, s34, s28
	s_add_u32 s14, s14, s12
	s_addc_u32 s15, s15, s13
	s_lshl_b64 s[10:11], s[10:11], 2
	s_mul_i32 s20, s40, s36
	s_add_u32 s12, s38, s10
	s_addc_u32 s13, s39, s11
	s_lshl_b64 s[10:11], s[24:25], 2
	v_lshlrev_b32_e32 v10, 3, v0
	s_add_u32 s17, s12, s10
	s_addc_u32 s18, s13, s11
	s_lshl_b64 s[10:11], s[20:21], 3
	v_lshrrev_b32_e32 v11, 2, v0
	s_add_u32 s10, s8, s10
	s_addc_u32 s11, s9, s11
	s_lshl_b64 s[8:9], s[30:31], 3
	s_waitcnt lgkmcnt(0)
	v_add_nc_u32_e32 v1, v1, v2
	s_add_u32 s19, s10, s8
	s_addc_u32 s20, s11, s9
	s_clause 0x3
	s_load_b32 s22, s[0:1], 0x1b0
	s_load_b64 s[8:9], s[0:1], 0x1b8
	s_load_b64 s[10:11], s[0:1], 0x360
	;; [unrolled: 1-line block ×3, first 2 shown]
	v_lshrrev_b32_e32 v2, 5, v0
	v_mad_u64_u32 v[6:7], null, s50, s33, v[0:1]
	v_lshrrev_b32_e32 v12, 5, v4
	v_mbcnt_lo_u32_b32 v8, -1, 0
	s_xor_b32 s21, s51, 0x80000000
	v_add_lshl_u32 v9, v2, v0, 2
	v_cmp_gt_u32_e64 s0, 32, v0
	v_add_lshl_u32 v0, v11, v10, 2
	v_add_lshl_u32 v10, v12, v4, 2
	v_dual_mov_b32 v4, v6 :: v_dual_and_b32 v11, 15, v8
	v_bfe_i32 v12, v8, 4, 1
	v_add_nc_u32_e32 v13, -1, v8
                                        ; implicit-def: $vgpr14
	s_waitcnt lgkmcnt(0)
	s_bitcmp1_b32 s22, 0
	s_cselect_b32 s1, -1, 0
	s_branch .LBB152_48
.LBB152_46:                             ;   in Loop: Header=BB152_48 Depth=1
	s_or_b32 exec_lo, exec_lo, s22
	v_add_nc_u32_e32 v1, v2, v1
.LBB152_47:                             ;   in Loop: Header=BB152_48 Depth=1
	v_add_nc_u32_e32 v3, v15, v3
	v_add_nc_u32_e32 v4, 0x100, v4
	s_add_i32 s16, s16, -1
	s_delay_alu instid0(SALU_CYCLE_1)
	s_cmp_lg_u32 s16, 0
	s_cbranch_scc0 .LBB152_67
.LBB152_48:                             ; =>This Inner Loop Header: Depth=1
	v_mov_b32_e32 v2, v5
	v_mov_b32_e32 v6, v5
	s_mov_b32 s22, exec_lo
	v_cmpx_gt_u64_e64 s[4:5], v[4:5]
	s_cbranch_execz .LBB152_50
; %bb.49:                               ;   in Loop: Header=BB152_48 Depth=1
	v_mad_u64_u32 v[6:7], null, v4, s8, 0
	s_delay_alu instid0(VALU_DEP_1) | instskip(NEXT) | instid1(VALU_DEP_1)
	v_mov_b32_e32 v2, v7
	v_mad_u64_u32 v[14:15], null, v4, s9, v[2:3]
	s_delay_alu instid0(VALU_DEP_1) | instskip(NEXT) | instid1(VALU_DEP_1)
	v_mov_b32_e32 v7, v14
	v_lshlrev_b64 v[6:7], 2, v[6:7]
	s_delay_alu instid0(VALU_DEP_1) | instskip(NEXT) | instid1(VALU_DEP_2)
	v_add_co_u32 v6, vcc_lo, s14, v6
	v_add_co_ci_u32_e32 v7, vcc_lo, s15, v7, vcc_lo
	global_load_b32 v14, v[6:7], off
	s_waitcnt vmcnt(0)
	v_xor_b32_e32 v2, 0x80000000, v14
	s_delay_alu instid0(VALU_DEP_1) | instskip(SKIP_4) | instid1(VALU_DEP_2)
	v_cmp_lt_u32_e32 vcc_lo, s21, v2
	v_cndmask_b32_e64 v6, 0, 1, vcc_lo
	v_cmp_gt_u32_e32 vcc_lo, s21, v2
	v_cndmask_b32_e64 v2, 0, 1, vcc_lo
	v_cmp_eq_u32_e32 vcc_lo, s51, v14
	v_cndmask_b32_e64 v2, v2, v6, s1
	v_cndmask_b32_e64 v6, 0, 1, vcc_lo
	s_delay_alu instid0(VALU_DEP_2)
	v_and_b32_e32 v2, 1, v2
.LBB152_50:                             ;   in Loop: Header=BB152_48 Depth=1
	s_or_b32 exec_lo, exec_lo, s22
	ds_store_b32 v9, v2
	s_waitcnt lgkmcnt(0)
	s_waitcnt_vscnt null, 0x0
	s_barrier
	buffer_gl0_inv
	s_and_saveexec_b32 s22, s0
	s_cbranch_execz .LBB152_52
; %bb.51:                               ;   in Loop: Header=BB152_48 Depth=1
	ds_load_2addr_b32 v[15:16], v0 offset1:1
	ds_load_2addr_b32 v[17:18], v0 offset0:2 offset1:3
	ds_load_2addr_b32 v[19:20], v0 offset0:4 offset1:5
	;; [unrolled: 1-line block ×3, first 2 shown]
	v_cmp_ne_u32_e32 vcc_lo, 0, v11
	; wave barrier
	s_waitcnt lgkmcnt(3)
	v_add_nc_u32_e32 v7, v16, v15
	s_waitcnt lgkmcnt(2)
	s_delay_alu instid0(VALU_DEP_1) | instskip(SKIP_1) | instid1(VALU_DEP_1)
	v_add3_u32 v7, v7, v17, v18
	s_waitcnt lgkmcnt(1)
	v_add3_u32 v7, v7, v19, v20
	s_waitcnt lgkmcnt(0)
	s_delay_alu instid0(VALU_DEP_1) | instskip(NEXT) | instid1(VALU_DEP_1)
	v_add3_u32 v7, v7, v21, v22
	v_mov_b32_dpp v16, v7 row_shr:1 row_mask:0xf bank_mask:0xf
	s_delay_alu instid0(VALU_DEP_1) | instskip(SKIP_1) | instid1(VALU_DEP_2)
	v_cndmask_b32_e32 v16, 0, v16, vcc_lo
	v_cmp_lt_u32_e32 vcc_lo, 1, v11
	v_add_nc_u32_e32 v7, v16, v7
	s_delay_alu instid0(VALU_DEP_1) | instskip(NEXT) | instid1(VALU_DEP_1)
	v_mov_b32_dpp v16, v7 row_shr:2 row_mask:0xf bank_mask:0xf
	v_cndmask_b32_e32 v16, 0, v16, vcc_lo
	v_cmp_lt_u32_e32 vcc_lo, 3, v11
	s_delay_alu instid0(VALU_DEP_2) | instskip(NEXT) | instid1(VALU_DEP_1)
	v_add_nc_u32_e32 v7, v7, v16
	v_mov_b32_dpp v16, v7 row_shr:4 row_mask:0xf bank_mask:0xf
	s_delay_alu instid0(VALU_DEP_1) | instskip(SKIP_1) | instid1(VALU_DEP_2)
	v_cndmask_b32_e32 v16, 0, v16, vcc_lo
	v_cmp_lt_u32_e32 vcc_lo, 7, v11
	v_add_nc_u32_e32 v7, v7, v16
	s_delay_alu instid0(VALU_DEP_1) | instskip(NEXT) | instid1(VALU_DEP_1)
	v_mov_b32_dpp v16, v7 row_shr:8 row_mask:0xf bank_mask:0xf
	v_cndmask_b32_e32 v16, 0, v16, vcc_lo
	v_cmp_gt_i32_e32 vcc_lo, 0, v13
	s_delay_alu instid0(VALU_DEP_2)
	v_add_nc_u32_e32 v7, v7, v16
	v_cndmask_b32_e32 v17, v13, v8, vcc_lo
	ds_swizzle_b32 v16, v7 offset:swizzle(BROADCAST,32,15)
	v_lshlrev_b32_e32 v17, 2, v17
	s_waitcnt lgkmcnt(0)
	v_and_b32_e32 v16, v12, v16
	s_delay_alu instid0(VALU_DEP_1) | instskip(SKIP_3) | instid1(VALU_DEP_1)
	v_add_nc_u32_e32 v7, v7, v16
	ds_bpermute_b32 v7, v17, v7
	s_waitcnt lgkmcnt(0)
	v_add_nc_u32_e32 v7, v7, v15
	v_cndmask_b32_e64 v7, v7, v2, s3
	ds_store_b32 v0, v7
	; wave barrier
	ds_load_2addr_b32 v[15:16], v0 offset0:1 offset1:2
	ds_load_2addr_b32 v[17:18], v0 offset0:3 offset1:4
	;; [unrolled: 1-line block ×3, first 2 shown]
	ds_load_b32 v21, v0 offset:28
	s_waitcnt lgkmcnt(3)
	v_add_nc_u32_e32 v7, v15, v7
	s_delay_alu instid0(VALU_DEP_1) | instskip(SKIP_1) | instid1(VALU_DEP_1)
	v_add_nc_u32_e32 v15, v16, v7
	s_waitcnt lgkmcnt(2)
	v_add_nc_u32_e32 v16, v17, v15
	s_delay_alu instid0(VALU_DEP_1) | instskip(SKIP_1) | instid1(VALU_DEP_1)
	v_add_nc_u32_e32 v17, v18, v16
	s_waitcnt lgkmcnt(1)
	v_add_nc_u32_e32 v18, v19, v17
	s_delay_alu instid0(VALU_DEP_1) | instskip(SKIP_1) | instid1(VALU_DEP_1)
	v_add_nc_u32_e32 v19, v20, v18
	s_waitcnt lgkmcnt(0)
	v_add_nc_u32_e32 v20, v21, v19
	ds_store_2addr_b32 v0, v7, v15 offset0:1 offset1:2
	ds_store_2addr_b32 v0, v16, v17 offset0:3 offset1:4
	;; [unrolled: 1-line block ×3, first 2 shown]
	ds_store_b32 v0, v20 offset:28
.LBB152_52:                             ;   in Loop: Header=BB152_48 Depth=1
	s_or_b32 exec_lo, exec_lo, s22
	v_mov_b32_e32 v7, 0
	s_waitcnt lgkmcnt(0)
	s_barrier
	buffer_gl0_inv
	s_and_saveexec_b32 s22, s2
	s_cbranch_execz .LBB152_54
; %bb.53:                               ;   in Loop: Header=BB152_48 Depth=1
	ds_load_b32 v7, v10
.LBB152_54:                             ;   in Loop: Header=BB152_48 Depth=1
	s_or_b32 exec_lo, exec_lo, s22
	ds_load_b32 v15, v5 offset:1048
	s_mov_b32 s22, exec_lo
	s_waitcnt lgkmcnt(0)
	s_barrier
	buffer_gl0_inv
	v_cmpx_ne_u32_e32 0, v2
	s_cbranch_execz .LBB152_56
; %bb.55:                               ;   in Loop: Header=BB152_48 Depth=1
	v_add_nc_u32_e32 v22, v7, v3
	s_delay_alu instid0(VALU_DEP_1) | instskip(SKIP_1) | instid1(VALU_DEP_1)
	v_mad_u64_u32 v[16:17], null, v22, s10, 0
	v_mad_u64_u32 v[18:19], null, v22, s12, 0
	v_dual_mov_b32 v2, v17 :: v_dual_mov_b32 v7, v19
	s_delay_alu instid0(VALU_DEP_1) | instskip(NEXT) | instid1(VALU_DEP_2)
	v_mad_u64_u32 v[19:20], null, v22, s11, v[2:3]
	v_mad_u64_u32 v[20:21], null, v22, s13, v[7:8]
	s_delay_alu instid0(VALU_DEP_2) | instskip(NEXT) | instid1(VALU_DEP_2)
	v_mov_b32_e32 v17, v19
	v_mov_b32_e32 v19, v20
	s_delay_alu instid0(VALU_DEP_2) | instskip(NEXT) | instid1(VALU_DEP_2)
	v_lshlrev_b64 v[16:17], 2, v[16:17]
	v_lshlrev_b64 v[18:19], 3, v[18:19]
	s_delay_alu instid0(VALU_DEP_2) | instskip(NEXT) | instid1(VALU_DEP_3)
	v_add_co_u32 v16, vcc_lo, s17, v16
	v_add_co_ci_u32_e32 v17, vcc_lo, s18, v17, vcc_lo
	s_delay_alu instid0(VALU_DEP_3) | instskip(NEXT) | instid1(VALU_DEP_4)
	v_add_co_u32 v18, vcc_lo, s19, v18
	v_add_co_ci_u32_e32 v19, vcc_lo, s20, v19, vcc_lo
	global_store_b32 v[16:17], v14, off
	global_store_b64 v[18:19], v[4:5], off
.LBB152_56:                             ;   in Loop: Header=BB152_48 Depth=1
	s_or_b32 exec_lo, exec_lo, s22
	v_mov_b32_e32 v2, v5
	s_delay_alu instid0(VALU_DEP_1)
	v_cmp_le_u64_e32 vcc_lo, s[6:7], v[1:2]
	s_cbranch_vccnz .LBB152_47
; %bb.57:                               ;   in Loop: Header=BB152_48 Depth=1
	ds_store_b32 v9, v6
	s_waitcnt lgkmcnt(0)
	s_waitcnt_vscnt null, 0x0
	s_barrier
	buffer_gl0_inv
	s_and_saveexec_b32 s22, s0
	s_cbranch_execz .LBB152_59
; %bb.58:                               ;   in Loop: Header=BB152_48 Depth=1
	ds_load_2addr_b32 v[16:17], v0 offset1:1
	ds_load_2addr_b32 v[18:19], v0 offset0:2 offset1:3
	ds_load_2addr_b32 v[20:21], v0 offset0:4 offset1:5
	;; [unrolled: 1-line block ×3, first 2 shown]
	v_cmp_ne_u32_e32 vcc_lo, 0, v11
	; wave barrier
	s_waitcnt lgkmcnt(3)
	v_add_nc_u32_e32 v2, v17, v16
	s_waitcnt lgkmcnt(2)
	s_delay_alu instid0(VALU_DEP_1) | instskip(SKIP_1) | instid1(VALU_DEP_1)
	v_add3_u32 v2, v2, v18, v19
	s_waitcnt lgkmcnt(1)
	v_add3_u32 v2, v2, v20, v21
	s_waitcnt lgkmcnt(0)
	s_delay_alu instid0(VALU_DEP_1) | instskip(NEXT) | instid1(VALU_DEP_1)
	v_add3_u32 v2, v2, v22, v23
	v_mov_b32_dpp v7, v2 row_shr:1 row_mask:0xf bank_mask:0xf
	s_delay_alu instid0(VALU_DEP_1) | instskip(SKIP_1) | instid1(VALU_DEP_2)
	v_cndmask_b32_e32 v7, 0, v7, vcc_lo
	v_cmp_lt_u32_e32 vcc_lo, 1, v11
	v_add_nc_u32_e32 v2, v7, v2
	s_delay_alu instid0(VALU_DEP_1) | instskip(NEXT) | instid1(VALU_DEP_1)
	v_mov_b32_dpp v7, v2 row_shr:2 row_mask:0xf bank_mask:0xf
	v_cndmask_b32_e32 v7, 0, v7, vcc_lo
	v_cmp_lt_u32_e32 vcc_lo, 3, v11
	s_delay_alu instid0(VALU_DEP_2) | instskip(NEXT) | instid1(VALU_DEP_1)
	v_add_nc_u32_e32 v2, v2, v7
	v_mov_b32_dpp v7, v2 row_shr:4 row_mask:0xf bank_mask:0xf
	s_delay_alu instid0(VALU_DEP_1) | instskip(SKIP_1) | instid1(VALU_DEP_2)
	v_cndmask_b32_e32 v7, 0, v7, vcc_lo
	v_cmp_lt_u32_e32 vcc_lo, 7, v11
	v_add_nc_u32_e32 v2, v2, v7
	s_delay_alu instid0(VALU_DEP_1) | instskip(NEXT) | instid1(VALU_DEP_1)
	v_mov_b32_dpp v7, v2 row_shr:8 row_mask:0xf bank_mask:0xf
	v_cndmask_b32_e32 v7, 0, v7, vcc_lo
	v_cmp_gt_i32_e32 vcc_lo, 0, v13
	s_delay_alu instid0(VALU_DEP_2) | instskip(SKIP_4) | instid1(VALU_DEP_1)
	v_dual_cndmask_b32 v17, v13, v8 :: v_dual_add_nc_u32 v2, v2, v7
	ds_swizzle_b32 v7, v2 offset:swizzle(BROADCAST,32,15)
	v_lshlrev_b32_e32 v17, 2, v17
	s_waitcnt lgkmcnt(0)
	v_and_b32_e32 v7, v12, v7
	v_add_nc_u32_e32 v2, v2, v7
	ds_bpermute_b32 v2, v17, v2
	s_waitcnt lgkmcnt(0)
	v_add_nc_u32_e32 v2, v2, v16
	s_delay_alu instid0(VALU_DEP_1)
	v_cndmask_b32_e64 v2, v2, v6, s3
	ds_store_b32 v0, v2
	; wave barrier
	ds_load_2addr_b32 v[16:17], v0 offset0:1 offset1:2
	ds_load_2addr_b32 v[18:19], v0 offset0:3 offset1:4
	;; [unrolled: 1-line block ×3, first 2 shown]
	ds_load_b32 v7, v0 offset:28
	s_waitcnt lgkmcnt(3)
	v_add_nc_u32_e32 v2, v16, v2
	s_delay_alu instid0(VALU_DEP_1) | instskip(SKIP_1) | instid1(VALU_DEP_1)
	v_add_nc_u32_e32 v16, v17, v2
	s_waitcnt lgkmcnt(2)
	v_add_nc_u32_e32 v17, v18, v16
	s_delay_alu instid0(VALU_DEP_1) | instskip(SKIP_1) | instid1(VALU_DEP_1)
	v_add_nc_u32_e32 v18, v19, v17
	s_waitcnt lgkmcnt(1)
	v_add_nc_u32_e32 v19, v20, v18
	s_delay_alu instid0(VALU_DEP_1) | instskip(SKIP_1) | instid1(VALU_DEP_1)
	v_add_nc_u32_e32 v20, v21, v19
	s_waitcnt lgkmcnt(0)
	v_add_nc_u32_e32 v7, v7, v20
	ds_store_2addr_b32 v0, v2, v16 offset0:1 offset1:2
	ds_store_2addr_b32 v0, v17, v18 offset0:3 offset1:4
	;; [unrolled: 1-line block ×3, first 2 shown]
	ds_store_b32 v0, v7 offset:28
.LBB152_59:                             ;   in Loop: Header=BB152_48 Depth=1
	s_or_b32 exec_lo, exec_lo, s22
	v_mov_b32_e32 v7, 0
	s_waitcnt lgkmcnt(0)
	s_barrier
	buffer_gl0_inv
	s_and_saveexec_b32 s22, s2
	s_cbranch_execz .LBB152_61
; %bb.60:                               ;   in Loop: Header=BB152_48 Depth=1
	ds_load_b32 v7, v10
.LBB152_61:                             ;   in Loop: Header=BB152_48 Depth=1
	s_or_b32 exec_lo, exec_lo, s22
	ds_load_b32 v2, v5 offset:1048
	s_mov_b32 s22, exec_lo
	s_waitcnt lgkmcnt(0)
	s_barrier
	buffer_gl0_inv
	v_cmpx_ne_u32_e32 0, v6
	s_cbranch_execz .LBB152_46
; %bb.62:                               ;   in Loop: Header=BB152_48 Depth=1
	v_dual_mov_b32 v7, v5 :: v_dual_add_nc_u32 v6, v7, v1
	s_delay_alu instid0(VALU_DEP_1)
	v_cmp_gt_u64_e32 vcc_lo, s[6:7], v[6:7]
	s_and_b32 exec_lo, exec_lo, vcc_lo
	s_cbranch_execz .LBB152_46
; %bb.63:                               ;   in Loop: Header=BB152_48 Depth=1
	v_mad_u64_u32 v[16:17], null, v6, s10, 0
	v_mad_u64_u32 v[18:19], null, v6, s12, 0
	s_delay_alu instid0(VALU_DEP_2) | instskip(NEXT) | instid1(VALU_DEP_2)
	v_mov_b32_e32 v7, v17
	v_mov_b32_e32 v17, v19
	s_delay_alu instid0(VALU_DEP_2) | instskip(NEXT) | instid1(VALU_DEP_2)
	v_mad_u64_u32 v[19:20], null, v6, s11, v[7:8]
	v_mad_u64_u32 v[20:21], null, v6, s13, v[17:18]
	s_delay_alu instid0(VALU_DEP_2) | instskip(NEXT) | instid1(VALU_DEP_2)
	v_mov_b32_e32 v17, v19
	v_mov_b32_e32 v19, v20
	s_delay_alu instid0(VALU_DEP_2) | instskip(NEXT) | instid1(VALU_DEP_2)
	v_lshlrev_b64 v[6:7], 2, v[16:17]
	v_lshlrev_b64 v[16:17], 3, v[18:19]
	s_delay_alu instid0(VALU_DEP_2) | instskip(NEXT) | instid1(VALU_DEP_3)
	v_add_co_u32 v6, vcc_lo, s17, v6
	v_add_co_ci_u32_e32 v7, vcc_lo, s18, v7, vcc_lo
	s_delay_alu instid0(VALU_DEP_3) | instskip(NEXT) | instid1(VALU_DEP_4)
	v_add_co_u32 v16, vcc_lo, s19, v16
	v_add_co_ci_u32_e32 v17, vcc_lo, s20, v17, vcc_lo
	global_store_b32 v[6:7], v14, off
	global_store_b64 v[16:17], v[4:5], off
	s_branch .LBB152_46
	.p2align	6
.LBB152_64:                             ;   in Loop: Header=BB152_65 Depth=1
	s_add_u32 s12, s12, 4
	s_addc_u32 s13, s13, 0
	s_waitcnt lgkmcnt(0)
	s_add_i32 s53, s11, s53
	s_add_u32 s14, s14, 4
	s_addc_u32 s15, s15, 0
	s_add_i32 s10, s10, 1
	s_delay_alu instid0(SALU_CYCLE_1)
	s_cmp_lt_u32 s10, s17
	s_cbranch_scc0 .LBB152_43
.LBB152_65:                             ; =>This Inner Loop Header: Depth=1
	s_load_b32 s11, s[12:13], 0x0
	s_cmp_ge_u32 s10, s50
	s_cbranch_scc1 .LBB152_64
; %bb.66:                               ;   in Loop: Header=BB152_65 Depth=1
	s_load_b32 s44, s[14:15], 0x0
	s_waitcnt lgkmcnt(0)
	s_add_i32 s21, s11, s21
	s_add_i32 s20, s44, s20
	s_branch .LBB152_64
.LBB152_67:
	s_nop 0
	s_sendmsg sendmsg(MSG_DEALLOC_VGPRS)
	s_endpgm
	.section	.rodata,"a",@progbits
	.p2align	6, 0x0
	.amdhsa_kernel _ZN2at6native6mbtopk10gatherTopKIimLin1EEEvNS_4cuda6detail10TensorInfoIKT_T0_EES8_S8_bjS8_NS5_IS6_S8_EES8_NS5_IlS8_EES8_jjPS6_PjSD_j
		.amdhsa_group_segment_fixed_size 1068
		.amdhsa_private_segment_fixed_size 0
		.amdhsa_kernarg_size 1592
		.amdhsa_user_sgpr_count 13
		.amdhsa_user_sgpr_dispatch_ptr 0
		.amdhsa_user_sgpr_queue_ptr 0
		.amdhsa_user_sgpr_kernarg_segment_ptr 1
		.amdhsa_user_sgpr_dispatch_id 0
		.amdhsa_user_sgpr_private_segment_size 0
		.amdhsa_wavefront_size32 1
		.amdhsa_uses_dynamic_stack 0
		.amdhsa_enable_private_segment 0
		.amdhsa_system_sgpr_workgroup_id_x 1
		.amdhsa_system_sgpr_workgroup_id_y 1
		.amdhsa_system_sgpr_workgroup_id_z 1
		.amdhsa_system_sgpr_workgroup_info 0
		.amdhsa_system_vgpr_workitem_id 0
		.amdhsa_next_free_vgpr 24
		.amdhsa_next_free_sgpr 57
		.amdhsa_reserve_vcc 1
		.amdhsa_float_round_mode_32 0
		.amdhsa_float_round_mode_16_64 0
		.amdhsa_float_denorm_mode_32 3
		.amdhsa_float_denorm_mode_16_64 3
		.amdhsa_dx10_clamp 1
		.amdhsa_ieee_mode 1
		.amdhsa_fp16_overflow 0
		.amdhsa_workgroup_processor_mode 1
		.amdhsa_memory_ordered 1
		.amdhsa_forward_progress 0
		.amdhsa_shared_vgpr_count 0
		.amdhsa_exception_fp_ieee_invalid_op 0
		.amdhsa_exception_fp_denorm_src 0
		.amdhsa_exception_fp_ieee_div_zero 0
		.amdhsa_exception_fp_ieee_overflow 0
		.amdhsa_exception_fp_ieee_underflow 0
		.amdhsa_exception_fp_ieee_inexact 0
		.amdhsa_exception_int_div_zero 0
	.end_amdhsa_kernel
	.section	.text._ZN2at6native6mbtopk10gatherTopKIimLin1EEEvNS_4cuda6detail10TensorInfoIKT_T0_EES8_S8_bjS8_NS5_IS6_S8_EES8_NS5_IlS8_EES8_jjPS6_PjSD_j,"axG",@progbits,_ZN2at6native6mbtopk10gatherTopKIimLin1EEEvNS_4cuda6detail10TensorInfoIKT_T0_EES8_S8_bjS8_NS5_IS6_S8_EES8_NS5_IlS8_EES8_jjPS6_PjSD_j,comdat
.Lfunc_end152:
	.size	_ZN2at6native6mbtopk10gatherTopKIimLin1EEEvNS_4cuda6detail10TensorInfoIKT_T0_EES8_S8_bjS8_NS5_IS6_S8_EES8_NS5_IlS8_EES8_jjPS6_PjSD_j, .Lfunc_end152-_ZN2at6native6mbtopk10gatherTopKIimLin1EEEvNS_4cuda6detail10TensorInfoIKT_T0_EES8_S8_bjS8_NS5_IS6_S8_EES8_NS5_IlS8_EES8_jjPS6_PjSD_j
                                        ; -- End function
	.section	.AMDGPU.csdata,"",@progbits
; Kernel info:
; codeLenInByte = 5408
; NumSgprs: 59
; NumVgprs: 24
; ScratchSize: 0
; MemoryBound: 0
; FloatMode: 240
; IeeeMode: 1
; LDSByteSize: 1068 bytes/workgroup (compile time only)
; SGPRBlocks: 7
; VGPRBlocks: 2
; NumSGPRsForWavesPerEU: 59
; NumVGPRsForWavesPerEU: 24
; Occupancy: 16
; WaveLimiterHint : 1
; COMPUTE_PGM_RSRC2:SCRATCH_EN: 0
; COMPUTE_PGM_RSRC2:USER_SGPR: 13
; COMPUTE_PGM_RSRC2:TRAP_HANDLER: 0
; COMPUTE_PGM_RSRC2:TGID_X_EN: 1
; COMPUTE_PGM_RSRC2:TGID_Y_EN: 1
; COMPUTE_PGM_RSRC2:TGID_Z_EN: 1
; COMPUTE_PGM_RSRC2:TIDIG_COMP_CNT: 0
	.section	.text._ZN2at6native6sbtopk10gatherTopKIimLin1ELb0EEEvNS_4cuda6detail10TensorInfoIKT_T0_EES8_S8_bS8_S8_NS5_IS6_S8_EES8_NS5_IlS8_EES8_PS6_,"axG",@progbits,_ZN2at6native6sbtopk10gatherTopKIimLin1ELb0EEEvNS_4cuda6detail10TensorInfoIKT_T0_EES8_S8_bS8_S8_NS5_IS6_S8_EES8_NS5_IlS8_EES8_PS6_,comdat
	.protected	_ZN2at6native6sbtopk10gatherTopKIimLin1ELb0EEEvNS_4cuda6detail10TensorInfoIKT_T0_EES8_S8_bS8_S8_NS5_IS6_S8_EES8_NS5_IlS8_EES8_PS6_ ; -- Begin function _ZN2at6native6sbtopk10gatherTopKIimLin1ELb0EEEvNS_4cuda6detail10TensorInfoIKT_T0_EES8_S8_bS8_S8_NS5_IS6_S8_EES8_NS5_IlS8_EES8_PS6_
	.globl	_ZN2at6native6sbtopk10gatherTopKIimLin1ELb0EEEvNS_4cuda6detail10TensorInfoIKT_T0_EES8_S8_bS8_S8_NS5_IS6_S8_EES8_NS5_IlS8_EES8_PS6_
	.p2align	8
	.type	_ZN2at6native6sbtopk10gatherTopKIimLin1ELb0EEEvNS_4cuda6detail10TensorInfoIKT_T0_EES8_S8_bS8_S8_NS5_IS6_S8_EES8_NS5_IlS8_EES8_PS6_,@function
_ZN2at6native6sbtopk10gatherTopKIimLin1ELb0EEEvNS_4cuda6detail10TensorInfoIKT_T0_EES8_S8_bS8_S8_NS5_IS6_S8_EES8_NS5_IlS8_EES8_PS6_: ; @_ZN2at6native6sbtopk10gatherTopKIimLin1ELb0EEEvNS_4cuda6detail10TensorInfoIKT_T0_EES8_S8_bS8_S8_NS5_IS6_S8_EES8_NS5_IlS8_EES8_PS6_
; %bb.0:
	s_clause 0x1
	s_load_b64 s[10:11], s[0:1], 0x520
	s_load_b128 s[28:31], s[0:1], 0x1b8
	s_add_u32 s8, s0, 0x520
	s_addc_u32 s9, s1, 0
	s_mov_b32 s5, 0
	s_waitcnt lgkmcnt(0)
	s_mul_i32 s2, s11, s15
	s_delay_alu instid0(SALU_CYCLE_1) | instskip(NEXT) | instid1(SALU_CYCLE_1)
	s_add_i32 s2, s2, s14
	s_mul_i32 s2, s2, s10
	s_delay_alu instid0(SALU_CYCLE_1) | instskip(NEXT) | instid1(SALU_CYCLE_1)
	s_add_i32 s4, s2, s13
	v_cmp_ge_u64_e64 s2, s[4:5], s[28:29]
	s_delay_alu instid0(VALU_DEP_1)
	s_and_b32 vcc_lo, exec_lo, s2
	s_cbranch_vccnz .LBB153_563
; %bb.1:
	s_load_b32 s11, s[0:1], 0x198
	s_mov_b64 s[2:3], 0
	s_mov_b64 s[6:7], s[4:5]
	s_waitcnt lgkmcnt(0)
	s_cmp_lt_i32 s11, 2
	s_cbranch_scc1 .LBB153_9
; %bb.2:
	s_mov_b32 s14, 0
	s_add_i32 s2, s11, -1
	s_mov_b32 s3, s14
	s_add_i32 s11, s11, 1
	s_lshl_b64 s[6:7], s[2:3], 3
	s_mov_b64 s[2:3], 0
	s_add_u32 s6, s6, s0
	s_addc_u32 s7, s7, s1
	s_add_u32 s16, s6, 8
	s_addc_u32 s17, s7, 0
	s_mov_b64 s[18:19], s[4:5]
.LBB153_3:                              ; =>This Inner Loop Header: Depth=1
	s_load_b64 s[20:21], s[16:17], 0x0
	s_mov_b32 s12, -1
	s_waitcnt lgkmcnt(0)
	s_or_b64 s[6:7], s[18:19], s[20:21]
	s_delay_alu instid0(SALU_CYCLE_1) | instskip(NEXT) | instid1(SALU_CYCLE_1)
	s_mov_b32 s15, s7
                                        ; implicit-def: $sgpr6_sgpr7
	s_cmp_lg_u64 s[14:15], 0
	s_cbranch_scc0 .LBB153_5
; %bb.4:                                ;   in Loop: Header=BB153_3 Depth=1
	v_cvt_f32_u32_e32 v1, s20
	v_cvt_f32_u32_e32 v2, s21
	s_sub_u32 s12, 0, s20
	s_subb_u32 s15, 0, s21
	s_waitcnt_depctr 0xfff
	v_fmac_f32_e32 v1, 0x4f800000, v2
	s_delay_alu instid0(VALU_DEP_1) | instskip(SKIP_2) | instid1(VALU_DEP_1)
	v_rcp_f32_e32 v1, v1
	s_waitcnt_depctr 0xfff
	v_mul_f32_e32 v1, 0x5f7ffffc, v1
	v_mul_f32_e32 v2, 0x2f800000, v1
	s_delay_alu instid0(VALU_DEP_1) | instskip(NEXT) | instid1(VALU_DEP_1)
	v_trunc_f32_e32 v2, v2
	v_fmac_f32_e32 v1, 0xcf800000, v2
	v_cvt_u32_f32_e32 v2, v2
	s_delay_alu instid0(VALU_DEP_2) | instskip(NEXT) | instid1(VALU_DEP_2)
	v_cvt_u32_f32_e32 v1, v1
	v_readfirstlane_b32 s6, v2
	s_delay_alu instid0(VALU_DEP_2) | instskip(NEXT) | instid1(VALU_DEP_2)
	v_readfirstlane_b32 s7, v1
	s_mul_i32 s22, s12, s6
	s_delay_alu instid0(VALU_DEP_1)
	s_mul_hi_u32 s24, s12, s7
	s_mul_i32 s23, s15, s7
	s_add_i32 s22, s24, s22
	s_mul_i32 s25, s12, s7
	s_add_i32 s22, s22, s23
	s_mul_hi_u32 s24, s7, s25
	s_mul_hi_u32 s26, s6, s25
	s_mul_i32 s23, s6, s25
	s_mul_hi_u32 s25, s7, s22
	s_mul_i32 s7, s7, s22
	s_mul_hi_u32 s27, s6, s22
	s_add_u32 s7, s24, s7
	s_addc_u32 s24, 0, s25
	s_add_u32 s7, s7, s23
	s_mul_i32 s22, s6, s22
	s_addc_u32 s7, s24, s26
	s_addc_u32 s23, s27, 0
	s_add_u32 s7, s7, s22
	s_addc_u32 s22, 0, s23
	v_add_co_u32 v1, s7, v1, s7
	s_delay_alu instid0(VALU_DEP_1) | instskip(SKIP_1) | instid1(VALU_DEP_1)
	s_cmp_lg_u32 s7, 0
	s_addc_u32 s6, s6, s22
	v_readfirstlane_b32 s7, v1
	s_mul_i32 s22, s12, s6
	s_delay_alu instid0(VALU_DEP_1)
	s_mul_hi_u32 s23, s12, s7
	s_mul_i32 s15, s15, s7
	s_add_i32 s22, s23, s22
	s_mul_i32 s12, s12, s7
	s_add_i32 s22, s22, s15
	s_mul_hi_u32 s23, s6, s12
	s_mul_i32 s24, s6, s12
	s_mul_hi_u32 s12, s7, s12
	s_mul_hi_u32 s25, s7, s22
	s_mul_i32 s7, s7, s22
	s_mul_hi_u32 s15, s6, s22
	s_add_u32 s7, s12, s7
	s_addc_u32 s12, 0, s25
	s_add_u32 s7, s7, s24
	s_mul_i32 s22, s6, s22
	s_addc_u32 s7, s12, s23
	s_addc_u32 s12, s15, 0
	s_add_u32 s7, s7, s22
	s_addc_u32 s12, 0, s12
	v_add_co_u32 v1, s7, v1, s7
	s_delay_alu instid0(VALU_DEP_1) | instskip(SKIP_1) | instid1(VALU_DEP_1)
	s_cmp_lg_u32 s7, 0
	s_addc_u32 s6, s6, s12
	v_readfirstlane_b32 s7, v1
	s_mul_i32 s15, s18, s6
	s_mul_hi_u32 s12, s18, s6
	s_mul_hi_u32 s22, s19, s6
	s_mul_i32 s6, s19, s6
	s_mul_hi_u32 s23, s18, s7
	s_mul_hi_u32 s24, s19, s7
	s_mul_i32 s7, s19, s7
	s_add_u32 s15, s23, s15
	s_addc_u32 s12, 0, s12
	s_add_u32 s7, s15, s7
	s_addc_u32 s7, s12, s24
	s_addc_u32 s12, s22, 0
	s_add_u32 s6, s7, s6
	s_addc_u32 s7, 0, s12
	s_mul_hi_u32 s12, s20, s6
	s_mul_i32 s22, s20, s7
	s_mul_i32 s23, s20, s6
	s_add_i32 s12, s12, s22
	v_sub_co_u32 v1, s22, s18, s23
	s_mul_i32 s15, s21, s6
	s_delay_alu instid0(SALU_CYCLE_1) | instskip(NEXT) | instid1(VALU_DEP_1)
	s_add_i32 s12, s12, s15
	v_sub_co_u32 v2, s23, v1, s20
	s_sub_i32 s15, s19, s12
	s_cmp_lg_u32 s22, 0
	s_subb_u32 s15, s15, s21
	s_cmp_lg_u32 s23, 0
	v_readfirstlane_b32 s23, v2
	s_subb_u32 s15, s15, 0
	s_delay_alu instid0(SALU_CYCLE_1) | instskip(SKIP_1) | instid1(VALU_DEP_1)
	s_cmp_ge_u32 s15, s21
	s_cselect_b32 s24, -1, 0
	s_cmp_ge_u32 s23, s20
	s_cselect_b32 s23, -1, 0
	s_cmp_eq_u32 s15, s21
	s_cselect_b32 s15, s23, s24
	s_add_u32 s23, s6, 1
	s_addc_u32 s24, s7, 0
	s_add_u32 s25, s6, 2
	s_addc_u32 s26, s7, 0
	s_cmp_lg_u32 s15, 0
	s_cselect_b32 s15, s25, s23
	s_cselect_b32 s23, s26, s24
	s_cmp_lg_u32 s22, 0
	v_readfirstlane_b32 s22, v1
	s_subb_u32 s12, s19, s12
	s_delay_alu instid0(SALU_CYCLE_1) | instskip(SKIP_1) | instid1(VALU_DEP_1)
	s_cmp_ge_u32 s12, s21
	s_cselect_b32 s24, -1, 0
	s_cmp_ge_u32 s22, s20
	s_cselect_b32 s22, -1, 0
	s_cmp_eq_u32 s12, s21
	s_cselect_b32 s12, s22, s24
	s_delay_alu instid0(SALU_CYCLE_1)
	s_cmp_lg_u32 s12, 0
	s_mov_b32 s12, 0
	s_cselect_b32 s7, s23, s7
	s_cselect_b32 s6, s15, s6
.LBB153_5:                              ;   in Loop: Header=BB153_3 Depth=1
	s_and_not1_b32 vcc_lo, exec_lo, s12
	s_cbranch_vccnz .LBB153_7
; %bb.6:                                ;   in Loop: Header=BB153_3 Depth=1
	v_cvt_f32_u32_e32 v1, s20
	s_sub_i32 s7, 0, s20
	s_waitcnt_depctr 0xfff
	v_rcp_iflag_f32_e32 v1, v1
	s_waitcnt_depctr 0xfff
	v_mul_f32_e32 v1, 0x4f7ffffe, v1
	s_delay_alu instid0(VALU_DEP_1) | instskip(NEXT) | instid1(VALU_DEP_1)
	v_cvt_u32_f32_e32 v1, v1
	v_readfirstlane_b32 s6, v1
	s_delay_alu instid0(VALU_DEP_1) | instskip(NEXT) | instid1(SALU_CYCLE_1)
	s_mul_i32 s7, s7, s6
	s_mul_hi_u32 s7, s6, s7
	s_delay_alu instid0(SALU_CYCLE_1) | instskip(NEXT) | instid1(SALU_CYCLE_1)
	s_add_i32 s6, s6, s7
	s_mul_hi_u32 s6, s18, s6
	s_delay_alu instid0(SALU_CYCLE_1) | instskip(SKIP_2) | instid1(SALU_CYCLE_1)
	s_mul_i32 s7, s6, s20
	s_add_i32 s12, s6, 1
	s_sub_i32 s7, s18, s7
	s_sub_i32 s15, s7, s20
	s_cmp_ge_u32 s7, s20
	s_cselect_b32 s6, s12, s6
	s_cselect_b32 s7, s15, s7
	s_add_i32 s12, s6, 1
	s_cmp_ge_u32 s7, s20
	s_mov_b32 s7, s14
	s_cselect_b32 s6, s12, s6
.LBB153_7:                              ;   in Loop: Header=BB153_3 Depth=1
	s_load_b64 s[22:23], s[16:17], 0xc8
	s_mul_i32 s12, s6, s21
	s_mul_hi_u32 s15, s6, s20
	s_mul_i32 s21, s7, s20
	s_add_i32 s12, s15, s12
	s_mul_i32 s15, s6, s20
	s_add_i32 s12, s12, s21
	s_sub_u32 s15, s18, s15
	s_subb_u32 s12, s19, s12
	s_waitcnt lgkmcnt(0)
	s_mul_i32 s12, s22, s12
	s_mul_hi_u32 s18, s22, s15
	s_mul_i32 s19, s23, s15
	s_add_i32 s12, s18, s12
	s_mul_i32 s15, s22, s15
	s_add_i32 s12, s12, s19
	s_add_u32 s2, s15, s2
	s_addc_u32 s3, s12, s3
	s_add_i32 s11, s11, -1
	s_add_u32 s16, s16, -8
	s_addc_u32 s17, s17, -1
	s_cmp_gt_u32 s11, 2
	s_cbranch_scc0 .LBB153_9
; %bb.8:                                ;   in Loop: Header=BB153_3 Depth=1
	s_mov_b64 s[18:19], s[6:7]
	s_branch .LBB153_3
.LBB153_9:
	s_clause 0x1
	s_load_b32 s11, s[0:1], 0x360
	s_load_b64 s[14:15], s[0:1], 0xd0
	s_add_u32 s16, s0, 0x1c8
	s_addc_u32 s17, s1, 0
	s_mov_b64 s[28:29], 0
	s_mov_b64 s[40:41], s[4:5]
	s_waitcnt lgkmcnt(0)
	s_cmp_lt_i32 s11, 2
	s_cbranch_scc1 .LBB153_17
; %bb.10:
	s_mov_b32 s18, 0
	s_add_i32 s20, s11, -1
	s_mov_b32 s21, s18
	s_add_i32 s11, s11, 1
	s_lshl_b64 s[20:21], s[20:21], 3
	s_mov_b64 s[22:23], s[4:5]
	s_add_u32 s12, s20, s16
	s_addc_u32 s19, s21, s17
	s_add_u32 s20, s12, 8
	s_addc_u32 s21, s19, 0
.LBB153_11:                             ; =>This Inner Loop Header: Depth=1
	s_load_b64 s[24:25], s[20:21], 0x0
	s_mov_b32 s12, -1
                                        ; implicit-def: $sgpr40_sgpr41
	s_waitcnt lgkmcnt(0)
	s_or_b64 s[26:27], s[22:23], s[24:25]
	s_delay_alu instid0(SALU_CYCLE_1) | instskip(NEXT) | instid1(SALU_CYCLE_1)
	s_mov_b32 s19, s27
	s_cmp_lg_u64 s[18:19], 0
	s_cbranch_scc0 .LBB153_13
; %bb.12:                               ;   in Loop: Header=BB153_11 Depth=1
	v_cvt_f32_u32_e32 v1, s24
	v_cvt_f32_u32_e32 v2, s25
	s_sub_u32 s26, 0, s24
	s_subb_u32 s27, 0, s25
	s_waitcnt_depctr 0xfff
	v_fmac_f32_e32 v1, 0x4f800000, v2
	s_delay_alu instid0(VALU_DEP_1) | instskip(SKIP_2) | instid1(VALU_DEP_1)
	v_rcp_f32_e32 v1, v1
	s_waitcnt_depctr 0xfff
	v_mul_f32_e32 v1, 0x5f7ffffc, v1
	v_mul_f32_e32 v2, 0x2f800000, v1
	s_delay_alu instid0(VALU_DEP_1) | instskip(NEXT) | instid1(VALU_DEP_1)
	v_trunc_f32_e32 v2, v2
	v_fmac_f32_e32 v1, 0xcf800000, v2
	v_cvt_u32_f32_e32 v2, v2
	s_delay_alu instid0(VALU_DEP_2) | instskip(NEXT) | instid1(VALU_DEP_2)
	v_cvt_u32_f32_e32 v1, v1
	v_readfirstlane_b32 s12, v2
	s_delay_alu instid0(VALU_DEP_2) | instskip(NEXT) | instid1(VALU_DEP_2)
	v_readfirstlane_b32 s19, v1
	s_mul_i32 s33, s26, s12
	s_delay_alu instid0(VALU_DEP_1)
	s_mul_hi_u32 s35, s26, s19
	s_mul_i32 s34, s27, s19
	s_add_i32 s33, s35, s33
	s_mul_i32 s36, s26, s19
	s_add_i32 s33, s33, s34
	s_mul_hi_u32 s35, s19, s36
	s_mul_hi_u32 s37, s12, s36
	s_mul_i32 s34, s12, s36
	s_mul_hi_u32 s36, s19, s33
	s_mul_i32 s19, s19, s33
	s_mul_hi_u32 s38, s12, s33
	s_add_u32 s19, s35, s19
	s_addc_u32 s35, 0, s36
	s_add_u32 s19, s19, s34
	s_mul_i32 s33, s12, s33
	s_addc_u32 s19, s35, s37
	s_addc_u32 s34, s38, 0
	s_add_u32 s19, s19, s33
	s_addc_u32 s33, 0, s34
	v_add_co_u32 v1, s19, v1, s19
	s_delay_alu instid0(VALU_DEP_1) | instskip(SKIP_1) | instid1(VALU_DEP_1)
	s_cmp_lg_u32 s19, 0
	s_addc_u32 s12, s12, s33
	v_readfirstlane_b32 s19, v1
	s_mul_i32 s33, s26, s12
	s_delay_alu instid0(VALU_DEP_1)
	s_mul_hi_u32 s34, s26, s19
	s_mul_i32 s27, s27, s19
	s_add_i32 s33, s34, s33
	s_mul_i32 s26, s26, s19
	s_add_i32 s33, s33, s27
	s_mul_hi_u32 s34, s12, s26
	s_mul_i32 s35, s12, s26
	s_mul_hi_u32 s26, s19, s26
	s_mul_hi_u32 s36, s19, s33
	s_mul_i32 s19, s19, s33
	s_mul_hi_u32 s27, s12, s33
	s_add_u32 s19, s26, s19
	s_addc_u32 s26, 0, s36
	s_add_u32 s19, s19, s35
	s_mul_i32 s33, s12, s33
	s_addc_u32 s19, s26, s34
	s_addc_u32 s26, s27, 0
	s_add_u32 s19, s19, s33
	s_addc_u32 s26, 0, s26
	v_add_co_u32 v1, s19, v1, s19
	s_delay_alu instid0(VALU_DEP_1) | instskip(SKIP_1) | instid1(VALU_DEP_1)
	s_cmp_lg_u32 s19, 0
	s_addc_u32 s12, s12, s26
	v_readfirstlane_b32 s19, v1
	s_mul_i32 s27, s22, s12
	s_mul_hi_u32 s26, s22, s12
	s_mul_hi_u32 s33, s23, s12
	s_mul_i32 s12, s23, s12
	s_mul_hi_u32 s34, s22, s19
	s_mul_hi_u32 s35, s23, s19
	s_mul_i32 s19, s23, s19
	s_add_u32 s27, s34, s27
	s_addc_u32 s26, 0, s26
	s_add_u32 s19, s27, s19
	s_addc_u32 s19, s26, s35
	s_addc_u32 s26, s33, 0
	s_add_u32 s19, s19, s12
	s_addc_u32 s26, 0, s26
	s_mul_hi_u32 s12, s24, s19
	s_mul_i32 s33, s24, s26
	s_mul_i32 s34, s24, s19
	s_add_i32 s12, s12, s33
	v_sub_co_u32 v1, s33, s22, s34
	s_mul_i32 s27, s25, s19
	s_delay_alu instid0(SALU_CYCLE_1) | instskip(NEXT) | instid1(VALU_DEP_1)
	s_add_i32 s12, s12, s27
	v_sub_co_u32 v2, s34, v1, s24
	s_sub_i32 s27, s23, s12
	s_cmp_lg_u32 s33, 0
	s_subb_u32 s27, s27, s25
	s_cmp_lg_u32 s34, 0
	v_readfirstlane_b32 s34, v2
	s_subb_u32 s27, s27, 0
	s_delay_alu instid0(SALU_CYCLE_1) | instskip(SKIP_1) | instid1(VALU_DEP_1)
	s_cmp_ge_u32 s27, s25
	s_cselect_b32 s35, -1, 0
	s_cmp_ge_u32 s34, s24
	s_cselect_b32 s34, -1, 0
	s_cmp_eq_u32 s27, s25
	s_cselect_b32 s27, s34, s35
	s_add_u32 s34, s19, 1
	s_addc_u32 s35, s26, 0
	s_add_u32 s36, s19, 2
	s_addc_u32 s37, s26, 0
	s_cmp_lg_u32 s27, 0
	s_cselect_b32 s27, s36, s34
	s_cselect_b32 s34, s37, s35
	s_cmp_lg_u32 s33, 0
	v_readfirstlane_b32 s33, v1
	s_subb_u32 s12, s23, s12
	s_delay_alu instid0(SALU_CYCLE_1) | instskip(SKIP_1) | instid1(VALU_DEP_1)
	s_cmp_ge_u32 s12, s25
	s_cselect_b32 s35, -1, 0
	s_cmp_ge_u32 s33, s24
	s_cselect_b32 s33, -1, 0
	s_cmp_eq_u32 s12, s25
	s_cselect_b32 s12, s33, s35
	s_delay_alu instid0(SALU_CYCLE_1)
	s_cmp_lg_u32 s12, 0
	s_mov_b32 s12, 0
	s_cselect_b32 s41, s34, s26
	s_cselect_b32 s40, s27, s19
.LBB153_13:                             ;   in Loop: Header=BB153_11 Depth=1
	s_and_not1_b32 vcc_lo, exec_lo, s12
	s_cbranch_vccnz .LBB153_15
; %bb.14:                               ;   in Loop: Header=BB153_11 Depth=1
	v_cvt_f32_u32_e32 v1, s24
	s_sub_i32 s19, 0, s24
	s_mov_b32 s41, s18
	s_waitcnt_depctr 0xfff
	v_rcp_iflag_f32_e32 v1, v1
	s_waitcnt_depctr 0xfff
	v_mul_f32_e32 v1, 0x4f7ffffe, v1
	s_delay_alu instid0(VALU_DEP_1) | instskip(NEXT) | instid1(VALU_DEP_1)
	v_cvt_u32_f32_e32 v1, v1
	v_readfirstlane_b32 s12, v1
	s_delay_alu instid0(VALU_DEP_1) | instskip(NEXT) | instid1(SALU_CYCLE_1)
	s_mul_i32 s19, s19, s12
	s_mul_hi_u32 s19, s12, s19
	s_delay_alu instid0(SALU_CYCLE_1) | instskip(NEXT) | instid1(SALU_CYCLE_1)
	s_add_i32 s12, s12, s19
	s_mul_hi_u32 s12, s22, s12
	s_delay_alu instid0(SALU_CYCLE_1) | instskip(SKIP_2) | instid1(SALU_CYCLE_1)
	s_mul_i32 s19, s12, s24
	s_add_i32 s26, s12, 1
	s_sub_i32 s19, s22, s19
	s_sub_i32 s27, s19, s24
	s_cmp_ge_u32 s19, s24
	s_cselect_b32 s12, s26, s12
	s_cselect_b32 s19, s27, s19
	s_add_i32 s26, s12, 1
	s_cmp_ge_u32 s19, s24
	s_cselect_b32 s40, s26, s12
.LBB153_15:                             ;   in Loop: Header=BB153_11 Depth=1
	s_load_b64 s[26:27], s[20:21], 0xc8
	s_mul_i32 s12, s40, s25
	s_mul_hi_u32 s19, s40, s24
	s_mul_i32 s25, s41, s24
	s_add_i32 s12, s19, s12
	s_mul_i32 s19, s40, s24
	s_add_i32 s12, s12, s25
	s_sub_u32 s19, s22, s19
	s_subb_u32 s12, s23, s12
	s_waitcnt lgkmcnt(0)
	s_mul_i32 s12, s26, s12
	s_mul_hi_u32 s22, s26, s19
	s_mul_i32 s23, s27, s19
	s_add_i32 s12, s22, s12
	s_mul_i32 s19, s26, s19
	s_add_i32 s12, s12, s23
	s_add_u32 s28, s19, s28
	s_addc_u32 s29, s12, s29
	s_add_i32 s11, s11, -1
	s_add_u32 s20, s20, -8
	s_addc_u32 s21, s21, -1
	s_cmp_gt_u32 s11, 2
	s_cbranch_scc0 .LBB153_17
; %bb.16:                               ;   in Loop: Header=BB153_11 Depth=1
	s_mov_b64 s[22:23], s[40:41]
	s_branch .LBB153_11
.LBB153_17:
	s_clause 0x1
	s_load_b32 s11, s[0:1], 0x508
	s_load_b64 s[16:17], s[16:17], 0xd0
                                        ; implicit-def: $vgpr51 : SGPR spill to VGPR lane
	s_add_u32 s12, s0, 0x370
	s_mov_b64 s[44:45], 0
	s_waitcnt lgkmcnt(0)
	v_writelane_b32 v51, s16, 0
	v_writelane_b32 v51, s17, 1
	s_addc_u32 s17, s1, 0
	s_cmp_lt_i32 s11, 2
	s_cbranch_scc1 .LBB153_25
; %bb.18:
	s_mov_b32 s16, 0
	s_add_i32 s18, s11, -1
	s_mov_b32 s19, s16
	s_add_i32 s11, s11, 1
	s_lshl_b64 s[18:19], s[18:19], 3
	s_delay_alu instid0(SALU_CYCLE_1)
	s_add_u32 s12, s18, s12
	s_addc_u32 s17, s19, s17
	s_add_u32 s18, s12, 8
	s_addc_u32 s19, s17, 0
.LBB153_19:                             ; =>This Inner Loop Header: Depth=1
	s_load_b64 s[20:21], s[18:19], 0x0
	s_mov_b32 s12, -1
                                        ; implicit-def: $sgpr52_sgpr53
	s_waitcnt lgkmcnt(0)
	s_or_b64 s[22:23], s[4:5], s[20:21]
	s_delay_alu instid0(SALU_CYCLE_1) | instskip(NEXT) | instid1(SALU_CYCLE_1)
	s_mov_b32 s17, s23
	s_cmp_lg_u64 s[16:17], 0
	s_cbranch_scc0 .LBB153_21
; %bb.20:                               ;   in Loop: Header=BB153_19 Depth=1
	v_cvt_f32_u32_e32 v1, s20
	v_cvt_f32_u32_e32 v2, s21
	s_sub_u32 s22, 0, s20
	s_subb_u32 s23, 0, s21
	s_waitcnt_depctr 0xfff
	v_fmac_f32_e32 v1, 0x4f800000, v2
	s_delay_alu instid0(VALU_DEP_1) | instskip(SKIP_2) | instid1(VALU_DEP_1)
	v_rcp_f32_e32 v1, v1
	s_waitcnt_depctr 0xfff
	v_mul_f32_e32 v1, 0x5f7ffffc, v1
	v_mul_f32_e32 v2, 0x2f800000, v1
	s_delay_alu instid0(VALU_DEP_1) | instskip(NEXT) | instid1(VALU_DEP_1)
	v_trunc_f32_e32 v2, v2
	v_fmac_f32_e32 v1, 0xcf800000, v2
	v_cvt_u32_f32_e32 v2, v2
	s_delay_alu instid0(VALU_DEP_2) | instskip(NEXT) | instid1(VALU_DEP_2)
	v_cvt_u32_f32_e32 v1, v1
	v_readfirstlane_b32 s12, v2
	s_delay_alu instid0(VALU_DEP_2) | instskip(NEXT) | instid1(VALU_DEP_2)
	v_readfirstlane_b32 s17, v1
	s_mul_i32 s24, s22, s12
	s_delay_alu instid0(VALU_DEP_1)
	s_mul_hi_u32 s26, s22, s17
	s_mul_i32 s25, s23, s17
	s_add_i32 s24, s26, s24
	s_mul_i32 s27, s22, s17
	s_add_i32 s24, s24, s25
	s_mul_hi_u32 s26, s17, s27
	s_mul_hi_u32 s33, s12, s27
	s_mul_i32 s25, s12, s27
	s_mul_hi_u32 s27, s17, s24
	s_mul_i32 s17, s17, s24
	s_mul_hi_u32 s34, s12, s24
	s_add_u32 s17, s26, s17
	s_addc_u32 s26, 0, s27
	s_add_u32 s17, s17, s25
	s_mul_i32 s24, s12, s24
	s_addc_u32 s17, s26, s33
	s_addc_u32 s25, s34, 0
	s_add_u32 s17, s17, s24
	s_addc_u32 s24, 0, s25
	v_add_co_u32 v1, s17, v1, s17
	s_delay_alu instid0(VALU_DEP_1) | instskip(SKIP_1) | instid1(VALU_DEP_1)
	s_cmp_lg_u32 s17, 0
	s_addc_u32 s12, s12, s24
	v_readfirstlane_b32 s17, v1
	s_mul_i32 s24, s22, s12
	s_delay_alu instid0(VALU_DEP_1)
	s_mul_hi_u32 s25, s22, s17
	s_mul_i32 s23, s23, s17
	s_add_i32 s24, s25, s24
	s_mul_i32 s22, s22, s17
	s_add_i32 s24, s24, s23
	s_mul_hi_u32 s25, s12, s22
	s_mul_i32 s26, s12, s22
	s_mul_hi_u32 s22, s17, s22
	s_mul_hi_u32 s27, s17, s24
	s_mul_i32 s17, s17, s24
	s_mul_hi_u32 s23, s12, s24
	s_add_u32 s17, s22, s17
	s_addc_u32 s22, 0, s27
	s_add_u32 s17, s17, s26
	s_mul_i32 s24, s12, s24
	s_addc_u32 s17, s22, s25
	s_addc_u32 s22, s23, 0
	s_add_u32 s17, s17, s24
	s_addc_u32 s22, 0, s22
	v_add_co_u32 v1, s17, v1, s17
	s_delay_alu instid0(VALU_DEP_1) | instskip(SKIP_1) | instid1(VALU_DEP_1)
	s_cmp_lg_u32 s17, 0
	s_addc_u32 s12, s12, s22
	v_readfirstlane_b32 s17, v1
	s_mul_i32 s23, s4, s12
	s_mul_hi_u32 s22, s4, s12
	s_mul_hi_u32 s24, s5, s12
	s_mul_i32 s12, s5, s12
	s_mul_hi_u32 s25, s4, s17
	s_mul_hi_u32 s26, s5, s17
	s_mul_i32 s17, s5, s17
	s_add_u32 s23, s25, s23
	s_addc_u32 s22, 0, s22
	s_add_u32 s17, s23, s17
	s_addc_u32 s17, s22, s26
	s_addc_u32 s22, s24, 0
	s_add_u32 s17, s17, s12
	s_addc_u32 s22, 0, s22
	s_mul_hi_u32 s12, s20, s17
	s_mul_i32 s24, s20, s22
	s_mul_i32 s25, s20, s17
	s_add_i32 s12, s12, s24
	v_sub_co_u32 v1, s24, s4, s25
	s_mul_i32 s23, s21, s17
	s_delay_alu instid0(SALU_CYCLE_1) | instskip(NEXT) | instid1(VALU_DEP_1)
	s_add_i32 s12, s12, s23
	v_sub_co_u32 v2, s25, v1, s20
	s_sub_i32 s23, s5, s12
	s_cmp_lg_u32 s24, 0
	s_subb_u32 s23, s23, s21
	s_cmp_lg_u32 s25, 0
	v_readfirstlane_b32 s25, v2
	s_subb_u32 s23, s23, 0
	s_delay_alu instid0(SALU_CYCLE_1) | instskip(SKIP_1) | instid1(VALU_DEP_1)
	s_cmp_ge_u32 s23, s21
	s_cselect_b32 s26, -1, 0
	s_cmp_ge_u32 s25, s20
	s_cselect_b32 s25, -1, 0
	s_cmp_eq_u32 s23, s21
	s_cselect_b32 s23, s25, s26
	s_add_u32 s25, s17, 1
	s_addc_u32 s26, s22, 0
	s_add_u32 s27, s17, 2
	s_addc_u32 s33, s22, 0
	s_cmp_lg_u32 s23, 0
	s_cselect_b32 s23, s27, s25
	s_cselect_b32 s25, s33, s26
	s_cmp_lg_u32 s24, 0
	v_readfirstlane_b32 s24, v1
	s_subb_u32 s12, s5, s12
	s_delay_alu instid0(SALU_CYCLE_1) | instskip(SKIP_1) | instid1(VALU_DEP_1)
	s_cmp_ge_u32 s12, s21
	s_cselect_b32 s26, -1, 0
	s_cmp_ge_u32 s24, s20
	s_cselect_b32 s24, -1, 0
	s_cmp_eq_u32 s12, s21
	s_cselect_b32 s12, s24, s26
	s_delay_alu instid0(SALU_CYCLE_1)
	s_cmp_lg_u32 s12, 0
	s_mov_b32 s12, 0
	s_cselect_b32 s53, s25, s22
	s_cselect_b32 s52, s23, s17
.LBB153_21:                             ;   in Loop: Header=BB153_19 Depth=1
	s_and_not1_b32 vcc_lo, exec_lo, s12
	s_cbranch_vccnz .LBB153_23
; %bb.22:                               ;   in Loop: Header=BB153_19 Depth=1
	v_cvt_f32_u32_e32 v1, s20
	s_sub_i32 s17, 0, s20
	s_mov_b32 s53, s16
	s_waitcnt_depctr 0xfff
	v_rcp_iflag_f32_e32 v1, v1
	s_waitcnt_depctr 0xfff
	v_mul_f32_e32 v1, 0x4f7ffffe, v1
	s_delay_alu instid0(VALU_DEP_1) | instskip(NEXT) | instid1(VALU_DEP_1)
	v_cvt_u32_f32_e32 v1, v1
	v_readfirstlane_b32 s12, v1
	s_delay_alu instid0(VALU_DEP_1) | instskip(NEXT) | instid1(SALU_CYCLE_1)
	s_mul_i32 s17, s17, s12
	s_mul_hi_u32 s17, s12, s17
	s_delay_alu instid0(SALU_CYCLE_1) | instskip(NEXT) | instid1(SALU_CYCLE_1)
	s_add_i32 s12, s12, s17
	s_mul_hi_u32 s12, s4, s12
	s_delay_alu instid0(SALU_CYCLE_1) | instskip(SKIP_2) | instid1(SALU_CYCLE_1)
	s_mul_i32 s17, s12, s20
	s_add_i32 s22, s12, 1
	s_sub_i32 s17, s4, s17
	s_sub_i32 s23, s17, s20
	s_cmp_ge_u32 s17, s20
	s_cselect_b32 s12, s22, s12
	s_cselect_b32 s17, s23, s17
	s_add_i32 s22, s12, 1
	s_cmp_ge_u32 s17, s20
	s_cselect_b32 s52, s22, s12
.LBB153_23:                             ;   in Loop: Header=BB153_19 Depth=1
	s_load_b64 s[22:23], s[18:19], 0xc8
	s_mul_i32 s12, s52, s21
	s_mul_hi_u32 s17, s52, s20
	s_mul_i32 s21, s53, s20
	s_add_i32 s12, s17, s12
	s_mul_i32 s17, s52, s20
	s_add_i32 s12, s12, s21
	s_sub_u32 s4, s4, s17
	s_subb_u32 s5, s5, s12
	s_waitcnt lgkmcnt(0)
	s_mul_i32 s5, s22, s5
	s_mul_hi_u32 s12, s22, s4
	s_mul_i32 s17, s23, s4
	s_add_i32 s5, s12, s5
	s_mul_i32 s4, s22, s4
	s_add_i32 s5, s5, s17
	s_add_u32 s44, s4, s44
	s_addc_u32 s45, s5, s45
	s_add_i32 s11, s11, -1
	s_add_u32 s18, s18, -8
	s_addc_u32 s19, s19, -1
	s_cmp_gt_u32 s11, 2
	s_cbranch_scc0 .LBB153_26
; %bb.24:                               ;   in Loop: Header=BB153_19 Depth=1
	s_mov_b64 s[4:5], s[52:53]
	s_branch .LBB153_19
.LBB153_25:
	s_mov_b64 s[52:53], s[4:5]
.LBB153_26:
	s_clause 0x2
	s_load_b128 s[36:39], s[0:1], 0x1a0
	s_load_b64 s[16:17], s[0:1], 0x0
	s_load_b64 s[4:5], s[0:1], 0x370
	s_mov_b32 s61, 0
	s_waitcnt lgkmcnt(0)
	v_writelane_b32 v51, s4, 2
	v_writelane_b32 v51, s5, 3
	v_cmp_eq_u32_e64 s5, 0, v0
	s_delay_alu instid0(VALU_DEP_1)
	s_and_saveexec_b32 s4, s5
	s_cbranch_execz .LBB153_28
; %bb.27:
	v_dual_mov_b32 v1, 0 :: v_dual_mov_b32 v4, s37
	s_delay_alu instid0(VALU_DEP_1)
	v_dual_mov_b32 v3, s36 :: v_dual_mov_b32 v2, v1
	ds_store_b32 v1, v1 offset:5144
	ds_store_b128 v1, v[1:4] offset:5120
.LBB153_28:
	s_or_b32 exec_lo, exec_lo, s4
	s_mul_i32 s7, s14, s7
	s_mul_hi_u32 s11, s14, s6
	s_load_b32 s4, s[0:1], 0x1b0
	s_mul_i32 s12, s15, s6
	s_add_i32 s7, s11, s7
	s_mul_i32 s6, s14, s6
	s_add_i32 s7, s7, s12
	v_lshlrev_b32_e32 v47, 4, v0
	s_waitcnt lgkmcnt(0)
	s_lshl_b64 s[18:19], s[6:7], 2
	s_barrier
	buffer_gl0_inv
	s_load_b32 s7, s[8:9], 0xc
	v_or_b32_e32 v24, 4, v47
	s_lshl_b64 s[48:49], s[2:3], 2
	s_add_u32 s14, s16, s18
	s_addc_u32 s15, s17, s19
	v_mbcnt_lo_u32_b32 v44, -1, 0
	v_mad_u64_u32 v[20:21], null, s30, v24, s[14:15]
	v_mad_u64_u32 v[2:3], null, v0, s30, 0
	s_add_u32 s80, s14, s48
	s_addc_u32 s81, s15, s49
	s_bitcmp1_b32 s4, 0
	v_cmp_gt_u32_e32 vcc_lo, 32, v0
	s_delay_alu instid0(VALU_DEP_3)
	v_mov_b32_e32 v8, v21
	v_cmp_gt_i32_e64 s4, 4, v44
	v_or_b32_e32 v9, 12, v47
	v_or_b32_e32 v12, 8, v47
	v_lshrrev_b32_e32 v6, 3, v0
	s_cselect_b32 s2, -1, 0
	s_waitcnt lgkmcnt(0)
	s_and_b32 s33, s7, 0xffff
	v_dual_mov_b32 v1, v3 :: v_dual_lshlrev_b32 v14, 2, v0
	s_xor_b32 s82, s2, -1
	s_and_b32 s83, vcc_lo, s4
	s_bfe_u32 s11, s7, 0xb0005
	v_mad_u64_u32 v[16:17], null, s30, v9, s[14:15]
	v_mad_u64_u32 v[18:19], null, s30, v12, s[14:15]
	s_add_u32 s85, s33, -1
	v_and_b32_e32 v45, 0x7c, v6
	s_addc_u32 s86, 0, -1
	v_lshlrev_b64 v[6:7], v44, -1
	s_add_u32 s87, s85, s36
	s_addc_u32 s27, s86, s37
	v_mad_u64_u32 v[3:4], null, v0, s31, v[1:2]
	s_cmp_lt_u32 s13, s10
	s_delay_alu instid0(VALU_DEP_2)
	v_not_b32_e32 v43, v6
	v_mov_b32_e32 v6, v17
	s_cselect_b32 s10, 12, 18
	v_dual_mov_b32 v7, v19 :: v_dual_mov_b32 v28, 0
	s_add_u32 s62, s8, s10
	s_addc_u32 s63, s9, 0
	s_add_i32 s8, s11, -1
	s_bfe_u32 s88, s33, 0x30005
	s_cmp_gt_u32 s8, 6
	v_lshlrev_b64 v[4:5], 2, v[2:3]
	v_mad_u64_u32 v[21:22], null, s31, v9, v[6:7]
	s_cselect_b32 s89, -1, 0
	s_and_b32 s90, s11, 0x7f8
	v_mad_u64_u32 v[22:23], null, s31, v12, v[7:8]
	s_cmp_lg_u32 s88, 0
	v_dual_mov_b32 v13, 0 :: v_dual_add_nc_u32 v46, 0xc00, v14
	v_lshlrev_b64 v[2:3], 4, v[2:3]
	v_cmp_gt_u16_e64 s91, s7, 31
	s_cselect_b32 s92, -1, 0
	s_add_u32 s7, s18, s48
	s_addc_u32 s8, s19, s49
	v_add_co_u32 v10, vcc_lo, s80, v4
	v_mad_u64_u32 v[6:7], null, s31, v24, v[8:9]
	s_add_u32 s64, s16, s7
	v_writelane_b32 v51, s2, 4
	s_addc_u32 s65, s17, s8
	s_lshl_b64 s[66:67], s[30:31], 2
	s_lshl_b64 s[68:69], s[30:31], 4
	s_lshl_b32 s93, s33, 2
	v_mov_b32_e32 v1, v13
	v_add_co_ci_u32_e32 v11, vcc_lo, s81, v5, vcc_lo
	s_add_u32 s7, s16, s48
	v_mov_b32_e32 v19, v22
	v_add_co_u32 v22, vcc_lo, s14, v2
	s_addc_u32 s8, s17, s49
	s_add_u32 s7, s7, s18
	v_add_co_ci_u32_e32 v23, vcc_lo, s15, v3, vcc_lo
	v_writelane_b32 v51, s18, 5
	s_addc_u32 s11, s8, s19
	v_add_co_u32 v24, vcc_lo, s7, v4
	v_dual_mov_b32 v29, s38 :: v_dual_mov_b32 v30, s39
	v_cmp_lt_u64_e64 s84, 0x300, s[36:37]
	v_cmp_gt_u64_e64 s4, s[36:37], v[0:1]
	s_mul_i32 s9, s31, s33
	s_mul_hi_u32 s10, s30, s33
	v_cmp_eq_u32_e64 s2, 0, v44
	v_dual_mov_b32 v15, v13 :: v_dual_mov_b32 v26, 1
	v_cmp_gt_u32_e64 s6, 2, v0
	v_dual_mov_b32 v17, v21 :: v_dual_mov_b32 v50, 0
	v_mov_b32_e32 v21, v6
	v_lshl_or_b32 v48, v44, 3, 0xc00
	v_add_co_ci_u32_e32 v25, vcc_lo, s11, v5, vcc_lo
	v_mov_b32_e32 v49, 0
	s_add_i32 s9, s10, s9
	s_mul_i32 s8, s30, s33
	s_mov_b32 s100, 30
	s_lshl_b64 s[34:35], s[8:9], 2
	s_mov_b32 s94, 0
	s_mov_b32 s96, 0
	v_writelane_b32 v51, s19, 6
                                        ; implicit-def: $sgpr95
                                        ; implicit-def: $sgpr99
                                        ; implicit-def: $sgpr98
                                        ; implicit-def: $sgpr101
                                        ; implicit-def: $sgpr97
                                        ; implicit-def: $sgpr102
                                        ; implicit-def: $sgpr104
                                        ; implicit-def: $sgpr103
                                        ; implicit-def: $vcc_hi
                                        ; implicit-def: $sgpr54
	s_branch .LBB153_31
.LBB153_29:                             ;   in Loop: Header=BB153_31 Depth=1
	s_or_b32 exec_lo, exec_lo, s10
	v_dual_mov_b32 v49, v34 :: v_dual_mov_b32 v50, v33
	v_dual_mov_b32 v30, v5 :: v_dual_mov_b32 v29, v4
	v_mov_b32_e32 v28, v3
	s_and_not1_b32 s3, s54, exec_lo
	s_and_b32 s9, s9, exec_lo
	s_and_not1_b32 vcc_hi, vcc_hi, exec_lo
	s_or_b32 s54, s3, s9
	s_and_not1_b32 s103, s103, exec_lo
	s_and_not1_b32 s104, s104, exec_lo
	;; [unrolled: 1-line block ×3, first 2 shown]
	s_or_not1_b32 s8, s8, exec_lo
.LBB153_30:                             ;   in Loop: Header=BB153_31 Depth=1
	s_or_b32 exec_lo, exec_lo, s7
	s_delay_alu instid0(SALU_CYCLE_1) | instskip(NEXT) | instid1(SALU_CYCLE_1)
	s_and_b32 s7, exec_lo, s8
	s_or_b32 s94, s7, s94
	s_and_not1_b32 s7, s97, exec_lo
	s_and_b32 s8, s54, exec_lo
	s_and_not1_b32 s9, s101, exec_lo
	s_or_b32 s97, s7, s8
	s_and_b32 s7, vcc_hi, exec_lo
	s_and_not1_b32 s8, s98, exec_lo
	s_and_b32 s10, s103, exec_lo
	s_or_b32 s101, s9, s7
	s_or_b32 s98, s8, s10
	s_and_not1_b32 s7, s99, exec_lo
	s_and_b32 s8, s104, exec_lo
	s_and_not1_b32 s9, s95, exec_lo
	s_and_b32 s10, s102, exec_lo
	s_or_b32 s99, s7, s8
	s_or_b32 s95, s9, s10
	s_and_not1_b32 exec_lo, exec_lo, s94
	s_cbranch_execz .LBB153_503
.LBB153_31:                             ; =>This Loop Header: Depth=1
                                        ;     Child Loop BB153_39 Depth 2
                                        ;     Child Loop BB153_57 Depth 2
	;; [unrolled: 1-line block ×24, first 2 shown]
	ds_load_b128 v[2:5], v13 offset:5120
	s_waitcnt lgkmcnt(0)
	v_readfirstlane_b32 s71, v3
	v_readfirstlane_b32 s70, v2
	s_delay_alu instid0(VALU_DEP_1)
	s_cmp_lg_u64 s[70:71], 0
	s_cbranch_scc1 .LBB153_64
; %bb.32:                               ;   in Loop: Header=BB153_31 Depth=1
	s_and_b32 vcc_lo, exec_lo, s84
	s_cbranch_vccz .LBB153_47
; %bb.33:                               ;   in Loop: Header=BB153_31 Depth=1
	v_cmp_gt_u64_e32 vcc_lo, 0x301, v[4:5]
	s_mov_b32 s9, 0
	s_mov_b32 s7, 0
	s_cbranch_vccz .LBB153_48
; %bb.34:                               ;   in Loop: Header=BB153_31 Depth=1
	v_mov_b32_e32 v6, 0
	s_and_saveexec_b32 s7, s4
	s_cbranch_execz .LBB153_36
; %bb.35:                               ;   in Loop: Header=BB153_31 Depth=1
	global_load_b32 v6, v[10:11], off
.LBB153_36:                             ;   in Loop: Header=BB153_31 Depth=1
	s_or_b32 exec_lo, exec_lo, s7
	s_and_saveexec_b32 s10, s4
	s_cbranch_execz .LBB153_49
; %bb.37:                               ;   in Loop: Header=BB153_31 Depth=1
	global_load_u16 v7, v13, s[62:63]
	s_mov_b32 s13, 0
	s_waitcnt vmcnt(0)
	v_readfirstlane_b32 s7, v7
	v_and_b32_e32 v7, 0xffff, v7
	s_delay_alu instid0(VALU_DEP_2) | instskip(NEXT) | instid1(SALU_CYCLE_1)
	s_and_b32 s7, 0xffff, s7
	v_add_nc_u32_e32 v8, s7, v0
	s_mul_i32 s8, s67, s7
	s_mul_hi_u32 s11, s66, s7
	s_mul_i32 s12, s66, s7
	s_add_i32 s11, s11, s8
	v_mad_u64_u32 v[2:3], null, s66, v8, s[64:65]
	s_delay_alu instid0(VALU_DEP_1) | instskip(NEXT) | instid1(VALU_DEP_1)
	v_mad_u64_u32 v[4:5], null, s67, v8, v[3:4]
	v_mov_b32_e32 v3, v4
	v_dual_mov_b32 v5, v1 :: v_dual_mov_b32 v4, v0
	s_branch .LBB153_39
.LBB153_38:                             ;   in Loop: Header=BB153_39 Depth=2
	s_or_b32 exec_lo, exec_lo, s8
	v_add_co_u32 v2, vcc_lo, v2, s12
	v_add_co_ci_u32_e32 v3, vcc_lo, s11, v3, vcc_lo
	s_waitcnt vmcnt(0)
	v_mov_b32_e32 v6, v8
	s_and_not1_b32 exec_lo, exec_lo, s13
	s_cbranch_execz .LBB153_49
.LBB153_39:                             ;   Parent Loop BB153_31 Depth=1
                                        ; =>  This Inner Loop Header: Depth=2
	s_delay_alu instid0(VALU_DEP_1) | instskip(NEXT) | instid1(VALU_DEP_2)
	v_add_co_u32 v4, vcc_lo, v4, v7
	v_add_co_ci_u32_e32 v5, vcc_lo, 0, v5, vcc_lo
	s_waitcnt lgkmcnt(0)
	v_dual_mov_b32 v9, 0 :: v_dual_mov_b32 v8, 0
	s_mov_b32 s8, exec_lo
	s_delay_alu instid0(VALU_DEP_2)
	v_cmp_le_u64_e32 vcc_lo, s[36:37], v[4:5]
	v_cmpx_gt_u64_e64 s[36:37], v[4:5]
	s_cbranch_execz .LBB153_41
; %bb.40:                               ;   in Loop: Header=BB153_39 Depth=2
	global_load_b32 v8, v[2:3], off
.LBB153_41:                             ;   in Loop: Header=BB153_39 Depth=2
	s_or_b32 exec_lo, exec_lo, s8
	v_xor_b32_e32 v12, 0x80000000, v6
	s_delay_alu instid0(VALU_DEP_1) | instskip(NEXT) | instid1(VALU_DEP_1)
	v_and_b32_e32 v12, v12, v49
	v_cmp_eq_u32_e64 s7, v12, v50
	s_delay_alu instid0(VALU_DEP_1) | instskip(SKIP_1) | instid1(SALU_CYCLE_1)
	s_cmp_lg_u32 s7, 0
	s_cselect_b32 s8, -1, 0
	s_and_b32 s8, s2, s8
	s_delay_alu instid0(SALU_CYCLE_1)
	s_and_saveexec_b32 s14, s8
	s_cbranch_execz .LBB153_45
; %bb.42:                               ;   in Loop: Header=BB153_39 Depth=2
	s_mov_b32 s17, exec_lo
	s_bcnt1_i32_b32 s15, s7
	v_mbcnt_lo_u32_b32 v9, s17, 0
	s_mov_b32 s16, exec_lo
                                        ; implicit-def: $vgpr12
	s_delay_alu instid0(VALU_DEP_1)
	v_cmpx_eq_u32_e32 0, v9
	s_cbranch_execz .LBB153_44
; %bb.43:                               ;   in Loop: Header=BB153_39 Depth=2
	s_bcnt1_i32_b32 s8, s17
	s_delay_alu instid0(SALU_CYCLE_1) | instskip(NEXT) | instid1(SALU_CYCLE_1)
	s_mul_i32 s8, s15, s8
	v_mov_b32_e32 v12, s8
	ds_add_rtn_u32 v12, v13, v12 offset:5144
.LBB153_44:                             ;   in Loop: Header=BB153_39 Depth=2
	s_or_b32 exec_lo, exec_lo, s16
	s_waitcnt lgkmcnt(0)
	v_readfirstlane_b32 s8, v12
	s_delay_alu instid0(VALU_DEP_1)
	v_mad_u32_u24 v9, s15, v9, s8
.LBB153_45:                             ;   in Loop: Header=BB153_39 Depth=2
	s_or_b32 exec_lo, exec_lo, s14
	ds_bpermute_b32 v9, v13, v9
	s_and_b32 s8, exec_lo, vcc_lo
	s_delay_alu instid0(SALU_CYCLE_1)
	s_or_b32 s13, s8, s13
	s_and_saveexec_b32 s8, s7
	s_cbranch_execz .LBB153_38
; %bb.46:                               ;   in Loop: Header=BB153_39 Depth=2
	v_and_b32_e32 v12, s7, v43
	s_delay_alu instid0(VALU_DEP_1) | instskip(NEXT) | instid1(VALU_DEP_1)
	v_bcnt_u32_b32 v12, v12, 0
	v_lshlrev_b32_e32 v12, 2, v12
	s_waitcnt lgkmcnt(0)
	s_delay_alu instid0(VALU_DEP_1)
	v_lshl_add_u32 v9, v9, 2, v12
	ds_store_b32 v9, v6
	s_branch .LBB153_38
.LBB153_47:                             ;   in Loop: Header=BB153_31 Depth=1
	s_mov_b32 s7, 0
                                        ; implicit-def: $sgpr70_sgpr71
	s_cbranch_execnz .LBB153_52
	s_branch .LBB153_62
.LBB153_48:                             ;   in Loop: Header=BB153_31 Depth=1
	s_mov_b64 s[70:71], 0
	s_and_b32 vcc_lo, exec_lo, s9
	s_cbranch_vccnz .LBB153_52
	s_branch .LBB153_62
.LBB153_49:                             ;   in Loop: Header=BB153_31 Depth=1
	s_or_b32 exec_lo, exec_lo, s10
	s_waitcnt vmcnt(0) lgkmcnt(0)
	s_barrier
	buffer_gl0_inv
	s_and_saveexec_b32 s7, s5
	s_cbranch_execz .LBB153_51
; %bb.50:                               ;   in Loop: Header=BB153_31 Depth=1
	ds_load_b32 v2, v13 offset:5144
	s_waitcnt lgkmcnt(0)
	v_ashrrev_i32_e32 v3, 31, v2
	ds_store_b64 v13, v[2:3] offset:5120
.LBB153_51:                             ;   in Loop: Header=BB153_31 Depth=1
	s_or_b32 exec_lo, exec_lo, s7
	s_waitcnt lgkmcnt(0)
	s_mov_b32 s7, -1
	s_barrier
	s_mov_b64 s[70:71], 0
	s_and_b32 vcc_lo, exec_lo, s9
	s_cbranch_vccz .LBB153_62
.LBB153_52:                             ;   in Loop: Header=BB153_31 Depth=1
	v_mov_b32_e32 v6, 0
	s_and_saveexec_b32 s7, s4
	s_cbranch_execz .LBB153_54
; %bb.53:                               ;   in Loop: Header=BB153_31 Depth=1
	global_load_b32 v6, v[10:11], off
.LBB153_54:                             ;   in Loop: Header=BB153_31 Depth=1
	s_or_b32 exec_lo, exec_lo, s7
	s_and_saveexec_b32 s8, s4
	s_cbranch_execz .LBB153_59
; %bb.55:                               ;   in Loop: Header=BB153_31 Depth=1
	global_load_u16 v8, v13, s[62:63]
	s_mov_b32 s12, 0
	s_waitcnt vmcnt(0)
	v_readfirstlane_b32 s7, v8
	v_and_b32_e32 v8, 0xffff, v8
	s_delay_alu instid0(VALU_DEP_2) | instskip(NEXT) | instid1(SALU_CYCLE_1)
	s_and_b32 s7, 0xffff, s7
	v_add_nc_u32_e32 v7, s7, v0
	s_mul_i32 s10, s67, s7
	s_mul_hi_u32 s11, s66, s7
	s_lshl_b32 s9, s7, 2
	s_add_i32 s10, s11, s10
	v_mad_u64_u32 v[2:3], null, s66, v7, s[64:65]
	s_mul_i32 s11, s66, s7
	s_delay_alu instid0(VALU_DEP_1) | instskip(SKIP_1) | instid1(VALU_DEP_2)
	v_mad_u64_u32 v[4:5], null, s67, v7, v[3:4]
	v_mov_b32_e32 v7, v14
	v_mov_b32_e32 v3, v4
	v_dual_mov_b32 v5, v1 :: v_dual_mov_b32 v4, v0
	s_branch .LBB153_57
	.p2align	6
.LBB153_56:                             ;   in Loop: Header=BB153_57 Depth=2
	s_or_b32 exec_lo, exec_lo, s13
	s_delay_alu instid0(SALU_CYCLE_1)
	s_and_b32 s7, exec_lo, vcc_lo
	v_add_co_u32 v2, vcc_lo, v2, s11
	ds_store_b32 v7, v6
	s_waitcnt vmcnt(0)
	v_dual_mov_b32 v6, v9 :: v_dual_add_nc_u32 v7, s9, v7
	v_add_co_ci_u32_e32 v3, vcc_lo, s10, v3, vcc_lo
	s_or_b32 s12, s7, s12
	s_delay_alu instid0(SALU_CYCLE_1)
	s_and_not1_b32 exec_lo, exec_lo, s12
	s_cbranch_execz .LBB153_59
.LBB153_57:                             ;   Parent Loop BB153_31 Depth=1
                                        ; =>  This Inner Loop Header: Depth=2
	s_delay_alu instid0(VALU_DEP_1) | instskip(NEXT) | instid1(VALU_DEP_2)
	v_add_co_u32 v4, vcc_lo, v4, v8
	v_add_co_ci_u32_e32 v5, vcc_lo, 0, v5, vcc_lo
	v_mov_b32_e32 v9, 0
	s_mov_b32 s13, exec_lo
	s_delay_alu instid0(VALU_DEP_2)
	v_cmp_le_u64_e32 vcc_lo, s[36:37], v[4:5]
	v_cmpx_gt_u64_e64 s[36:37], v[4:5]
	s_cbranch_execz .LBB153_56
; %bb.58:                               ;   in Loop: Header=BB153_57 Depth=2
	global_load_b32 v9, v[2:3], off
	s_branch .LBB153_56
.LBB153_59:                             ;   in Loop: Header=BB153_31 Depth=1
	s_or_b32 exec_lo, exec_lo, s8
	s_waitcnt vmcnt(0) lgkmcnt(0)
	s_barrier
	buffer_gl0_inv
	s_and_saveexec_b32 s7, s5
	s_cbranch_execz .LBB153_61
; %bb.60:                               ;   in Loop: Header=BB153_31 Depth=1
	v_dual_mov_b32 v2, s36 :: v_dual_mov_b32 v3, s37
	ds_store_b64 v13, v[2:3] offset:5120
.LBB153_61:                             ;   in Loop: Header=BB153_31 Depth=1
	s_or_b32 exec_lo, exec_lo, s7
	s_mov_b32 s7, -1
	s_waitcnt lgkmcnt(0)
	s_barrier
                                        ; implicit-def: $sgpr70_sgpr71
.LBB153_62:                             ;   in Loop: Header=BB153_31 Depth=1
	s_and_b32 vcc_lo, exec_lo, s7
	s_cbranch_vccz .LBB153_64
; %bb.63:                               ;   in Loop: Header=BB153_31 Depth=1
	buffer_gl0_inv
	ds_load_b64 v[2:3], v13 offset:5120
	s_waitcnt lgkmcnt(0)
	v_readfirstlane_b32 s70, v2
.LBB153_64:                             ;   in Loop: Header=BB153_31 Depth=1
	s_delay_alu instid0(VALU_DEP_1)
	s_cmp_lt_i32 s70, 1
	s_cbranch_scc0 .LBB153_79
; %bb.65:                               ;   in Loop: Header=BB153_31 Depth=1
	global_load_u16 v2, v13, s[62:63]
	s_mov_b32 s8, s61
	s_mov_b32 s9, s37
	s_waitcnt vmcnt(0)
	v_readfirstlane_b32 s7, v2
	s_delay_alu instid0(VALU_DEP_1) | instskip(NEXT) | instid1(SALU_CYCLE_1)
	s_and_b32 s26, s7, 0xffff
	s_lshl_b32 s46, s26, 2
	s_cmp_lg_u64 s[8:9], 0
	s_cbranch_scc0 .LBB153_99
; %bb.66:                               ;   in Loop: Header=BB153_31 Depth=1
	v_cvt_f32_u32_e32 v2, s46
	s_sub_u32 s9, 0, s46
	s_subb_u32 s10, 0, 0
	s_delay_alu instid0(VALU_DEP_1) | instskip(NEXT) | instid1(VALU_DEP_1)
	v_fmac_f32_e64 v2, 0, 0x4f800000
	v_rcp_f32_e32 v2, v2
	s_waitcnt_depctr 0xfff
	v_mul_f32_e32 v2, 0x5f7ffffc, v2
	s_delay_alu instid0(VALU_DEP_1) | instskip(NEXT) | instid1(VALU_DEP_1)
	v_mul_f32_e32 v3, 0x2f800000, v2
	v_trunc_f32_e32 v3, v3
	s_delay_alu instid0(VALU_DEP_1) | instskip(SKIP_1) | instid1(VALU_DEP_2)
	v_fmac_f32_e32 v2, 0xcf800000, v3
	v_cvt_u32_f32_e32 v3, v3
	v_cvt_u32_f32_e32 v2, v2
	s_delay_alu instid0(VALU_DEP_2) | instskip(NEXT) | instid1(VALU_DEP_2)
	v_readfirstlane_b32 s7, v3
	v_readfirstlane_b32 s8, v2
	s_delay_alu instid0(VALU_DEP_2) | instskip(NEXT) | instid1(VALU_DEP_1)
	s_mul_i32 s11, s9, s7
	s_mul_hi_u32 s13, s9, s8
	s_mul_i32 s12, s10, s8
	s_add_i32 s11, s13, s11
	s_mul_i32 s14, s9, s8
	s_add_i32 s11, s11, s12
	s_mul_hi_u32 s13, s8, s14
	s_mul_hi_u32 s15, s7, s14
	s_mul_i32 s12, s7, s14
	s_mul_hi_u32 s14, s8, s11
	s_mul_i32 s8, s8, s11
	s_mul_hi_u32 s16, s7, s11
	s_add_u32 s8, s13, s8
	s_addc_u32 s13, 0, s14
	s_add_u32 s8, s8, s12
	s_mul_i32 s11, s7, s11
	s_addc_u32 s8, s13, s15
	s_addc_u32 s12, s16, 0
	s_add_u32 s8, s8, s11
	s_addc_u32 s11, 0, s12
	v_add_co_u32 v2, s8, v2, s8
	s_delay_alu instid0(VALU_DEP_1) | instskip(SKIP_1) | instid1(VALU_DEP_1)
	s_cmp_lg_u32 s8, 0
	s_addc_u32 s7, s7, s11
	v_readfirstlane_b32 s8, v2
	s_mul_i32 s11, s9, s7
	s_delay_alu instid0(VALU_DEP_1)
	s_mul_hi_u32 s12, s9, s8
	s_mul_i32 s10, s10, s8
	s_add_i32 s11, s12, s11
	s_mul_i32 s9, s9, s8
	s_add_i32 s11, s11, s10
	s_mul_hi_u32 s12, s7, s9
	s_mul_i32 s13, s7, s9
	s_mul_hi_u32 s9, s8, s9
	s_mul_hi_u32 s14, s8, s11
	s_mul_i32 s8, s8, s11
	s_mul_hi_u32 s10, s7, s11
	s_add_u32 s8, s9, s8
	s_addc_u32 s9, 0, s14
	s_add_u32 s8, s8, s13
	s_mul_i32 s11, s7, s11
	s_addc_u32 s8, s9, s12
	s_addc_u32 s9, s10, 0
	s_add_u32 s8, s8, s11
	s_addc_u32 s9, 0, s9
	v_add_co_u32 v2, s8, v2, s8
	s_delay_alu instid0(VALU_DEP_1) | instskip(SKIP_1) | instid1(VALU_DEP_1)
	s_cmp_lg_u32 s8, 0
	s_addc_u32 s7, s7, s9
	v_readfirstlane_b32 s8, v2
	s_mul_i32 s10, s36, s7
	s_mul_hi_u32 s9, s36, s7
	s_mul_hi_u32 s11, s37, s7
	s_mul_i32 s7, s37, s7
	s_mul_hi_u32 s12, s36, s8
	s_mul_hi_u32 s13, s37, s8
	s_mul_i32 s8, s37, s8
	s_add_u32 s10, s12, s10
	s_addc_u32 s9, 0, s9
	s_add_u32 s8, s10, s8
	s_addc_u32 s8, s9, s13
	s_addc_u32 s9, s11, 0
	s_add_u32 s7, s8, s7
	s_addc_u32 s8, 0, s9
	s_mul_hi_u32 s9, s46, s7
	s_mul_i32 s7, s46, s7
	s_mul_i32 s8, s46, s8
	v_sub_co_u32 v2, s7, s36, s7
	s_add_i32 s9, s9, s8
	s_cmp_lg_u32 s7, 0
	s_delay_alu instid0(VALU_DEP_1) | instskip(SKIP_2) | instid1(VALU_DEP_1)
	v_sub_co_u32 v3, s7, v2, s46
	s_subb_u32 s8, s37, s9
	s_cmp_lg_u32 s7, 0
	v_cmp_le_u32_e32 vcc_lo, s46, v3
	v_sub_co_u32 v4, s7, v3, s46
	s_subb_u32 s9, s8, 0
	s_cmp_lg_u32 s7, 0
	v_cndmask_b32_e64 v5, 0, -1, vcc_lo
	s_subb_u32 s7, s9, 0
	s_cmp_eq_u32 s9, 0
	v_mov_b32_e32 v7, s7
	s_cselect_b32 vcc_lo, -1, 0
	s_cmp_eq_u32 s8, 0
	v_cndmask_b32_e32 v5, -1, v5, vcc_lo
	v_cmp_le_u32_e32 vcc_lo, s46, v2
	s_cselect_b32 s7, -1, 0
	v_cndmask_b32_e64 v6, 0, -1, vcc_lo
	s_delay_alu instid0(VALU_DEP_3) | instskip(NEXT) | instid1(VALU_DEP_2)
	v_cmp_ne_u32_e32 vcc_lo, 0, v5
	v_cndmask_b32_e64 v5, -1, v6, s7
	v_cndmask_b32_e32 v6, s9, v7, vcc_lo
	v_cndmask_b32_e32 v4, v3, v4, vcc_lo
	s_delay_alu instid0(VALU_DEP_3) | instskip(NEXT) | instid1(VALU_DEP_3)
	v_cmp_ne_u32_e32 vcc_lo, 0, v5
	v_cndmask_b32_e32 v3, s8, v6, vcc_lo
	s_delay_alu instid0(VALU_DEP_3)
	v_cndmask_b32_e32 v2, v2, v4, vcc_lo
	s_cbranch_execnz .LBB153_68
.LBB153_67:                             ;   in Loop: Header=BB153_31 Depth=1
	v_cvt_f32_u32_e32 v2, s46
	s_sub_i32 s7, 0, s46
	s_delay_alu instid0(VALU_DEP_1) | instskip(SKIP_2) | instid1(VALU_DEP_1)
	v_rcp_iflag_f32_e32 v2, v2
	s_waitcnt_depctr 0xfff
	v_mul_f32_e32 v2, 0x4f7ffffe, v2
	v_cvt_u32_f32_e32 v2, v2
	s_delay_alu instid0(VALU_DEP_1) | instskip(NEXT) | instid1(VALU_DEP_1)
	v_mul_lo_u32 v3, s7, v2
	v_mul_hi_u32 v3, v2, v3
	s_delay_alu instid0(VALU_DEP_1) | instskip(NEXT) | instid1(VALU_DEP_1)
	v_add_nc_u32_e32 v2, v2, v3
	v_mul_hi_u32 v2, s36, v2
	s_delay_alu instid0(VALU_DEP_1) | instskip(NEXT) | instid1(VALU_DEP_1)
	v_mul_lo_u32 v2, v2, s46
	v_sub_nc_u32_e32 v2, s36, v2
	s_delay_alu instid0(VALU_DEP_1) | instskip(SKIP_1) | instid1(VALU_DEP_2)
	v_subrev_nc_u32_e32 v3, s46, v2
	v_cmp_le_u32_e32 vcc_lo, s46, v2
	v_cndmask_b32_e32 v2, v2, v3, vcc_lo
	s_delay_alu instid0(VALU_DEP_1) | instskip(SKIP_1) | instid1(VALU_DEP_2)
	v_subrev_nc_u32_e32 v3, s46, v2
	v_cmp_le_u32_e32 vcc_lo, s46, v2
	v_cndmask_b32_e32 v12, v2, v3, vcc_lo
	s_delay_alu instid0(VALU_DEP_1)
	v_dual_mov_b32 v2, v12 :: v_dual_mov_b32 v3, v13
.LBB153_68:                             ;   in Loop: Header=BB153_31 Depth=1
	s_delay_alu instid0(VALU_DEP_1) | instskip(NEXT) | instid1(VALU_DEP_2)
	v_sub_co_u32 v31, vcc_lo, s36, v2
	v_sub_co_ci_u32_e32 v32, vcc_lo, s37, v3, vcc_lo
	v_mov_b32_e32 v2, 0
	v_mov_b32_e32 v3, 0
	s_mov_b64 s[72:73], 0
	s_mov_b32 s47, exec_lo
	s_delay_alu instid0(VALU_DEP_1)
	v_dual_mov_b32 v5, v3 :: v_dual_mov_b32 v4, v2
	v_dual_mov_b32 v7, v3 :: v_dual_mov_b32 v6, v2
	;; [unrolled: 1-line block ×3, first 2 shown]
	v_cmpx_gt_u64_e64 v[31:32], v[14:15]
	s_cbranch_execz .LBB153_72
; %bb.69:                               ;   in Loop: Header=BB153_31 Depth=1
	v_dual_mov_b32 v34, v23 :: v_dual_mov_b32 v33, v22
	v_dual_mov_b32 v36, v21 :: v_dual_mov_b32 v35, v20
	;; [unrolled: 1-line block ×5, first 2 shown]
	s_mul_i32 s7, s69, s26
	s_mul_hi_u32 s8, s68, s26
	s_and_b32 s55, s100, 0xfe
	s_add_i32 s58, s8, s7
	s_mul_i32 s59, s68, s26
	s_mov_b32 s60, 0
	s_mov_b64 s[74:75], 0
	s_mov_b64 s[76:77], 0
	s_mov_b64 s[78:79], 0
.LBB153_70:                             ;   Parent Loop BB153_31 Depth=1
                                        ; =>  This Inner Loop Header: Depth=2
	v_add_co_u32 v2, vcc_lo, v33, s48
	v_add_co_ci_u32_e32 v3, vcc_lo, s49, v34, vcc_lo
	global_load_b32 v4, v[2:3], off
	v_add_co_u32 v2, vcc_lo, v35, s48
	v_add_co_ci_u32_e32 v3, vcc_lo, s49, v36, vcc_lo
	global_load_b32 v5, v[2:3], off
	;; [unrolled: 3-line block ×4, first 2 shown]
	s_waitcnt vmcnt(3)
	v_xor_b32_e32 v3, 0x80000000, v4
	s_delay_alu instid0(VALU_DEP_1) | instskip(SKIP_1) | instid1(VALU_DEP_2)
	v_and_b32_e32 v4, v3, v49
	v_bfe_u32 v3, v3, s55, 2
	v_cmp_eq_u32_e32 vcc_lo, v4, v50
	s_waitcnt vmcnt(2)
	v_xor_b32_e32 v4, 0x80000000, v5
	s_delay_alu instid0(VALU_DEP_3)
	v_cmp_eq_u32_e64 s10, 0, v3
	v_cmp_eq_u32_e64 s11, 1, v3
	;; [unrolled: 1-line block ×4, first 2 shown]
	v_and_b32_e32 v5, v4, v49
	v_bfe_u32 v3, v4, s55, 2
	s_and_b32 s10, vcc_lo, s10
	s_delay_alu instid0(VALU_DEP_2)
	v_cmp_eq_u32_e64 s7, v5, v50
	s_waitcnt vmcnt(1)
	v_xor_b32_e32 v5, 0x80000000, v6
	v_cmp_eq_u32_e64 s14, 0, v3
	s_waitcnt vmcnt(0)
	v_xor_b32_e32 v2, 0x80000000, v2
	v_cmp_eq_u32_e64 s15, 1, v3
	v_cmp_eq_u32_e64 s16, 2, v3
	v_and_b32_e32 v6, v5, v49
	v_cmp_eq_u32_e64 s17, 3, v3
	v_bfe_u32 v3, v5, s55, 2
	s_and_b32 s14, s7, s14
	s_delay_alu instid0(VALU_DEP_3)
	v_cmp_eq_u32_e64 s8, v6, v50
	v_and_b32_e32 v6, v2, v49
	v_bfe_u32 v2, v2, s55, 2
	v_cmp_eq_u32_e64 s18, 0, v3
	v_cmp_eq_u32_e64 s19, 1, v3
	;; [unrolled: 1-line block ×8, first 2 shown]
	v_cndmask_b32_e64 v2, 0, 1, s10
	s_and_b32 s18, s8, s18
	s_and_b32 s22, s9, s22
	v_cmp_eq_u32_e64 s21, 3, v3
	s_delay_alu instid0(VALU_DEP_2) | instskip(SKIP_1) | instid1(VALU_DEP_2)
	v_cmp_ne_u32_e64 s10, 0, v2
	v_cndmask_b32_e64 v2, 0, 1, s14
	s_bcnt1_i32_b32 s10, s10
	s_delay_alu instid0(VALU_DEP_1) | instskip(SKIP_1) | instid1(VALU_DEP_2)
	v_cmp_ne_u32_e64 s14, 0, v2
	v_cndmask_b32_e64 v2, 0, 1, s18
	s_bcnt1_i32_b32 s14, s14
	s_delay_alu instid0(VALU_DEP_1) | instskip(SKIP_2) | instid1(VALU_DEP_2)
	v_cmp_ne_u32_e64 s18, 0, v2
	v_cndmask_b32_e64 v2, 0, 1, s22
	s_add_i32 s10, s14, s10
	s_bcnt1_i32_b32 s18, s18
	s_delay_alu instid0(VALU_DEP_1) | instskip(SKIP_1) | instid1(VALU_DEP_1)
	v_cmp_ne_u32_e64 s22, 0, v2
	s_add_i32 s10, s10, s18
	s_bcnt1_i32_b32 s22, s22
	s_delay_alu instid0(SALU_CYCLE_1) | instskip(NEXT) | instid1(SALU_CYCLE_1)
	s_add_i32 s10, s10, s22
	s_add_u32 s78, s78, s10
	s_addc_u32 s79, s79, 0
	s_and_b32 s10, vcc_lo, s11
	s_and_b32 s11, s7, s15
	v_cndmask_b32_e64 v2, 0, 1, s10
	s_and_b32 s14, s8, s19
	s_and_b32 s15, s9, s23
	s_delay_alu instid0(VALU_DEP_1) | instskip(SKIP_1) | instid1(VALU_DEP_2)
	v_cmp_ne_u32_e64 s10, 0, v2
	v_cndmask_b32_e64 v2, 0, 1, s11
	s_bcnt1_i32_b32 s10, s10
	s_delay_alu instid0(VALU_DEP_1) | instskip(SKIP_1) | instid1(VALU_DEP_2)
	v_cmp_ne_u32_e64 s11, 0, v2
	v_cndmask_b32_e64 v2, 0, 1, s14
	s_bcnt1_i32_b32 s11, s11
	s_delay_alu instid0(VALU_DEP_1) | instskip(SKIP_2) | instid1(VALU_DEP_2)
	v_cmp_ne_u32_e64 s14, 0, v2
	v_cndmask_b32_e64 v2, 0, 1, s15
	s_add_i32 s10, s11, s10
	s_bcnt1_i32_b32 s14, s14
	s_delay_alu instid0(VALU_DEP_1) | instskip(SKIP_1) | instid1(VALU_DEP_1)
	v_cmp_ne_u32_e64 s15, 0, v2
	s_add_i32 s10, s10, s14
	s_bcnt1_i32_b32 s15, s15
	s_delay_alu instid0(SALU_CYCLE_1) | instskip(NEXT) | instid1(SALU_CYCLE_1)
	s_add_i32 s10, s10, s15
	s_add_u32 s76, s76, s10
	s_addc_u32 s77, s77, 0
	s_and_b32 s10, vcc_lo, s12
	s_and_b32 s11, s7, s16
	v_cndmask_b32_e64 v2, 0, 1, s10
	s_and_b32 s12, s8, s20
	s_and_b32 s14, s9, s24
	s_delay_alu instid0(VALU_DEP_1) | instskip(SKIP_1) | instid1(VALU_DEP_2)
	v_cmp_ne_u32_e64 s10, 0, v2
	v_cndmask_b32_e64 v2, 0, 1, s11
	s_bcnt1_i32_b32 s10, s10
	s_delay_alu instid0(VALU_DEP_1) | instskip(SKIP_1) | instid1(VALU_DEP_2)
	v_cmp_ne_u32_e64 s11, 0, v2
	v_cndmask_b32_e64 v2, 0, 1, s12
	s_bcnt1_i32_b32 s11, s11
	s_delay_alu instid0(VALU_DEP_1) | instskip(SKIP_3) | instid1(VALU_DEP_3)
	v_cmp_ne_u32_e64 s12, 0, v2
	v_cndmask_b32_e64 v2, 0, 1, s14
	s_add_i32 s10, s11, s10
	v_add_co_u32 v39, s11, v39, s59
	s_bcnt1_i32_b32 s12, s12
	s_delay_alu instid0(VALU_DEP_2) | instskip(SKIP_2) | instid1(VALU_DEP_2)
	v_cmp_ne_u32_e64 s14, 0, v2
	s_add_i32 s10, s10, s12
	v_add_co_u32 v37, s12, v37, s59
	s_bcnt1_i32_b32 s14, s14
	s_delay_alu instid0(SALU_CYCLE_1)
	s_add_i32 s10, s10, s14
	v_add_co_u32 v33, s14, v33, s59
	s_add_u32 s74, s74, s10
	s_addc_u32 s75, s75, 0
	s_and_b32 s10, vcc_lo, s13
	s_and_b32 s7, s7, s17
	v_cndmask_b32_e64 v2, 0, 1, s10
	s_and_b32 s8, s8, s21
	s_and_b32 s9, s9, s25
	v_add_co_u32 v41, s10, v41, s46
	s_delay_alu instid0(VALU_DEP_2) | instskip(SKIP_3) | instid1(VALU_DEP_3)
	v_cmp_ne_u32_e32 vcc_lo, 0, v2
	v_cndmask_b32_e64 v2, 0, 1, s7
	v_add_co_ci_u32_e64 v42, s10, 0, v42, s10
	v_add_co_ci_u32_e64 v40, s10, s58, v40, s11
	v_cmp_ne_u32_e64 s7, 0, v2
	v_cndmask_b32_e64 v2, 0, 1, s8
	s_bcnt1_i32_b32 s11, vcc_lo
	v_add_co_u32 v35, s13, v35, s59
	s_delay_alu instid0(VALU_DEP_3) | instskip(NEXT) | instid1(VALU_DEP_2)
	s_bcnt1_i32_b32 s7, s7
	v_cmp_ne_u32_e64 s8, 0, v2
	v_cndmask_b32_e64 v2, 0, 1, s9
	s_add_i32 s7, s7, s11
	v_add_co_ci_u32_e64 v38, s10, s58, v38, s12
	s_delay_alu instid0(VALU_DEP_3) | instskip(NEXT) | instid1(VALU_DEP_2)
	s_bcnt1_i32_b32 s8, s8
	v_cmp_ne_u32_e64 s9, 0, v2
	s_add_i32 s7, s7, s8
	v_add_co_ci_u32_e64 v36, s10, s58, v36, s13
	v_add_co_ci_u32_e64 v34, s10, s58, v34, s14
	s_delay_alu instid0(VALU_DEP_3)
	s_bcnt1_i32_b32 s9, s9
	v_cmp_ge_u64_e64 s10, v[41:42], v[31:32]
	s_add_i32 s7, s7, s9
	v_mov_b32_e32 v2, s78
	s_add_u32 s72, s72, s7
	s_addc_u32 s73, s73, 0
	v_mov_b32_e32 v4, s76
	v_mov_b32_e32 v6, s74
	v_dual_mov_b32 v8, s72 :: v_dual_mov_b32 v9, s73
	v_mov_b32_e32 v3, s79
	v_mov_b32_e32 v5, s77
	;; [unrolled: 1-line block ×3, first 2 shown]
	s_or_b32 s60, s10, s60
	s_delay_alu instid0(SALU_CYCLE_1)
	s_and_not1_b32 exec_lo, exec_lo, s60
	s_cbranch_execnz .LBB153_70
; %bb.71:                               ;   in Loop: Header=BB153_31 Depth=1
	s_or_b32 exec_lo, exec_lo, s60
.LBB153_72:                             ;   in Loop: Header=BB153_31 Depth=1
	s_delay_alu instid0(SALU_CYCLE_1) | instskip(SKIP_3) | instid1(VALU_DEP_2)
	s_or_b32 exec_lo, exec_lo, s47
	v_add_co_u32 v31, vcc_lo, v31, v0
	v_add_co_ci_u32_e32 v32, vcc_lo, 0, v32, vcc_lo
	v_mov_b32_e32 v27, 0
	v_cmp_gt_u64_e32 vcc_lo, s[36:37], v[31:32]
	s_and_saveexec_b32 s8, vcc_lo
	s_cbranch_execz .LBB153_74
; %bb.73:                               ;   in Loop: Header=BB153_31 Depth=1
	v_mul_lo_u32 v12, v32, s30
	v_mul_lo_u32 v27, v31, s31
	v_mad_u64_u32 v[33:34], null, v31, s30, 0
	s_delay_alu instid0(VALU_DEP_1) | instskip(NEXT) | instid1(VALU_DEP_1)
	v_add3_u32 v34, v34, v27, v12
	v_lshlrev_b64 v[33:34], 2, v[33:34]
	s_delay_alu instid0(VALU_DEP_1) | instskip(NEXT) | instid1(VALU_DEP_1)
	v_add_co_u32 v33, s7, s80, v33
	v_add_co_ci_u32_e64 v34, s7, s81, v34, s7
	global_load_b32 v27, v[33:34], off
.LBB153_74:                             ;   in Loop: Header=BB153_31 Depth=1
	s_or_b32 exec_lo, exec_lo, s8
	s_and_saveexec_b32 s10, vcc_lo
	s_cbranch_execz .LBB153_81
; %bb.75:                               ;   in Loop: Header=BB153_31 Depth=1
	s_and_b32 s12, s100, 0xfe
	s_mov_b32 s11, 0
	s_branch .LBB153_77
.LBB153_76:                             ;   in Loop: Header=BB153_77 Depth=2
	s_or_b32 exec_lo, exec_lo, s8
	s_waitcnt vmcnt(0)
	v_xor_b32_e32 v27, 0x80000000, v27
	s_and_b32 s9, exec_lo, vcc_lo
	s_delay_alu instid0(SALU_CYCLE_1) | instskip(NEXT) | instid1(VALU_DEP_1)
	s_or_b32 s11, s9, s11
	v_and_b32_e32 v33, v27, v49
	v_bfe_u32 v27, v27, s12, 2
	s_delay_alu instid0(VALU_DEP_2) | instskip(NEXT) | instid1(VALU_DEP_2)
	v_cmp_eq_u32_e64 s7, v33, v50
	v_cmp_eq_u32_e64 s8, 0, v27
	v_cmp_eq_u32_e32 vcc_lo, 1, v27
	v_cmp_eq_u32_e64 s9, 2, v27
	s_delay_alu instid0(VALU_DEP_3) | instskip(NEXT) | instid1(SALU_CYCLE_1)
	s_and_b32 s8, s7, s8
	v_cndmask_b32_e64 v33, 0, 1, s8
	s_and_b32 s8, s7, vcc_lo
	v_cmp_eq_u32_e32 vcc_lo, 3, v27
	v_cndmask_b32_e64 v34, 0, 1, s8
	s_and_b32 s8, s7, s9
	s_delay_alu instid0(SALU_CYCLE_1) | instskip(SKIP_1) | instid1(VALU_DEP_3)
	v_cndmask_b32_e64 v27, 0, 1, s8
	v_cmp_ne_u32_e64 s8, 0, v33
	v_cmp_ne_u32_e64 s9, 0, v34
	s_and_b32 s7, s7, vcc_lo
	s_delay_alu instid0(SALU_CYCLE_1) | instskip(NEXT) | instid1(VALU_DEP_3)
	v_cndmask_b32_e64 v33, 0, 1, s7
	s_bcnt1_i32_b32 s7, s8
	v_cmp_ne_u32_e32 vcc_lo, 0, v27
	v_add_co_u32 v2, s7, v2, s7
	s_bcnt1_i32_b32 s8, s9
	v_add_co_ci_u32_e64 v3, s7, 0, v3, s7
	v_add_co_u32 v4, s7, v4, s8
	s_delay_alu instid0(VALU_DEP_1) | instskip(SKIP_3) | instid1(VALU_DEP_1)
	v_add_co_ci_u32_e64 v5, s7, 0, v5, s7
	s_bcnt1_i32_b32 s7, vcc_lo
	v_cmp_ne_u32_e32 vcc_lo, 0, v33
	v_add_co_u32 v6, s7, v6, s7
	v_add_co_ci_u32_e64 v7, s7, 0, v7, s7
	s_bcnt1_i32_b32 s7, vcc_lo
	v_mov_b32_e32 v27, v12
	v_add_co_u32 v8, vcc_lo, v8, s7
	v_add_co_ci_u32_e32 v9, vcc_lo, 0, v9, vcc_lo
	s_and_not1_b32 exec_lo, exec_lo, s11
	s_cbranch_execz .LBB153_80
.LBB153_77:                             ;   Parent Loop BB153_31 Depth=1
                                        ; =>  This Inner Loop Header: Depth=2
	v_add_co_u32 v31, vcc_lo, v31, s26
	v_add_co_ci_u32_e32 v32, vcc_lo, 0, v32, vcc_lo
	v_mov_b32_e32 v12, 0
	s_mov_b32 s8, exec_lo
	s_delay_alu instid0(VALU_DEP_2)
	v_cmp_le_u64_e32 vcc_lo, s[36:37], v[31:32]
	v_cmpx_gt_u64_e64 s[36:37], v[31:32]
	s_cbranch_execz .LBB153_76
; %bb.78:                               ;   in Loop: Header=BB153_77 Depth=2
	v_mul_lo_u32 v12, v32, s30
	v_mul_lo_u32 v35, v31, s31
	v_mad_u64_u32 v[33:34], null, v31, s30, 0
	s_delay_alu instid0(VALU_DEP_1) | instskip(NEXT) | instid1(VALU_DEP_1)
	v_add3_u32 v34, v34, v35, v12
	v_lshlrev_b64 v[33:34], 2, v[33:34]
	s_delay_alu instid0(VALU_DEP_1) | instskip(NEXT) | instid1(VALU_DEP_1)
	v_add_co_u32 v33, s7, s80, v33
	v_add_co_ci_u32_e64 v34, s7, s81, v34, s7
	global_load_b32 v12, v[33:34], off
	s_branch .LBB153_76
.LBB153_79:                             ;   in Loop: Header=BB153_31 Depth=1
                                        ; implicit-def: $vgpr8_vgpr9
                                        ; implicit-def: $vgpr4_vgpr5
	s_cbranch_execnz .LBB153_82
	s_branch .LBB153_91
.LBB153_80:                             ;   in Loop: Header=BB153_31 Depth=1
	s_or_b32 exec_lo, exec_lo, s11
.LBB153_81:                             ;   in Loop: Header=BB153_31 Depth=1
	s_delay_alu instid0(SALU_CYCLE_1)
	s_or_b32 exec_lo, exec_lo, s10
	s_branch .LBB153_91
.LBB153_82:                             ;   in Loop: Header=BB153_31 Depth=1
	global_load_u16 v8, v13, s[62:63]
	s_mov_b64 s[72:73], 0
	s_mov_b32 s47, exec_lo
	s_waitcnt vmcnt(0)
	v_readfirstlane_b32 s7, v8
	v_and_b32_e32 v27, 0xffff, v8
	s_delay_alu instid0(VALU_DEP_2) | instskip(NEXT) | instid1(SALU_CYCLE_1)
	s_and_b32 s7, 0xffff, s7
	s_lshl_b32 s46, s7, 2
	s_delay_alu instid0(SALU_CYCLE_1) | instskip(SKIP_1) | instid1(VALU_DEP_1)
	v_cvt_f32_u32_e32 v2, s46
	s_sub_i32 s8, 0, s46
	v_rcp_iflag_f32_e32 v2, v2
	s_waitcnt_depctr 0xfff
	v_mul_f32_e32 v2, 0x4f7ffffe, v2
	s_delay_alu instid0(VALU_DEP_1) | instskip(NEXT) | instid1(VALU_DEP_1)
	v_cvt_u32_f32_e32 v2, v2
	v_readfirstlane_b32 s7, v2
	v_mov_b32_e32 v2, 0
	v_mov_b32_e32 v3, 0
	s_delay_alu instid0(VALU_DEP_3) | instskip(NEXT) | instid1(VALU_DEP_1)
	s_mul_i32 s8, s8, s7
	v_dual_mov_b32 v5, v3 :: v_dual_mov_b32 v4, v2
	s_mul_hi_u32 s8, s7, s8
	v_dual_mov_b32 v7, v3 :: v_dual_mov_b32 v6, v2
	s_add_i32 s7, s7, s8
	v_dual_mov_b32 v9, v3 :: v_dual_mov_b32 v8, v2
	s_mul_hi_u32 s7, s70, s7
	s_delay_alu instid0(SALU_CYCLE_1) | instskip(NEXT) | instid1(SALU_CYCLE_1)
	s_mul_i32 s7, s7, s46
	s_sub_i32 s7, s70, s7
	s_delay_alu instid0(SALU_CYCLE_1) | instskip(SKIP_2) | instid1(SALU_CYCLE_1)
	s_sub_i32 s8, s7, s46
	s_cmp_ge_u32 s7, s46
	s_cselect_b32 s7, s8, s7
	s_sub_i32 s8, s7, s46
	s_cmp_ge_u32 s7, s46
	s_cselect_b32 s7, s8, s7
	s_delay_alu instid0(SALU_CYCLE_1) | instskip(NEXT) | instid1(SALU_CYCLE_1)
	s_sub_i32 s60, s70, s7
	v_cmpx_gt_u32_e64 s60, v14
	s_cbranch_execz .LBB153_86
; %bb.83:                               ;   in Loop: Header=BB153_31 Depth=1
	v_dual_mov_b32 v33, v47 :: v_dual_lshlrev_b32 v12, 4, v27
	v_dual_mov_b32 v32, v15 :: v_dual_mov_b32 v31, v14
	s_and_b32 s55, s100, 0xfe
	s_mov_b32 s58, 0
	s_mov_b64 s[74:75], 0
	s_mov_b64 s[76:77], 0
	;; [unrolled: 1-line block ×3, first 2 shown]
.LBB153_84:                             ;   Parent Loop BB153_31 Depth=1
                                        ; =>  This Inner Loop Header: Depth=2
	ds_load_b128 v[2:5], v33
	v_add_co_u32 v31, vcc_lo, v31, s46
	v_add_co_ci_u32_e32 v32, vcc_lo, 0, v32, vcc_lo
	s_delay_alu instid0(VALU_DEP_1)
	v_cmp_le_u64_e32 vcc_lo, s[60:61], v[31:32]
	s_waitcnt lgkmcnt(0)
	v_xor_b32_e32 v2, 0x80000000, v2
	v_xor_b32_e32 v3, 0x80000000, v3
	;; [unrolled: 1-line block ×4, first 2 shown]
	s_delay_alu instid0(VALU_DEP_4) | instskip(NEXT) | instid1(VALU_DEP_4)
	v_and_b32_e32 v6, v2, v49
	v_and_b32_e32 v7, v3, v49
	v_bfe_u32 v2, v2, s55, 2
	v_bfe_u32 v3, v3, s55, 2
	v_and_b32_e32 v8, v4, v49
	v_bfe_u32 v4, v4, s55, 2
	v_cmp_eq_u32_e64 s7, v6, v50
	v_and_b32_e32 v6, v5, v49
	v_bfe_u32 v5, v5, s55, 2
	v_cmp_eq_u32_e64 s8, v7, v50
	v_cmp_eq_u32_e64 s11, 0, v2
	;; [unrolled: 1-line block ×7, first 2 shown]
	s_and_b32 s11, s7, s11
	s_and_b32 s12, s8, s12
	v_cmp_eq_u32_e64 s15, 1, v2
	v_cmp_eq_u32_e64 s16, 1, v3
	;; [unrolled: 1-line block ×6, first 2 shown]
	s_and_b32 s13, s9, s13
	v_cndmask_b32_e64 v2, 0, 1, s11
	v_cndmask_b32_e64 v3, 0, 1, s12
	v_cmp_eq_u32_e64 s17, 1, v4
	v_cmp_eq_u32_e64 s21, 2, v4
	;; [unrolled: 1-line block ×3, first 2 shown]
	s_and_b32 s14, s10, s14
	v_cndmask_b32_e64 v4, 0, 1, s13
	v_cmp_eq_u32_e64 s18, 1, v5
	v_cmp_eq_u32_e64 s22, 2, v5
	;; [unrolled: 1-line block ×3, first 2 shown]
	v_cndmask_b32_e64 v5, 0, 1, s14
	v_cmp_ne_u32_e64 s11, 0, v2
	v_cmp_ne_u32_e64 s12, 0, v3
	;; [unrolled: 1-line block ×3, first 2 shown]
	s_delay_alu instid0(VALU_DEP_4) | instskip(NEXT) | instid1(VALU_DEP_4)
	v_cmp_ne_u32_e64 s14, 0, v5
	s_bcnt1_i32_b32 s11, s11
	s_delay_alu instid0(VALU_DEP_3) | instskip(NEXT) | instid1(VALU_DEP_2)
	s_bcnt1_i32_b32 s12, s12
	s_bcnt1_i32_b32 s13, s13
	s_add_i32 s11, s12, s11
	s_bcnt1_i32_b32 s14, s14
	s_add_i32 s11, s11, s13
	s_delay_alu instid0(SALU_CYCLE_1) | instskip(NEXT) | instid1(SALU_CYCLE_1)
	s_add_i32 s11, s11, s14
	s_add_u32 s78, s78, s11
	s_addc_u32 s79, s79, 0
	s_and_b32 s11, s7, s15
	s_and_b32 s12, s8, s16
	s_and_b32 s13, s9, s17
	v_cndmask_b32_e64 v2, 0, 1, s11
	v_cndmask_b32_e64 v3, 0, 1, s12
	s_and_b32 s14, s10, s18
	v_cndmask_b32_e64 v4, 0, 1, s13
	v_cndmask_b32_e64 v5, 0, 1, s14
	v_cmp_ne_u32_e64 s11, 0, v2
	v_cmp_ne_u32_e64 s12, 0, v3
	v_add_nc_u32_e32 v33, v33, v12
	v_cmp_ne_u32_e64 s13, 0, v4
	v_cmp_ne_u32_e64 s14, 0, v5
	s_bcnt1_i32_b32 s11, s11
	s_bcnt1_i32_b32 s12, s12
	s_delay_alu instid0(VALU_DEP_2) | instskip(SKIP_3) | instid1(SALU_CYCLE_1)
	s_bcnt1_i32_b32 s13, s13
	s_add_i32 s11, s12, s11
	s_bcnt1_i32_b32 s14, s14
	s_add_i32 s11, s11, s13
	s_add_i32 s11, s11, s14
	s_delay_alu instid0(SALU_CYCLE_1)
	s_add_u32 s76, s76, s11
	s_addc_u32 s77, s77, 0
	s_and_b32 s11, s7, s19
	s_and_b32 s12, s8, s20
	;; [unrolled: 1-line block ×3, first 2 shown]
	v_cndmask_b32_e64 v2, 0, 1, s11
	v_cndmask_b32_e64 v3, 0, 1, s12
	s_and_b32 s14, s10, s22
	v_cndmask_b32_e64 v4, 0, 1, s13
	v_cndmask_b32_e64 v5, 0, 1, s14
	v_cmp_ne_u32_e64 s11, 0, v2
	v_cmp_ne_u32_e64 s12, 0, v3
	s_delay_alu instid0(VALU_DEP_4) | instskip(NEXT) | instid1(VALU_DEP_4)
	v_cmp_ne_u32_e64 s13, 0, v4
	v_cmp_ne_u32_e64 s14, 0, v5
	s_delay_alu instid0(VALU_DEP_4) | instskip(NEXT) | instid1(VALU_DEP_3)
	s_bcnt1_i32_b32 s11, s11
	s_bcnt1_i32_b32 s12, s12
	s_delay_alu instid0(VALU_DEP_2) | instskip(SKIP_3) | instid1(SALU_CYCLE_1)
	s_bcnt1_i32_b32 s13, s13
	s_add_i32 s11, s12, s11
	s_bcnt1_i32_b32 s14, s14
	s_add_i32 s11, s11, s13
	s_add_i32 s11, s11, s14
	s_delay_alu instid0(SALU_CYCLE_1)
	s_add_u32 s74, s74, s11
	s_addc_u32 s75, s75, 0
	s_and_b32 s7, s7, s23
	s_and_b32 s8, s8, s24
	;; [unrolled: 1-line block ×3, first 2 shown]
	v_cndmask_b32_e64 v2, 0, 1, s7
	v_cndmask_b32_e64 v3, 0, 1, s8
	s_and_b32 s10, s10, s26
	v_cndmask_b32_e64 v4, 0, 1, s9
	v_cndmask_b32_e64 v5, 0, 1, s10
	v_cmp_ne_u32_e64 s7, 0, v2
	v_cmp_ne_u32_e64 s8, 0, v3
	v_mov_b32_e32 v2, s78
	v_cmp_ne_u32_e64 s9, 0, v4
	v_cmp_ne_u32_e64 s10, 0, v5
	s_bcnt1_i32_b32 s7, s7
	s_bcnt1_i32_b32 s8, s8
	v_mov_b32_e32 v4, s76
	s_bcnt1_i32_b32 s9, s9
	s_add_i32 s7, s8, s7
	s_bcnt1_i32_b32 s8, s10
	s_add_i32 s7, s7, s9
	v_mov_b32_e32 v3, s79
	s_add_i32 s7, s7, s8
	v_mov_b32_e32 v5, s77
	s_add_u32 s72, s72, s7
	s_addc_u32 s73, s73, 0
	v_mov_b32_e32 v6, s74
	v_dual_mov_b32 v8, s72 :: v_dual_mov_b32 v9, s73
	v_mov_b32_e32 v7, s75
	s_or_b32 s58, vcc_lo, s58
	s_delay_alu instid0(SALU_CYCLE_1)
	s_and_not1_b32 exec_lo, exec_lo, s58
	s_cbranch_execnz .LBB153_84
; %bb.85:                               ;   in Loop: Header=BB153_31 Depth=1
	s_or_b32 exec_lo, exec_lo, s58
.LBB153_86:                             ;   in Loop: Header=BB153_31 Depth=1
	s_delay_alu instid0(SALU_CYCLE_1) | instskip(SKIP_2) | instid1(VALU_DEP_1)
	s_or_b32 exec_lo, exec_lo, s47
	v_add_nc_u32_e32 v12, s60, v0
	s_mov_b32 s14, exec_lo
	v_cmpx_gt_u32_e64 s70, v12
	s_cbranch_execz .LBB153_90
; %bb.87:                               ;   in Loop: Header=BB153_31 Depth=1
	v_dual_mov_b32 v32, v13 :: v_dual_lshlrev_b32 v33, 2, v12
	v_mov_b32_e32 v31, v12
	s_mov_b32 s13, 0
	s_and_b32 s12, s70, 0x7fffffff
	s_and_b32 s16, s100, 0xfe
	s_mov_b32 s15, s13
.LBB153_88:                             ;   Parent Loop BB153_31 Depth=1
                                        ; =>  This Inner Loop Header: Depth=2
	ds_load_b32 v12, v33
	v_add_co_u32 v31, vcc_lo, v31, v27
	v_add_co_ci_u32_e32 v32, vcc_lo, 0, v32, vcc_lo
	v_add_nc_u32_e32 v33, s46, v33
	s_delay_alu instid0(VALU_DEP_2) | instskip(SKIP_2) | instid1(VALU_DEP_1)
	v_cmp_le_u64_e32 vcc_lo, s[12:13], v[31:32]
	s_waitcnt lgkmcnt(0)
	v_xor_b32_e32 v12, 0x80000000, v12
	v_and_b32_e32 v34, v12, v49
	v_bfe_u32 v12, v12, s16, 2
	s_delay_alu instid0(VALU_DEP_2) | instskip(NEXT) | instid1(VALU_DEP_2)
	v_cmp_eq_u32_e64 s7, v34, v50
	v_cmp_eq_u32_e64 s8, 0, v12
	;; [unrolled: 1-line block ×5, first 2 shown]
	s_delay_alu instid0(VALU_DEP_4) | instskip(NEXT) | instid1(SALU_CYCLE_1)
	s_and_b32 s8, s7, s8
	v_cndmask_b32_e64 v12, 0, 1, s8
	s_and_b32 s8, s7, s9
	s_delay_alu instid0(SALU_CYCLE_1)
	v_cndmask_b32_e64 v34, 0, 1, s8
	s_and_b32 s8, s7, s10
	s_and_b32 s7, s7, s11
	v_cndmask_b32_e64 v35, 0, 1, s8
	v_cndmask_b32_e64 v36, 0, 1, s7
	v_cmp_ne_u32_e64 s7, 0, v12
	v_cmp_ne_u32_e64 s8, 0, v34
	s_delay_alu instid0(VALU_DEP_4) | instskip(NEXT) | instid1(VALU_DEP_4)
	v_cmp_ne_u32_e64 s9, 0, v35
	v_cmp_ne_u32_e64 s10, 0, v36
	s_delay_alu instid0(VALU_DEP_4) | instskip(NEXT) | instid1(VALU_DEP_3)
	s_bcnt1_i32_b32 s7, s7
	s_bcnt1_i32_b32 s8, s8
	v_add_co_u32 v2, s7, v2, s7
	s_delay_alu instid0(VALU_DEP_1)
	v_add_co_ci_u32_e64 v3, s7, 0, v3, s7
	v_add_co_u32 v4, s7, v4, s8
	s_bcnt1_i32_b32 s9, s9
	v_add_co_ci_u32_e64 v5, s7, 0, v5, s7
	v_add_co_u32 v6, s7, v6, s9
	s_bcnt1_i32_b32 s10, s10
	v_add_co_ci_u32_e64 v7, s7, 0, v7, s7
	v_add_co_u32 v8, s7, v8, s10
	s_delay_alu instid0(VALU_DEP_1) | instskip(SKIP_1) | instid1(SALU_CYCLE_1)
	v_add_co_ci_u32_e64 v9, s7, 0, v9, s7
	s_or_b32 s15, vcc_lo, s15
	s_and_not1_b32 exec_lo, exec_lo, s15
	s_cbranch_execnz .LBB153_88
; %bb.89:                               ;   in Loop: Header=BB153_31 Depth=1
	s_or_b32 exec_lo, exec_lo, s15
.LBB153_90:                             ;   in Loop: Header=BB153_31 Depth=1
	s_delay_alu instid0(SALU_CYCLE_1)
	s_or_b32 exec_lo, exec_lo, s14
.LBB153_91:                             ;   in Loop: Header=BB153_31 Depth=1
	s_lshl_b32 s7, s96, 7
	s_and_saveexec_b32 s8, s2
	s_cbranch_execz .LBB153_93
; %bb.92:                               ;   in Loop: Header=BB153_31 Depth=1
	v_or_b32_e32 v12, s7, v45
	s_delay_alu instid0(VALU_DEP_1)
	v_lshlrev_b32_e32 v12, 3, v12
	ds_store_b128 v12, v[2:5] offset:3072
	ds_store_b128 v12, v[6:9] offset:3088
.LBB153_93:                             ;   in Loop: Header=BB153_31 Depth=1
	s_or_b32 exec_lo, exec_lo, s8
	s_waitcnt vmcnt(0) lgkmcnt(0)
	s_barrier
	buffer_gl0_inv
	s_and_saveexec_b32 s8, s83
	s_cbranch_execz .LBB153_104
; %bb.94:                               ;   in Loop: Header=BB153_31 Depth=1
	v_mov_b32_e32 v2, 0
	v_mov_b32_e32 v3, 0
	s_and_not1_b32 vcc_lo, exec_lo, s91
	s_cbranch_vccnz .LBB153_103
; %bb.95:                               ;   in Loop: Header=BB153_31 Depth=1
	v_mov_b32_e32 v2, 0
	v_mov_b32_e32 v3, 0
	s_and_not1_b32 vcc_lo, exec_lo, s89
	s_cbranch_vccnz .LBB153_100
; %bb.96:                               ;   in Loop: Header=BB153_31 Depth=1
	v_lshl_add_u32 v4, s96, 10, v48
	s_mov_b32 s9, 0
	s_set_inst_prefetch_distance 0x1
	.p2align	6
.LBB153_97:                             ;   Parent Loop BB153_31 Depth=1
                                        ; =>  This Inner Loop Header: Depth=2
	ds_load_2addr_b64 v[5:8], v4 offset1:4
	ds_load_2addr_b64 v[31:34], v4 offset0:8 offset1:12
	ds_load_2addr_b64 v[35:38], v4 offset0:16 offset1:20
	s_add_i32 s9, s9, 8
	s_delay_alu instid0(SALU_CYCLE_1) | instskip(SKIP_3) | instid1(VALU_DEP_2)
	s_cmp_eq_u32 s90, s9
	s_waitcnt lgkmcnt(2)
	v_add_co_u32 v2, vcc_lo, v5, v2
	v_add_co_ci_u32_e32 v3, vcc_lo, v6, v3, vcc_lo
	v_add_co_u32 v2, vcc_lo, v7, v2
	s_delay_alu instid0(VALU_DEP_2)
	v_add_co_ci_u32_e32 v3, vcc_lo, v8, v3, vcc_lo
	ds_load_2addr_b64 v[5:8], v4 offset0:24 offset1:28
	s_waitcnt lgkmcnt(2)
	v_add_co_u32 v2, vcc_lo, v31, v2
	v_add_co_ci_u32_e32 v3, vcc_lo, v32, v3, vcc_lo
	v_add_nc_u32_e32 v4, 0x100, v4
	s_delay_alu instid0(VALU_DEP_3) | instskip(NEXT) | instid1(VALU_DEP_3)
	v_add_co_u32 v2, vcc_lo, v33, v2
	v_add_co_ci_u32_e32 v3, vcc_lo, v34, v3, vcc_lo
	s_waitcnt lgkmcnt(1)
	s_delay_alu instid0(VALU_DEP_2) | instskip(NEXT) | instid1(VALU_DEP_2)
	v_add_co_u32 v2, vcc_lo, v35, v2
	v_add_co_ci_u32_e32 v3, vcc_lo, v36, v3, vcc_lo
	s_delay_alu instid0(VALU_DEP_2) | instskip(NEXT) | instid1(VALU_DEP_2)
	v_add_co_u32 v2, vcc_lo, v37, v2
	v_add_co_ci_u32_e32 v3, vcc_lo, v38, v3, vcc_lo
	s_waitcnt lgkmcnt(0)
	s_delay_alu instid0(VALU_DEP_2) | instskip(NEXT) | instid1(VALU_DEP_2)
	v_add_co_u32 v2, vcc_lo, v5, v2
	v_add_co_ci_u32_e32 v3, vcc_lo, v6, v3, vcc_lo
	s_delay_alu instid0(VALU_DEP_2) | instskip(NEXT) | instid1(VALU_DEP_2)
	v_add_co_u32 v2, vcc_lo, v7, v2
	v_add_co_ci_u32_e32 v3, vcc_lo, v8, v3, vcc_lo
	s_cbranch_scc0 .LBB153_97
; %bb.98:                               ;   in Loop: Header=BB153_31 Depth=1
	s_set_inst_prefetch_distance 0x2
	s_mov_b32 s9, s90
	s_and_not1_b32 vcc_lo, exec_lo, s92
	s_cbranch_vccz .LBB153_101
	s_branch .LBB153_103
.LBB153_99:                             ;   in Loop: Header=BB153_31 Depth=1
                                        ; implicit-def: $vgpr2_vgpr3
	s_branch .LBB153_67
.LBB153_100:                            ;   in Loop: Header=BB153_31 Depth=1
	s_mov_b32 s9, 0
	s_and_not1_b32 vcc_lo, exec_lo, s92
	s_cbranch_vccnz .LBB153_103
.LBB153_101:                            ;   in Loop: Header=BB153_31 Depth=1
	s_lshl_b32 s10, s96, 10
	s_lshl_b32 s9, s9, 5
	s_delay_alu instid0(SALU_CYCLE_1)
	v_add3_u32 v4, s10, s9, v48
	s_mov_b32 s9, s88
.LBB153_102:                            ;   Parent Loop BB153_31 Depth=1
                                        ; =>  This Inner Loop Header: Depth=2
	ds_load_b64 v[5:6], v4
	v_add_nc_u32_e32 v4, 32, v4
	s_add_i32 s9, s9, -1
	s_delay_alu instid0(SALU_CYCLE_1)
	s_cmp_lg_u32 s9, 0
	s_waitcnt lgkmcnt(0)
	v_add_co_u32 v2, vcc_lo, v5, v2
	v_add_co_ci_u32_e32 v3, vcc_lo, v6, v3, vcc_lo
	s_cbranch_scc1 .LBB153_102
.LBB153_103:                            ;   in Loop: Header=BB153_31 Depth=1
	v_add_lshl_u32 v4, s7, v44, 3
	ds_store_b64 v4, v[2:3] offset:3072
.LBB153_104:                            ;   in Loop: Header=BB153_31 Depth=1
	s_or_b32 exec_lo, exec_lo, s8
	s_lshl_b32 s7, s7, 3
	s_waitcnt lgkmcnt(0)
	v_mov_b32_e32 v6, s7
	s_barrier
	buffer_gl0_inv
	s_and_b32 s22, s100, 0xfe
	v_cmp_eq_u64_e64 s7, 1, v[29:30]
	ds_load_b128 v[2:5], v6 offset:3072
	ds_load_b128 v[6:9], v6 offset:3088
	s_lshl_b32 s20, 3, s22
	s_and_not1_b32 vcc_lo, exec_lo, s82
	s_not_b32 s21, s20
	s_waitcnt lgkmcnt(1)
	v_readfirstlane_b32 s11, v3
	v_readfirstlane_b32 s10, v2
	;; [unrolled: 1-line block ×4, first 2 shown]
	s_waitcnt lgkmcnt(0)
	v_readfirstlane_b32 s15, v7
	v_readfirstlane_b32 s14, v6
	v_readfirstlane_b32 s17, v9
	v_readfirstlane_b32 s16, v8
	s_cbranch_vccnz .LBB153_120
; %bb.105:                              ;   in Loop: Header=BB153_31 Depth=1
	s_cmp_eq_u64 s[10:11], 1
	v_dual_mov_b32 v33, v50 :: v_dual_mov_b32 v34, v49
	v_mov_b32_e32 v3, v28
	s_cselect_b32 s8, -1, 0
                                        ; implicit-def: $sgpr23
                                        ; implicit-def: $sgpr60
                                        ; implicit-def: $sgpr55
	s_delay_alu instid0(SALU_CYCLE_1)
	s_and_b32 s58, s8, s7
	s_mov_b32 s8, -1
	s_and_saveexec_b32 s24, s58
	s_cbranch_execz .LBB153_139
; %bb.106:                              ;   in Loop: Header=BB153_31 Depth=1
	ds_load_b64 v[2:3], v13 offset:5120
	s_waitcnt lgkmcnt(0)
	s_barrier
	buffer_gl0_inv
	v_readfirstlane_b32 s18, v2
	v_readfirstlane_b32 s19, v3
	s_and_saveexec_b32 s8, s6
	s_cbranch_execz .LBB153_108
; %bb.107:                              ;   in Loop: Header=BB153_31 Depth=1
	ds_store_b32 v46, v13
.LBB153_108:                            ;   in Loop: Header=BB153_31 Depth=1
	s_or_b32 exec_lo, exec_lo, s8
	v_and_b32_e32 v33, s21, v50
	v_or_b32_e32 v34, s20, v49
	s_cmp_eq_u64 s[18:19], 0
	s_waitcnt lgkmcnt(0)
	s_barrier
	buffer_gl0_inv
	s_cbranch_scc1 .LBB153_122
; %bb.109:                              ;   in Loop: Header=BB153_31 Depth=1
	s_add_u32 s23, s85, s18
	s_addc_u32 s9, s86, s19
	s_mov_b32 s8, s61
	s_delay_alu instid0(SALU_CYCLE_1)
	s_cmp_lg_u64 s[8:9], 0
	s_cbranch_scc0 .LBB153_166
; %bb.110:                              ;   in Loop: Header=BB153_31 Depth=1
	v_cvt_f32_u32_e32 v2, s33
	s_sub_u32 s25, 0, s33
	s_subb_u32 s26, 0, 0
	s_delay_alu instid0(VALU_DEP_1) | instskip(NEXT) | instid1(VALU_DEP_1)
	v_fmac_f32_e64 v2, 0, 0x4f800000
	v_rcp_f32_e32 v2, v2
	s_waitcnt_depctr 0xfff
	v_mul_f32_e32 v2, 0x5f7ffffc, v2
	s_delay_alu instid0(VALU_DEP_1) | instskip(NEXT) | instid1(VALU_DEP_1)
	v_mul_f32_e32 v3, 0x2f800000, v2
	v_trunc_f32_e32 v3, v3
	s_delay_alu instid0(VALU_DEP_1) | instskip(SKIP_1) | instid1(VALU_DEP_2)
	v_fmac_f32_e32 v2, 0xcf800000, v3
	v_cvt_u32_f32_e32 v3, v3
	v_cvt_u32_f32_e32 v2, v2
	s_delay_alu instid0(VALU_DEP_2) | instskip(NEXT) | instid1(VALU_DEP_2)
	v_readfirstlane_b32 s3, v3
	v_readfirstlane_b32 s8, v2
	s_delay_alu instid0(VALU_DEP_2) | instskip(NEXT) | instid1(VALU_DEP_1)
	s_mul_i32 s42, s25, s3
	s_mul_hi_u32 s46, s25, s8
	s_mul_i32 s43, s26, s8
	s_add_i32 s42, s46, s42
	s_mul_i32 s47, s25, s8
	s_add_i32 s42, s42, s43
	s_mul_hi_u32 s46, s8, s47
	s_mul_hi_u32 s50, s3, s47
	s_mul_i32 s43, s3, s47
	s_mul_hi_u32 s47, s8, s42
	s_mul_i32 s8, s8, s42
	s_mul_hi_u32 s51, s3, s42
	s_add_u32 s8, s46, s8
	s_addc_u32 s46, 0, s47
	s_add_u32 s8, s8, s43
	s_mul_i32 s42, s3, s42
	s_addc_u32 s8, s46, s50
	s_addc_u32 s43, s51, 0
	s_add_u32 s8, s8, s42
	s_addc_u32 s42, 0, s43
	v_add_co_u32 v2, s8, v2, s8
	s_delay_alu instid0(VALU_DEP_1) | instskip(SKIP_1) | instid1(VALU_DEP_1)
	s_cmp_lg_u32 s8, 0
	s_addc_u32 s3, s3, s42
	v_readfirstlane_b32 s8, v2
	s_mul_i32 s42, s25, s3
	s_delay_alu instid0(VALU_DEP_1)
	s_mul_hi_u32 s43, s25, s8
	s_mul_i32 s26, s26, s8
	s_add_i32 s42, s43, s42
	s_mul_i32 s25, s25, s8
	s_add_i32 s42, s42, s26
	s_mul_hi_u32 s43, s3, s25
	s_mul_i32 s46, s3, s25
	s_mul_hi_u32 s25, s8, s25
	s_mul_hi_u32 s47, s8, s42
	s_mul_i32 s8, s8, s42
	s_mul_hi_u32 s26, s3, s42
	s_add_u32 s8, s25, s8
	s_addc_u32 s25, 0, s47
	s_add_u32 s8, s8, s46
	s_mul_i32 s42, s3, s42
	s_addc_u32 s8, s25, s43
	s_addc_u32 s25, s26, 0
	s_add_u32 s8, s8, s42
	s_addc_u32 s25, 0, s25
	v_add_co_u32 v2, s8, v2, s8
	s_delay_alu instid0(VALU_DEP_1) | instskip(SKIP_1) | instid1(VALU_DEP_1)
	s_cmp_lg_u32 s8, 0
	s_addc_u32 s3, s3, s25
	v_readfirstlane_b32 s8, v2
	s_mul_i32 s26, s23, s3
	s_mul_hi_u32 s25, s23, s3
	s_mul_hi_u32 s42, s9, s3
	s_mul_i32 s3, s9, s3
	s_mul_hi_u32 s43, s23, s8
	s_mul_hi_u32 s46, s9, s8
	s_mul_i32 s8, s9, s8
	s_add_u32 s26, s43, s26
	s_addc_u32 s25, 0, s25
	s_add_u32 s8, s26, s8
	s_addc_u32 s8, s25, s46
	s_addc_u32 s25, s42, 0
	s_add_u32 s3, s8, s3
	s_addc_u32 s8, 0, s25
	s_mul_hi_u32 s25, s33, s3
	s_mul_i32 s3, s33, s3
	s_mul_i32 s8, s33, s8
	v_sub_co_u32 v2, s3, s23, s3
	s_add_i32 s25, s25, s8
	s_cmp_lg_u32 s3, 0
	s_delay_alu instid0(VALU_DEP_1) | instskip(SKIP_2) | instid1(VALU_DEP_1)
	v_sub_co_u32 v3, s3, v2, s33
	s_subb_u32 s25, s9, s25
	s_cmp_lg_u32 s3, 0
	v_cmp_le_u32_e32 vcc_lo, s33, v3
	v_sub_co_u32 v4, s3, v3, s33
	s_subb_u32 s26, s25, 0
	s_cmp_lg_u32 s3, 0
	v_cndmask_b32_e64 v5, 0, -1, vcc_lo
	s_subb_u32 s3, s26, 0
	s_cmp_eq_u32 s26, 0
	v_mov_b32_e32 v7, s3
	s_cselect_b32 vcc_lo, -1, 0
	s_cmp_eq_u32 s25, 0
	v_cndmask_b32_e32 v5, -1, v5, vcc_lo
	v_cmp_le_u32_e32 vcc_lo, s33, v2
	s_cselect_b32 s8, -1, 0
	v_cndmask_b32_e64 v6, 0, -1, vcc_lo
	s_delay_alu instid0(VALU_DEP_3) | instskip(NEXT) | instid1(VALU_DEP_2)
	v_cmp_ne_u32_e32 vcc_lo, 0, v5
	v_cndmask_b32_e64 v5, -1, v6, s8
	v_cndmask_b32_e32 v6, s26, v7, vcc_lo
	v_cndmask_b32_e32 v4, v3, v4, vcc_lo
	s_delay_alu instid0(VALU_DEP_3) | instskip(NEXT) | instid1(VALU_DEP_3)
	v_cmp_ne_u32_e32 vcc_lo, 0, v5
	v_cndmask_b32_e32 v3, s25, v6, vcc_lo
	s_delay_alu instid0(VALU_DEP_3)
	v_cndmask_b32_e32 v2, v2, v4, vcc_lo
	s_cbranch_execnz .LBB153_112
.LBB153_111:                            ;   in Loop: Header=BB153_31 Depth=1
	v_cvt_f32_u32_e32 v2, s33
	s_sub_i32 s3, 0, s33
	s_delay_alu instid0(VALU_DEP_1) | instskip(SKIP_2) | instid1(VALU_DEP_1)
	v_rcp_iflag_f32_e32 v2, v2
	s_waitcnt_depctr 0xfff
	v_mul_f32_e32 v2, 0x4f7ffffe, v2
	v_cvt_u32_f32_e32 v2, v2
	s_delay_alu instid0(VALU_DEP_1) | instskip(NEXT) | instid1(VALU_DEP_1)
	v_mul_lo_u32 v3, s3, v2
	v_mul_hi_u32 v3, v2, v3
	s_delay_alu instid0(VALU_DEP_1) | instskip(NEXT) | instid1(VALU_DEP_1)
	v_add_nc_u32_e32 v2, v2, v3
	v_mul_hi_u32 v2, s23, v2
	s_delay_alu instid0(VALU_DEP_1) | instskip(NEXT) | instid1(VALU_DEP_1)
	v_mul_lo_u32 v2, v2, s33
	v_sub_nc_u32_e32 v2, s23, v2
	s_delay_alu instid0(VALU_DEP_1) | instskip(SKIP_1) | instid1(VALU_DEP_2)
	v_subrev_nc_u32_e32 v3, s33, v2
	v_cmp_le_u32_e32 vcc_lo, s33, v2
	v_cndmask_b32_e32 v2, v2, v3, vcc_lo
	s_delay_alu instid0(VALU_DEP_1) | instskip(SKIP_1) | instid1(VALU_DEP_2)
	v_subrev_nc_u32_e32 v3, s33, v2
	v_cmp_le_u32_e32 vcc_lo, s33, v2
	v_cndmask_b32_e32 v12, v2, v3, vcc_lo
	s_delay_alu instid0(VALU_DEP_1)
	v_dual_mov_b32 v2, v12 :: v_dual_mov_b32 v3, v13
.LBB153_112:                            ;   in Loop: Header=BB153_31 Depth=1
	s_delay_alu instid0(VALU_DEP_1) | instskip(NEXT) | instid1(VALU_DEP_2)
	v_sub_co_u32 v4, vcc_lo, s23, v2
	v_sub_co_ci_u32_e32 v5, vcc_lo, s9, v3, vcc_lo
	s_mov_b32 s9, 0
	s_mov_b32 s8, exec_lo
                                        ; implicit-def: $vgpr3
	s_delay_alu instid0(VALU_DEP_1)
	v_cmpx_gt_u64_e64 v[4:5], v[0:1]
	s_cbranch_execz .LBB153_124
; %bb.113:                              ;   in Loop: Header=BB153_31 Depth=1
	v_dual_mov_b32 v8, v14 :: v_dual_mov_b32 v7, v1
	v_mov_b32_e32 v6, v0
                                        ; implicit-def: $sgpr23
	s_set_inst_prefetch_distance 0x1
	s_branch .LBB153_115
	.p2align	6
.LBB153_114:                            ;   in Loop: Header=BB153_115 Depth=2
	s_or_b32 exec_lo, exec_lo, s25
	s_waitcnt lgkmcnt(0)
	s_barrier
	buffer_gl0_inv
	ds_load_b64 v[2:3], v13 offset:3072
	v_add_co_u32 v6, vcc_lo, v6, s33
	v_add_co_ci_u32_e32 v7, vcc_lo, 0, v7, vcc_lo
	v_add_nc_u32_e32 v8, s93, v8
	s_waitcnt lgkmcnt(0)
	s_barrier
	s_delay_alu instid0(VALU_DEP_2) | instskip(SKIP_2) | instid1(VALU_DEP_1)
	v_cmp_ge_u64_e32 vcc_lo, v[6:7], v[4:5]
	buffer_gl0_inv
	v_readfirstlane_b32 s3, v2
	s_cmp_lg_u32 s3, 0
	s_cselect_b32 s3, -1, 0
	s_delay_alu instid0(SALU_CYCLE_1) | instskip(NEXT) | instid1(SALU_CYCLE_1)
	s_or_b32 s25, vcc_lo, s3
	s_and_b32 s25, exec_lo, s25
	s_delay_alu instid0(SALU_CYCLE_1) | instskip(SKIP_2) | instid1(SALU_CYCLE_1)
	s_or_b32 s9, s25, s9
	s_and_not1_b32 s23, s23, exec_lo
	s_and_b32 s3, s3, exec_lo
	s_or_b32 s23, s23, s3
	s_and_not1_b32 exec_lo, exec_lo, s9
	s_cbranch_execz .LBB153_123
.LBB153_115:                            ;   Parent Loop BB153_31 Depth=1
                                        ; =>  This Inner Loop Header: Depth=2
	s_delay_alu instid0(VALU_DEP_1)
	v_cmp_gt_u64_e32 vcc_lo, s[18:19], v[6:7]
	v_mov_b32_e32 v27, 0
	s_and_saveexec_b32 s25, vcc_lo
	s_cbranch_execz .LBB153_117
; %bb.116:                              ;   in Loop: Header=BB153_115 Depth=2
	ds_load_b32 v27, v8
.LBB153_117:                            ;   in Loop: Header=BB153_115 Depth=2
	s_or_b32 exec_lo, exec_lo, s25
	s_and_saveexec_b32 s25, vcc_lo
	s_cbranch_execz .LBB153_114
; %bb.118:                              ;   in Loop: Header=BB153_115 Depth=2
	s_waitcnt lgkmcnt(0)
	v_xor_b32_e32 v2, 0x80000000, v27
	s_delay_alu instid0(VALU_DEP_1) | instskip(NEXT) | instid1(VALU_DEP_1)
	v_and_b32_e32 v2, v2, v34
	v_cmp_eq_u32_e32 vcc_lo, v2, v33
	s_and_b32 exec_lo, exec_lo, vcc_lo
	s_cbranch_execz .LBB153_114
; %bb.119:                              ;   in Loop: Header=BB153_115 Depth=2
	ds_store_b64 v13, v[26:27] offset:3072
	s_branch .LBB153_114
.LBB153_120:                            ;   in Loop: Header=BB153_31 Depth=1
	s_mov_b32 s25, 0
	s_mov_b32 s24, 0
                                        ; implicit-def: $sgpr55
                                        ; implicit-def: $sgpr60
                                        ; implicit-def: $sgpr23
                                        ; implicit-def: $vgpr8
                                        ; implicit-def: $vgpr4_vgpr5
                                        ; implicit-def: $vgpr33
                                        ; implicit-def: $vgpr34
                                        ; implicit-def: $vgpr3
	s_cbranch_execnz .LBB153_303
.LBB153_121:                            ;   in Loop: Header=BB153_31 Depth=1
	s_mov_b32 s18, s23
	s_mov_b32 s19, s23
	s_and_saveexec_b32 s7, s25
	s_cbranch_execnz .LBB153_499
	s_branch .LBB153_500
.LBB153_122:                            ;   in Loop: Header=BB153_31 Depth=1
	s_mov_b32 s23, -1
	s_mov_b32 s9, 0
                                        ; implicit-def: $sgpr55
                                        ; implicit-def: $vgpr3
	s_mov_b32 s60, s23
	s_cbranch_execnz .LBB153_125
	s_branch .LBB153_138
.LBB153_123:                            ;   in Loop: Header=BB153_31 Depth=1
	s_set_inst_prefetch_distance 0x2
	s_or_b32 exec_lo, exec_lo, s9
	s_delay_alu instid0(SALU_CYCLE_1)
	s_and_b32 s9, s23, exec_lo
.LBB153_124:                            ;   in Loop: Header=BB153_31 Depth=1
	s_or_b32 exec_lo, exec_lo, s8
	s_mov_b32 s55, -1
	s_mov_b32 s23, 0
	s_delay_alu instid0(SALU_CYCLE_1)
	s_mov_b32 s60, s23
	s_branch .LBB153_138
.LBB153_125:                            ;   in Loop: Header=BB153_31 Depth=1
	s_mov_b32 s26, s61
	s_delay_alu instid0(SALU_CYCLE_1)
	s_cmp_lg_u64 s[26:27], 0
	s_cbranch_scc0 .LBB153_167
; %bb.126:                              ;   in Loop: Header=BB153_31 Depth=1
	v_cvt_f32_u32_e32 v2, s33
	s_sub_u32 s9, 0, s33
	s_subb_u32 s18, 0, 0
	s_delay_alu instid0(VALU_DEP_1) | instskip(NEXT) | instid1(VALU_DEP_1)
	v_fmac_f32_e64 v2, 0, 0x4f800000
	v_rcp_f32_e32 v2, v2
	s_waitcnt_depctr 0xfff
	v_mul_f32_e32 v2, 0x5f7ffffc, v2
	s_delay_alu instid0(VALU_DEP_1) | instskip(NEXT) | instid1(VALU_DEP_1)
	v_mul_f32_e32 v3, 0x2f800000, v2
	v_trunc_f32_e32 v3, v3
	s_delay_alu instid0(VALU_DEP_1) | instskip(SKIP_1) | instid1(VALU_DEP_2)
	v_fmac_f32_e32 v2, 0xcf800000, v3
	v_cvt_u32_f32_e32 v3, v3
	v_cvt_u32_f32_e32 v2, v2
	s_delay_alu instid0(VALU_DEP_2) | instskip(NEXT) | instid1(VALU_DEP_2)
	v_readfirstlane_b32 s3, v3
	v_readfirstlane_b32 s8, v2
	s_delay_alu instid0(VALU_DEP_2) | instskip(NEXT) | instid1(VALU_DEP_1)
	s_mul_i32 s19, s9, s3
	s_mul_hi_u32 s25, s9, s8
	s_mul_i32 s23, s18, s8
	s_add_i32 s19, s25, s19
	s_mul_i32 s26, s9, s8
	s_add_i32 s19, s19, s23
	s_mul_hi_u32 s25, s8, s26
	s_mul_hi_u32 s42, s3, s26
	s_mul_i32 s23, s3, s26
	s_mul_hi_u32 s26, s8, s19
	s_mul_i32 s8, s8, s19
	s_mul_hi_u32 s43, s3, s19
	s_add_u32 s8, s25, s8
	s_addc_u32 s25, 0, s26
	s_add_u32 s8, s8, s23
	s_mul_i32 s19, s3, s19
	s_addc_u32 s8, s25, s42
	s_addc_u32 s23, s43, 0
	s_add_u32 s8, s8, s19
	s_addc_u32 s19, 0, s23
	v_add_co_u32 v2, s8, v2, s8
	s_delay_alu instid0(VALU_DEP_1) | instskip(SKIP_1) | instid1(VALU_DEP_1)
	s_cmp_lg_u32 s8, 0
	s_addc_u32 s3, s3, s19
	v_readfirstlane_b32 s8, v2
	s_mul_i32 s19, s9, s3
	s_delay_alu instid0(VALU_DEP_1)
	s_mul_hi_u32 s23, s9, s8
	s_mul_i32 s18, s18, s8
	s_add_i32 s19, s23, s19
	s_mul_i32 s9, s9, s8
	s_add_i32 s19, s19, s18
	s_mul_hi_u32 s23, s3, s9
	s_mul_i32 s25, s3, s9
	s_mul_hi_u32 s9, s8, s9
	s_mul_hi_u32 s26, s8, s19
	s_mul_i32 s8, s8, s19
	s_mul_hi_u32 s18, s3, s19
	s_add_u32 s8, s9, s8
	s_addc_u32 s9, 0, s26
	s_add_u32 s8, s8, s25
	s_mul_i32 s19, s3, s19
	s_addc_u32 s8, s9, s23
	s_addc_u32 s9, s18, 0
	s_add_u32 s8, s8, s19
	s_addc_u32 s9, 0, s9
	v_add_co_u32 v2, s8, v2, s8
	s_delay_alu instid0(VALU_DEP_1) | instskip(SKIP_1) | instid1(VALU_DEP_1)
	s_cmp_lg_u32 s8, 0
	s_addc_u32 s3, s3, s9
	v_readfirstlane_b32 s8, v2
	s_mul_i32 s18, s87, s3
	s_mul_hi_u32 s9, s87, s3
	s_mul_hi_u32 s19, s27, s3
	s_mul_i32 s3, s27, s3
	s_mul_hi_u32 s23, s87, s8
	s_mul_hi_u32 s25, s27, s8
	s_mul_i32 s8, s27, s8
	s_add_u32 s18, s23, s18
	s_addc_u32 s9, 0, s9
	s_add_u32 s8, s18, s8
	s_addc_u32 s8, s9, s25
	s_addc_u32 s9, s19, 0
	s_add_u32 s3, s8, s3
	s_addc_u32 s8, 0, s9
	s_mul_hi_u32 s9, s33, s3
	s_mul_i32 s3, s33, s3
	s_mul_i32 s8, s33, s8
	v_sub_co_u32 v2, s3, s87, s3
	s_add_i32 s9, s9, s8
	s_cmp_lg_u32 s3, 0
	s_delay_alu instid0(VALU_DEP_1) | instskip(SKIP_2) | instid1(VALU_DEP_1)
	v_sub_co_u32 v3, s3, v2, s33
	s_subb_u32 s9, s27, s9
	s_cmp_lg_u32 s3, 0
	v_cmp_le_u32_e32 vcc_lo, s33, v3
	v_sub_co_u32 v4, s3, v3, s33
	s_subb_u32 s18, s9, 0
	s_cmp_lg_u32 s3, 0
	v_cndmask_b32_e64 v5, 0, -1, vcc_lo
	s_subb_u32 s3, s18, 0
	s_cmp_eq_u32 s18, 0
	v_mov_b32_e32 v7, s3
	s_cselect_b32 vcc_lo, -1, 0
	s_cmp_eq_u32 s9, 0
	v_cndmask_b32_e32 v5, -1, v5, vcc_lo
	v_cmp_le_u32_e32 vcc_lo, s33, v2
	s_cselect_b32 s8, -1, 0
	v_cndmask_b32_e64 v6, 0, -1, vcc_lo
	s_delay_alu instid0(VALU_DEP_3) | instskip(NEXT) | instid1(VALU_DEP_2)
	v_cmp_ne_u32_e32 vcc_lo, 0, v5
	v_cndmask_b32_e64 v5, -1, v6, s8
	v_cndmask_b32_e32 v6, s18, v7, vcc_lo
	v_cndmask_b32_e32 v4, v3, v4, vcc_lo
	s_delay_alu instid0(VALU_DEP_3) | instskip(NEXT) | instid1(VALU_DEP_3)
	v_cmp_ne_u32_e32 vcc_lo, 0, v5
	v_cndmask_b32_e32 v3, s9, v6, vcc_lo
	s_delay_alu instid0(VALU_DEP_3)
	v_cndmask_b32_e32 v2, v2, v4, vcc_lo
	s_cbranch_execnz .LBB153_128
.LBB153_127:                            ;   in Loop: Header=BB153_31 Depth=1
	v_cvt_f32_u32_e32 v2, s33
	s_sub_i32 s3, 0, s33
	s_delay_alu instid0(VALU_DEP_1) | instskip(SKIP_2) | instid1(VALU_DEP_1)
	v_rcp_iflag_f32_e32 v2, v2
	s_waitcnt_depctr 0xfff
	v_mul_f32_e32 v2, 0x4f7ffffe, v2
	v_cvt_u32_f32_e32 v2, v2
	s_delay_alu instid0(VALU_DEP_1) | instskip(NEXT) | instid1(VALU_DEP_1)
	v_mul_lo_u32 v3, s3, v2
	v_mul_hi_u32 v3, v2, v3
	s_delay_alu instid0(VALU_DEP_1) | instskip(NEXT) | instid1(VALU_DEP_1)
	v_add_nc_u32_e32 v2, v2, v3
	v_mul_hi_u32 v2, s87, v2
	s_delay_alu instid0(VALU_DEP_1) | instskip(NEXT) | instid1(VALU_DEP_1)
	v_mul_lo_u32 v2, v2, s33
	v_sub_nc_u32_e32 v2, s87, v2
	s_delay_alu instid0(VALU_DEP_1) | instskip(SKIP_1) | instid1(VALU_DEP_2)
	v_subrev_nc_u32_e32 v3, s33, v2
	v_cmp_le_u32_e32 vcc_lo, s33, v2
	v_cndmask_b32_e32 v2, v2, v3, vcc_lo
	s_delay_alu instid0(VALU_DEP_1) | instskip(SKIP_1) | instid1(VALU_DEP_2)
	v_subrev_nc_u32_e32 v3, s33, v2
	v_cmp_le_u32_e32 vcc_lo, s33, v2
	v_cndmask_b32_e32 v12, v2, v3, vcc_lo
	s_delay_alu instid0(VALU_DEP_1)
	v_dual_mov_b32 v2, v12 :: v_dual_mov_b32 v3, v13
.LBB153_128:                            ;   in Loop: Header=BB153_31 Depth=1
	s_delay_alu instid0(VALU_DEP_1) | instskip(NEXT) | instid1(VALU_DEP_2)
	v_sub_co_u32 v4, vcc_lo, s87, v2
	v_sub_co_ci_u32_e32 v5, vcc_lo, s27, v3, vcc_lo
	s_mov_b32 s9, 0
	s_mov_b32 s8, exec_lo
                                        ; implicit-def: $vgpr3
	s_delay_alu instid0(VALU_DEP_1)
	v_cmpx_gt_u64_e64 v[4:5], v[0:1]
	s_cbranch_execz .LBB153_137
; %bb.129:                              ;   in Loop: Header=BB153_31 Depth=1
	v_dual_mov_b32 v6, v24 :: v_dual_mov_b32 v7, v25
	v_dual_mov_b32 v9, v1 :: v_dual_mov_b32 v8, v0
                                        ; implicit-def: $sgpr18
	s_set_inst_prefetch_distance 0x1
	s_branch .LBB153_131
	.p2align	6
.LBB153_130:                            ;   in Loop: Header=BB153_131 Depth=2
	s_or_b32 exec_lo, exec_lo, s19
	s_waitcnt vmcnt(0) lgkmcnt(0)
	s_barrier
	buffer_gl0_inv
	ds_load_b64 v[2:3], v13 offset:3072
	v_add_co_u32 v8, vcc_lo, v8, s33
	v_add_co_ci_u32_e32 v9, vcc_lo, 0, v9, vcc_lo
	s_waitcnt lgkmcnt(0)
	s_barrier
	buffer_gl0_inv
	v_cmp_ge_u64_e32 vcc_lo, v[8:9], v[4:5]
	v_readfirstlane_b32 s3, v2
	s_delay_alu instid0(VALU_DEP_1) | instskip(SKIP_1) | instid1(SALU_CYCLE_1)
	s_cmp_lg_u32 s3, 0
	s_cselect_b32 s3, -1, 0
	s_or_b32 s19, vcc_lo, s3
	v_add_co_u32 v6, vcc_lo, v6, s34
	s_and_b32 s19, exec_lo, s19
	v_add_co_ci_u32_e32 v7, vcc_lo, s35, v7, vcc_lo
	s_or_b32 s9, s19, s9
	s_and_not1_b32 s18, s18, exec_lo
	s_and_b32 s3, s3, exec_lo
	s_delay_alu instid0(SALU_CYCLE_1)
	s_or_b32 s18, s18, s3
	s_and_not1_b32 exec_lo, exec_lo, s9
	s_cbranch_execz .LBB153_136
.LBB153_131:                            ;   Parent Loop BB153_31 Depth=1
                                        ; =>  This Inner Loop Header: Depth=2
	s_delay_alu instid0(VALU_DEP_1)
	v_cmp_gt_u64_e32 vcc_lo, s[36:37], v[8:9]
	v_mov_b32_e32 v27, 0
	s_and_saveexec_b32 s19, vcc_lo
	s_cbranch_execz .LBB153_133
; %bb.132:                              ;   in Loop: Header=BB153_131 Depth=2
	global_load_b32 v27, v[6:7], off
.LBB153_133:                            ;   in Loop: Header=BB153_131 Depth=2
	s_or_b32 exec_lo, exec_lo, s19
	s_and_saveexec_b32 s19, vcc_lo
	s_cbranch_execz .LBB153_130
; %bb.134:                              ;   in Loop: Header=BB153_131 Depth=2
	s_waitcnt vmcnt(0)
	v_xor_b32_e32 v2, 0x80000000, v27
	s_delay_alu instid0(VALU_DEP_1) | instskip(NEXT) | instid1(VALU_DEP_1)
	v_and_b32_e32 v2, v2, v34
	v_cmp_eq_u32_e32 vcc_lo, v2, v33
	s_and_b32 exec_lo, exec_lo, vcc_lo
	s_cbranch_execz .LBB153_130
; %bb.135:                              ;   in Loop: Header=BB153_131 Depth=2
	ds_store_b64 v13, v[26:27] offset:3072
	s_branch .LBB153_130
.LBB153_136:                            ;   in Loop: Header=BB153_31 Depth=1
	s_set_inst_prefetch_distance 0x2
	s_or_b32 exec_lo, exec_lo, s9
	s_delay_alu instid0(SALU_CYCLE_1)
	s_and_b32 s9, s18, exec_lo
.LBB153_137:                            ;   in Loop: Header=BB153_31 Depth=1
	s_or_b32 exec_lo, exec_lo, s8
	s_mov_b32 s60, -1
	s_mov_b32 s23, 0
	s_mov_b32 s55, 0
.LBB153_138:                            ;   in Loop: Header=BB153_31 Depth=1
	s_or_not1_b32 s8, s9, exec_lo
.LBB153_139:                            ;   in Loop: Header=BB153_31 Depth=1
	s_or_b32 exec_lo, exec_lo, s24
	s_mov_b32 s70, 0
	s_mov_b32 s25, 0
	;; [unrolled: 1-line block ×3, first 2 shown]
                                        ; implicit-def: $vgpr8
                                        ; implicit-def: $vgpr4_vgpr5
	s_and_saveexec_b32 s71, s8
	s_cbranch_execz .LBB153_302
; %bb.140:                              ;   in Loop: Header=BB153_31 Depth=1
	v_mov_b32_e32 v4, 1
	v_dual_mov_b32 v5, 0 :: v_dual_mov_b32 v8, 1
	s_xor_b32 s3, s58, -1
	s_delay_alu instid0(SALU_CYCLE_1)
	s_and_saveexec_b32 s8, s3
	s_cbranch_execz .LBB153_150
; %bb.141:                              ;   in Loop: Header=BB153_31 Depth=1
                                        ; implicit-def: $sgpr19
                                        ; implicit-def: $sgpr9
	s_mov_b32 s3, exec_lo
	v_cmpx_ge_u64_e64 s[10:11], v[29:30]
	s_xor_b32 s18, exec_lo, s3
	s_cbranch_execz .LBB153_147
; %bb.142:                              ;   in Loop: Header=BB153_31 Depth=1
	ds_load_b64 v[4:5], v13 offset:5120
	s_waitcnt lgkmcnt(0)
	v_cmp_ne_u64_e32 vcc_lo, 0, v[4:5]
	s_cbranch_vccnz .LBB153_146
; %bb.143:                              ;   in Loop: Header=BB153_31 Depth=1
	s_and_saveexec_b32 s9, s5
	s_cbranch_execz .LBB153_145
; %bb.144:                              ;   in Loop: Header=BB153_31 Depth=1
	v_dual_mov_b32 v4, s10 :: v_dual_mov_b32 v5, s11
	ds_store_b64 v13, v[4:5] offset:5128
.LBB153_145:                            ;   in Loop: Header=BB153_31 Depth=1
	s_or_b32 exec_lo, exec_lo, s9
	s_waitcnt lgkmcnt(0)
	s_barrier
	buffer_gl0_inv
.LBB153_146:                            ;   in Loop: Header=BB153_31 Depth=1
	v_and_b32_e32 v33, s21, v33
	v_or_b32_e32 v34, s20, v34
	s_mov_b32 s9, 0
	s_mov_b32 s19, 8
.LBB153_147:                            ;   in Loop: Header=BB153_31 Depth=1
	s_or_saveexec_b32 s18, s18
	v_mov_b32_e32 v4, v29
	v_dual_mov_b32 v8, s19 :: v_dual_mov_b32 v5, v30
	s_xor_b32 exec_lo, exec_lo, s18
; %bb.148:                              ;   in Loop: Header=BB153_31 Depth=1
	v_sub_co_u32 v4, vcc_lo, v29, s10
	v_subrev_co_ci_u32_e32 v5, vcc_lo, s11, v30, vcc_lo
	v_mov_b32_e32 v8, 0
	s_or_b32 s9, s9, exec_lo
; %bb.149:                              ;   in Loop: Header=BB153_31 Depth=1
	s_or_b32 exec_lo, exec_lo, s18
	s_delay_alu instid0(SALU_CYCLE_1)
	s_and_b32 s24, s9, exec_lo
.LBB153_150:                            ;   in Loop: Header=BB153_31 Depth=1
	s_or_b32 exec_lo, exec_lo, s8
	s_mov_b32 s25, -1
                                        ; implicit-def: $sgpr9
                                        ; implicit-def: $sgpr18
                                        ; implicit-def: $sgpr19
	s_and_saveexec_b32 s3, s24
	s_delay_alu instid0(SALU_CYCLE_1)
	s_xor_b32 s24, exec_lo, s3
	s_cbranch_execz .LBB153_299
; %bb.151:                              ;   in Loop: Header=BB153_31 Depth=1
	v_cmp_eq_u64_e32 vcc_lo, 1, v[4:5]
	s_cmp_eq_u64 s[12:13], 1
                                        ; implicit-def: $sgpr25
                                        ; implicit-def: $sgpr73
                                        ; implicit-def: $sgpr72
	s_cselect_b32 s8, -1, 0
	s_delay_alu instid0(SALU_CYCLE_1)
	s_and_b32 s58, s8, vcc_lo
	s_mov_b32 s8, -1
	s_and_saveexec_b32 s46, s58
	s_cbranch_execz .LBB153_185
; %bb.152:                              ;   in Loop: Header=BB153_31 Depth=1
	ds_load_b64 v[2:3], v13 offset:5120
	s_waitcnt lgkmcnt(0)
	s_barrier
	buffer_gl0_inv
	v_readfirstlane_b32 s18, v2
	v_readfirstlane_b32 s19, v3
	s_and_saveexec_b32 s8, s6
	s_cbranch_execz .LBB153_154
; %bb.153:                              ;   in Loop: Header=BB153_31 Depth=1
	ds_store_b32 v46, v13
.LBB153_154:                            ;   in Loop: Header=BB153_31 Depth=1
	s_or_b32 exec_lo, exec_lo, s8
	s_lshl_b32 s8, 1, s22
	v_or_b32_e32 v34, s20, v34
	v_and_or_b32 v33, v33, s21, s8
	s_cmp_eq_u64 s[18:19], 0
	s_waitcnt lgkmcnt(0)
	s_barrier
	buffer_gl0_inv
	s_cbranch_scc1 .LBB153_168
; %bb.155:                              ;   in Loop: Header=BB153_31 Depth=1
	s_add_u32 s25, s85, s18
	s_addc_u32 s9, s86, s19
	s_mov_b32 s8, s61
	s_delay_alu instid0(SALU_CYCLE_1)
	s_cmp_lg_u64 s[8:9], 0
	s_cbranch_scc0 .LBB153_212
; %bb.156:                              ;   in Loop: Header=BB153_31 Depth=1
	v_cvt_f32_u32_e32 v2, s33
	s_sub_u32 s47, 0, s33
	s_subb_u32 s59, 0, 0
	s_delay_alu instid0(VALU_DEP_1) | instskip(NEXT) | instid1(VALU_DEP_1)
	v_fmac_f32_e64 v2, 0, 0x4f800000
	v_rcp_f32_e32 v2, v2
	s_waitcnt_depctr 0xfff
	v_mul_f32_e32 v2, 0x5f7ffffc, v2
	s_delay_alu instid0(VALU_DEP_1) | instskip(NEXT) | instid1(VALU_DEP_1)
	v_mul_f32_e32 v3, 0x2f800000, v2
	v_trunc_f32_e32 v3, v3
	s_delay_alu instid0(VALU_DEP_1) | instskip(SKIP_1) | instid1(VALU_DEP_2)
	v_fmac_f32_e32 v2, 0xcf800000, v3
	v_cvt_u32_f32_e32 v3, v3
	v_cvt_u32_f32_e32 v2, v2
	s_delay_alu instid0(VALU_DEP_2) | instskip(NEXT) | instid1(VALU_DEP_2)
	v_readfirstlane_b32 s8, v3
	v_readfirstlane_b32 s26, v2
	s_delay_alu instid0(VALU_DEP_2) | instskip(NEXT) | instid1(VALU_DEP_1)
	s_mul_i32 s72, s47, s8
	s_mul_hi_u32 s74, s47, s26
	s_mul_i32 s73, s59, s26
	s_add_i32 s72, s74, s72
	s_mul_i32 s75, s47, s26
	s_add_i32 s72, s72, s73
	s_mul_hi_u32 s74, s26, s75
	s_mul_hi_u32 s76, s8, s75
	s_mul_i32 s73, s8, s75
	s_mul_hi_u32 s75, s26, s72
	s_mul_i32 s26, s26, s72
	s_mul_hi_u32 s77, s8, s72
	s_add_u32 s26, s74, s26
	s_addc_u32 s74, 0, s75
	s_add_u32 s26, s26, s73
	s_mul_i32 s72, s8, s72
	s_addc_u32 s26, s74, s76
	s_addc_u32 s73, s77, 0
	s_add_u32 s26, s26, s72
	s_addc_u32 s72, 0, s73
	v_add_co_u32 v2, s26, v2, s26
	s_delay_alu instid0(VALU_DEP_1) | instskip(SKIP_1) | instid1(VALU_DEP_1)
	s_cmp_lg_u32 s26, 0
	s_addc_u32 s8, s8, s72
	v_readfirstlane_b32 s26, v2
	s_mul_i32 s72, s47, s8
	s_delay_alu instid0(VALU_DEP_1)
	s_mul_hi_u32 s73, s47, s26
	s_mul_i32 s59, s59, s26
	s_add_i32 s72, s73, s72
	s_mul_i32 s47, s47, s26
	s_add_i32 s72, s72, s59
	s_mul_hi_u32 s73, s8, s47
	s_mul_i32 s74, s8, s47
	s_mul_hi_u32 s47, s26, s47
	s_mul_hi_u32 s75, s26, s72
	s_mul_i32 s26, s26, s72
	s_mul_hi_u32 s59, s8, s72
	s_add_u32 s26, s47, s26
	s_addc_u32 s47, 0, s75
	s_add_u32 s26, s26, s74
	s_mul_i32 s72, s8, s72
	s_addc_u32 s26, s47, s73
	s_addc_u32 s47, s59, 0
	s_add_u32 s26, s26, s72
	s_addc_u32 s47, 0, s47
	v_add_co_u32 v2, s26, v2, s26
	s_delay_alu instid0(VALU_DEP_1) | instskip(SKIP_1) | instid1(VALU_DEP_1)
	s_cmp_lg_u32 s26, 0
	s_addc_u32 s8, s8, s47
	v_readfirstlane_b32 s26, v2
	s_mul_i32 s59, s25, s8
	s_mul_hi_u32 s47, s25, s8
	s_mul_hi_u32 s72, s9, s8
	s_mul_i32 s8, s9, s8
	s_mul_hi_u32 s73, s25, s26
	s_mul_hi_u32 s74, s9, s26
	s_mul_i32 s26, s9, s26
	s_add_u32 s59, s73, s59
	s_addc_u32 s47, 0, s47
	s_add_u32 s26, s59, s26
	s_addc_u32 s26, s47, s74
	s_addc_u32 s47, s72, 0
	s_add_u32 s8, s26, s8
	s_addc_u32 s26, 0, s47
	s_mul_hi_u32 s47, s33, s8
	s_mul_i32 s8, s33, s8
	s_mul_i32 s26, s33, s26
	v_sub_co_u32 v2, s8, s25, s8
	s_add_i32 s47, s47, s26
	s_cmp_lg_u32 s8, 0
	s_delay_alu instid0(VALU_DEP_1) | instskip(SKIP_3) | instid1(VALU_DEP_2)
	v_sub_co_u32 v3, s8, v2, s33
	s_subb_u32 s26, s9, s47
	s_cmp_lg_u32 s8, 0
	v_cmp_le_u32_e32 vcc_lo, s33, v2
	v_cmp_le_u32_e64 s8, s33, v3
	v_sub_co_u32 v6, s47, v3, s33
	s_subb_u32 s59, s26, 0
	s_cmp_lg_u32 s47, 0
	s_delay_alu instid0(VALU_DEP_2)
	v_cndmask_b32_e64 v7, 0, -1, s8
	s_subb_u32 s47, s59, 0
	s_cmp_eq_u32 s59, 0
	v_mov_b32_e32 v9, s47
	v_cndmask_b32_e64 v8, 0, -1, vcc_lo
	s_cselect_b32 vcc_lo, -1, 0
	s_cmp_eq_u32 s26, 0
	v_cndmask_b32_e32 v7, -1, v7, vcc_lo
	s_cselect_b32 vcc_lo, -1, 0
	v_cndmask_b32_e32 v8, -1, v8, vcc_lo
	s_delay_alu instid0(VALU_DEP_2) | instskip(NEXT) | instid1(VALU_DEP_2)
	v_cmp_ne_u32_e32 vcc_lo, 0, v7
	v_cmp_ne_u32_e64 s8, 0, v8
	v_cndmask_b32_e32 v7, s59, v9, vcc_lo
	v_cndmask_b32_e32 v6, v3, v6, vcc_lo
	s_delay_alu instid0(VALU_DEP_2) | instskip(NEXT) | instid1(VALU_DEP_2)
	v_cndmask_b32_e64 v3, s26, v7, s8
	v_cndmask_b32_e64 v2, v2, v6, s8
	s_cbranch_execnz .LBB153_158
.LBB153_157:                            ;   in Loop: Header=BB153_31 Depth=1
	v_cvt_f32_u32_e32 v2, s33
	s_sub_i32 s8, 0, s33
	s_delay_alu instid0(VALU_DEP_1) | instskip(SKIP_2) | instid1(VALU_DEP_1)
	v_rcp_iflag_f32_e32 v2, v2
	s_waitcnt_depctr 0xfff
	v_mul_f32_e32 v2, 0x4f7ffffe, v2
	v_cvt_u32_f32_e32 v2, v2
	s_delay_alu instid0(VALU_DEP_1) | instskip(NEXT) | instid1(VALU_DEP_1)
	v_mul_lo_u32 v3, s8, v2
	v_mul_hi_u32 v3, v2, v3
	s_delay_alu instid0(VALU_DEP_1) | instskip(NEXT) | instid1(VALU_DEP_1)
	v_add_nc_u32_e32 v2, v2, v3
	v_mul_hi_u32 v2, s25, v2
	s_delay_alu instid0(VALU_DEP_1) | instskip(NEXT) | instid1(VALU_DEP_1)
	v_mul_lo_u32 v2, v2, s33
	v_sub_nc_u32_e32 v2, s25, v2
	s_delay_alu instid0(VALU_DEP_1) | instskip(SKIP_1) | instid1(VALU_DEP_2)
	v_subrev_nc_u32_e32 v3, s33, v2
	v_cmp_le_u32_e32 vcc_lo, s33, v2
	v_cndmask_b32_e32 v2, v2, v3, vcc_lo
	s_delay_alu instid0(VALU_DEP_1) | instskip(SKIP_1) | instid1(VALU_DEP_2)
	v_subrev_nc_u32_e32 v3, s33, v2
	v_cmp_le_u32_e32 vcc_lo, s33, v2
	v_cndmask_b32_e32 v12, v2, v3, vcc_lo
	s_delay_alu instid0(VALU_DEP_1)
	v_dual_mov_b32 v2, v12 :: v_dual_mov_b32 v3, v13
.LBB153_158:                            ;   in Loop: Header=BB153_31 Depth=1
	s_delay_alu instid0(VALU_DEP_1) | instskip(NEXT) | instid1(VALU_DEP_2)
	v_sub_co_u32 v6, vcc_lo, s25, v2
	v_sub_co_ci_u32_e32 v7, vcc_lo, s9, v3, vcc_lo
	s_mov_b32 s9, 0
	s_mov_b32 s8, exec_lo
                                        ; implicit-def: $vgpr3
	s_delay_alu instid0(VALU_DEP_1)
	v_cmpx_gt_u64_e64 v[6:7], v[0:1]
	s_cbranch_execz .LBB153_170
; %bb.159:                              ;   in Loop: Header=BB153_31 Depth=1
	v_dual_mov_b32 v12, v14 :: v_dual_mov_b32 v9, v1
	v_mov_b32_e32 v8, v0
                                        ; implicit-def: $sgpr25
	s_set_inst_prefetch_distance 0x1
	s_branch .LBB153_161
	.p2align	6
.LBB153_160:                            ;   in Loop: Header=BB153_161 Depth=2
	s_or_b32 exec_lo, exec_lo, s26
	s_waitcnt lgkmcnt(0)
	s_barrier
	buffer_gl0_inv
	ds_load_b64 v[2:3], v13 offset:3072
	v_add_co_u32 v8, vcc_lo, v8, s33
	v_add_co_ci_u32_e32 v9, vcc_lo, 0, v9, vcc_lo
	v_add_nc_u32_e32 v12, s93, v12
	s_waitcnt lgkmcnt(0)
	s_barrier
	s_delay_alu instid0(VALU_DEP_2) | instskip(SKIP_2) | instid1(VALU_DEP_1)
	v_cmp_ge_u64_e32 vcc_lo, v[8:9], v[6:7]
	buffer_gl0_inv
	v_readfirstlane_b32 s26, v2
	s_cmp_lg_u32 s26, 0
	s_cselect_b32 s26, -1, 0
	s_delay_alu instid0(SALU_CYCLE_1) | instskip(NEXT) | instid1(SALU_CYCLE_1)
	s_or_b32 s47, vcc_lo, s26
	s_and_b32 s47, exec_lo, s47
	s_delay_alu instid0(SALU_CYCLE_1) | instskip(SKIP_2) | instid1(SALU_CYCLE_1)
	s_or_b32 s9, s47, s9
	s_and_not1_b32 s25, s25, exec_lo
	s_and_b32 s26, s26, exec_lo
	s_or_b32 s25, s25, s26
	s_and_not1_b32 exec_lo, exec_lo, s9
	s_cbranch_execz .LBB153_169
.LBB153_161:                            ;   Parent Loop BB153_31 Depth=1
                                        ; =>  This Inner Loop Header: Depth=2
	s_delay_alu instid0(VALU_DEP_1)
	v_cmp_gt_u64_e32 vcc_lo, s[18:19], v[8:9]
	v_mov_b32_e32 v27, 0
	s_and_saveexec_b32 s26, vcc_lo
	s_cbranch_execz .LBB153_163
; %bb.162:                              ;   in Loop: Header=BB153_161 Depth=2
	ds_load_b32 v27, v12
.LBB153_163:                            ;   in Loop: Header=BB153_161 Depth=2
	s_or_b32 exec_lo, exec_lo, s26
	s_and_saveexec_b32 s26, vcc_lo
	s_cbranch_execz .LBB153_160
; %bb.164:                              ;   in Loop: Header=BB153_161 Depth=2
	s_waitcnt lgkmcnt(0)
	v_xor_b32_e32 v2, 0x80000000, v27
	s_delay_alu instid0(VALU_DEP_1) | instskip(NEXT) | instid1(VALU_DEP_1)
	v_and_b32_e32 v2, v2, v34
	v_cmp_eq_u32_e32 vcc_lo, v2, v33
	s_and_b32 exec_lo, exec_lo, vcc_lo
	s_cbranch_execz .LBB153_160
; %bb.165:                              ;   in Loop: Header=BB153_161 Depth=2
	ds_store_b64 v13, v[26:27] offset:3072
	s_branch .LBB153_160
.LBB153_166:                            ;   in Loop: Header=BB153_31 Depth=1
                                        ; implicit-def: $vgpr2_vgpr3
	s_branch .LBB153_111
.LBB153_167:                            ;   in Loop: Header=BB153_31 Depth=1
                                        ; implicit-def: $vgpr2_vgpr3
	s_branch .LBB153_127
.LBB153_168:                            ;   in Loop: Header=BB153_31 Depth=1
	s_mov_b32 s25, -1
	s_mov_b32 s9, 0
                                        ; implicit-def: $sgpr72
                                        ; implicit-def: $vgpr3
	s_mov_b32 s73, s25
	s_cbranch_execnz .LBB153_171
	s_branch .LBB153_184
.LBB153_169:                            ;   in Loop: Header=BB153_31 Depth=1
	s_set_inst_prefetch_distance 0x2
	s_or_b32 exec_lo, exec_lo, s9
	s_delay_alu instid0(SALU_CYCLE_1)
	s_and_b32 s9, s25, exec_lo
.LBB153_170:                            ;   in Loop: Header=BB153_31 Depth=1
	s_or_b32 exec_lo, exec_lo, s8
	s_mov_b32 s72, -1
	s_mov_b32 s25, 0
	s_delay_alu instid0(SALU_CYCLE_1)
	s_mov_b32 s73, s25
	s_branch .LBB153_184
.LBB153_171:                            ;   in Loop: Header=BB153_31 Depth=1
	s_mov_b32 s26, s61
	s_delay_alu instid0(SALU_CYCLE_1)
	s_cmp_lg_u64 s[26:27], 0
	s_cbranch_scc0 .LBB153_213
; %bb.172:                              ;   in Loop: Header=BB153_31 Depth=1
	v_cvt_f32_u32_e32 v2, s33
	s_sub_u32 s18, 0, s33
	s_subb_u32 s19, 0, 0
	s_delay_alu instid0(VALU_DEP_1) | instskip(NEXT) | instid1(VALU_DEP_1)
	v_fmac_f32_e64 v2, 0, 0x4f800000
	v_rcp_f32_e32 v2, v2
	s_waitcnt_depctr 0xfff
	v_mul_f32_e32 v2, 0x5f7ffffc, v2
	s_delay_alu instid0(VALU_DEP_1) | instskip(NEXT) | instid1(VALU_DEP_1)
	v_mul_f32_e32 v3, 0x2f800000, v2
	v_trunc_f32_e32 v3, v3
	s_delay_alu instid0(VALU_DEP_1) | instskip(SKIP_1) | instid1(VALU_DEP_2)
	v_fmac_f32_e32 v2, 0xcf800000, v3
	v_cvt_u32_f32_e32 v3, v3
	v_cvt_u32_f32_e32 v2, v2
	s_delay_alu instid0(VALU_DEP_2) | instskip(NEXT) | instid1(VALU_DEP_2)
	v_readfirstlane_b32 s8, v3
	v_readfirstlane_b32 s9, v2
	s_delay_alu instid0(VALU_DEP_2) | instskip(NEXT) | instid1(VALU_DEP_1)
	s_mul_i32 s25, s18, s8
	s_mul_hi_u32 s47, s18, s9
	s_mul_i32 s26, s19, s9
	s_add_i32 s25, s47, s25
	s_mul_i32 s59, s18, s9
	s_add_i32 s25, s25, s26
	s_mul_hi_u32 s47, s9, s59
	s_mul_hi_u32 s72, s8, s59
	s_mul_i32 s26, s8, s59
	s_mul_hi_u32 s59, s9, s25
	s_mul_i32 s9, s9, s25
	s_mul_hi_u32 s73, s8, s25
	s_add_u32 s9, s47, s9
	s_addc_u32 s47, 0, s59
	s_add_u32 s9, s9, s26
	s_mul_i32 s25, s8, s25
	s_addc_u32 s9, s47, s72
	s_addc_u32 s26, s73, 0
	s_add_u32 s9, s9, s25
	s_addc_u32 s25, 0, s26
	v_add_co_u32 v2, s9, v2, s9
	s_delay_alu instid0(VALU_DEP_1) | instskip(SKIP_1) | instid1(VALU_DEP_1)
	s_cmp_lg_u32 s9, 0
	s_addc_u32 s8, s8, s25
	v_readfirstlane_b32 s9, v2
	s_mul_i32 s25, s18, s8
	s_delay_alu instid0(VALU_DEP_1)
	s_mul_hi_u32 s26, s18, s9
	s_mul_i32 s19, s19, s9
	s_add_i32 s25, s26, s25
	s_mul_i32 s18, s18, s9
	s_add_i32 s25, s25, s19
	s_mul_hi_u32 s26, s8, s18
	s_mul_i32 s47, s8, s18
	s_mul_hi_u32 s18, s9, s18
	s_mul_hi_u32 s59, s9, s25
	s_mul_i32 s9, s9, s25
	s_mul_hi_u32 s19, s8, s25
	s_add_u32 s9, s18, s9
	s_addc_u32 s18, 0, s59
	s_add_u32 s9, s9, s47
	s_mul_i32 s25, s8, s25
	s_addc_u32 s9, s18, s26
	s_addc_u32 s18, s19, 0
	s_add_u32 s9, s9, s25
	s_addc_u32 s18, 0, s18
	v_add_co_u32 v2, s9, v2, s9
	s_delay_alu instid0(VALU_DEP_1) | instskip(SKIP_1) | instid1(VALU_DEP_1)
	s_cmp_lg_u32 s9, 0
	s_addc_u32 s8, s8, s18
	v_readfirstlane_b32 s9, v2
	s_mul_i32 s19, s87, s8
	s_mul_hi_u32 s18, s87, s8
	s_mul_hi_u32 s25, s27, s8
	s_mul_i32 s8, s27, s8
	s_mul_hi_u32 s26, s87, s9
	s_mul_hi_u32 s47, s27, s9
	s_mul_i32 s9, s27, s9
	s_add_u32 s19, s26, s19
	s_addc_u32 s18, 0, s18
	s_add_u32 s9, s19, s9
	s_addc_u32 s9, s18, s47
	s_addc_u32 s18, s25, 0
	s_add_u32 s8, s9, s8
	s_addc_u32 s9, 0, s18
	s_mul_hi_u32 s18, s33, s8
	s_mul_i32 s8, s33, s8
	s_mul_i32 s9, s33, s9
	v_sub_co_u32 v2, s8, s87, s8
	s_add_i32 s18, s18, s9
	s_cmp_lg_u32 s8, 0
	s_delay_alu instid0(VALU_DEP_1) | instskip(SKIP_2) | instid1(VALU_DEP_1)
	v_sub_co_u32 v3, s8, v2, s33
	s_subb_u32 s9, s27, s18
	s_cmp_lg_u32 s8, 0
	v_cmp_le_u32_e32 vcc_lo, s33, v3
	v_sub_co_u32 v6, s8, v3, s33
	s_subb_u32 s18, s9, 0
	s_cmp_lg_u32 s8, 0
	v_cndmask_b32_e64 v7, 0, -1, vcc_lo
	s_subb_u32 s8, s18, 0
	s_cmp_eq_u32 s18, 0
	v_mov_b32_e32 v9, s8
	s_cselect_b32 vcc_lo, -1, 0
	s_cmp_eq_u32 s9, 0
	v_cndmask_b32_e32 v7, -1, v7, vcc_lo
	v_cmp_le_u32_e32 vcc_lo, s33, v2
	s_cselect_b32 s8, -1, 0
	v_cndmask_b32_e64 v8, 0, -1, vcc_lo
	s_delay_alu instid0(VALU_DEP_3) | instskip(NEXT) | instid1(VALU_DEP_2)
	v_cmp_ne_u32_e32 vcc_lo, 0, v7
	v_cndmask_b32_e64 v7, -1, v8, s8
	v_cndmask_b32_e32 v8, s18, v9, vcc_lo
	v_cndmask_b32_e32 v6, v3, v6, vcc_lo
	s_delay_alu instid0(VALU_DEP_3) | instskip(NEXT) | instid1(VALU_DEP_3)
	v_cmp_ne_u32_e32 vcc_lo, 0, v7
	v_cndmask_b32_e32 v3, s9, v8, vcc_lo
	s_delay_alu instid0(VALU_DEP_3)
	v_cndmask_b32_e32 v2, v2, v6, vcc_lo
	s_cbranch_execnz .LBB153_174
.LBB153_173:                            ;   in Loop: Header=BB153_31 Depth=1
	v_cvt_f32_u32_e32 v2, s33
	s_sub_i32 s8, 0, s33
	s_delay_alu instid0(VALU_DEP_1) | instskip(SKIP_2) | instid1(VALU_DEP_1)
	v_rcp_iflag_f32_e32 v2, v2
	s_waitcnt_depctr 0xfff
	v_mul_f32_e32 v2, 0x4f7ffffe, v2
	v_cvt_u32_f32_e32 v2, v2
	s_delay_alu instid0(VALU_DEP_1) | instskip(NEXT) | instid1(VALU_DEP_1)
	v_mul_lo_u32 v3, s8, v2
	v_mul_hi_u32 v3, v2, v3
	s_delay_alu instid0(VALU_DEP_1) | instskip(NEXT) | instid1(VALU_DEP_1)
	v_add_nc_u32_e32 v2, v2, v3
	v_mul_hi_u32 v2, s87, v2
	s_delay_alu instid0(VALU_DEP_1) | instskip(NEXT) | instid1(VALU_DEP_1)
	v_mul_lo_u32 v2, v2, s33
	v_sub_nc_u32_e32 v2, s87, v2
	s_delay_alu instid0(VALU_DEP_1) | instskip(SKIP_1) | instid1(VALU_DEP_2)
	v_subrev_nc_u32_e32 v3, s33, v2
	v_cmp_le_u32_e32 vcc_lo, s33, v2
	v_cndmask_b32_e32 v2, v2, v3, vcc_lo
	s_delay_alu instid0(VALU_DEP_1) | instskip(SKIP_1) | instid1(VALU_DEP_2)
	v_subrev_nc_u32_e32 v3, s33, v2
	v_cmp_le_u32_e32 vcc_lo, s33, v2
	v_cndmask_b32_e32 v12, v2, v3, vcc_lo
	s_delay_alu instid0(VALU_DEP_1)
	v_dual_mov_b32 v2, v12 :: v_dual_mov_b32 v3, v13
.LBB153_174:                            ;   in Loop: Header=BB153_31 Depth=1
	s_delay_alu instid0(VALU_DEP_1) | instskip(NEXT) | instid1(VALU_DEP_2)
	v_sub_co_u32 v6, vcc_lo, s87, v2
	v_sub_co_ci_u32_e32 v7, vcc_lo, s27, v3, vcc_lo
	s_mov_b32 s9, 0
	s_mov_b32 s8, exec_lo
                                        ; implicit-def: $vgpr3
	s_delay_alu instid0(VALU_DEP_1)
	v_cmpx_gt_u64_e64 v[6:7], v[0:1]
	s_cbranch_execz .LBB153_183
; %bb.175:                              ;   in Loop: Header=BB153_31 Depth=1
	v_dual_mov_b32 v8, v24 :: v_dual_mov_b32 v9, v25
	v_dual_mov_b32 v32, v1 :: v_dual_mov_b32 v31, v0
                                        ; implicit-def: $sgpr18
	s_set_inst_prefetch_distance 0x1
	s_branch .LBB153_177
	.p2align	6
.LBB153_176:                            ;   in Loop: Header=BB153_177 Depth=2
	s_or_b32 exec_lo, exec_lo, s19
	s_waitcnt vmcnt(0) lgkmcnt(0)
	s_barrier
	buffer_gl0_inv
	ds_load_b64 v[2:3], v13 offset:3072
	v_add_co_u32 v31, vcc_lo, v31, s33
	v_add_co_ci_u32_e32 v32, vcc_lo, 0, v32, vcc_lo
	s_waitcnt lgkmcnt(0)
	s_barrier
	buffer_gl0_inv
	v_cmp_ge_u64_e32 vcc_lo, v[31:32], v[6:7]
	v_readfirstlane_b32 s19, v2
	s_delay_alu instid0(VALU_DEP_1) | instskip(SKIP_1) | instid1(SALU_CYCLE_1)
	s_cmp_lg_u32 s19, 0
	s_cselect_b32 s19, -1, 0
	s_or_b32 s25, vcc_lo, s19
	v_add_co_u32 v8, vcc_lo, v8, s34
	s_and_b32 s25, exec_lo, s25
	v_add_co_ci_u32_e32 v9, vcc_lo, s35, v9, vcc_lo
	s_or_b32 s9, s25, s9
	s_and_not1_b32 s18, s18, exec_lo
	s_and_b32 s19, s19, exec_lo
	s_delay_alu instid0(SALU_CYCLE_1)
	s_or_b32 s18, s18, s19
	s_and_not1_b32 exec_lo, exec_lo, s9
	s_cbranch_execz .LBB153_182
.LBB153_177:                            ;   Parent Loop BB153_31 Depth=1
                                        ; =>  This Inner Loop Header: Depth=2
	s_delay_alu instid0(VALU_DEP_1)
	v_cmp_gt_u64_e32 vcc_lo, s[36:37], v[31:32]
	v_mov_b32_e32 v27, 0
	s_and_saveexec_b32 s19, vcc_lo
	s_cbranch_execz .LBB153_179
; %bb.178:                              ;   in Loop: Header=BB153_177 Depth=2
	global_load_b32 v27, v[8:9], off
.LBB153_179:                            ;   in Loop: Header=BB153_177 Depth=2
	s_or_b32 exec_lo, exec_lo, s19
	s_and_saveexec_b32 s19, vcc_lo
	s_cbranch_execz .LBB153_176
; %bb.180:                              ;   in Loop: Header=BB153_177 Depth=2
	s_waitcnt vmcnt(0)
	v_xor_b32_e32 v2, 0x80000000, v27
	s_delay_alu instid0(VALU_DEP_1) | instskip(NEXT) | instid1(VALU_DEP_1)
	v_and_b32_e32 v2, v2, v34
	v_cmp_eq_u32_e32 vcc_lo, v2, v33
	s_and_b32 exec_lo, exec_lo, vcc_lo
	s_cbranch_execz .LBB153_176
; %bb.181:                              ;   in Loop: Header=BB153_177 Depth=2
	ds_store_b64 v13, v[26:27] offset:3072
	s_branch .LBB153_176
.LBB153_182:                            ;   in Loop: Header=BB153_31 Depth=1
	s_set_inst_prefetch_distance 0x2
	s_or_b32 exec_lo, exec_lo, s9
	s_delay_alu instid0(SALU_CYCLE_1)
	s_and_b32 s9, s18, exec_lo
.LBB153_183:                            ;   in Loop: Header=BB153_31 Depth=1
	s_or_b32 exec_lo, exec_lo, s8
	s_mov_b32 s73, -1
	s_mov_b32 s25, 0
	s_mov_b32 s72, 0
.LBB153_184:                            ;   in Loop: Header=BB153_31 Depth=1
	s_or_not1_b32 s8, s9, exec_lo
.LBB153_185:                            ;   in Loop: Header=BB153_31 Depth=1
	s_or_b32 exec_lo, exec_lo, s46
	s_mov_b32 s26, 0
                                        ; implicit-def: $vgpr8
	s_and_saveexec_b32 s74, s8
	s_cbranch_execz .LBB153_298
; %bb.186:                              ;   in Loop: Header=BB153_31 Depth=1
	v_mov_b32_e32 v6, 1
	v_dual_mov_b32 v7, 0 :: v_dual_mov_b32 v8, 1
	s_xor_b32 s9, s58, -1
	s_delay_alu instid0(SALU_CYCLE_1)
	s_and_saveexec_b32 s8, s9
	s_cbranch_execz .LBB153_196
; %bb.187:                              ;   in Loop: Header=BB153_31 Depth=1
	s_mov_b32 s18, exec_lo
                                        ; implicit-def: $sgpr19
                                        ; implicit-def: $sgpr9
	v_cmpx_ge_u64_e64 s[12:13], v[4:5]
	s_xor_b32 s18, exec_lo, s18
	s_cbranch_execz .LBB153_193
; %bb.188:                              ;   in Loop: Header=BB153_31 Depth=1
	ds_load_b64 v[6:7], v13 offset:5120
	s_waitcnt lgkmcnt(0)
	v_cmp_ne_u64_e32 vcc_lo, 0, v[6:7]
	s_cbranch_vccnz .LBB153_192
; %bb.189:                              ;   in Loop: Header=BB153_31 Depth=1
	s_and_saveexec_b32 s9, s5
	s_cbranch_execz .LBB153_191
; %bb.190:                              ;   in Loop: Header=BB153_31 Depth=1
	v_dual_mov_b32 v6, s12 :: v_dual_mov_b32 v7, s13
	ds_store_b64 v13, v[6:7] offset:5128
.LBB153_191:                            ;   in Loop: Header=BB153_31 Depth=1
	s_or_b32 exec_lo, exec_lo, s9
	s_waitcnt lgkmcnt(0)
	s_barrier
	buffer_gl0_inv
.LBB153_192:                            ;   in Loop: Header=BB153_31 Depth=1
	s_lshl_b32 s9, 1, s22
	v_or_b32_e32 v34, s20, v34
	v_and_or_b32 v33, v33, s21, s9
	s_mov_b32 s9, 0
	s_mov_b32 s19, 8
.LBB153_193:                            ;   in Loop: Header=BB153_31 Depth=1
	s_or_saveexec_b32 s18, s18
	v_mov_b32_e32 v8, s19
	s_xor_b32 exec_lo, exec_lo, s18
; %bb.194:                              ;   in Loop: Header=BB153_31 Depth=1
	v_sub_co_u32 v4, vcc_lo, v4, s12
	v_subrev_co_ci_u32_e32 v5, vcc_lo, s13, v5, vcc_lo
	v_mov_b32_e32 v8, 0
	s_or_b32 s9, s9, exec_lo
; %bb.195:                              ;   in Loop: Header=BB153_31 Depth=1
	s_or_b32 exec_lo, exec_lo, s18
	s_delay_alu instid0(VALU_DEP_2)
	v_dual_mov_b32 v7, v5 :: v_dual_mov_b32 v6, v4
	s_and_b32 s26, s9, exec_lo
.LBB153_196:                            ;   in Loop: Header=BB153_31 Depth=1
	s_or_b32 exec_lo, exec_lo, s8
	s_mov_b32 s8, -1
                                        ; implicit-def: $sgpr9
                                        ; implicit-def: $sgpr18
                                        ; implicit-def: $sgpr19
	s_and_saveexec_b32 s75, s26
	s_cbranch_execz .LBB153_297
; %bb.197:                              ;   in Loop: Header=BB153_31 Depth=1
	v_cmp_eq_u64_e32 vcc_lo, 1, v[6:7]
	s_cmp_eq_u64 s[14:15], 1
                                        ; implicit-def: $sgpr76
                                        ; implicit-def: $sgpr78
                                        ; implicit-def: $sgpr77
	s_cselect_b32 s8, -1, 0
	s_delay_alu instid0(SALU_CYCLE_1)
	s_and_b32 s58, s8, vcc_lo
	s_mov_b32 s8, -1
	s_and_saveexec_b32 s59, s58
	s_cbranch_execz .LBB153_231
; %bb.198:                              ;   in Loop: Header=BB153_31 Depth=1
	ds_load_b64 v[2:3], v13 offset:5120
	s_waitcnt lgkmcnt(0)
	s_barrier
	buffer_gl0_inv
	v_readfirstlane_b32 s18, v2
	v_readfirstlane_b32 s19, v3
	s_and_saveexec_b32 s8, s6
	s_cbranch_execz .LBB153_200
; %bb.199:                              ;   in Loop: Header=BB153_31 Depth=1
	ds_store_b32 v46, v13
.LBB153_200:                            ;   in Loop: Header=BB153_31 Depth=1
	s_or_b32 exec_lo, exec_lo, s8
	s_lshl_b32 s8, 2, s22
	v_or_b32_e32 v34, s20, v34
	v_and_or_b32 v33, v33, s21, s8
	s_cmp_eq_u64 s[18:19], 0
	s_waitcnt lgkmcnt(0)
	s_barrier
	buffer_gl0_inv
	s_cbranch_scc1 .LBB153_214
; %bb.201:                              ;   in Loop: Header=BB153_31 Depth=1
	s_add_u32 s26, s85, s18
	s_addc_u32 s9, s86, s19
	s_mov_b32 s8, s61
	s_delay_alu instid0(SALU_CYCLE_1)
	s_cmp_lg_u64 s[8:9], 0
	s_cbranch_scc0 .LBB153_249
; %bb.202:                              ;   in Loop: Header=BB153_31 Depth=1
	v_cvt_f32_u32_e32 v2, s33
	s_sub_u32 s47, 0, s33
	s_subb_u32 s76, 0, 0
	s_delay_alu instid0(VALU_DEP_1) | instskip(NEXT) | instid1(VALU_DEP_1)
	v_fmac_f32_e64 v2, 0, 0x4f800000
	v_rcp_f32_e32 v2, v2
	s_waitcnt_depctr 0xfff
	v_mul_f32_e32 v2, 0x5f7ffffc, v2
	s_delay_alu instid0(VALU_DEP_1) | instskip(NEXT) | instid1(VALU_DEP_1)
	v_mul_f32_e32 v3, 0x2f800000, v2
	v_trunc_f32_e32 v3, v3
	s_delay_alu instid0(VALU_DEP_1) | instskip(SKIP_1) | instid1(VALU_DEP_2)
	v_fmac_f32_e32 v2, 0xcf800000, v3
	v_cvt_u32_f32_e32 v3, v3
	v_cvt_u32_f32_e32 v2, v2
	s_delay_alu instid0(VALU_DEP_2) | instskip(NEXT) | instid1(VALU_DEP_2)
	v_readfirstlane_b32 s8, v3
	v_readfirstlane_b32 s46, v2
	s_delay_alu instid0(VALU_DEP_2) | instskip(NEXT) | instid1(VALU_DEP_1)
	s_mul_i32 s77, s47, s8
	s_mul_hi_u32 s79, s47, s46
	s_mul_i32 s78, s76, s46
	s_add_i32 s77, s79, s77
	s_mul_i32 vcc_lo, s47, s46
	s_add_i32 s77, s77, s78
	s_mul_hi_u32 s79, s46, vcc_lo
	s_mul_hi_u32 s78, s46, s77
	s_mul_i32 s46, s46, s77
	s_mul_i32 s57, s8, vcc_lo
	s_add_u32 s46, s79, s46
	s_mul_hi_u32 s56, s8, vcc_lo
	s_addc_u32 s78, 0, s78
	s_mul_hi_u32 vcc_lo, s8, s77
	s_add_u32 s46, s46, s57
	s_mul_i32 s77, s8, s77
	s_addc_u32 s46, s78, s56
	s_addc_u32 s56, vcc_lo, 0
	s_add_u32 s46, s46, s77
	s_addc_u32 s56, 0, s56
	v_add_co_u32 v2, s46, v2, s46
	s_delay_alu instid0(VALU_DEP_1) | instskip(SKIP_1) | instid1(VALU_DEP_1)
	s_cmp_lg_u32 s46, 0
	s_addc_u32 s8, s8, s56
	v_readfirstlane_b32 s46, v2
	s_mul_i32 s56, s47, s8
	s_delay_alu instid0(VALU_DEP_1)
	s_mul_hi_u32 s57, s47, s46
	s_mul_i32 s76, s76, s46
	s_add_i32 s56, s57, s56
	s_mul_i32 s47, s47, s46
	s_add_i32 s56, s56, s76
	s_mul_hi_u32 s57, s8, s47
	s_mul_i32 s77, s8, s47
	s_mul_hi_u32 s47, s46, s47
	s_mul_hi_u32 s78, s46, s56
	s_mul_i32 s46, s46, s56
	s_mul_hi_u32 s76, s8, s56
	s_add_u32 s46, s47, s46
	s_addc_u32 s47, 0, s78
	s_add_u32 s46, s46, s77
	s_mul_i32 s56, s8, s56
	s_addc_u32 s46, s47, s57
	s_addc_u32 s47, s76, 0
	s_add_u32 s46, s46, s56
	s_addc_u32 s47, 0, s47
	v_add_co_u32 v2, s46, v2, s46
	s_delay_alu instid0(VALU_DEP_1) | instskip(SKIP_1) | instid1(VALU_DEP_1)
	s_cmp_lg_u32 s46, 0
	s_addc_u32 s8, s8, s47
	v_readfirstlane_b32 s46, v2
	s_mul_i32 s56, s26, s8
	s_mul_hi_u32 s47, s26, s8
	s_mul_hi_u32 s57, s9, s8
	s_mul_i32 s8, s9, s8
	s_mul_hi_u32 s76, s26, s46
	s_mul_hi_u32 s77, s9, s46
	s_mul_i32 s46, s9, s46
	s_add_u32 s56, s76, s56
	s_addc_u32 s47, 0, s47
	s_add_u32 s46, s56, s46
	s_addc_u32 s46, s47, s77
	s_addc_u32 s47, s57, 0
	s_add_u32 s8, s46, s8
	s_addc_u32 s46, 0, s47
	s_mul_hi_u32 s47, s33, s8
	s_mul_i32 s8, s33, s8
	s_mul_i32 s46, s33, s46
	v_sub_co_u32 v2, s8, s26, s8
	s_add_i32 s47, s47, s46
	s_cmp_lg_u32 s8, 0
	s_delay_alu instid0(VALU_DEP_1) | instskip(SKIP_3) | instid1(VALU_DEP_2)
	v_sub_co_u32 v3, s8, v2, s33
	s_subb_u32 s46, s9, s47
	s_cmp_lg_u32 s8, 0
	v_cmp_le_u32_e32 vcc_lo, s33, v2
	v_cmp_le_u32_e64 s8, s33, v3
	v_sub_co_u32 v4, s47, v3, s33
	s_subb_u32 s56, s46, 0
	s_cmp_lg_u32 s47, 0
	s_delay_alu instid0(VALU_DEP_2)
	v_cndmask_b32_e64 v5, 0, -1, s8
	s_subb_u32 s47, s56, 0
	s_cmp_eq_u32 s56, 0
	v_mov_b32_e32 v9, s47
	v_cndmask_b32_e64 v8, 0, -1, vcc_lo
	s_cselect_b32 vcc_lo, -1, 0
	s_cmp_eq_u32 s46, 0
	v_cndmask_b32_e32 v5, -1, v5, vcc_lo
	s_cselect_b32 vcc_lo, -1, 0
	v_cndmask_b32_e32 v8, -1, v8, vcc_lo
	s_delay_alu instid0(VALU_DEP_2) | instskip(NEXT) | instid1(VALU_DEP_2)
	v_cmp_ne_u32_e32 vcc_lo, 0, v5
	v_cmp_ne_u32_e64 s8, 0, v8
	v_cndmask_b32_e32 v5, s56, v9, vcc_lo
	v_cndmask_b32_e32 v4, v3, v4, vcc_lo
	s_delay_alu instid0(VALU_DEP_2) | instskip(NEXT) | instid1(VALU_DEP_2)
	v_cndmask_b32_e64 v3, s46, v5, s8
	v_cndmask_b32_e64 v2, v2, v4, s8
	s_cbranch_execnz .LBB153_204
.LBB153_203:                            ;   in Loop: Header=BB153_31 Depth=1
	v_cvt_f32_u32_e32 v2, s33
	s_sub_i32 s8, 0, s33
	s_delay_alu instid0(VALU_DEP_1) | instskip(SKIP_2) | instid1(VALU_DEP_1)
	v_rcp_iflag_f32_e32 v2, v2
	s_waitcnt_depctr 0xfff
	v_mul_f32_e32 v2, 0x4f7ffffe, v2
	v_cvt_u32_f32_e32 v2, v2
	s_delay_alu instid0(VALU_DEP_1) | instskip(NEXT) | instid1(VALU_DEP_1)
	v_mul_lo_u32 v3, s8, v2
	v_mul_hi_u32 v3, v2, v3
	s_delay_alu instid0(VALU_DEP_1) | instskip(NEXT) | instid1(VALU_DEP_1)
	v_add_nc_u32_e32 v2, v2, v3
	v_mul_hi_u32 v2, s26, v2
	s_delay_alu instid0(VALU_DEP_1) | instskip(NEXT) | instid1(VALU_DEP_1)
	v_mul_lo_u32 v2, v2, s33
	v_sub_nc_u32_e32 v2, s26, v2
	s_delay_alu instid0(VALU_DEP_1) | instskip(SKIP_1) | instid1(VALU_DEP_2)
	v_subrev_nc_u32_e32 v3, s33, v2
	v_cmp_le_u32_e32 vcc_lo, s33, v2
	v_cndmask_b32_e32 v2, v2, v3, vcc_lo
	s_delay_alu instid0(VALU_DEP_1) | instskip(SKIP_1) | instid1(VALU_DEP_2)
	v_subrev_nc_u32_e32 v3, s33, v2
	v_cmp_le_u32_e32 vcc_lo, s33, v2
	v_cndmask_b32_e32 v12, v2, v3, vcc_lo
	s_delay_alu instid0(VALU_DEP_1)
	v_dual_mov_b32 v2, v12 :: v_dual_mov_b32 v3, v13
.LBB153_204:                            ;   in Loop: Header=BB153_31 Depth=1
	s_delay_alu instid0(VALU_DEP_1) | instskip(NEXT) | instid1(VALU_DEP_2)
	v_sub_co_u32 v4, vcc_lo, s26, v2
	v_sub_co_ci_u32_e32 v5, vcc_lo, s9, v3, vcc_lo
	s_mov_b32 s9, 0
	s_mov_b32 s8, exec_lo
                                        ; implicit-def: $vgpr3
	s_delay_alu instid0(VALU_DEP_1)
	v_cmpx_gt_u64_e64 v[4:5], v[0:1]
	s_cbranch_execz .LBB153_216
; %bb.205:                              ;   in Loop: Header=BB153_31 Depth=1
	v_dual_mov_b32 v12, v14 :: v_dual_mov_b32 v9, v1
	v_mov_b32_e32 v8, v0
                                        ; implicit-def: $sgpr26
	s_set_inst_prefetch_distance 0x1
	s_branch .LBB153_207
	.p2align	6
.LBB153_206:                            ;   in Loop: Header=BB153_207 Depth=2
	s_or_b32 exec_lo, exec_lo, s46
	s_waitcnt lgkmcnt(0)
	s_barrier
	buffer_gl0_inv
	ds_load_b64 v[2:3], v13 offset:3072
	v_add_co_u32 v8, vcc_lo, v8, s33
	v_add_co_ci_u32_e32 v9, vcc_lo, 0, v9, vcc_lo
	v_add_nc_u32_e32 v12, s93, v12
	s_waitcnt lgkmcnt(0)
	s_barrier
	s_delay_alu instid0(VALU_DEP_2) | instskip(SKIP_2) | instid1(VALU_DEP_1)
	v_cmp_ge_u64_e32 vcc_lo, v[8:9], v[4:5]
	buffer_gl0_inv
	v_readfirstlane_b32 s46, v2
	s_cmp_lg_u32 s46, 0
	s_cselect_b32 s46, -1, 0
	s_delay_alu instid0(SALU_CYCLE_1) | instskip(NEXT) | instid1(SALU_CYCLE_1)
	s_or_b32 s47, vcc_lo, s46
	s_and_b32 s47, exec_lo, s47
	s_delay_alu instid0(SALU_CYCLE_1) | instskip(SKIP_2) | instid1(SALU_CYCLE_1)
	s_or_b32 s9, s47, s9
	s_and_not1_b32 s26, s26, exec_lo
	s_and_b32 s46, s46, exec_lo
	s_or_b32 s26, s26, s46
	s_and_not1_b32 exec_lo, exec_lo, s9
	s_cbranch_execz .LBB153_215
.LBB153_207:                            ;   Parent Loop BB153_31 Depth=1
                                        ; =>  This Inner Loop Header: Depth=2
	s_delay_alu instid0(VALU_DEP_1)
	v_cmp_gt_u64_e32 vcc_lo, s[18:19], v[8:9]
	v_mov_b32_e32 v27, 0
	s_and_saveexec_b32 s46, vcc_lo
	s_cbranch_execz .LBB153_209
; %bb.208:                              ;   in Loop: Header=BB153_207 Depth=2
	ds_load_b32 v27, v12
.LBB153_209:                            ;   in Loop: Header=BB153_207 Depth=2
	s_or_b32 exec_lo, exec_lo, s46
	s_and_saveexec_b32 s46, vcc_lo
	s_cbranch_execz .LBB153_206
; %bb.210:                              ;   in Loop: Header=BB153_207 Depth=2
	s_waitcnt lgkmcnt(0)
	v_xor_b32_e32 v2, 0x80000000, v27
	s_delay_alu instid0(VALU_DEP_1) | instskip(NEXT) | instid1(VALU_DEP_1)
	v_and_b32_e32 v2, v2, v34
	v_cmp_eq_u32_e32 vcc_lo, v2, v33
	s_and_b32 exec_lo, exec_lo, vcc_lo
	s_cbranch_execz .LBB153_206
; %bb.211:                              ;   in Loop: Header=BB153_207 Depth=2
	ds_store_b64 v13, v[26:27] offset:3072
	s_branch .LBB153_206
.LBB153_212:                            ;   in Loop: Header=BB153_31 Depth=1
                                        ; implicit-def: $vgpr2_vgpr3
	s_branch .LBB153_157
.LBB153_213:                            ;   in Loop: Header=BB153_31 Depth=1
                                        ; implicit-def: $vgpr2_vgpr3
	s_branch .LBB153_173
.LBB153_214:                            ;   in Loop: Header=BB153_31 Depth=1
	s_mov_b32 s76, -1
	s_mov_b32 s9, 0
                                        ; implicit-def: $sgpr77
                                        ; implicit-def: $vgpr3
	s_mov_b32 s78, s76
	s_cbranch_execnz .LBB153_217
	s_branch .LBB153_230
.LBB153_215:                            ;   in Loop: Header=BB153_31 Depth=1
	s_set_inst_prefetch_distance 0x2
	s_or_b32 exec_lo, exec_lo, s9
	s_delay_alu instid0(SALU_CYCLE_1)
	s_and_b32 s9, s26, exec_lo
.LBB153_216:                            ;   in Loop: Header=BB153_31 Depth=1
	s_or_b32 exec_lo, exec_lo, s8
	s_mov_b32 s77, -1
	s_mov_b32 s76, 0
	s_delay_alu instid0(SALU_CYCLE_1)
	s_mov_b32 s78, s76
	s_branch .LBB153_230
.LBB153_217:                            ;   in Loop: Header=BB153_31 Depth=1
	s_mov_b32 s26, s61
	s_delay_alu instid0(SALU_CYCLE_1)
	s_cmp_lg_u64 s[26:27], 0
	s_cbranch_scc0 .LBB153_250
; %bb.218:                              ;   in Loop: Header=BB153_31 Depth=1
	v_cvt_f32_u32_e32 v2, s33
	s_sub_u32 s18, 0, s33
	s_subb_u32 s19, 0, 0
	s_delay_alu instid0(VALU_DEP_1) | instskip(NEXT) | instid1(VALU_DEP_1)
	v_fmac_f32_e64 v2, 0, 0x4f800000
	v_rcp_f32_e32 v2, v2
	s_waitcnt_depctr 0xfff
	v_mul_f32_e32 v2, 0x5f7ffffc, v2
	s_delay_alu instid0(VALU_DEP_1) | instskip(NEXT) | instid1(VALU_DEP_1)
	v_mul_f32_e32 v3, 0x2f800000, v2
	v_trunc_f32_e32 v3, v3
	s_delay_alu instid0(VALU_DEP_1) | instskip(SKIP_1) | instid1(VALU_DEP_2)
	v_fmac_f32_e32 v2, 0xcf800000, v3
	v_cvt_u32_f32_e32 v3, v3
	v_cvt_u32_f32_e32 v2, v2
	s_delay_alu instid0(VALU_DEP_2) | instskip(NEXT) | instid1(VALU_DEP_2)
	v_readfirstlane_b32 s8, v3
	v_readfirstlane_b32 s9, v2
	s_delay_alu instid0(VALU_DEP_2) | instskip(NEXT) | instid1(VALU_DEP_1)
	s_mul_i32 s26, s18, s8
	s_mul_hi_u32 s47, s18, s9
	s_mul_i32 s46, s19, s9
	s_add_i32 s26, s47, s26
	s_mul_i32 s56, s18, s9
	s_add_i32 s26, s26, s46
	s_mul_hi_u32 s47, s9, s56
	s_mul_hi_u32 s57, s8, s56
	s_mul_i32 s46, s8, s56
	s_mul_hi_u32 s56, s9, s26
	s_mul_i32 s9, s9, s26
	s_mul_hi_u32 s76, s8, s26
	s_add_u32 s9, s47, s9
	s_addc_u32 s47, 0, s56
	s_add_u32 s9, s9, s46
	s_mul_i32 s26, s8, s26
	s_addc_u32 s9, s47, s57
	s_addc_u32 s46, s76, 0
	s_add_u32 s9, s9, s26
	s_addc_u32 s26, 0, s46
	v_add_co_u32 v2, s9, v2, s9
	s_delay_alu instid0(VALU_DEP_1) | instskip(SKIP_1) | instid1(VALU_DEP_1)
	s_cmp_lg_u32 s9, 0
	s_addc_u32 s8, s8, s26
	v_readfirstlane_b32 s9, v2
	s_mul_i32 s26, s18, s8
	s_delay_alu instid0(VALU_DEP_1)
	s_mul_hi_u32 s46, s18, s9
	s_mul_i32 s19, s19, s9
	s_add_i32 s26, s46, s26
	s_mul_i32 s18, s18, s9
	s_add_i32 s26, s26, s19
	s_mul_hi_u32 s46, s8, s18
	s_mul_i32 s47, s8, s18
	s_mul_hi_u32 s18, s9, s18
	s_mul_hi_u32 s56, s9, s26
	s_mul_i32 s9, s9, s26
	s_mul_hi_u32 s19, s8, s26
	s_add_u32 s9, s18, s9
	s_addc_u32 s18, 0, s56
	s_add_u32 s9, s9, s47
	s_mul_i32 s26, s8, s26
	s_addc_u32 s9, s18, s46
	s_addc_u32 s18, s19, 0
	s_add_u32 s9, s9, s26
	s_addc_u32 s18, 0, s18
	v_add_co_u32 v2, s9, v2, s9
	s_delay_alu instid0(VALU_DEP_1) | instskip(SKIP_1) | instid1(VALU_DEP_1)
	s_cmp_lg_u32 s9, 0
	s_addc_u32 s8, s8, s18
	v_readfirstlane_b32 s9, v2
	s_mul_i32 s19, s87, s8
	s_mul_hi_u32 s18, s87, s8
	s_mul_hi_u32 s26, s27, s8
	s_mul_i32 s8, s27, s8
	s_mul_hi_u32 s46, s87, s9
	s_mul_hi_u32 s47, s27, s9
	s_mul_i32 s9, s27, s9
	s_add_u32 s19, s46, s19
	s_addc_u32 s18, 0, s18
	s_add_u32 s9, s19, s9
	s_addc_u32 s9, s18, s47
	s_addc_u32 s18, s26, 0
	s_add_u32 s8, s9, s8
	s_addc_u32 s9, 0, s18
	s_mul_hi_u32 s18, s33, s8
	s_mul_i32 s8, s33, s8
	s_mul_i32 s9, s33, s9
	v_sub_co_u32 v2, s8, s87, s8
	s_add_i32 s18, s18, s9
	s_cmp_lg_u32 s8, 0
	s_delay_alu instid0(VALU_DEP_1) | instskip(SKIP_3) | instid1(VALU_DEP_2)
	v_sub_co_u32 v3, s8, v2, s33
	s_subb_u32 s9, s27, s18
	s_cmp_lg_u32 s8, 0
	v_cmp_le_u32_e32 vcc_lo, s33, v2
	v_cmp_le_u32_e64 s8, s33, v3
	v_sub_co_u32 v4, s18, v3, s33
	s_subb_u32 s19, s9, 0
	s_cmp_lg_u32 s18, 0
	s_delay_alu instid0(VALU_DEP_2)
	v_cndmask_b32_e64 v5, 0, -1, s8
	s_subb_u32 s18, s19, 0
	s_cmp_eq_u32 s19, 0
	v_mov_b32_e32 v9, s18
	v_cndmask_b32_e64 v8, 0, -1, vcc_lo
	s_cselect_b32 vcc_lo, -1, 0
	s_cmp_eq_u32 s9, 0
	v_cndmask_b32_e32 v5, -1, v5, vcc_lo
	s_cselect_b32 vcc_lo, -1, 0
	v_cndmask_b32_e32 v8, -1, v8, vcc_lo
	s_delay_alu instid0(VALU_DEP_2) | instskip(NEXT) | instid1(VALU_DEP_2)
	v_cmp_ne_u32_e32 vcc_lo, 0, v5
	v_cmp_ne_u32_e64 s8, 0, v8
	v_cndmask_b32_e32 v5, s19, v9, vcc_lo
	v_cndmask_b32_e32 v4, v3, v4, vcc_lo
	s_delay_alu instid0(VALU_DEP_2) | instskip(NEXT) | instid1(VALU_DEP_2)
	v_cndmask_b32_e64 v3, s9, v5, s8
	v_cndmask_b32_e64 v2, v2, v4, s8
	s_cbranch_execnz .LBB153_220
.LBB153_219:                            ;   in Loop: Header=BB153_31 Depth=1
	v_cvt_f32_u32_e32 v2, s33
	s_sub_i32 s8, 0, s33
	s_delay_alu instid0(VALU_DEP_1) | instskip(SKIP_2) | instid1(VALU_DEP_1)
	v_rcp_iflag_f32_e32 v2, v2
	s_waitcnt_depctr 0xfff
	v_mul_f32_e32 v2, 0x4f7ffffe, v2
	v_cvt_u32_f32_e32 v2, v2
	s_delay_alu instid0(VALU_DEP_1) | instskip(NEXT) | instid1(VALU_DEP_1)
	v_mul_lo_u32 v3, s8, v2
	v_mul_hi_u32 v3, v2, v3
	s_delay_alu instid0(VALU_DEP_1) | instskip(NEXT) | instid1(VALU_DEP_1)
	v_add_nc_u32_e32 v2, v2, v3
	v_mul_hi_u32 v2, s87, v2
	s_delay_alu instid0(VALU_DEP_1) | instskip(NEXT) | instid1(VALU_DEP_1)
	v_mul_lo_u32 v2, v2, s33
	v_sub_nc_u32_e32 v2, s87, v2
	s_delay_alu instid0(VALU_DEP_1) | instskip(SKIP_1) | instid1(VALU_DEP_2)
	v_subrev_nc_u32_e32 v3, s33, v2
	v_cmp_le_u32_e32 vcc_lo, s33, v2
	v_cndmask_b32_e32 v2, v2, v3, vcc_lo
	s_delay_alu instid0(VALU_DEP_1) | instskip(SKIP_1) | instid1(VALU_DEP_2)
	v_subrev_nc_u32_e32 v3, s33, v2
	v_cmp_le_u32_e32 vcc_lo, s33, v2
	v_cndmask_b32_e32 v12, v2, v3, vcc_lo
	s_delay_alu instid0(VALU_DEP_1)
	v_dual_mov_b32 v2, v12 :: v_dual_mov_b32 v3, v13
.LBB153_220:                            ;   in Loop: Header=BB153_31 Depth=1
	s_delay_alu instid0(VALU_DEP_1) | instskip(NEXT) | instid1(VALU_DEP_2)
	v_sub_co_u32 v4, vcc_lo, s87, v2
	v_sub_co_ci_u32_e32 v5, vcc_lo, s27, v3, vcc_lo
	s_mov_b32 s9, 0
	s_mov_b32 s8, exec_lo
                                        ; implicit-def: $vgpr3
	s_delay_alu instid0(VALU_DEP_1)
	v_cmpx_gt_u64_e64 v[4:5], v[0:1]
	s_cbranch_execz .LBB153_229
; %bb.221:                              ;   in Loop: Header=BB153_31 Depth=1
	v_dual_mov_b32 v8, v24 :: v_dual_mov_b32 v9, v25
	v_dual_mov_b32 v32, v1 :: v_dual_mov_b32 v31, v0
                                        ; implicit-def: $sgpr18
	s_set_inst_prefetch_distance 0x1
	s_branch .LBB153_223
	.p2align	6
.LBB153_222:                            ;   in Loop: Header=BB153_223 Depth=2
	s_or_b32 exec_lo, exec_lo, s19
	s_waitcnt vmcnt(0) lgkmcnt(0)
	s_barrier
	buffer_gl0_inv
	ds_load_b64 v[2:3], v13 offset:3072
	v_add_co_u32 v31, vcc_lo, v31, s33
	v_add_co_ci_u32_e32 v32, vcc_lo, 0, v32, vcc_lo
	s_waitcnt lgkmcnt(0)
	s_barrier
	buffer_gl0_inv
	v_cmp_ge_u64_e32 vcc_lo, v[31:32], v[4:5]
	v_readfirstlane_b32 s19, v2
	s_delay_alu instid0(VALU_DEP_1) | instskip(SKIP_1) | instid1(SALU_CYCLE_1)
	s_cmp_lg_u32 s19, 0
	s_cselect_b32 s19, -1, 0
	s_or_b32 s26, vcc_lo, s19
	v_add_co_u32 v8, vcc_lo, v8, s34
	s_and_b32 s26, exec_lo, s26
	v_add_co_ci_u32_e32 v9, vcc_lo, s35, v9, vcc_lo
	s_or_b32 s9, s26, s9
	s_and_not1_b32 s18, s18, exec_lo
	s_and_b32 s19, s19, exec_lo
	s_delay_alu instid0(SALU_CYCLE_1)
	s_or_b32 s18, s18, s19
	s_and_not1_b32 exec_lo, exec_lo, s9
	s_cbranch_execz .LBB153_228
.LBB153_223:                            ;   Parent Loop BB153_31 Depth=1
                                        ; =>  This Inner Loop Header: Depth=2
	s_delay_alu instid0(VALU_DEP_1)
	v_cmp_gt_u64_e32 vcc_lo, s[36:37], v[31:32]
	v_mov_b32_e32 v27, 0
	s_and_saveexec_b32 s19, vcc_lo
	s_cbranch_execz .LBB153_225
; %bb.224:                              ;   in Loop: Header=BB153_223 Depth=2
	global_load_b32 v27, v[8:9], off
.LBB153_225:                            ;   in Loop: Header=BB153_223 Depth=2
	s_or_b32 exec_lo, exec_lo, s19
	s_and_saveexec_b32 s19, vcc_lo
	s_cbranch_execz .LBB153_222
; %bb.226:                              ;   in Loop: Header=BB153_223 Depth=2
	s_waitcnt vmcnt(0)
	v_xor_b32_e32 v2, 0x80000000, v27
	s_delay_alu instid0(VALU_DEP_1) | instskip(NEXT) | instid1(VALU_DEP_1)
	v_and_b32_e32 v2, v2, v34
	v_cmp_eq_u32_e32 vcc_lo, v2, v33
	s_and_b32 exec_lo, exec_lo, vcc_lo
	s_cbranch_execz .LBB153_222
; %bb.227:                              ;   in Loop: Header=BB153_223 Depth=2
	ds_store_b64 v13, v[26:27] offset:3072
	s_branch .LBB153_222
.LBB153_228:                            ;   in Loop: Header=BB153_31 Depth=1
	s_set_inst_prefetch_distance 0x2
	s_or_b32 exec_lo, exec_lo, s9
	s_delay_alu instid0(SALU_CYCLE_1)
	s_and_b32 s9, s18, exec_lo
.LBB153_229:                            ;   in Loop: Header=BB153_31 Depth=1
	s_or_b32 exec_lo, exec_lo, s8
	s_mov_b32 s78, -1
	s_mov_b32 s76, 0
	s_mov_b32 s77, 0
.LBB153_230:                            ;   in Loop: Header=BB153_31 Depth=1
	s_or_not1_b32 s8, s9, exec_lo
.LBB153_231:                            ;   in Loop: Header=BB153_31 Depth=1
	s_or_b32 exec_lo, exec_lo, s59
	s_mov_b32 s26, 0
                                        ; implicit-def: $vgpr8
	s_and_saveexec_b32 s79, s8
	s_cbranch_execz .LBB153_296
; %bb.232:                              ;   in Loop: Header=BB153_31 Depth=1
	v_mov_b32_e32 v4, 1
	v_dual_mov_b32 v5, 0 :: v_dual_mov_b32 v8, 1
	s_xor_b32 s9, s58, -1
	s_delay_alu instid0(SALU_CYCLE_1)
	s_and_saveexec_b32 s8, s9
	s_cbranch_execz .LBB153_242
; %bb.233:                              ;   in Loop: Header=BB153_31 Depth=1
	s_mov_b32 s18, exec_lo
                                        ; implicit-def: $sgpr19
                                        ; implicit-def: $sgpr9
	v_cmpx_ge_u64_e64 s[14:15], v[6:7]
	s_xor_b32 s18, exec_lo, s18
	s_cbranch_execz .LBB153_239
; %bb.234:                              ;   in Loop: Header=BB153_31 Depth=1
	ds_load_b64 v[4:5], v13 offset:5120
	s_waitcnt lgkmcnt(0)
	v_cmp_ne_u64_e32 vcc_lo, 0, v[4:5]
	s_cbranch_vccnz .LBB153_238
; %bb.235:                              ;   in Loop: Header=BB153_31 Depth=1
	s_and_saveexec_b32 s9, s5
	s_cbranch_execz .LBB153_237
; %bb.236:                              ;   in Loop: Header=BB153_31 Depth=1
	v_dual_mov_b32 v4, s14 :: v_dual_mov_b32 v5, s15
	ds_store_b64 v13, v[4:5] offset:5128
.LBB153_237:                            ;   in Loop: Header=BB153_31 Depth=1
	s_or_b32 exec_lo, exec_lo, s9
	s_waitcnt lgkmcnt(0)
	s_barrier
	buffer_gl0_inv
.LBB153_238:                            ;   in Loop: Header=BB153_31 Depth=1
	s_lshl_b32 s9, 2, s22
	v_or_b32_e32 v34, s20, v34
	v_and_or_b32 v33, v33, s21, s9
	s_mov_b32 s9, 0
	s_mov_b32 s19, 8
.LBB153_239:                            ;   in Loop: Header=BB153_31 Depth=1
	s_or_saveexec_b32 s18, s18
	v_mov_b32_e32 v8, s19
	s_xor_b32 exec_lo, exec_lo, s18
; %bb.240:                              ;   in Loop: Header=BB153_31 Depth=1
	v_sub_co_u32 v6, vcc_lo, v6, s14
	v_subrev_co_ci_u32_e32 v7, vcc_lo, s15, v7, vcc_lo
	v_mov_b32_e32 v8, 0
	s_or_b32 s9, s9, exec_lo
; %bb.241:                              ;   in Loop: Header=BB153_31 Depth=1
	s_or_b32 exec_lo, exec_lo, s18
	s_delay_alu instid0(VALU_DEP_2)
	v_dual_mov_b32 v4, v6 :: v_dual_mov_b32 v5, v7
	s_and_b32 s26, s9, exec_lo
.LBB153_242:                            ;   in Loop: Header=BB153_31 Depth=1
	s_or_b32 exec_lo, exec_lo, s8
	s_mov_b32 s19, -1
                                        ; implicit-def: $sgpr8
                                        ; implicit-def: $sgpr18
                                        ; implicit-def: $sgpr9
	s_and_saveexec_b32 s58, s26
	s_cbranch_execz .LBB153_295
; %bb.243:                              ;   in Loop: Header=BB153_31 Depth=1
	v_cmp_eq_u64_e32 vcc_lo, 1, v[4:5]
	s_cmp_eq_u64 s[16:17], 1
	s_mov_b32 s26, -1
	s_cselect_b32 s8, -1, 0
                                        ; implicit-def: $sgpr18
                                        ; implicit-def: $sgpr9
	s_delay_alu instid0(SALU_CYCLE_1) | instskip(NEXT) | instid1(SALU_CYCLE_1)
	s_and_b32 s59, s8, vcc_lo
                                        ; implicit-def: $sgpr8
	s_and_saveexec_b32 s46, s59
	s_cbranch_execz .LBB153_282
; %bb.244:                              ;   in Loop: Header=BB153_31 Depth=1
	ds_load_b64 v[2:3], v13 offset:5120
	s_waitcnt lgkmcnt(0)
	s_barrier
	buffer_gl0_inv
	v_readfirstlane_b32 s18, v2
	v_readfirstlane_b32 s19, v3
	s_and_saveexec_b32 s8, s6
	s_cbranch_execz .LBB153_246
; %bb.245:                              ;   in Loop: Header=BB153_31 Depth=1
	ds_store_b32 v46, v13
.LBB153_246:                            ;   in Loop: Header=BB153_31 Depth=1
	s_or_b32 exec_lo, exec_lo, s8
	v_or_b32_e32 v33, s20, v33
	v_or_b32_e32 v34, s20, v34
	s_cmp_eq_u64 s[18:19], 0
	s_waitcnt lgkmcnt(0)
	s_barrier
	buffer_gl0_inv
	s_cbranch_scc1 .LBB153_251
; %bb.247:                              ;   in Loop: Header=BB153_31 Depth=1
	s_add_u32 s26, s85, s18
	s_addc_u32 s9, s86, s19
	s_mov_b32 s8, s61
	s_delay_alu instid0(SALU_CYCLE_1)
	s_cmp_lg_u64 s[8:9], 0
	s_cbranch_scc0 .LBB153_252
; %bb.248:                              ;   in Loop: Header=BB153_31 Depth=1
	v_cvt_f32_u32_e32 v2, s33
	s_sub_u32 s56, 0, s33
	s_subb_u32 s57, 0, 0
	s_delay_alu instid0(VALU_DEP_1) | instskip(NEXT) | instid1(VALU_DEP_1)
	v_fmac_f32_e64 v2, 0, 0x4f800000
	v_rcp_f32_e32 v2, v2
	s_waitcnt_depctr 0xfff
	v_mul_f32_e32 v2, 0x5f7ffffc, v2
	s_delay_alu instid0(VALU_DEP_1) | instskip(NEXT) | instid1(VALU_DEP_1)
	v_mul_f32_e32 v3, 0x2f800000, v2
	v_trunc_f32_e32 v3, v3
	s_delay_alu instid0(VALU_DEP_1) | instskip(SKIP_1) | instid1(VALU_DEP_2)
	v_fmac_f32_e32 v2, 0xcf800000, v3
	v_cvt_u32_f32_e32 v3, v3
	v_cvt_u32_f32_e32 v2, v2
	s_delay_alu instid0(VALU_DEP_2) | instskip(NEXT) | instid1(VALU_DEP_2)
	v_readfirstlane_b32 s8, v3
	v_readfirstlane_b32 s47, v2
	s_delay_alu instid0(VALU_DEP_2) | instskip(NEXT) | instid1(VALU_DEP_1)
	s_mul_i32 vcc_lo, s56, s8
	s_mul_hi_u32 s42, s56, s47
	s_mul_i32 s3, s57, s47
	s_add_i32 s42, s42, vcc_lo
	s_mul_i32 s43, s56, s47
	s_add_i32 s42, s42, s3
	s_mul_hi_u32 vcc_lo, s47, s43
	s_mul_hi_u32 s50, s8, s43
	s_mul_i32 s3, s8, s43
	s_mul_hi_u32 s43, s47, s42
	s_mul_i32 s47, s47, s42
	s_mul_hi_u32 s51, s8, s42
	s_add_u32 s47, vcc_lo, s47
	s_addc_u32 s43, 0, s43
	s_add_u32 s3, s47, s3
	s_mul_i32 s42, s8, s42
	s_addc_u32 s3, s43, s50
	s_addc_u32 s43, s51, 0
	s_add_u32 s3, s3, s42
	s_addc_u32 s42, 0, s43
	v_add_co_u32 v2, s3, v2, s3
	s_delay_alu instid0(VALU_DEP_1) | instskip(SKIP_1) | instid1(VALU_DEP_1)
	s_cmp_lg_u32 s3, 0
	s_addc_u32 s8, s8, s42
	v_readfirstlane_b32 s3, v2
	s_mul_i32 s42, s56, s8
	s_delay_alu instid0(VALU_DEP_1)
	s_mul_hi_u32 s43, s56, s3
	s_mul_i32 s57, s57, s3
	s_add_i32 s42, s43, s42
	s_mul_i32 s56, s56, s3
	s_add_i32 s42, s42, s57
	s_mul_hi_u32 s43, s8, s56
	s_mul_i32 s47, s8, s56
	s_mul_hi_u32 s50, s3, s56
	s_mul_hi_u32 s56, s3, s42
	s_mul_i32 s3, s3, s42
	s_mul_hi_u32 s51, s8, s42
	s_add_u32 s3, s50, s3
	s_addc_u32 s50, 0, s56
	s_add_u32 s3, s3, s47
	s_mul_i32 s42, s8, s42
	s_addc_u32 s3, s50, s43
	s_addc_u32 s43, s51, 0
	s_add_u32 s3, s3, s42
	s_addc_u32 s42, 0, s43
	v_add_co_u32 v2, s3, v2, s3
	s_delay_alu instid0(VALU_DEP_1) | instskip(SKIP_1) | instid1(VALU_DEP_1)
	s_cmp_lg_u32 s3, 0
	s_addc_u32 s3, s8, s42
	v_readfirstlane_b32 s8, v2
	s_mul_i32 s43, s26, s3
	s_mul_hi_u32 s42, s26, s3
	s_mul_hi_u32 s47, s9, s3
	s_mul_i32 s3, s9, s3
	s_mul_hi_u32 s50, s26, s8
	s_mul_hi_u32 s51, s9, s8
	s_mul_i32 s8, s9, s8
	s_add_u32 s43, s50, s43
	s_addc_u32 s42, 0, s42
	s_add_u32 s8, s43, s8
	s_addc_u32 s8, s42, s51
	s_addc_u32 s42, s47, 0
	s_add_u32 s3, s8, s3
	s_addc_u32 s8, 0, s42
	s_mul_hi_u32 s42, s33, s3
	s_mul_i32 s3, s33, s3
	s_mul_i32 s8, s33, s8
	v_sub_co_u32 v2, s3, s26, s3
	s_add_i32 s42, s42, s8
	s_cmp_lg_u32 s3, 0
	s_delay_alu instid0(VALU_DEP_1) | instskip(SKIP_3) | instid1(VALU_DEP_2)
	v_sub_co_u32 v3, s3, v2, s33
	s_subb_u32 s42, s9, s42
	s_cmp_lg_u32 s3, 0
	v_cmp_le_u32_e32 vcc_lo, s33, v2
	v_cmp_le_u32_e64 s8, s33, v3
	v_sub_co_u32 v6, s3, v3, s33
	s_subb_u32 s43, s42, 0
	s_cmp_lg_u32 s3, 0
	s_delay_alu instid0(VALU_DEP_2)
	v_cndmask_b32_e64 v7, 0, -1, s8
	s_subb_u32 s3, s43, 0
	s_cmp_eq_u32 s43, 0
	v_mov_b32_e32 v9, s3
	v_cndmask_b32_e64 v8, 0, -1, vcc_lo
	s_cselect_b32 vcc_lo, -1, 0
	s_cmp_eq_u32 s42, 0
	v_cndmask_b32_e32 v7, -1, v7, vcc_lo
	s_cselect_b32 vcc_lo, -1, 0
	v_cndmask_b32_e32 v8, -1, v8, vcc_lo
	s_delay_alu instid0(VALU_DEP_2) | instskip(NEXT) | instid1(VALU_DEP_2)
	v_cmp_ne_u32_e32 vcc_lo, 0, v7
	v_cmp_ne_u32_e64 s8, 0, v8
	v_cndmask_b32_e32 v7, s43, v9, vcc_lo
	v_cndmask_b32_e32 v6, v3, v6, vcc_lo
	s_delay_alu instid0(VALU_DEP_2) | instskip(NEXT) | instid1(VALU_DEP_2)
	v_cndmask_b32_e64 v3, s42, v7, s8
	v_cndmask_b32_e64 v2, v2, v6, s8
	s_mov_b32 s8, 0
	s_branch .LBB153_253
.LBB153_249:                            ;   in Loop: Header=BB153_31 Depth=1
                                        ; implicit-def: $vgpr2_vgpr3
	s_branch .LBB153_203
.LBB153_250:                            ;   in Loop: Header=BB153_31 Depth=1
                                        ; implicit-def: $vgpr2_vgpr3
	s_branch .LBB153_219
.LBB153_251:                            ;   in Loop: Header=BB153_31 Depth=1
	s_mov_b32 s8, -1
	s_mov_b32 s26, 0
                                        ; implicit-def: $sgpr9
                                        ; implicit-def: $vgpr3
	s_branch .LBB153_265
.LBB153_252:                            ;   in Loop: Header=BB153_31 Depth=1
	s_mov_b32 s8, -1
                                        ; implicit-def: $vgpr2_vgpr3
.LBB153_253:                            ;   in Loop: Header=BB153_31 Depth=1
	s_delay_alu instid0(SALU_CYCLE_1)
	s_and_not1_b32 vcc_lo, exec_lo, s8
	s_cbranch_vccnz .LBB153_255
; %bb.254:                              ;   in Loop: Header=BB153_31 Depth=1
	v_cvt_f32_u32_e32 v2, s33
	s_sub_i32 s8, 0, s33
	s_delay_alu instid0(VALU_DEP_1) | instskip(SKIP_2) | instid1(VALU_DEP_1)
	v_rcp_iflag_f32_e32 v2, v2
	s_waitcnt_depctr 0xfff
	v_mul_f32_e32 v2, 0x4f7ffffe, v2
	v_cvt_u32_f32_e32 v2, v2
	s_delay_alu instid0(VALU_DEP_1) | instskip(NEXT) | instid1(VALU_DEP_1)
	v_mul_lo_u32 v3, s8, v2
	v_mul_hi_u32 v3, v2, v3
	s_delay_alu instid0(VALU_DEP_1) | instskip(NEXT) | instid1(VALU_DEP_1)
	v_add_nc_u32_e32 v2, v2, v3
	v_mul_hi_u32 v2, s26, v2
	s_delay_alu instid0(VALU_DEP_1) | instskip(NEXT) | instid1(VALU_DEP_1)
	v_mul_lo_u32 v2, v2, s33
	v_sub_nc_u32_e32 v2, s26, v2
	s_delay_alu instid0(VALU_DEP_1) | instskip(SKIP_1) | instid1(VALU_DEP_2)
	v_subrev_nc_u32_e32 v3, s33, v2
	v_cmp_le_u32_e32 vcc_lo, s33, v2
	v_cndmask_b32_e32 v2, v2, v3, vcc_lo
	s_delay_alu instid0(VALU_DEP_1) | instskip(SKIP_1) | instid1(VALU_DEP_2)
	v_subrev_nc_u32_e32 v3, s33, v2
	v_cmp_le_u32_e32 vcc_lo, s33, v2
	v_cndmask_b32_e32 v12, v2, v3, vcc_lo
	s_delay_alu instid0(VALU_DEP_1)
	v_dual_mov_b32 v2, v12 :: v_dual_mov_b32 v3, v13
.LBB153_255:                            ;   in Loop: Header=BB153_31 Depth=1
	s_delay_alu instid0(VALU_DEP_1) | instskip(NEXT) | instid1(VALU_DEP_2)
	v_sub_co_u32 v6, vcc_lo, s26, v2
	v_sub_co_ci_u32_e32 v7, vcc_lo, s9, v3, vcc_lo
	s_mov_b32 s26, 0
	s_mov_b32 s8, exec_lo
                                        ; implicit-def: $vgpr3
	s_delay_alu instid0(VALU_DEP_1)
	v_cmpx_gt_u64_e64 v[6:7], v[0:1]
	s_cbranch_execz .LBB153_264
; %bb.256:                              ;   in Loop: Header=BB153_31 Depth=1
	v_dual_mov_b32 v12, v14 :: v_dual_mov_b32 v9, v1
	v_mov_b32_e32 v8, v0
	s_mov_b32 s9, 0
                                        ; implicit-def: $sgpr26
	s_set_inst_prefetch_distance 0x1
	s_branch .LBB153_258
	.p2align	6
.LBB153_257:                            ;   in Loop: Header=BB153_258 Depth=2
	s_or_b32 exec_lo, exec_lo, s47
	s_waitcnt lgkmcnt(0)
	s_barrier
	buffer_gl0_inv
	ds_load_b64 v[2:3], v13 offset:3072
	v_add_co_u32 v8, vcc_lo, v8, s33
	v_add_co_ci_u32_e32 v9, vcc_lo, 0, v9, vcc_lo
	v_add_nc_u32_e32 v12, s93, v12
	s_waitcnt lgkmcnt(0)
	s_barrier
	s_delay_alu instid0(VALU_DEP_2) | instskip(SKIP_2) | instid1(VALU_DEP_1)
	v_cmp_ge_u64_e32 vcc_lo, v[8:9], v[6:7]
	buffer_gl0_inv
	v_readfirstlane_b32 s3, v2
	s_cmp_lg_u32 s3, 0
	s_cselect_b32 s3, -1, 0
	s_delay_alu instid0(SALU_CYCLE_1) | instskip(NEXT) | instid1(SALU_CYCLE_1)
	s_or_b32 s42, vcc_lo, s3
	s_and_b32 s42, exec_lo, s42
	s_delay_alu instid0(SALU_CYCLE_1) | instskip(SKIP_2) | instid1(SALU_CYCLE_1)
	s_or_b32 s9, s42, s9
	s_and_not1_b32 s26, s26, exec_lo
	s_and_b32 s3, s3, exec_lo
	s_or_b32 s26, s26, s3
	s_and_not1_b32 exec_lo, exec_lo, s9
	s_cbranch_execz .LBB153_263
.LBB153_258:                            ;   Parent Loop BB153_31 Depth=1
                                        ; =>  This Inner Loop Header: Depth=2
	s_delay_alu instid0(VALU_DEP_1)
	v_cmp_gt_u64_e32 vcc_lo, s[18:19], v[8:9]
	v_mov_b32_e32 v27, 0
	s_and_saveexec_b32 s47, vcc_lo
	s_cbranch_execz .LBB153_260
; %bb.259:                              ;   in Loop: Header=BB153_258 Depth=2
	ds_load_b32 v27, v12
.LBB153_260:                            ;   in Loop: Header=BB153_258 Depth=2
	s_or_b32 exec_lo, exec_lo, s47
	s_and_saveexec_b32 s47, vcc_lo
	s_cbranch_execz .LBB153_257
; %bb.261:                              ;   in Loop: Header=BB153_258 Depth=2
	s_waitcnt lgkmcnt(0)
	v_xor_b32_e32 v2, 0x80000000, v27
	s_delay_alu instid0(VALU_DEP_1) | instskip(NEXT) | instid1(VALU_DEP_1)
	v_and_b32_e32 v2, v2, v34
	v_cmp_eq_u32_e32 vcc_lo, v2, v33
	s_and_b32 exec_lo, exec_lo, vcc_lo
	s_cbranch_execz .LBB153_257
; %bb.262:                              ;   in Loop: Header=BB153_258 Depth=2
	ds_store_b64 v13, v[26:27] offset:3072
	s_branch .LBB153_257
.LBB153_263:                            ;   in Loop: Header=BB153_31 Depth=1
	s_set_inst_prefetch_distance 0x2
	s_or_b32 exec_lo, exec_lo, s9
	s_delay_alu instid0(SALU_CYCLE_1)
	s_and_b32 s26, s26, exec_lo
.LBB153_264:                            ;   in Loop: Header=BB153_31 Depth=1
	s_or_b32 exec_lo, exec_lo, s8
	s_mov_b32 s9, -1
	s_mov_b32 s8, 0
.LBB153_265:                            ;   in Loop: Header=BB153_31 Depth=1
	s_delay_alu instid0(SALU_CYCLE_1)
	s_and_b32 vcc_lo, exec_lo, s8
	s_mov_b32 s18, s8
	s_cbranch_vccz .LBB153_281
; %bb.266:                              ;   in Loop: Header=BB153_31 Depth=1
	s_mov_b32 s26, s61
	s_delay_alu instid0(SALU_CYCLE_1)
	s_cmp_lg_u64 s[26:27], 0
	s_cbranch_scc0 .LBB153_268
; %bb.267:                              ;   in Loop: Header=BB153_31 Depth=1
	v_cvt_f32_u32_e32 v2, s33
	s_sub_u32 s9, 0, s33
	s_subb_u32 s18, 0, 0
	s_delay_alu instid0(VALU_DEP_1) | instskip(NEXT) | instid1(VALU_DEP_1)
	v_fmac_f32_e64 v2, 0, 0x4f800000
	v_rcp_f32_e32 v2, v2
	s_waitcnt_depctr 0xfff
	v_mul_f32_e32 v2, 0x5f7ffffc, v2
	s_delay_alu instid0(VALU_DEP_1) | instskip(NEXT) | instid1(VALU_DEP_1)
	v_mul_f32_e32 v3, 0x2f800000, v2
	v_trunc_f32_e32 v3, v3
	s_delay_alu instid0(VALU_DEP_1) | instskip(SKIP_1) | instid1(VALU_DEP_2)
	v_fmac_f32_e32 v2, 0xcf800000, v3
	v_cvt_u32_f32_e32 v3, v3
	v_cvt_u32_f32_e32 v2, v2
	s_delay_alu instid0(VALU_DEP_2) | instskip(NEXT) | instid1(VALU_DEP_2)
	v_readfirstlane_b32 s3, v3
	v_readfirstlane_b32 s8, v2
	s_delay_alu instid0(VALU_DEP_2) | instskip(NEXT) | instid1(VALU_DEP_1)
	s_mul_i32 s19, s9, s3
	s_mul_hi_u32 s42, s9, s8
	s_mul_i32 s26, s18, s8
	s_add_i32 s19, s42, s19
	s_mul_i32 s43, s9, s8
	s_add_i32 s19, s19, s26
	s_mul_hi_u32 s42, s8, s43
	s_mul_hi_u32 s47, s3, s43
	s_mul_i32 s26, s3, s43
	s_mul_hi_u32 s43, s8, s19
	s_mul_i32 s8, s8, s19
	s_mul_hi_u32 s50, s3, s19
	s_add_u32 s8, s42, s8
	s_addc_u32 s42, 0, s43
	s_add_u32 s8, s8, s26
	s_mul_i32 s19, s3, s19
	s_addc_u32 s8, s42, s47
	s_addc_u32 s26, s50, 0
	s_add_u32 s8, s8, s19
	s_addc_u32 s19, 0, s26
	v_add_co_u32 v2, s8, v2, s8
	s_delay_alu instid0(VALU_DEP_1) | instskip(SKIP_1) | instid1(VALU_DEP_1)
	s_cmp_lg_u32 s8, 0
	s_addc_u32 s3, s3, s19
	v_readfirstlane_b32 s8, v2
	s_mul_i32 s19, s9, s3
	s_delay_alu instid0(VALU_DEP_1)
	s_mul_hi_u32 s26, s9, s8
	s_mul_i32 s18, s18, s8
	s_add_i32 s19, s26, s19
	s_mul_i32 s9, s9, s8
	s_add_i32 s19, s19, s18
	s_mul_hi_u32 s26, s3, s9
	s_mul_i32 s42, s3, s9
	s_mul_hi_u32 s9, s8, s9
	s_mul_hi_u32 s43, s8, s19
	s_mul_i32 s8, s8, s19
	s_mul_hi_u32 s18, s3, s19
	s_add_u32 s8, s9, s8
	s_addc_u32 s9, 0, s43
	s_add_u32 s8, s8, s42
	s_mul_i32 s19, s3, s19
	s_addc_u32 s8, s9, s26
	s_addc_u32 s9, s18, 0
	s_add_u32 s8, s8, s19
	s_addc_u32 s9, 0, s9
	v_add_co_u32 v2, s8, v2, s8
	s_delay_alu instid0(VALU_DEP_1) | instskip(SKIP_1) | instid1(VALU_DEP_1)
	s_cmp_lg_u32 s8, 0
	s_addc_u32 s3, s3, s9
	v_readfirstlane_b32 s8, v2
	s_mul_i32 s18, s87, s3
	s_mul_hi_u32 s9, s87, s3
	s_mul_hi_u32 s19, s27, s3
	s_mul_i32 s3, s27, s3
	s_mul_hi_u32 s26, s87, s8
	s_mul_hi_u32 s42, s27, s8
	s_mul_i32 s8, s27, s8
	s_add_u32 s18, s26, s18
	s_addc_u32 s9, 0, s9
	s_add_u32 s8, s18, s8
	s_addc_u32 s8, s9, s42
	s_addc_u32 s9, s19, 0
	s_add_u32 s3, s8, s3
	s_addc_u32 s8, 0, s9
	s_mul_hi_u32 s9, s33, s3
	s_mul_i32 s3, s33, s3
	s_mul_i32 s8, s33, s8
	v_sub_co_u32 v2, s3, s87, s3
	s_add_i32 s9, s9, s8
	s_cmp_lg_u32 s3, 0
	s_delay_alu instid0(VALU_DEP_1) | instskip(SKIP_3) | instid1(VALU_DEP_2)
	v_sub_co_u32 v3, s3, v2, s33
	s_subb_u32 s9, s27, s9
	s_cmp_lg_u32 s3, 0
	v_cmp_le_u32_e32 vcc_lo, s33, v2
	v_cmp_le_u32_e64 s8, s33, v3
	v_sub_co_u32 v6, s3, v3, s33
	s_subb_u32 s18, s9, 0
	s_cmp_lg_u32 s3, 0
	s_delay_alu instid0(VALU_DEP_2)
	v_cndmask_b32_e64 v7, 0, -1, s8
	s_subb_u32 s3, s18, 0
	s_cmp_eq_u32 s18, 0
	v_mov_b32_e32 v9, s3
	v_cndmask_b32_e64 v8, 0, -1, vcc_lo
	s_cselect_b32 vcc_lo, -1, 0
	s_cmp_eq_u32 s9, 0
	v_cndmask_b32_e32 v7, -1, v7, vcc_lo
	s_cselect_b32 vcc_lo, -1, 0
	v_cndmask_b32_e32 v8, -1, v8, vcc_lo
	s_delay_alu instid0(VALU_DEP_2) | instskip(NEXT) | instid1(VALU_DEP_2)
	v_cmp_ne_u32_e32 vcc_lo, 0, v7
	v_cmp_ne_u32_e64 s8, 0, v8
	v_cndmask_b32_e32 v7, s18, v9, vcc_lo
	v_cndmask_b32_e32 v6, v3, v6, vcc_lo
	s_delay_alu instid0(VALU_DEP_2) | instskip(NEXT) | instid1(VALU_DEP_2)
	v_cndmask_b32_e64 v3, s9, v7, s8
	v_cndmask_b32_e64 v2, v2, v6, s8
	s_mov_b32 s8, 0
	s_branch .LBB153_269
.LBB153_268:                            ;   in Loop: Header=BB153_31 Depth=1
	s_mov_b32 s8, -1
                                        ; implicit-def: $vgpr2_vgpr3
.LBB153_269:                            ;   in Loop: Header=BB153_31 Depth=1
	s_delay_alu instid0(SALU_CYCLE_1)
	s_and_not1_b32 vcc_lo, exec_lo, s8
	s_cbranch_vccnz .LBB153_271
; %bb.270:                              ;   in Loop: Header=BB153_31 Depth=1
	v_cvt_f32_u32_e32 v2, s33
	s_sub_i32 s3, 0, s33
	s_delay_alu instid0(VALU_DEP_1) | instskip(SKIP_2) | instid1(VALU_DEP_1)
	v_rcp_iflag_f32_e32 v2, v2
	s_waitcnt_depctr 0xfff
	v_mul_f32_e32 v2, 0x4f7ffffe, v2
	v_cvt_u32_f32_e32 v2, v2
	s_delay_alu instid0(VALU_DEP_1) | instskip(NEXT) | instid1(VALU_DEP_1)
	v_mul_lo_u32 v3, s3, v2
	v_mul_hi_u32 v3, v2, v3
	s_delay_alu instid0(VALU_DEP_1) | instskip(NEXT) | instid1(VALU_DEP_1)
	v_add_nc_u32_e32 v2, v2, v3
	v_mul_hi_u32 v2, s87, v2
	s_delay_alu instid0(VALU_DEP_1) | instskip(NEXT) | instid1(VALU_DEP_1)
	v_mul_lo_u32 v2, v2, s33
	v_sub_nc_u32_e32 v2, s87, v2
	s_delay_alu instid0(VALU_DEP_1) | instskip(SKIP_1) | instid1(VALU_DEP_2)
	v_subrev_nc_u32_e32 v3, s33, v2
	v_cmp_le_u32_e32 vcc_lo, s33, v2
	v_cndmask_b32_e32 v2, v2, v3, vcc_lo
	s_delay_alu instid0(VALU_DEP_1) | instskip(SKIP_1) | instid1(VALU_DEP_2)
	v_subrev_nc_u32_e32 v3, s33, v2
	v_cmp_le_u32_e32 vcc_lo, s33, v2
	v_cndmask_b32_e32 v12, v2, v3, vcc_lo
	s_delay_alu instid0(VALU_DEP_1)
	v_dual_mov_b32 v2, v12 :: v_dual_mov_b32 v3, v13
.LBB153_271:                            ;   in Loop: Header=BB153_31 Depth=1
	s_delay_alu instid0(VALU_DEP_1) | instskip(NEXT) | instid1(VALU_DEP_2)
	v_sub_co_u32 v6, vcc_lo, s87, v2
	v_sub_co_ci_u32_e32 v7, vcc_lo, s27, v3, vcc_lo
	s_mov_b32 s26, 0
	s_mov_b32 s8, exec_lo
                                        ; implicit-def: $vgpr3
	s_delay_alu instid0(VALU_DEP_1)
	v_cmpx_gt_u64_e64 v[6:7], v[0:1]
	s_cbranch_execz .LBB153_280
; %bb.272:                              ;   in Loop: Header=BB153_31 Depth=1
	v_dual_mov_b32 v8, v24 :: v_dual_mov_b32 v9, v25
	v_dual_mov_b32 v32, v1 :: v_dual_mov_b32 v31, v0
	s_mov_b32 s9, 0
                                        ; implicit-def: $sgpr18
	s_set_inst_prefetch_distance 0x1
	s_branch .LBB153_274
	.p2align	6
.LBB153_273:                            ;   in Loop: Header=BB153_274 Depth=2
	s_or_b32 exec_lo, exec_lo, s19
	s_waitcnt vmcnt(0) lgkmcnt(0)
	s_barrier
	buffer_gl0_inv
	ds_load_b64 v[2:3], v13 offset:3072
	v_add_co_u32 v31, vcc_lo, v31, s33
	v_add_co_ci_u32_e32 v32, vcc_lo, 0, v32, vcc_lo
	s_waitcnt lgkmcnt(0)
	s_barrier
	buffer_gl0_inv
	v_cmp_ge_u64_e32 vcc_lo, v[31:32], v[6:7]
	v_readfirstlane_b32 s3, v2
	s_delay_alu instid0(VALU_DEP_1) | instskip(SKIP_1) | instid1(SALU_CYCLE_1)
	s_cmp_lg_u32 s3, 0
	s_cselect_b32 s3, -1, 0
	s_or_b32 s19, vcc_lo, s3
	v_add_co_u32 v8, vcc_lo, v8, s34
	s_and_b32 s19, exec_lo, s19
	v_add_co_ci_u32_e32 v9, vcc_lo, s35, v9, vcc_lo
	s_or_b32 s9, s19, s9
	s_and_not1_b32 s18, s18, exec_lo
	s_and_b32 s3, s3, exec_lo
	s_delay_alu instid0(SALU_CYCLE_1)
	s_or_b32 s18, s18, s3
	s_and_not1_b32 exec_lo, exec_lo, s9
	s_cbranch_execz .LBB153_279
.LBB153_274:                            ;   Parent Loop BB153_31 Depth=1
                                        ; =>  This Inner Loop Header: Depth=2
	s_delay_alu instid0(VALU_DEP_1)
	v_cmp_gt_u64_e32 vcc_lo, s[36:37], v[31:32]
	v_mov_b32_e32 v27, 0
	s_and_saveexec_b32 s19, vcc_lo
	s_cbranch_execz .LBB153_276
; %bb.275:                              ;   in Loop: Header=BB153_274 Depth=2
	global_load_b32 v27, v[8:9], off
.LBB153_276:                            ;   in Loop: Header=BB153_274 Depth=2
	s_or_b32 exec_lo, exec_lo, s19
	s_and_saveexec_b32 s19, vcc_lo
	s_cbranch_execz .LBB153_273
; %bb.277:                              ;   in Loop: Header=BB153_274 Depth=2
	s_waitcnt vmcnt(0)
	v_xor_b32_e32 v2, 0x80000000, v27
	s_delay_alu instid0(VALU_DEP_1) | instskip(NEXT) | instid1(VALU_DEP_1)
	v_and_b32_e32 v2, v2, v34
	v_cmp_eq_u32_e32 vcc_lo, v2, v33
	s_and_b32 exec_lo, exec_lo, vcc_lo
	s_cbranch_execz .LBB153_273
; %bb.278:                              ;   in Loop: Header=BB153_274 Depth=2
	ds_store_b64 v13, v[26:27] offset:3072
	s_branch .LBB153_273
.LBB153_279:                            ;   in Loop: Header=BB153_31 Depth=1
	s_set_inst_prefetch_distance 0x2
	s_or_b32 exec_lo, exec_lo, s9
	s_delay_alu instid0(SALU_CYCLE_1)
	s_and_b32 s26, s18, exec_lo
.LBB153_280:                            ;   in Loop: Header=BB153_31 Depth=1
	s_or_b32 exec_lo, exec_lo, s8
	s_mov_b32 s18, -1
	s_mov_b32 s8, 0
	s_mov_b32 s9, 0
.LBB153_281:                            ;   in Loop: Header=BB153_31 Depth=1
	s_or_not1_b32 s26, s26, exec_lo
.LBB153_282:                            ;   in Loop: Header=BB153_31 Depth=1
	s_or_b32 exec_lo, exec_lo, s46
	s_mov_b32 s46, 0
                                        ; implicit-def: $vgpr8
                                        ; implicit-def: $vgpr6_vgpr7
	s_and_saveexec_b32 s19, s26
	s_cbranch_execz .LBB153_294
; %bb.283:                              ;   in Loop: Header=BB153_31 Depth=1
	v_mov_b32_e32 v6, 1
	v_dual_mov_b32 v7, 0 :: v_dual_mov_b32 v8, 1
	s_xor_b32 s3, s59, -1
	s_delay_alu instid0(SALU_CYCLE_1)
	s_and_saveexec_b32 s26, s3
	s_cbranch_execz .LBB153_293
; %bb.284:                              ;   in Loop: Header=BB153_31 Depth=1
                                        ; implicit-def: $sgpr47
	s_mov_b32 s3, exec_lo
	v_cmpx_ge_u64_e64 s[16:17], v[4:5]
	s_xor_b32 s46, exec_lo, s3
	s_cbranch_execz .LBB153_290
; %bb.285:                              ;   in Loop: Header=BB153_31 Depth=1
	ds_load_b64 v[6:7], v13 offset:5120
	s_waitcnt lgkmcnt(0)
	v_cmp_ne_u64_e32 vcc_lo, 0, v[6:7]
	s_cbranch_vccnz .LBB153_289
; %bb.286:                              ;   in Loop: Header=BB153_31 Depth=1
	s_and_saveexec_b32 s47, s5
	s_cbranch_execz .LBB153_288
; %bb.287:                              ;   in Loop: Header=BB153_31 Depth=1
	v_dual_mov_b32 v6, s16 :: v_dual_mov_b32 v7, s17
	ds_store_b64 v13, v[6:7] offset:5128
.LBB153_288:                            ;   in Loop: Header=BB153_31 Depth=1
	s_or_b32 exec_lo, exec_lo, s47
	s_waitcnt lgkmcnt(0)
	s_barrier
	buffer_gl0_inv
.LBB153_289:                            ;   in Loop: Header=BB153_31 Depth=1
	v_or_b32_e32 v33, s20, v33
	v_or_b32_e32 v34, s20, v34
	s_mov_b32 s47, 8
.LBB153_290:                            ;   in Loop: Header=BB153_31 Depth=1
	s_or_saveexec_b32 s46, s46
	v_mov_b32_e32 v8, s47
	s_xor_b32 exec_lo, exec_lo, s46
; %bb.291:                              ;   in Loop: Header=BB153_31 Depth=1
	v_sub_co_u32 v4, vcc_lo, v4, s16
	v_subrev_co_ci_u32_e32 v5, vcc_lo, s17, v5, vcc_lo
	v_mov_b32_e32 v8, 8
; %bb.292:                              ;   in Loop: Header=BB153_31 Depth=1
	s_or_b32 exec_lo, exec_lo, s46
	s_delay_alu instid0(VALU_DEP_2)
	v_dual_mov_b32 v7, v5 :: v_dual_mov_b32 v6, v4
.LBB153_293:                            ;   in Loop: Header=BB153_31 Depth=1
	s_or_b32 exec_lo, exec_lo, s26
	s_delay_alu instid0(SALU_CYCLE_1)
	s_mov_b32 s46, exec_lo
.LBB153_294:                            ;   in Loop: Header=BB153_31 Depth=1
	s_or_b32 exec_lo, exec_lo, s19
	s_delay_alu instid0(VALU_DEP_1)
	v_dual_mov_b32 v4, v6 :: v_dual_mov_b32 v5, v7
	s_or_not1_b32 s19, s46, exec_lo
.LBB153_295:                            ;   in Loop: Header=BB153_31 Depth=1
	s_or_b32 exec_lo, exec_lo, s58
	s_delay_alu instid0(SALU_CYCLE_1)
	s_and_not1_b32 s26, s76, exec_lo
	s_and_b32 s8, s8, exec_lo
	v_dual_mov_b32 v7, v5 :: v_dual_mov_b32 v6, v4
	s_or_b32 s76, s26, s8
	s_and_not1_b32 s8, s78, exec_lo
	s_and_b32 s18, s18, exec_lo
	s_and_not1_b32 s26, s77, exec_lo
	s_and_b32 s9, s9, exec_lo
	s_or_b32 s78, s8, s18
	s_or_b32 s77, s26, s9
	s_and_b32 s26, s19, exec_lo
.LBB153_296:                            ;   in Loop: Header=BB153_31 Depth=1
	s_or_b32 exec_lo, exec_lo, s79
	s_delay_alu instid0(SALU_CYCLE_1)
	s_and_b32 s19, s76, exec_lo
	s_and_b32 s18, s78, exec_lo
	;; [unrolled: 1-line block ×3, first 2 shown]
	s_or_not1_b32 s8, s26, exec_lo
.LBB153_297:                            ;   in Loop: Header=BB153_31 Depth=1
	s_or_b32 exec_lo, exec_lo, s75
	s_delay_alu instid0(SALU_CYCLE_1)
	s_and_not1_b32 s25, s25, exec_lo
	s_and_b32 s19, s19, exec_lo
	v_dual_mov_b32 v4, v6 :: v_dual_mov_b32 v5, v7
	s_or_b32 s25, s25, s19
	s_and_not1_b32 s19, s73, exec_lo
	s_and_b32 s18, s18, exec_lo
	s_and_not1_b32 s26, s72, exec_lo
	s_and_b32 s9, s9, exec_lo
	s_or_b32 s73, s19, s18
	s_or_b32 s72, s26, s9
	s_and_b32 s26, s8, exec_lo
.LBB153_298:                            ;   in Loop: Header=BB153_31 Depth=1
	s_or_b32 exec_lo, exec_lo, s74
	s_delay_alu instid0(SALU_CYCLE_1)
	s_and_b32 s19, s25, exec_lo
	s_and_b32 s18, s73, exec_lo
	;; [unrolled: 1-line block ×3, first 2 shown]
	s_or_not1_b32 s25, s26, exec_lo
.LBB153_299:                            ;   in Loop: Header=BB153_31 Depth=1
	s_or_b32 exec_lo, exec_lo, s24
	s_mov_b32 s8, 0
	s_mov_b32 s24, 0
	s_and_saveexec_b32 s26, s25
	s_delay_alu instid0(SALU_CYCLE_1)
	s_xor_b32 s25, exec_lo, s26
; %bb.300:                              ;   in Loop: Header=BB153_31 Depth=1
	v_cmp_ne_u32_e32 vcc_lo, 8, v8
	v_cmp_eq_u32_e64 s8, 8, v8
	s_and_not1_b32 s19, s19, exec_lo
	s_and_not1_b32 s18, s18, exec_lo
	;; [unrolled: 1-line block ×3, first 2 shown]
	s_and_b32 s24, vcc_lo, exec_lo
	s_and_b32 s8, s8, exec_lo
; %bb.301:                              ;   in Loop: Header=BB153_31 Depth=1
	s_or_b32 exec_lo, exec_lo, s25
	s_delay_alu instid0(SALU_CYCLE_1)
	s_and_not1_b32 s23, s23, exec_lo
	s_and_b32 s19, s19, exec_lo
	s_and_b32 s18, s18, exec_lo
	s_or_b32 s23, s23, s19
	s_and_not1_b32 s19, s60, exec_lo
	s_and_not1_b32 s25, s55, exec_lo
	s_and_b32 s9, s9, exec_lo
	s_or_b32 s60, s19, s18
	s_or_b32 s55, s25, s9
	s_and_b32 s24, s24, exec_lo
	s_and_b32 s25, s8, exec_lo
.LBB153_302:                            ;   in Loop: Header=BB153_31 Depth=1
	s_or_b32 exec_lo, exec_lo, s71
	s_delay_alu instid0(SALU_CYCLE_1)
	s_and_b32 vcc_lo, exec_lo, s70
	s_cbranch_vccz .LBB153_121
.LBB153_303:                            ;   in Loop: Header=BB153_31 Depth=1
	s_cmp_eq_u64 s[16:17], 1
                                        ; implicit-def: $sgpr18
                                        ; implicit-def: $sgpr19
                                        ; implicit-def: $sgpr23
	s_cselect_b32 s8, -1, 0
	s_delay_alu instid0(SALU_CYCLE_1)
	s_and_b32 s58, s8, s7
	s_mov_b32 s7, -1
	s_and_saveexec_b32 s46, s58
	s_cbranch_execz .LBB153_335
; %bb.304:                              ;   in Loop: Header=BB153_31 Depth=1
	ds_load_b64 v[2:3], v13 offset:5120
	s_waitcnt lgkmcnt(0)
	s_barrier
	buffer_gl0_inv
	v_readfirstlane_b32 s8, v2
	v_readfirstlane_b32 s9, v3
	s_and_saveexec_b32 s7, s6
	s_cbranch_execz .LBB153_306
; %bb.305:                              ;   in Loop: Header=BB153_31 Depth=1
	ds_store_b32 v46, v13
.LBB153_306:                            ;   in Loop: Header=BB153_31 Depth=1
	s_or_b32 exec_lo, exec_lo, s7
	v_or_b32_e32 v50, s20, v50
	v_or_b32_e32 v49, s20, v49
	s_cmp_eq_u64 s[8:9], 0
	s_waitcnt lgkmcnt(0)
	s_barrier
	buffer_gl0_inv
	s_cbranch_scc1 .LBB153_318
; %bb.307:                              ;   in Loop: Header=BB153_31 Depth=1
	s_add_u32 s23, s85, s8
	s_addc_u32 s19, s86, s9
	s_mov_b32 s18, s61
	s_delay_alu instid0(SALU_CYCLE_1)
	s_cmp_lg_u64 s[18:19], 0
	s_cbranch_scc0 .LBB153_362
; %bb.308:                              ;   in Loop: Header=BB153_31 Depth=1
	v_cvt_f32_u32_e32 v2, s33
	s_sub_u32 s26, 0, s33
	s_subb_u32 s47, 0, 0
	s_delay_alu instid0(VALU_DEP_1) | instskip(NEXT) | instid1(VALU_DEP_1)
	v_fmac_f32_e64 v2, 0, 0x4f800000
	v_rcp_f32_e32 v2, v2
	s_waitcnt_depctr 0xfff
	v_mul_f32_e32 v2, 0x5f7ffffc, v2
	s_delay_alu instid0(VALU_DEP_1) | instskip(NEXT) | instid1(VALU_DEP_1)
	v_mul_f32_e32 v3, 0x2f800000, v2
	v_trunc_f32_e32 v3, v3
	s_delay_alu instid0(VALU_DEP_1) | instskip(SKIP_1) | instid1(VALU_DEP_2)
	v_fmac_f32_e32 v2, 0xcf800000, v3
	v_cvt_u32_f32_e32 v3, v3
	v_cvt_u32_f32_e32 v2, v2
	s_delay_alu instid0(VALU_DEP_2) | instskip(NEXT) | instid1(VALU_DEP_2)
	v_readfirstlane_b32 s7, v3
	v_readfirstlane_b32 s18, v2
	s_delay_alu instid0(VALU_DEP_2) | instskip(NEXT) | instid1(VALU_DEP_1)
	s_mul_i32 s55, s26, s7
	s_mul_hi_u32 s60, s26, s18
	s_mul_i32 s59, s47, s18
	s_add_i32 s55, s60, s55
	s_mul_i32 s70, s26, s18
	s_add_i32 s55, s55, s59
	s_mul_hi_u32 s60, s18, s70
	s_mul_hi_u32 s71, s7, s70
	s_mul_i32 s59, s7, s70
	s_mul_hi_u32 s70, s18, s55
	s_mul_i32 s18, s18, s55
	s_mul_hi_u32 s72, s7, s55
	s_add_u32 s18, s60, s18
	s_addc_u32 s60, 0, s70
	s_add_u32 s18, s18, s59
	s_mul_i32 s55, s7, s55
	s_addc_u32 s18, s60, s71
	s_addc_u32 s59, s72, 0
	s_add_u32 s18, s18, s55
	s_addc_u32 s55, 0, s59
	v_add_co_u32 v2, s18, v2, s18
	s_delay_alu instid0(VALU_DEP_1) | instskip(SKIP_1) | instid1(VALU_DEP_1)
	s_cmp_lg_u32 s18, 0
	s_addc_u32 s7, s7, s55
	v_readfirstlane_b32 s18, v2
	s_mul_i32 s55, s26, s7
	s_delay_alu instid0(VALU_DEP_1)
	s_mul_hi_u32 s59, s26, s18
	s_mul_i32 s47, s47, s18
	s_add_i32 s55, s59, s55
	s_mul_i32 s26, s26, s18
	s_add_i32 s55, s55, s47
	s_mul_hi_u32 s59, s7, s26
	s_mul_i32 s60, s7, s26
	s_mul_hi_u32 s26, s18, s26
	s_mul_hi_u32 s70, s18, s55
	s_mul_i32 s18, s18, s55
	s_mul_hi_u32 s47, s7, s55
	s_add_u32 s18, s26, s18
	s_addc_u32 s26, 0, s70
	s_add_u32 s18, s18, s60
	s_mul_i32 s55, s7, s55
	s_addc_u32 s18, s26, s59
	s_addc_u32 s26, s47, 0
	s_add_u32 s18, s18, s55
	s_addc_u32 s26, 0, s26
	v_add_co_u32 v2, s18, v2, s18
	s_delay_alu instid0(VALU_DEP_1) | instskip(SKIP_1) | instid1(VALU_DEP_1)
	s_cmp_lg_u32 s18, 0
	s_addc_u32 s7, s7, s26
	v_readfirstlane_b32 s18, v2
	s_mul_i32 s47, s23, s7
	s_mul_hi_u32 s26, s23, s7
	s_mul_hi_u32 s55, s19, s7
	s_mul_i32 s7, s19, s7
	s_mul_hi_u32 s59, s23, s18
	s_mul_hi_u32 s60, s19, s18
	s_mul_i32 s18, s19, s18
	s_add_u32 s47, s59, s47
	s_addc_u32 s26, 0, s26
	s_add_u32 s18, s47, s18
	s_addc_u32 s18, s26, s60
	s_addc_u32 s26, s55, 0
	s_add_u32 s7, s18, s7
	s_addc_u32 s18, 0, s26
	s_mul_hi_u32 s26, s33, s7
	s_mul_i32 s7, s33, s7
	s_mul_i32 s18, s33, s18
	v_sub_co_u32 v2, s7, s23, s7
	s_add_i32 s26, s26, s18
	s_cmp_lg_u32 s7, 0
	s_delay_alu instid0(VALU_DEP_1) | instskip(SKIP_2) | instid1(VALU_DEP_1)
	v_sub_co_u32 v3, s7, v2, s33
	s_subb_u32 s18, s19, s26
	s_cmp_lg_u32 s7, 0
	v_cmp_le_u32_e32 vcc_lo, s33, v3
	v_sub_co_u32 v4, s7, v3, s33
	s_subb_u32 s26, s18, 0
	s_cmp_lg_u32 s7, 0
	v_cndmask_b32_e64 v5, 0, -1, vcc_lo
	s_subb_u32 s7, s26, 0
	s_cmp_eq_u32 s26, 0
	v_mov_b32_e32 v7, s7
	s_cselect_b32 vcc_lo, -1, 0
	s_cmp_eq_u32 s18, 0
	v_cndmask_b32_e32 v5, -1, v5, vcc_lo
	v_cmp_le_u32_e32 vcc_lo, s33, v2
	s_cselect_b32 s7, -1, 0
	v_cndmask_b32_e64 v6, 0, -1, vcc_lo
	s_delay_alu instid0(VALU_DEP_3) | instskip(NEXT) | instid1(VALU_DEP_2)
	v_cmp_ne_u32_e32 vcc_lo, 0, v5
	v_cndmask_b32_e64 v5, -1, v6, s7
	v_cndmask_b32_e32 v6, s26, v7, vcc_lo
	v_cndmask_b32_e32 v4, v3, v4, vcc_lo
	s_delay_alu instid0(VALU_DEP_3) | instskip(NEXT) | instid1(VALU_DEP_3)
	v_cmp_ne_u32_e32 vcc_lo, 0, v5
	v_cndmask_b32_e32 v3, s18, v6, vcc_lo
	s_delay_alu instid0(VALU_DEP_3)
	v_cndmask_b32_e32 v2, v2, v4, vcc_lo
	s_cbranch_execnz .LBB153_310
.LBB153_309:                            ;   in Loop: Header=BB153_31 Depth=1
	v_cvt_f32_u32_e32 v2, s33
	s_sub_i32 s7, 0, s33
	s_delay_alu instid0(VALU_DEP_1) | instskip(SKIP_2) | instid1(VALU_DEP_1)
	v_rcp_iflag_f32_e32 v2, v2
	s_waitcnt_depctr 0xfff
	v_mul_f32_e32 v2, 0x4f7ffffe, v2
	v_cvt_u32_f32_e32 v2, v2
	s_delay_alu instid0(VALU_DEP_1) | instskip(NEXT) | instid1(VALU_DEP_1)
	v_mul_lo_u32 v3, s7, v2
	v_mul_hi_u32 v3, v2, v3
	s_delay_alu instid0(VALU_DEP_1) | instskip(NEXT) | instid1(VALU_DEP_1)
	v_add_nc_u32_e32 v2, v2, v3
	v_mul_hi_u32 v2, s23, v2
	s_delay_alu instid0(VALU_DEP_1) | instskip(NEXT) | instid1(VALU_DEP_1)
	v_mul_lo_u32 v2, v2, s33
	v_sub_nc_u32_e32 v2, s23, v2
	s_delay_alu instid0(VALU_DEP_1) | instskip(SKIP_1) | instid1(VALU_DEP_2)
	v_subrev_nc_u32_e32 v3, s33, v2
	v_cmp_le_u32_e32 vcc_lo, s33, v2
	v_cndmask_b32_e32 v2, v2, v3, vcc_lo
	s_delay_alu instid0(VALU_DEP_1) | instskip(SKIP_1) | instid1(VALU_DEP_2)
	v_subrev_nc_u32_e32 v3, s33, v2
	v_cmp_le_u32_e32 vcc_lo, s33, v2
	v_cndmask_b32_e32 v12, v2, v3, vcc_lo
	s_delay_alu instid0(VALU_DEP_1)
	v_dual_mov_b32 v2, v12 :: v_dual_mov_b32 v3, v13
.LBB153_310:                            ;   in Loop: Header=BB153_31 Depth=1
	s_delay_alu instid0(VALU_DEP_1) | instskip(NEXT) | instid1(VALU_DEP_2)
	v_sub_co_u32 v2, vcc_lo, s23, v2
	v_sub_co_ci_u32_e32 v3, vcc_lo, s19, v3, vcc_lo
	s_mov_b32 s26, 0
	s_mov_b32 s7, exec_lo
                                        ; implicit-def: $vgpr28
	s_delay_alu instid0(VALU_DEP_1)
	v_cmpx_gt_u64_e64 v[2:3], v[0:1]
	s_cbranch_execz .LBB153_320
; %bb.311:                              ;   in Loop: Header=BB153_31 Depth=1
	v_dual_mov_b32 v6, v14 :: v_dual_mov_b32 v5, v1
	v_mov_b32_e32 v4, v0
	s_mov_b32 s18, 0
                                        ; implicit-def: $sgpr19
	s_set_inst_prefetch_distance 0x1
	s_branch .LBB153_313
	.p2align	6
.LBB153_312:                            ;   in Loop: Header=BB153_313 Depth=2
	s_or_b32 exec_lo, exec_lo, s23
	s_waitcnt lgkmcnt(0)
	s_barrier
	buffer_gl0_inv
	ds_load_b64 v[27:28], v13 offset:3072
	v_add_co_u32 v4, vcc_lo, v4, s33
	v_add_co_ci_u32_e32 v5, vcc_lo, 0, v5, vcc_lo
	v_add_nc_u32_e32 v6, s93, v6
	s_waitcnt lgkmcnt(0)
	s_barrier
	s_delay_alu instid0(VALU_DEP_2) | instskip(SKIP_2) | instid1(VALU_DEP_1)
	v_cmp_ge_u64_e32 vcc_lo, v[4:5], v[2:3]
	buffer_gl0_inv
	v_readfirstlane_b32 s23, v27
	s_cmp_lg_u32 s23, 0
	s_cselect_b32 s23, -1, 0
	s_delay_alu instid0(SALU_CYCLE_1) | instskip(NEXT) | instid1(SALU_CYCLE_1)
	s_or_b32 s26, vcc_lo, s23
	s_and_b32 s26, exec_lo, s26
	s_delay_alu instid0(SALU_CYCLE_1) | instskip(SKIP_2) | instid1(SALU_CYCLE_1)
	s_or_b32 s18, s26, s18
	s_and_not1_b32 s19, s19, exec_lo
	s_and_b32 s23, s23, exec_lo
	s_or_b32 s19, s19, s23
	s_and_not1_b32 exec_lo, exec_lo, s18
	s_cbranch_execz .LBB153_319
.LBB153_313:                            ;   Parent Loop BB153_31 Depth=1
                                        ; =>  This Inner Loop Header: Depth=2
	s_delay_alu instid0(VALU_DEP_1)
	v_cmp_gt_u64_e32 vcc_lo, s[8:9], v[4:5]
	v_mov_b32_e32 v27, 0
	s_and_saveexec_b32 s23, vcc_lo
	s_cbranch_execz .LBB153_315
; %bb.314:                              ;   in Loop: Header=BB153_313 Depth=2
	ds_load_b32 v27, v6
.LBB153_315:                            ;   in Loop: Header=BB153_313 Depth=2
	s_or_b32 exec_lo, exec_lo, s23
	s_and_saveexec_b32 s23, vcc_lo
	s_cbranch_execz .LBB153_312
; %bb.316:                              ;   in Loop: Header=BB153_313 Depth=2
	s_waitcnt lgkmcnt(0)
	v_xor_b32_e32 v7, 0x80000000, v27
	s_delay_alu instid0(VALU_DEP_1) | instskip(NEXT) | instid1(VALU_DEP_1)
	v_and_b32_e32 v7, v7, v49
	v_cmp_eq_u32_e32 vcc_lo, v7, v50
	s_and_b32 exec_lo, exec_lo, vcc_lo
	s_cbranch_execz .LBB153_312
; %bb.317:                              ;   in Loop: Header=BB153_313 Depth=2
	ds_store_b64 v13, v[26:27] offset:3072
	s_branch .LBB153_312
.LBB153_318:                            ;   in Loop: Header=BB153_31 Depth=1
	s_mov_b32 s18, -1
	s_mov_b32 s26, 0
                                        ; implicit-def: $sgpr19
                                        ; implicit-def: $vgpr28
	s_mov_b32 s23, s18
	s_cbranch_execnz .LBB153_321
	s_branch .LBB153_334
.LBB153_319:                            ;   in Loop: Header=BB153_31 Depth=1
	s_set_inst_prefetch_distance 0x2
	s_or_b32 exec_lo, exec_lo, s18
	s_delay_alu instid0(SALU_CYCLE_1)
	s_and_b32 s26, s19, exec_lo
.LBB153_320:                            ;   in Loop: Header=BB153_31 Depth=1
	s_or_b32 exec_lo, exec_lo, s7
	s_mov_b32 s18, 0
	s_mov_b32 s19, -1
	s_mov_b32 s23, s18
	s_branch .LBB153_334
.LBB153_321:                            ;   in Loop: Header=BB153_31 Depth=1
	s_mov_b32 s26, s61
	s_delay_alu instid0(SALU_CYCLE_1)
	s_cmp_lg_u64 s[26:27], 0
	s_cbranch_scc0 .LBB153_363
; %bb.322:                              ;   in Loop: Header=BB153_31 Depth=1
	v_cvt_f32_u32_e32 v2, s33
	s_sub_u32 s9, 0, s33
	s_subb_u32 s18, 0, 0
	s_delay_alu instid0(VALU_DEP_1) | instskip(NEXT) | instid1(VALU_DEP_1)
	v_fmac_f32_e64 v2, 0, 0x4f800000
	v_rcp_f32_e32 v2, v2
	s_waitcnt_depctr 0xfff
	v_mul_f32_e32 v2, 0x5f7ffffc, v2
	s_delay_alu instid0(VALU_DEP_1) | instskip(NEXT) | instid1(VALU_DEP_1)
	v_mul_f32_e32 v3, 0x2f800000, v2
	v_trunc_f32_e32 v3, v3
	s_delay_alu instid0(VALU_DEP_1) | instskip(SKIP_1) | instid1(VALU_DEP_2)
	v_fmac_f32_e32 v2, 0xcf800000, v3
	v_cvt_u32_f32_e32 v3, v3
	v_cvt_u32_f32_e32 v2, v2
	s_delay_alu instid0(VALU_DEP_2) | instskip(NEXT) | instid1(VALU_DEP_2)
	v_readfirstlane_b32 s7, v3
	v_readfirstlane_b32 s8, v2
	s_delay_alu instid0(VALU_DEP_2) | instskip(NEXT) | instid1(VALU_DEP_1)
	s_mul_i32 s19, s9, s7
	s_mul_hi_u32 s26, s9, s8
	s_mul_i32 s23, s18, s8
	s_add_i32 s19, s26, s19
	s_mul_i32 s47, s9, s8
	s_add_i32 s19, s19, s23
	s_mul_hi_u32 s26, s8, s47
	s_mul_hi_u32 s55, s7, s47
	s_mul_i32 s23, s7, s47
	s_mul_hi_u32 s47, s8, s19
	s_mul_i32 s8, s8, s19
	s_mul_hi_u32 s59, s7, s19
	s_add_u32 s8, s26, s8
	s_addc_u32 s26, 0, s47
	s_add_u32 s8, s8, s23
	s_mul_i32 s19, s7, s19
	s_addc_u32 s8, s26, s55
	s_addc_u32 s23, s59, 0
	s_add_u32 s8, s8, s19
	s_addc_u32 s19, 0, s23
	v_add_co_u32 v2, s8, v2, s8
	s_delay_alu instid0(VALU_DEP_1) | instskip(SKIP_1) | instid1(VALU_DEP_1)
	s_cmp_lg_u32 s8, 0
	s_addc_u32 s7, s7, s19
	v_readfirstlane_b32 s8, v2
	s_mul_i32 s19, s9, s7
	s_delay_alu instid0(VALU_DEP_1)
	s_mul_hi_u32 s23, s9, s8
	s_mul_i32 s18, s18, s8
	s_add_i32 s19, s23, s19
	s_mul_i32 s9, s9, s8
	s_add_i32 s19, s19, s18
	s_mul_hi_u32 s23, s7, s9
	s_mul_i32 s26, s7, s9
	s_mul_hi_u32 s9, s8, s9
	s_mul_hi_u32 s47, s8, s19
	s_mul_i32 s8, s8, s19
	s_mul_hi_u32 s18, s7, s19
	s_add_u32 s8, s9, s8
	s_addc_u32 s9, 0, s47
	s_add_u32 s8, s8, s26
	s_mul_i32 s19, s7, s19
	s_addc_u32 s8, s9, s23
	s_addc_u32 s9, s18, 0
	s_add_u32 s8, s8, s19
	s_addc_u32 s9, 0, s9
	v_add_co_u32 v2, s8, v2, s8
	s_delay_alu instid0(VALU_DEP_1) | instskip(SKIP_1) | instid1(VALU_DEP_1)
	s_cmp_lg_u32 s8, 0
	s_addc_u32 s7, s7, s9
	v_readfirstlane_b32 s8, v2
	s_mul_i32 s18, s87, s7
	s_mul_hi_u32 s9, s87, s7
	s_mul_hi_u32 s19, s27, s7
	s_mul_i32 s7, s27, s7
	s_mul_hi_u32 s23, s87, s8
	s_mul_hi_u32 s26, s27, s8
	s_mul_i32 s8, s27, s8
	s_add_u32 s18, s23, s18
	s_addc_u32 s9, 0, s9
	s_add_u32 s8, s18, s8
	s_addc_u32 s8, s9, s26
	s_addc_u32 s9, s19, 0
	s_add_u32 s7, s8, s7
	s_addc_u32 s8, 0, s9
	s_mul_hi_u32 s9, s33, s7
	s_mul_i32 s7, s33, s7
	s_mul_i32 s8, s33, s8
	v_sub_co_u32 v2, s7, s87, s7
	s_add_i32 s9, s9, s8
	s_cmp_lg_u32 s7, 0
	s_delay_alu instid0(VALU_DEP_1) | instskip(SKIP_2) | instid1(VALU_DEP_1)
	v_sub_co_u32 v3, s7, v2, s33
	s_subb_u32 s8, s27, s9
	s_cmp_lg_u32 s7, 0
	v_cmp_le_u32_e32 vcc_lo, s33, v3
	v_sub_co_u32 v4, s7, v3, s33
	s_subb_u32 s9, s8, 0
	s_cmp_lg_u32 s7, 0
	v_cndmask_b32_e64 v5, 0, -1, vcc_lo
	s_subb_u32 s7, s9, 0
	s_cmp_eq_u32 s9, 0
	v_mov_b32_e32 v7, s7
	s_cselect_b32 vcc_lo, -1, 0
	s_cmp_eq_u32 s8, 0
	v_cndmask_b32_e32 v5, -1, v5, vcc_lo
	v_cmp_le_u32_e32 vcc_lo, s33, v2
	s_cselect_b32 s7, -1, 0
	v_cndmask_b32_e64 v6, 0, -1, vcc_lo
	s_delay_alu instid0(VALU_DEP_3) | instskip(NEXT) | instid1(VALU_DEP_2)
	v_cmp_ne_u32_e32 vcc_lo, 0, v5
	v_cndmask_b32_e64 v5, -1, v6, s7
	v_cndmask_b32_e32 v6, s9, v7, vcc_lo
	v_cndmask_b32_e32 v4, v3, v4, vcc_lo
	s_delay_alu instid0(VALU_DEP_3) | instskip(NEXT) | instid1(VALU_DEP_3)
	v_cmp_ne_u32_e32 vcc_lo, 0, v5
	v_cndmask_b32_e32 v3, s8, v6, vcc_lo
	s_delay_alu instid0(VALU_DEP_3)
	v_cndmask_b32_e32 v2, v2, v4, vcc_lo
	s_cbranch_execnz .LBB153_324
.LBB153_323:                            ;   in Loop: Header=BB153_31 Depth=1
	v_cvt_f32_u32_e32 v2, s33
	s_sub_i32 s7, 0, s33
	s_delay_alu instid0(VALU_DEP_1) | instskip(SKIP_2) | instid1(VALU_DEP_1)
	v_rcp_iflag_f32_e32 v2, v2
	s_waitcnt_depctr 0xfff
	v_mul_f32_e32 v2, 0x4f7ffffe, v2
	v_cvt_u32_f32_e32 v2, v2
	s_delay_alu instid0(VALU_DEP_1) | instskip(NEXT) | instid1(VALU_DEP_1)
	v_mul_lo_u32 v3, s7, v2
	v_mul_hi_u32 v3, v2, v3
	s_delay_alu instid0(VALU_DEP_1) | instskip(NEXT) | instid1(VALU_DEP_1)
	v_add_nc_u32_e32 v2, v2, v3
	v_mul_hi_u32 v2, s87, v2
	s_delay_alu instid0(VALU_DEP_1) | instskip(NEXT) | instid1(VALU_DEP_1)
	v_mul_lo_u32 v2, v2, s33
	v_sub_nc_u32_e32 v2, s87, v2
	s_delay_alu instid0(VALU_DEP_1) | instskip(SKIP_1) | instid1(VALU_DEP_2)
	v_subrev_nc_u32_e32 v3, s33, v2
	v_cmp_le_u32_e32 vcc_lo, s33, v2
	v_cndmask_b32_e32 v2, v2, v3, vcc_lo
	s_delay_alu instid0(VALU_DEP_1) | instskip(SKIP_1) | instid1(VALU_DEP_2)
	v_subrev_nc_u32_e32 v3, s33, v2
	v_cmp_le_u32_e32 vcc_lo, s33, v2
	v_cndmask_b32_e32 v12, v2, v3, vcc_lo
	s_delay_alu instid0(VALU_DEP_1)
	v_dual_mov_b32 v2, v12 :: v_dual_mov_b32 v3, v13
.LBB153_324:                            ;   in Loop: Header=BB153_31 Depth=1
	s_delay_alu instid0(VALU_DEP_1) | instskip(NEXT) | instid1(VALU_DEP_2)
	v_sub_co_u32 v2, vcc_lo, s87, v2
	v_sub_co_ci_u32_e32 v3, vcc_lo, s27, v3, vcc_lo
	s_mov_b32 s26, 0
	s_mov_b32 s7, exec_lo
                                        ; implicit-def: $vgpr28
	s_delay_alu instid0(VALU_DEP_1)
	v_cmpx_gt_u64_e64 v[2:3], v[0:1]
	s_cbranch_execz .LBB153_333
; %bb.325:                              ;   in Loop: Header=BB153_31 Depth=1
	v_dual_mov_b32 v4, v24 :: v_dual_mov_b32 v5, v25
	v_dual_mov_b32 v7, v1 :: v_dual_mov_b32 v6, v0
	s_mov_b32 s8, 0
                                        ; implicit-def: $sgpr9
	s_set_inst_prefetch_distance 0x1
	s_branch .LBB153_327
	.p2align	6
.LBB153_326:                            ;   in Loop: Header=BB153_327 Depth=2
	s_or_b32 exec_lo, exec_lo, s18
	s_waitcnt vmcnt(0) lgkmcnt(0)
	s_barrier
	buffer_gl0_inv
	ds_load_b64 v[27:28], v13 offset:3072
	v_add_co_u32 v6, vcc_lo, v6, s33
	v_add_co_ci_u32_e32 v7, vcc_lo, 0, v7, vcc_lo
	s_waitcnt lgkmcnt(0)
	s_barrier
	buffer_gl0_inv
	v_cmp_ge_u64_e32 vcc_lo, v[6:7], v[2:3]
	v_readfirstlane_b32 s18, v27
	s_delay_alu instid0(VALU_DEP_1) | instskip(SKIP_1) | instid1(SALU_CYCLE_1)
	s_cmp_lg_u32 s18, 0
	s_cselect_b32 s18, -1, 0
	s_or_b32 s19, vcc_lo, s18
	v_add_co_u32 v4, vcc_lo, v4, s34
	s_and_b32 s19, exec_lo, s19
	v_add_co_ci_u32_e32 v5, vcc_lo, s35, v5, vcc_lo
	s_or_b32 s8, s19, s8
	s_and_not1_b32 s9, s9, exec_lo
	s_and_b32 s18, s18, exec_lo
	s_delay_alu instid0(SALU_CYCLE_1)
	s_or_b32 s9, s9, s18
	s_and_not1_b32 exec_lo, exec_lo, s8
	s_cbranch_execz .LBB153_332
.LBB153_327:                            ;   Parent Loop BB153_31 Depth=1
                                        ; =>  This Inner Loop Header: Depth=2
	s_delay_alu instid0(VALU_DEP_1)
	v_cmp_gt_u64_e32 vcc_lo, s[36:37], v[6:7]
	v_mov_b32_e32 v27, 0
	s_and_saveexec_b32 s18, vcc_lo
	s_cbranch_execz .LBB153_329
; %bb.328:                              ;   in Loop: Header=BB153_327 Depth=2
	global_load_b32 v27, v[4:5], off
.LBB153_329:                            ;   in Loop: Header=BB153_327 Depth=2
	s_or_b32 exec_lo, exec_lo, s18
	s_and_saveexec_b32 s18, vcc_lo
	s_cbranch_execz .LBB153_326
; %bb.330:                              ;   in Loop: Header=BB153_327 Depth=2
	s_waitcnt vmcnt(0)
	v_xor_b32_e32 v8, 0x80000000, v27
	s_delay_alu instid0(VALU_DEP_1) | instskip(NEXT) | instid1(VALU_DEP_1)
	v_and_b32_e32 v8, v8, v49
	v_cmp_eq_u32_e32 vcc_lo, v8, v50
	s_and_b32 exec_lo, exec_lo, vcc_lo
	s_cbranch_execz .LBB153_326
; %bb.331:                              ;   in Loop: Header=BB153_327 Depth=2
	ds_store_b64 v13, v[26:27] offset:3072
	s_branch .LBB153_326
.LBB153_332:                            ;   in Loop: Header=BB153_31 Depth=1
	s_set_inst_prefetch_distance 0x2
	s_or_b32 exec_lo, exec_lo, s8
	s_delay_alu instid0(SALU_CYCLE_1)
	s_and_b32 s26, s9, exec_lo
.LBB153_333:                            ;   in Loop: Header=BB153_31 Depth=1
	s_or_b32 exec_lo, exec_lo, s7
	s_mov_b32 s19, 0
	s_mov_b32 s18, -1
	s_mov_b32 s23, 0
.LBB153_334:                            ;   in Loop: Header=BB153_31 Depth=1
	s_or_not1_b32 s7, s26, exec_lo
.LBB153_335:                            ;   in Loop: Header=BB153_31 Depth=1
	s_or_b32 exec_lo, exec_lo, s46
                                        ; implicit-def: $vgpr8
                                        ; implicit-def: $vgpr4_vgpr5
                                        ; implicit-def: $vgpr33
                                        ; implicit-def: $vgpr34
                                        ; implicit-def: $vgpr3
	s_and_saveexec_b32 s55, s7
	s_cbranch_execz .LBB153_498
; %bb.336:                              ;   in Loop: Header=BB153_31 Depth=1
	v_mov_b32_e32 v4, 1
	v_dual_mov_b32 v5, 0 :: v_dual_mov_b32 v8, 1
	s_xor_b32 s8, s58, -1
	s_mov_b32 s26, 0
	s_and_saveexec_b32 s7, s8
	s_cbranch_execz .LBB153_346
; %bb.337:                              ;   in Loop: Header=BB153_31 Depth=1
	s_mov_b32 s9, exec_lo
                                        ; implicit-def: $sgpr26
                                        ; implicit-def: $sgpr8
	v_cmpx_ge_u64_e64 s[16:17], v[29:30]
	s_xor_b32 s9, exec_lo, s9
	s_cbranch_execz .LBB153_343
; %bb.338:                              ;   in Loop: Header=BB153_31 Depth=1
	ds_load_b64 v[2:3], v13 offset:5120
	s_waitcnt lgkmcnt(0)
	v_cmp_ne_u64_e32 vcc_lo, 0, v[2:3]
	s_cbranch_vccnz .LBB153_342
; %bb.339:                              ;   in Loop: Header=BB153_31 Depth=1
	s_and_saveexec_b32 s8, s5
	s_cbranch_execz .LBB153_341
; %bb.340:                              ;   in Loop: Header=BB153_31 Depth=1
	v_dual_mov_b32 v2, s16 :: v_dual_mov_b32 v3, s17
	ds_store_b64 v13, v[2:3] offset:5128
.LBB153_341:                            ;   in Loop: Header=BB153_31 Depth=1
	s_or_b32 exec_lo, exec_lo, s8
	s_waitcnt lgkmcnt(0)
	s_barrier
	buffer_gl0_inv
.LBB153_342:                            ;   in Loop: Header=BB153_31 Depth=1
	v_or_b32_e32 v50, s20, v50
	v_or_b32_e32 v49, s20, v49
	s_mov_b32 s8, 0
	s_mov_b32 s26, 5
.LBB153_343:                            ;   in Loop: Header=BB153_31 Depth=1
	s_or_saveexec_b32 s9, s9
	v_mov_b32_e32 v8, s26
	s_xor_b32 exec_lo, exec_lo, s9
; %bb.344:                              ;   in Loop: Header=BB153_31 Depth=1
	v_sub_co_u32 v29, vcc_lo, v29, s16
	v_subrev_co_ci_u32_e32 v30, vcc_lo, s17, v30, vcc_lo
	v_mov_b32_e32 v8, 0
	s_or_b32 s8, s8, exec_lo
; %bb.345:                              ;   in Loop: Header=BB153_31 Depth=1
	s_or_b32 exec_lo, exec_lo, s9
	s_delay_alu instid0(VALU_DEP_2)
	v_dual_mov_b32 v4, v29 :: v_dual_mov_b32 v5, v30
	s_and_b32 s26, s8, exec_lo
.LBB153_346:                            ;   in Loop: Header=BB153_31 Depth=1
	s_or_b32 exec_lo, exec_lo, s7
	s_mov_b32 s17, -1
                                        ; implicit-def: $sgpr8
                                        ; implicit-def: $sgpr9
                                        ; implicit-def: $sgpr16
	s_and_saveexec_b32 s7, s26
	s_delay_alu instid0(SALU_CYCLE_1)
	s_xor_b32 s60, exec_lo, s7
	s_cbranch_execz .LBB153_495
; %bb.347:                              ;   in Loop: Header=BB153_31 Depth=1
	v_cmp_eq_u64_e32 vcc_lo, 1, v[4:5]
	s_cmp_eq_u64 s[14:15], 1
                                        ; implicit-def: $sgpr16
                                        ; implicit-def: $sgpr17
                                        ; implicit-def: $sgpr70
	s_cselect_b32 s7, -1, 0
	s_delay_alu instid0(SALU_CYCLE_1)
	s_and_b32 s58, s7, vcc_lo
	s_mov_b32 s7, -1
	s_and_saveexec_b32 s46, s58
	s_cbranch_execz .LBB153_381
; %bb.348:                              ;   in Loop: Header=BB153_31 Depth=1
	ds_load_b64 v[2:3], v13 offset:5120
	s_waitcnt lgkmcnt(0)
	s_barrier
	buffer_gl0_inv
	v_readfirstlane_b32 s8, v2
	v_readfirstlane_b32 s9, v3
	s_and_saveexec_b32 s7, s6
	s_cbranch_execz .LBB153_350
; %bb.349:                              ;   in Loop: Header=BB153_31 Depth=1
	ds_store_b32 v46, v13
.LBB153_350:                            ;   in Loop: Header=BB153_31 Depth=1
	s_or_b32 exec_lo, exec_lo, s7
	s_lshl_b32 s7, 2, s22
	v_or_b32_e32 v49, s20, v49
	v_and_or_b32 v50, v50, s21, s7
	s_cmp_eq_u64 s[8:9], 0
	s_waitcnt lgkmcnt(0)
	s_barrier
	buffer_gl0_inv
	s_cbranch_scc1 .LBB153_364
; %bb.351:                              ;   in Loop: Header=BB153_31 Depth=1
	s_add_u32 s26, s85, s8
	s_addc_u32 s17, s86, s9
	s_mov_b32 s16, s61
	s_delay_alu instid0(SALU_CYCLE_1)
	s_cmp_lg_u64 s[16:17], 0
	s_cbranch_scc0 .LBB153_408
; %bb.352:                              ;   in Loop: Header=BB153_31 Depth=1
	v_cvt_f32_u32_e32 v2, s33
	s_sub_u32 s47, 0, s33
	s_subb_u32 s59, 0, 0
	s_delay_alu instid0(VALU_DEP_1) | instskip(NEXT) | instid1(VALU_DEP_1)
	v_fmac_f32_e64 v2, 0, 0x4f800000
	v_rcp_f32_e32 v2, v2
	s_waitcnt_depctr 0xfff
	v_mul_f32_e32 v2, 0x5f7ffffc, v2
	s_delay_alu instid0(VALU_DEP_1) | instskip(NEXT) | instid1(VALU_DEP_1)
	v_mul_f32_e32 v3, 0x2f800000, v2
	v_trunc_f32_e32 v3, v3
	s_delay_alu instid0(VALU_DEP_1) | instskip(SKIP_1) | instid1(VALU_DEP_2)
	v_fmac_f32_e32 v2, 0xcf800000, v3
	v_cvt_u32_f32_e32 v3, v3
	v_cvt_u32_f32_e32 v2, v2
	s_delay_alu instid0(VALU_DEP_2) | instskip(NEXT) | instid1(VALU_DEP_2)
	v_readfirstlane_b32 s7, v3
	v_readfirstlane_b32 s16, v2
	s_delay_alu instid0(VALU_DEP_2) | instskip(NEXT) | instid1(VALU_DEP_1)
	s_mul_i32 s70, s47, s7
	s_mul_hi_u32 s72, s47, s16
	s_mul_i32 s71, s59, s16
	s_add_i32 s70, s72, s70
	s_mul_i32 s73, s47, s16
	s_add_i32 s70, s70, s71
	s_mul_hi_u32 s72, s16, s73
	s_mul_hi_u32 s74, s7, s73
	s_mul_i32 s71, s7, s73
	s_mul_hi_u32 s73, s16, s70
	s_mul_i32 s16, s16, s70
	s_mul_hi_u32 s75, s7, s70
	s_add_u32 s16, s72, s16
	s_addc_u32 s72, 0, s73
	s_add_u32 s16, s16, s71
	s_mul_i32 s70, s7, s70
	s_addc_u32 s16, s72, s74
	s_addc_u32 s71, s75, 0
	s_add_u32 s16, s16, s70
	s_addc_u32 s70, 0, s71
	v_add_co_u32 v2, s16, v2, s16
	s_delay_alu instid0(VALU_DEP_1) | instskip(SKIP_1) | instid1(VALU_DEP_1)
	s_cmp_lg_u32 s16, 0
	s_addc_u32 s7, s7, s70
	v_readfirstlane_b32 s16, v2
	s_mul_i32 s70, s47, s7
	s_delay_alu instid0(VALU_DEP_1)
	s_mul_hi_u32 s71, s47, s16
	s_mul_i32 s59, s59, s16
	s_add_i32 s70, s71, s70
	s_mul_i32 s47, s47, s16
	s_add_i32 s70, s70, s59
	s_mul_hi_u32 s71, s7, s47
	s_mul_i32 s72, s7, s47
	s_mul_hi_u32 s47, s16, s47
	s_mul_hi_u32 s73, s16, s70
	s_mul_i32 s16, s16, s70
	s_mul_hi_u32 s59, s7, s70
	s_add_u32 s16, s47, s16
	s_addc_u32 s47, 0, s73
	s_add_u32 s16, s16, s72
	s_mul_i32 s70, s7, s70
	s_addc_u32 s16, s47, s71
	s_addc_u32 s47, s59, 0
	s_add_u32 s16, s16, s70
	s_addc_u32 s47, 0, s47
	v_add_co_u32 v2, s16, v2, s16
	s_delay_alu instid0(VALU_DEP_1) | instskip(SKIP_1) | instid1(VALU_DEP_1)
	s_cmp_lg_u32 s16, 0
	s_addc_u32 s7, s7, s47
	v_readfirstlane_b32 s16, v2
	s_mul_i32 s59, s26, s7
	s_mul_hi_u32 s47, s26, s7
	s_mul_hi_u32 s70, s17, s7
	s_mul_i32 s7, s17, s7
	s_mul_hi_u32 s71, s26, s16
	s_mul_hi_u32 s72, s17, s16
	s_mul_i32 s16, s17, s16
	s_add_u32 s59, s71, s59
	s_addc_u32 s47, 0, s47
	s_add_u32 s16, s59, s16
	s_addc_u32 s16, s47, s72
	s_addc_u32 s47, s70, 0
	s_add_u32 s7, s16, s7
	s_addc_u32 s16, 0, s47
	s_mul_hi_u32 s47, s33, s7
	s_mul_i32 s7, s33, s7
	s_mul_i32 s16, s33, s16
	v_sub_co_u32 v2, s7, s26, s7
	s_add_i32 s47, s47, s16
	s_cmp_lg_u32 s7, 0
	s_delay_alu instid0(VALU_DEP_1) | instskip(SKIP_3) | instid1(VALU_DEP_2)
	v_sub_co_u32 v3, s7, v2, s33
	s_subb_u32 s16, s17, s47
	s_cmp_lg_u32 s7, 0
	v_cmp_le_u32_e32 vcc_lo, s33, v2
	v_cmp_le_u32_e64 s7, s33, v3
	v_sub_co_u32 v6, s47, v3, s33
	s_subb_u32 s59, s16, 0
	s_cmp_lg_u32 s47, 0
	s_delay_alu instid0(VALU_DEP_2)
	v_cndmask_b32_e64 v7, 0, -1, s7
	s_subb_u32 s47, s59, 0
	s_cmp_eq_u32 s59, 0
	v_mov_b32_e32 v9, s47
	v_cndmask_b32_e64 v8, 0, -1, vcc_lo
	s_cselect_b32 vcc_lo, -1, 0
	s_cmp_eq_u32 s16, 0
	v_cndmask_b32_e32 v7, -1, v7, vcc_lo
	s_cselect_b32 vcc_lo, -1, 0
	v_cndmask_b32_e32 v8, -1, v8, vcc_lo
	s_delay_alu instid0(VALU_DEP_2) | instskip(NEXT) | instid1(VALU_DEP_2)
	v_cmp_ne_u32_e32 vcc_lo, 0, v7
	v_cmp_ne_u32_e64 s7, 0, v8
	v_cndmask_b32_e32 v7, s59, v9, vcc_lo
	v_cndmask_b32_e32 v6, v3, v6, vcc_lo
	s_delay_alu instid0(VALU_DEP_2) | instskip(NEXT) | instid1(VALU_DEP_2)
	v_cndmask_b32_e64 v3, s16, v7, s7
	v_cndmask_b32_e64 v2, v2, v6, s7
	s_cbranch_execnz .LBB153_354
.LBB153_353:                            ;   in Loop: Header=BB153_31 Depth=1
	v_cvt_f32_u32_e32 v2, s33
	s_sub_i32 s7, 0, s33
	s_delay_alu instid0(VALU_DEP_1) | instskip(SKIP_2) | instid1(VALU_DEP_1)
	v_rcp_iflag_f32_e32 v2, v2
	s_waitcnt_depctr 0xfff
	v_mul_f32_e32 v2, 0x4f7ffffe, v2
	v_cvt_u32_f32_e32 v2, v2
	s_delay_alu instid0(VALU_DEP_1) | instskip(NEXT) | instid1(VALU_DEP_1)
	v_mul_lo_u32 v3, s7, v2
	v_mul_hi_u32 v3, v2, v3
	s_delay_alu instid0(VALU_DEP_1) | instskip(NEXT) | instid1(VALU_DEP_1)
	v_add_nc_u32_e32 v2, v2, v3
	v_mul_hi_u32 v2, s26, v2
	s_delay_alu instid0(VALU_DEP_1) | instskip(NEXT) | instid1(VALU_DEP_1)
	v_mul_lo_u32 v2, v2, s33
	v_sub_nc_u32_e32 v2, s26, v2
	s_delay_alu instid0(VALU_DEP_1) | instskip(SKIP_1) | instid1(VALU_DEP_2)
	v_subrev_nc_u32_e32 v3, s33, v2
	v_cmp_le_u32_e32 vcc_lo, s33, v2
	v_cndmask_b32_e32 v2, v2, v3, vcc_lo
	s_delay_alu instid0(VALU_DEP_1) | instskip(SKIP_1) | instid1(VALU_DEP_2)
	v_subrev_nc_u32_e32 v3, s33, v2
	v_cmp_le_u32_e32 vcc_lo, s33, v2
	v_cndmask_b32_e32 v12, v2, v3, vcc_lo
	s_delay_alu instid0(VALU_DEP_1)
	v_dual_mov_b32 v2, v12 :: v_dual_mov_b32 v3, v13
.LBB153_354:                            ;   in Loop: Header=BB153_31 Depth=1
	s_delay_alu instid0(VALU_DEP_1) | instskip(NEXT) | instid1(VALU_DEP_2)
	v_sub_co_u32 v2, vcc_lo, s26, v2
	v_sub_co_ci_u32_e32 v3, vcc_lo, s17, v3, vcc_lo
	s_mov_b32 s26, 0
	s_mov_b32 s7, exec_lo
                                        ; implicit-def: $vgpr28
	s_delay_alu instid0(VALU_DEP_1)
	v_cmpx_gt_u64_e64 v[2:3], v[0:1]
	s_cbranch_execz .LBB153_366
; %bb.355:                              ;   in Loop: Header=BB153_31 Depth=1
	v_dual_mov_b32 v8, v14 :: v_dual_mov_b32 v7, v1
	v_mov_b32_e32 v6, v0
	s_mov_b32 s16, 0
                                        ; implicit-def: $sgpr17
	s_set_inst_prefetch_distance 0x1
	s_branch .LBB153_357
	.p2align	6
.LBB153_356:                            ;   in Loop: Header=BB153_357 Depth=2
	s_or_b32 exec_lo, exec_lo, s26
	s_waitcnt lgkmcnt(0)
	s_barrier
	buffer_gl0_inv
	ds_load_b64 v[27:28], v13 offset:3072
	v_add_co_u32 v6, vcc_lo, v6, s33
	v_add_co_ci_u32_e32 v7, vcc_lo, 0, v7, vcc_lo
	v_add_nc_u32_e32 v8, s93, v8
	s_waitcnt lgkmcnt(0)
	s_barrier
	s_delay_alu instid0(VALU_DEP_2) | instskip(SKIP_2) | instid1(VALU_DEP_1)
	v_cmp_ge_u64_e32 vcc_lo, v[6:7], v[2:3]
	buffer_gl0_inv
	v_readfirstlane_b32 s26, v27
	s_cmp_lg_u32 s26, 0
	s_cselect_b32 s26, -1, 0
	s_delay_alu instid0(SALU_CYCLE_1) | instskip(NEXT) | instid1(SALU_CYCLE_1)
	s_or_b32 s47, vcc_lo, s26
	s_and_b32 s47, exec_lo, s47
	s_delay_alu instid0(SALU_CYCLE_1) | instskip(SKIP_2) | instid1(SALU_CYCLE_1)
	s_or_b32 s16, s47, s16
	s_and_not1_b32 s17, s17, exec_lo
	s_and_b32 s26, s26, exec_lo
	s_or_b32 s17, s17, s26
	s_and_not1_b32 exec_lo, exec_lo, s16
	s_cbranch_execz .LBB153_365
.LBB153_357:                            ;   Parent Loop BB153_31 Depth=1
                                        ; =>  This Inner Loop Header: Depth=2
	s_delay_alu instid0(VALU_DEP_1)
	v_cmp_gt_u64_e32 vcc_lo, s[8:9], v[6:7]
	v_mov_b32_e32 v27, 0
	s_and_saveexec_b32 s26, vcc_lo
	s_cbranch_execz .LBB153_359
; %bb.358:                              ;   in Loop: Header=BB153_357 Depth=2
	ds_load_b32 v27, v8
.LBB153_359:                            ;   in Loop: Header=BB153_357 Depth=2
	s_or_b32 exec_lo, exec_lo, s26
	s_and_saveexec_b32 s26, vcc_lo
	s_cbranch_execz .LBB153_356
; %bb.360:                              ;   in Loop: Header=BB153_357 Depth=2
	s_waitcnt lgkmcnt(0)
	v_xor_b32_e32 v9, 0x80000000, v27
	s_delay_alu instid0(VALU_DEP_1) | instskip(NEXT) | instid1(VALU_DEP_1)
	v_and_b32_e32 v9, v9, v49
	v_cmp_eq_u32_e32 vcc_lo, v9, v50
	s_and_b32 exec_lo, exec_lo, vcc_lo
	s_cbranch_execz .LBB153_356
; %bb.361:                              ;   in Loop: Header=BB153_357 Depth=2
	ds_store_b64 v13, v[26:27] offset:3072
	s_branch .LBB153_356
.LBB153_362:                            ;   in Loop: Header=BB153_31 Depth=1
                                        ; implicit-def: $vgpr2_vgpr3
	s_branch .LBB153_309
.LBB153_363:                            ;   in Loop: Header=BB153_31 Depth=1
                                        ; implicit-def: $vgpr2_vgpr3
	s_branch .LBB153_323
.LBB153_364:                            ;   in Loop: Header=BB153_31 Depth=1
	s_mov_b32 s16, -1
	s_mov_b32 s26, 0
                                        ; implicit-def: $sgpr17
                                        ; implicit-def: $vgpr28
	s_mov_b32 s70, s16
	s_cbranch_execnz .LBB153_367
	s_branch .LBB153_380
.LBB153_365:                            ;   in Loop: Header=BB153_31 Depth=1
	s_set_inst_prefetch_distance 0x2
	s_or_b32 exec_lo, exec_lo, s16
	s_delay_alu instid0(SALU_CYCLE_1)
	s_and_b32 s26, s17, exec_lo
.LBB153_366:                            ;   in Loop: Header=BB153_31 Depth=1
	s_or_b32 exec_lo, exec_lo, s7
	s_mov_b32 s16, 0
	s_mov_b32 s17, -1
	s_mov_b32 s70, s16
	s_branch .LBB153_380
.LBB153_367:                            ;   in Loop: Header=BB153_31 Depth=1
	s_mov_b32 s26, s61
	s_delay_alu instid0(SALU_CYCLE_1)
	s_cmp_lg_u64 s[26:27], 0
	s_cbranch_scc0 .LBB153_409
; %bb.368:                              ;   in Loop: Header=BB153_31 Depth=1
	v_cvt_f32_u32_e32 v2, s33
	s_sub_u32 s9, 0, s33
	s_subb_u32 s16, 0, 0
	s_delay_alu instid0(VALU_DEP_1) | instskip(NEXT) | instid1(VALU_DEP_1)
	v_fmac_f32_e64 v2, 0, 0x4f800000
	v_rcp_f32_e32 v2, v2
	s_waitcnt_depctr 0xfff
	v_mul_f32_e32 v2, 0x5f7ffffc, v2
	s_delay_alu instid0(VALU_DEP_1) | instskip(NEXT) | instid1(VALU_DEP_1)
	v_mul_f32_e32 v3, 0x2f800000, v2
	v_trunc_f32_e32 v3, v3
	s_delay_alu instid0(VALU_DEP_1) | instskip(SKIP_1) | instid1(VALU_DEP_2)
	v_fmac_f32_e32 v2, 0xcf800000, v3
	v_cvt_u32_f32_e32 v3, v3
	v_cvt_u32_f32_e32 v2, v2
	s_delay_alu instid0(VALU_DEP_2) | instskip(NEXT) | instid1(VALU_DEP_2)
	v_readfirstlane_b32 s7, v3
	v_readfirstlane_b32 s8, v2
	s_delay_alu instid0(VALU_DEP_2) | instskip(NEXT) | instid1(VALU_DEP_1)
	s_mul_i32 s17, s9, s7
	s_mul_hi_u32 s47, s9, s8
	s_mul_i32 s26, s16, s8
	s_add_i32 s17, s47, s17
	s_mul_i32 s59, s9, s8
	s_add_i32 s17, s17, s26
	s_mul_hi_u32 s47, s8, s59
	s_mul_hi_u32 s70, s7, s59
	s_mul_i32 s26, s7, s59
	s_mul_hi_u32 s59, s8, s17
	s_mul_i32 s8, s8, s17
	s_mul_hi_u32 s71, s7, s17
	s_add_u32 s8, s47, s8
	s_addc_u32 s47, 0, s59
	s_add_u32 s8, s8, s26
	s_mul_i32 s17, s7, s17
	s_addc_u32 s8, s47, s70
	s_addc_u32 s26, s71, 0
	s_add_u32 s8, s8, s17
	s_addc_u32 s17, 0, s26
	v_add_co_u32 v2, s8, v2, s8
	s_delay_alu instid0(VALU_DEP_1) | instskip(SKIP_1) | instid1(VALU_DEP_1)
	s_cmp_lg_u32 s8, 0
	s_addc_u32 s7, s7, s17
	v_readfirstlane_b32 s8, v2
	s_mul_i32 s17, s9, s7
	s_delay_alu instid0(VALU_DEP_1)
	s_mul_hi_u32 s26, s9, s8
	s_mul_i32 s16, s16, s8
	s_add_i32 s17, s26, s17
	s_mul_i32 s9, s9, s8
	s_add_i32 s17, s17, s16
	s_mul_hi_u32 s26, s7, s9
	s_mul_i32 s47, s7, s9
	s_mul_hi_u32 s9, s8, s9
	s_mul_hi_u32 s59, s8, s17
	s_mul_i32 s8, s8, s17
	s_mul_hi_u32 s16, s7, s17
	s_add_u32 s8, s9, s8
	s_addc_u32 s9, 0, s59
	s_add_u32 s8, s8, s47
	s_mul_i32 s17, s7, s17
	s_addc_u32 s8, s9, s26
	s_addc_u32 s9, s16, 0
	s_add_u32 s8, s8, s17
	s_addc_u32 s9, 0, s9
	v_add_co_u32 v2, s8, v2, s8
	s_delay_alu instid0(VALU_DEP_1) | instskip(SKIP_1) | instid1(VALU_DEP_1)
	s_cmp_lg_u32 s8, 0
	s_addc_u32 s7, s7, s9
	v_readfirstlane_b32 s8, v2
	s_mul_i32 s16, s87, s7
	s_mul_hi_u32 s9, s87, s7
	s_mul_hi_u32 s17, s27, s7
	s_mul_i32 s7, s27, s7
	s_mul_hi_u32 s26, s87, s8
	s_mul_hi_u32 s47, s27, s8
	s_mul_i32 s8, s27, s8
	s_add_u32 s16, s26, s16
	s_addc_u32 s9, 0, s9
	s_add_u32 s8, s16, s8
	s_addc_u32 s8, s9, s47
	s_addc_u32 s9, s17, 0
	s_add_u32 s7, s8, s7
	s_addc_u32 s8, 0, s9
	s_mul_hi_u32 s9, s33, s7
	s_mul_i32 s7, s33, s7
	s_mul_i32 s8, s33, s8
	v_sub_co_u32 v2, s7, s87, s7
	s_add_i32 s9, s9, s8
	s_cmp_lg_u32 s7, 0
	s_delay_alu instid0(VALU_DEP_1) | instskip(SKIP_2) | instid1(VALU_DEP_1)
	v_sub_co_u32 v3, s7, v2, s33
	s_subb_u32 s8, s27, s9
	s_cmp_lg_u32 s7, 0
	v_cmp_le_u32_e32 vcc_lo, s33, v3
	v_sub_co_u32 v6, s7, v3, s33
	s_subb_u32 s9, s8, 0
	s_cmp_lg_u32 s7, 0
	v_cndmask_b32_e64 v7, 0, -1, vcc_lo
	s_subb_u32 s7, s9, 0
	s_cmp_eq_u32 s9, 0
	v_mov_b32_e32 v9, s7
	s_cselect_b32 vcc_lo, -1, 0
	s_cmp_eq_u32 s8, 0
	v_cndmask_b32_e32 v7, -1, v7, vcc_lo
	v_cmp_le_u32_e32 vcc_lo, s33, v2
	s_cselect_b32 s7, -1, 0
	v_cndmask_b32_e64 v8, 0, -1, vcc_lo
	s_delay_alu instid0(VALU_DEP_3) | instskip(NEXT) | instid1(VALU_DEP_2)
	v_cmp_ne_u32_e32 vcc_lo, 0, v7
	v_cndmask_b32_e64 v7, -1, v8, s7
	v_cndmask_b32_e32 v8, s9, v9, vcc_lo
	v_cndmask_b32_e32 v6, v3, v6, vcc_lo
	s_delay_alu instid0(VALU_DEP_3) | instskip(NEXT) | instid1(VALU_DEP_3)
	v_cmp_ne_u32_e32 vcc_lo, 0, v7
	v_cndmask_b32_e32 v3, s8, v8, vcc_lo
	s_delay_alu instid0(VALU_DEP_3)
	v_cndmask_b32_e32 v2, v2, v6, vcc_lo
	s_cbranch_execnz .LBB153_370
.LBB153_369:                            ;   in Loop: Header=BB153_31 Depth=1
	v_cvt_f32_u32_e32 v2, s33
	s_sub_i32 s7, 0, s33
	s_delay_alu instid0(VALU_DEP_1) | instskip(SKIP_2) | instid1(VALU_DEP_1)
	v_rcp_iflag_f32_e32 v2, v2
	s_waitcnt_depctr 0xfff
	v_mul_f32_e32 v2, 0x4f7ffffe, v2
	v_cvt_u32_f32_e32 v2, v2
	s_delay_alu instid0(VALU_DEP_1) | instskip(NEXT) | instid1(VALU_DEP_1)
	v_mul_lo_u32 v3, s7, v2
	v_mul_hi_u32 v3, v2, v3
	s_delay_alu instid0(VALU_DEP_1) | instskip(NEXT) | instid1(VALU_DEP_1)
	v_add_nc_u32_e32 v2, v2, v3
	v_mul_hi_u32 v2, s87, v2
	s_delay_alu instid0(VALU_DEP_1) | instskip(NEXT) | instid1(VALU_DEP_1)
	v_mul_lo_u32 v2, v2, s33
	v_sub_nc_u32_e32 v2, s87, v2
	s_delay_alu instid0(VALU_DEP_1) | instskip(SKIP_1) | instid1(VALU_DEP_2)
	v_subrev_nc_u32_e32 v3, s33, v2
	v_cmp_le_u32_e32 vcc_lo, s33, v2
	v_cndmask_b32_e32 v2, v2, v3, vcc_lo
	s_delay_alu instid0(VALU_DEP_1) | instskip(SKIP_1) | instid1(VALU_DEP_2)
	v_subrev_nc_u32_e32 v3, s33, v2
	v_cmp_le_u32_e32 vcc_lo, s33, v2
	v_cndmask_b32_e32 v12, v2, v3, vcc_lo
	s_delay_alu instid0(VALU_DEP_1)
	v_dual_mov_b32 v2, v12 :: v_dual_mov_b32 v3, v13
.LBB153_370:                            ;   in Loop: Header=BB153_31 Depth=1
	s_delay_alu instid0(VALU_DEP_1) | instskip(NEXT) | instid1(VALU_DEP_2)
	v_sub_co_u32 v2, vcc_lo, s87, v2
	v_sub_co_ci_u32_e32 v3, vcc_lo, s27, v3, vcc_lo
	s_mov_b32 s26, 0
	s_mov_b32 s7, exec_lo
                                        ; implicit-def: $vgpr28
	s_delay_alu instid0(VALU_DEP_1)
	v_cmpx_gt_u64_e64 v[2:3], v[0:1]
	s_cbranch_execz .LBB153_379
; %bb.371:                              ;   in Loop: Header=BB153_31 Depth=1
	v_dual_mov_b32 v6, v24 :: v_dual_mov_b32 v7, v25
	v_dual_mov_b32 v9, v1 :: v_dual_mov_b32 v8, v0
	s_mov_b32 s8, 0
                                        ; implicit-def: $sgpr9
	s_set_inst_prefetch_distance 0x1
	s_branch .LBB153_373
	.p2align	6
.LBB153_372:                            ;   in Loop: Header=BB153_373 Depth=2
	s_or_b32 exec_lo, exec_lo, s16
	s_waitcnt vmcnt(0) lgkmcnt(0)
	s_barrier
	buffer_gl0_inv
	ds_load_b64 v[27:28], v13 offset:3072
	v_add_co_u32 v8, vcc_lo, v8, s33
	v_add_co_ci_u32_e32 v9, vcc_lo, 0, v9, vcc_lo
	s_waitcnt lgkmcnt(0)
	s_barrier
	buffer_gl0_inv
	v_cmp_ge_u64_e32 vcc_lo, v[8:9], v[2:3]
	v_readfirstlane_b32 s16, v27
	s_delay_alu instid0(VALU_DEP_1) | instskip(SKIP_1) | instid1(SALU_CYCLE_1)
	s_cmp_lg_u32 s16, 0
	s_cselect_b32 s16, -1, 0
	s_or_b32 s17, vcc_lo, s16
	v_add_co_u32 v6, vcc_lo, v6, s34
	s_and_b32 s17, exec_lo, s17
	v_add_co_ci_u32_e32 v7, vcc_lo, s35, v7, vcc_lo
	s_or_b32 s8, s17, s8
	s_and_not1_b32 s9, s9, exec_lo
	s_and_b32 s16, s16, exec_lo
	s_delay_alu instid0(SALU_CYCLE_1)
	s_or_b32 s9, s9, s16
	s_and_not1_b32 exec_lo, exec_lo, s8
	s_cbranch_execz .LBB153_378
.LBB153_373:                            ;   Parent Loop BB153_31 Depth=1
                                        ; =>  This Inner Loop Header: Depth=2
	s_delay_alu instid0(VALU_DEP_1)
	v_cmp_gt_u64_e32 vcc_lo, s[36:37], v[8:9]
	v_mov_b32_e32 v27, 0
	s_and_saveexec_b32 s16, vcc_lo
	s_cbranch_execz .LBB153_375
; %bb.374:                              ;   in Loop: Header=BB153_373 Depth=2
	global_load_b32 v27, v[6:7], off
.LBB153_375:                            ;   in Loop: Header=BB153_373 Depth=2
	s_or_b32 exec_lo, exec_lo, s16
	s_and_saveexec_b32 s16, vcc_lo
	s_cbranch_execz .LBB153_372
; %bb.376:                              ;   in Loop: Header=BB153_373 Depth=2
	s_waitcnt vmcnt(0)
	v_xor_b32_e32 v12, 0x80000000, v27
	s_delay_alu instid0(VALU_DEP_1) | instskip(NEXT) | instid1(VALU_DEP_1)
	v_and_b32_e32 v12, v12, v49
	v_cmp_eq_u32_e32 vcc_lo, v12, v50
	s_and_b32 exec_lo, exec_lo, vcc_lo
	s_cbranch_execz .LBB153_372
; %bb.377:                              ;   in Loop: Header=BB153_373 Depth=2
	ds_store_b64 v13, v[26:27] offset:3072
	s_branch .LBB153_372
.LBB153_378:                            ;   in Loop: Header=BB153_31 Depth=1
	s_set_inst_prefetch_distance 0x2
	s_or_b32 exec_lo, exec_lo, s8
	s_delay_alu instid0(SALU_CYCLE_1)
	s_and_b32 s26, s9, exec_lo
.LBB153_379:                            ;   in Loop: Header=BB153_31 Depth=1
	s_or_b32 exec_lo, exec_lo, s7
	s_mov_b32 s17, 0
	s_mov_b32 s16, -1
	s_mov_b32 s70, 0
.LBB153_380:                            ;   in Loop: Header=BB153_31 Depth=1
	s_or_not1_b32 s7, s26, exec_lo
.LBB153_381:                            ;   in Loop: Header=BB153_31 Depth=1
	s_or_b32 exec_lo, exec_lo, s46
	s_mov_b32 s26, 0
                                        ; implicit-def: $vgpr8
	s_and_saveexec_b32 s71, s7
	s_cbranch_execz .LBB153_494
; %bb.382:                              ;   in Loop: Header=BB153_31 Depth=1
	v_mov_b32_e32 v2, 1
	v_dual_mov_b32 v3, 0 :: v_dual_mov_b32 v8, 1
	s_xor_b32 s8, s58, -1
	s_delay_alu instid0(SALU_CYCLE_1)
	s_and_saveexec_b32 s7, s8
	s_cbranch_execz .LBB153_392
; %bb.383:                              ;   in Loop: Header=BB153_31 Depth=1
	s_mov_b32 s9, exec_lo
                                        ; implicit-def: $sgpr26
                                        ; implicit-def: $sgpr8
	v_cmpx_ge_u64_e64 s[14:15], v[4:5]
	s_xor_b32 s9, exec_lo, s9
	s_cbranch_execz .LBB153_389
; %bb.384:                              ;   in Loop: Header=BB153_31 Depth=1
	ds_load_b64 v[2:3], v13 offset:5120
	s_waitcnt lgkmcnt(0)
	v_cmp_ne_u64_e32 vcc_lo, 0, v[2:3]
	s_cbranch_vccnz .LBB153_388
; %bb.385:                              ;   in Loop: Header=BB153_31 Depth=1
	s_and_saveexec_b32 s8, s5
	s_cbranch_execz .LBB153_387
; %bb.386:                              ;   in Loop: Header=BB153_31 Depth=1
	v_dual_mov_b32 v2, s14 :: v_dual_mov_b32 v3, s15
	ds_store_b64 v13, v[2:3] offset:5128
.LBB153_387:                            ;   in Loop: Header=BB153_31 Depth=1
	s_or_b32 exec_lo, exec_lo, s8
	s_waitcnt lgkmcnt(0)
	s_barrier
	buffer_gl0_inv
.LBB153_388:                            ;   in Loop: Header=BB153_31 Depth=1
	s_lshl_b32 s8, 2, s22
	v_or_b32_e32 v49, s20, v49
	v_and_or_b32 v50, v50, s21, s8
	s_mov_b32 s8, 0
	s_mov_b32 s26, 5
.LBB153_389:                            ;   in Loop: Header=BB153_31 Depth=1
	s_or_saveexec_b32 s9, s9
	v_mov_b32_e32 v8, s26
	s_xor_b32 exec_lo, exec_lo, s9
; %bb.390:                              ;   in Loop: Header=BB153_31 Depth=1
	v_sub_co_u32 v4, vcc_lo, v4, s14
	v_subrev_co_ci_u32_e32 v5, vcc_lo, s15, v5, vcc_lo
	v_mov_b32_e32 v8, 0
	s_or_b32 s8, s8, exec_lo
; %bb.391:                              ;   in Loop: Header=BB153_31 Depth=1
	s_or_b32 exec_lo, exec_lo, s9
	s_delay_alu instid0(VALU_DEP_2)
	v_dual_mov_b32 v2, v4 :: v_dual_mov_b32 v3, v5
	s_and_b32 s26, s8, exec_lo
.LBB153_392:                            ;   in Loop: Header=BB153_31 Depth=1
	s_or_b32 exec_lo, exec_lo, s7
	s_mov_b32 s7, -1
                                        ; implicit-def: $sgpr8
                                        ; implicit-def: $sgpr9
                                        ; implicit-def: $sgpr14
	s_and_saveexec_b32 s72, s26
	s_cbranch_execz .LBB153_493
; %bb.393:                              ;   in Loop: Header=BB153_31 Depth=1
	v_cmp_eq_u64_e32 vcc_lo, 1, v[2:3]
	s_cmp_eq_u64 s[12:13], 1
                                        ; implicit-def: $sgpr14
                                        ; implicit-def: $sgpr15
                                        ; implicit-def: $sgpr73
	s_cselect_b32 s7, -1, 0
	s_delay_alu instid0(SALU_CYCLE_1)
	s_and_b32 s58, s7, vcc_lo
	s_mov_b32 s7, -1
	s_and_saveexec_b32 s46, s58
	s_cbranch_execz .LBB153_427
; %bb.394:                              ;   in Loop: Header=BB153_31 Depth=1
	ds_load_b64 v[4:5], v13 offset:5120
	s_waitcnt lgkmcnt(0)
	s_barrier
	buffer_gl0_inv
	v_readfirstlane_b32 s8, v4
	v_readfirstlane_b32 s9, v5
	s_and_saveexec_b32 s7, s6
	s_cbranch_execz .LBB153_396
; %bb.395:                              ;   in Loop: Header=BB153_31 Depth=1
	ds_store_b32 v46, v13
.LBB153_396:                            ;   in Loop: Header=BB153_31 Depth=1
	s_or_b32 exec_lo, exec_lo, s7
	s_lshl_b32 s7, 1, s22
	v_or_b32_e32 v49, s20, v49
	v_and_or_b32 v50, v50, s21, s7
	s_cmp_eq_u64 s[8:9], 0
	s_waitcnt lgkmcnt(0)
	s_barrier
	buffer_gl0_inv
	s_cbranch_scc1 .LBB153_410
; %bb.397:                              ;   in Loop: Header=BB153_31 Depth=1
	s_add_u32 s26, s85, s8
	s_addc_u32 s15, s86, s9
	s_mov_b32 s14, s61
	s_delay_alu instid0(SALU_CYCLE_1)
	s_cmp_lg_u64 s[14:15], 0
	s_cbranch_scc0 .LBB153_445
; %bb.398:                              ;   in Loop: Header=BB153_31 Depth=1
	v_cvt_f32_u32_e32 v4, s33
	s_sub_u32 s47, 0, s33
	s_subb_u32 s59, 0, 0
	s_delay_alu instid0(VALU_DEP_1) | instskip(NEXT) | instid1(VALU_DEP_1)
	v_fmac_f32_e64 v4, 0, 0x4f800000
	v_rcp_f32_e32 v4, v4
	s_waitcnt_depctr 0xfff
	v_mul_f32_e32 v4, 0x5f7ffffc, v4
	s_delay_alu instid0(VALU_DEP_1) | instskip(NEXT) | instid1(VALU_DEP_1)
	v_mul_f32_e32 v5, 0x2f800000, v4
	v_trunc_f32_e32 v5, v5
	s_delay_alu instid0(VALU_DEP_1) | instskip(SKIP_1) | instid1(VALU_DEP_2)
	v_fmac_f32_e32 v4, 0xcf800000, v5
	v_cvt_u32_f32_e32 v5, v5
	v_cvt_u32_f32_e32 v4, v4
	s_delay_alu instid0(VALU_DEP_2) | instskip(NEXT) | instid1(VALU_DEP_2)
	v_readfirstlane_b32 s7, v5
	v_readfirstlane_b32 s14, v4
	s_delay_alu instid0(VALU_DEP_2) | instskip(NEXT) | instid1(VALU_DEP_1)
	s_mul_i32 s73, s47, s7
	s_mul_hi_u32 s75, s47, s14
	s_mul_i32 s74, s59, s14
	s_add_i32 s73, s75, s73
	s_mul_i32 s76, s47, s14
	s_add_i32 s73, s73, s74
	s_mul_hi_u32 s75, s14, s76
	s_mul_hi_u32 s77, s7, s76
	s_mul_i32 s74, s7, s76
	s_mul_hi_u32 s76, s14, s73
	s_mul_i32 s14, s14, s73
	s_mul_hi_u32 s78, s7, s73
	s_add_u32 s14, s75, s14
	s_addc_u32 s75, 0, s76
	s_add_u32 s14, s14, s74
	s_mul_i32 s73, s7, s73
	s_addc_u32 s14, s75, s77
	s_addc_u32 s74, s78, 0
	s_add_u32 s14, s14, s73
	s_addc_u32 s73, 0, s74
	v_add_co_u32 v4, s14, v4, s14
	s_delay_alu instid0(VALU_DEP_1) | instskip(SKIP_1) | instid1(VALU_DEP_1)
	s_cmp_lg_u32 s14, 0
	s_addc_u32 s7, s7, s73
	v_readfirstlane_b32 s14, v4
	s_mul_i32 s73, s47, s7
	s_delay_alu instid0(VALU_DEP_1)
	s_mul_hi_u32 s74, s47, s14
	s_mul_i32 s59, s59, s14
	s_add_i32 s73, s74, s73
	s_mul_i32 s47, s47, s14
	s_add_i32 s73, s73, s59
	s_mul_hi_u32 s74, s7, s47
	s_mul_i32 s75, s7, s47
	s_mul_hi_u32 s47, s14, s47
	s_mul_hi_u32 s76, s14, s73
	s_mul_i32 s14, s14, s73
	s_mul_hi_u32 s59, s7, s73
	s_add_u32 s14, s47, s14
	s_addc_u32 s47, 0, s76
	s_add_u32 s14, s14, s75
	s_mul_i32 s73, s7, s73
	s_addc_u32 s14, s47, s74
	s_addc_u32 s47, s59, 0
	s_add_u32 s14, s14, s73
	s_addc_u32 s47, 0, s47
	v_add_co_u32 v4, s14, v4, s14
	s_delay_alu instid0(VALU_DEP_1) | instskip(SKIP_1) | instid1(VALU_DEP_1)
	s_cmp_lg_u32 s14, 0
	s_addc_u32 s7, s7, s47
	v_readfirstlane_b32 s14, v4
	s_mul_i32 s59, s26, s7
	s_mul_hi_u32 s47, s26, s7
	s_mul_hi_u32 s73, s15, s7
	s_mul_i32 s7, s15, s7
	s_mul_hi_u32 s74, s26, s14
	s_mul_hi_u32 s75, s15, s14
	s_mul_i32 s14, s15, s14
	s_add_u32 s59, s74, s59
	s_addc_u32 s47, 0, s47
	s_add_u32 s14, s59, s14
	s_addc_u32 s14, s47, s75
	s_addc_u32 s47, s73, 0
	s_add_u32 s7, s14, s7
	s_addc_u32 s14, 0, s47
	s_mul_hi_u32 s47, s33, s7
	s_mul_i32 s7, s33, s7
	s_mul_i32 s14, s33, s14
	v_sub_co_u32 v4, s7, s26, s7
	s_add_i32 s47, s47, s14
	s_cmp_lg_u32 s7, 0
	s_delay_alu instid0(VALU_DEP_1) | instskip(SKIP_3) | instid1(VALU_DEP_2)
	v_sub_co_u32 v5, s7, v4, s33
	s_subb_u32 s14, s15, s47
	s_cmp_lg_u32 s7, 0
	v_cmp_le_u32_e32 vcc_lo, s33, v4
	v_cmp_le_u32_e64 s7, s33, v5
	v_sub_co_u32 v6, s47, v5, s33
	s_subb_u32 s59, s14, 0
	s_cmp_lg_u32 s47, 0
	s_delay_alu instid0(VALU_DEP_2)
	v_cndmask_b32_e64 v7, 0, -1, s7
	s_subb_u32 s47, s59, 0
	s_cmp_eq_u32 s59, 0
	v_mov_b32_e32 v9, s47
	v_cndmask_b32_e64 v8, 0, -1, vcc_lo
	s_cselect_b32 vcc_lo, -1, 0
	s_cmp_eq_u32 s14, 0
	v_cndmask_b32_e32 v7, -1, v7, vcc_lo
	s_cselect_b32 vcc_lo, -1, 0
	v_cndmask_b32_e32 v8, -1, v8, vcc_lo
	s_delay_alu instid0(VALU_DEP_2) | instskip(NEXT) | instid1(VALU_DEP_2)
	v_cmp_ne_u32_e32 vcc_lo, 0, v7
	v_cmp_ne_u32_e64 s7, 0, v8
	v_cndmask_b32_e32 v7, s59, v9, vcc_lo
	v_cndmask_b32_e32 v6, v5, v6, vcc_lo
	s_delay_alu instid0(VALU_DEP_2) | instskip(NEXT) | instid1(VALU_DEP_2)
	v_cndmask_b32_e64 v5, s14, v7, s7
	v_cndmask_b32_e64 v4, v4, v6, s7
	s_cbranch_execnz .LBB153_400
.LBB153_399:                            ;   in Loop: Header=BB153_31 Depth=1
	v_cvt_f32_u32_e32 v4, s33
	s_sub_i32 s7, 0, s33
	s_delay_alu instid0(VALU_DEP_1) | instskip(SKIP_2) | instid1(VALU_DEP_1)
	v_rcp_iflag_f32_e32 v4, v4
	s_waitcnt_depctr 0xfff
	v_mul_f32_e32 v4, 0x4f7ffffe, v4
	v_cvt_u32_f32_e32 v4, v4
	s_delay_alu instid0(VALU_DEP_1) | instskip(NEXT) | instid1(VALU_DEP_1)
	v_mul_lo_u32 v5, s7, v4
	v_mul_hi_u32 v5, v4, v5
	s_delay_alu instid0(VALU_DEP_1) | instskip(NEXT) | instid1(VALU_DEP_1)
	v_add_nc_u32_e32 v4, v4, v5
	v_mul_hi_u32 v4, s26, v4
	s_delay_alu instid0(VALU_DEP_1) | instskip(NEXT) | instid1(VALU_DEP_1)
	v_mul_lo_u32 v4, v4, s33
	v_sub_nc_u32_e32 v4, s26, v4
	s_delay_alu instid0(VALU_DEP_1) | instskip(SKIP_1) | instid1(VALU_DEP_2)
	v_subrev_nc_u32_e32 v5, s33, v4
	v_cmp_le_u32_e32 vcc_lo, s33, v4
	v_cndmask_b32_e32 v4, v4, v5, vcc_lo
	s_delay_alu instid0(VALU_DEP_1) | instskip(SKIP_1) | instid1(VALU_DEP_2)
	v_subrev_nc_u32_e32 v5, s33, v4
	v_cmp_le_u32_e32 vcc_lo, s33, v4
	v_cndmask_b32_e32 v12, v4, v5, vcc_lo
	s_delay_alu instid0(VALU_DEP_1)
	v_dual_mov_b32 v4, v12 :: v_dual_mov_b32 v5, v13
.LBB153_400:                            ;   in Loop: Header=BB153_31 Depth=1
	s_delay_alu instid0(VALU_DEP_1) | instskip(NEXT) | instid1(VALU_DEP_2)
	v_sub_co_u32 v4, vcc_lo, s26, v4
	v_sub_co_ci_u32_e32 v5, vcc_lo, s15, v5, vcc_lo
	s_mov_b32 s26, 0
	s_mov_b32 s7, exec_lo
                                        ; implicit-def: $vgpr28
	s_delay_alu instid0(VALU_DEP_1)
	v_cmpx_gt_u64_e64 v[4:5], v[0:1]
	s_cbranch_execz .LBB153_412
; %bb.401:                              ;   in Loop: Header=BB153_31 Depth=1
	v_dual_mov_b32 v8, v14 :: v_dual_mov_b32 v7, v1
	v_mov_b32_e32 v6, v0
	s_mov_b32 s14, 0
                                        ; implicit-def: $sgpr15
	s_set_inst_prefetch_distance 0x1
	s_branch .LBB153_403
	.p2align	6
.LBB153_402:                            ;   in Loop: Header=BB153_403 Depth=2
	s_or_b32 exec_lo, exec_lo, s26
	s_waitcnt lgkmcnt(0)
	s_barrier
	buffer_gl0_inv
	ds_load_b64 v[27:28], v13 offset:3072
	v_add_co_u32 v6, vcc_lo, v6, s33
	v_add_co_ci_u32_e32 v7, vcc_lo, 0, v7, vcc_lo
	v_add_nc_u32_e32 v8, s93, v8
	s_waitcnt lgkmcnt(0)
	s_barrier
	s_delay_alu instid0(VALU_DEP_2) | instskip(SKIP_2) | instid1(VALU_DEP_1)
	v_cmp_ge_u64_e32 vcc_lo, v[6:7], v[4:5]
	buffer_gl0_inv
	v_readfirstlane_b32 s26, v27
	s_cmp_lg_u32 s26, 0
	s_cselect_b32 s26, -1, 0
	s_delay_alu instid0(SALU_CYCLE_1) | instskip(NEXT) | instid1(SALU_CYCLE_1)
	s_or_b32 s47, vcc_lo, s26
	s_and_b32 s47, exec_lo, s47
	s_delay_alu instid0(SALU_CYCLE_1) | instskip(SKIP_2) | instid1(SALU_CYCLE_1)
	s_or_b32 s14, s47, s14
	s_and_not1_b32 s15, s15, exec_lo
	s_and_b32 s26, s26, exec_lo
	s_or_b32 s15, s15, s26
	s_and_not1_b32 exec_lo, exec_lo, s14
	s_cbranch_execz .LBB153_411
.LBB153_403:                            ;   Parent Loop BB153_31 Depth=1
                                        ; =>  This Inner Loop Header: Depth=2
	s_delay_alu instid0(VALU_DEP_1)
	v_cmp_gt_u64_e32 vcc_lo, s[8:9], v[6:7]
	v_mov_b32_e32 v27, 0
	s_and_saveexec_b32 s26, vcc_lo
	s_cbranch_execz .LBB153_405
; %bb.404:                              ;   in Loop: Header=BB153_403 Depth=2
	ds_load_b32 v27, v8
.LBB153_405:                            ;   in Loop: Header=BB153_403 Depth=2
	s_or_b32 exec_lo, exec_lo, s26
	s_and_saveexec_b32 s26, vcc_lo
	s_cbranch_execz .LBB153_402
; %bb.406:                              ;   in Loop: Header=BB153_403 Depth=2
	s_waitcnt lgkmcnt(0)
	v_xor_b32_e32 v9, 0x80000000, v27
	s_delay_alu instid0(VALU_DEP_1) | instskip(NEXT) | instid1(VALU_DEP_1)
	v_and_b32_e32 v9, v9, v49
	v_cmp_eq_u32_e32 vcc_lo, v9, v50
	s_and_b32 exec_lo, exec_lo, vcc_lo
	s_cbranch_execz .LBB153_402
; %bb.407:                              ;   in Loop: Header=BB153_403 Depth=2
	ds_store_b64 v13, v[26:27] offset:3072
	s_branch .LBB153_402
.LBB153_408:                            ;   in Loop: Header=BB153_31 Depth=1
                                        ; implicit-def: $vgpr2_vgpr3
	s_branch .LBB153_353
.LBB153_409:                            ;   in Loop: Header=BB153_31 Depth=1
                                        ; implicit-def: $vgpr2_vgpr3
	s_branch .LBB153_369
.LBB153_410:                            ;   in Loop: Header=BB153_31 Depth=1
	s_mov_b32 s14, -1
	s_mov_b32 s26, 0
                                        ; implicit-def: $sgpr15
                                        ; implicit-def: $vgpr28
	s_mov_b32 s73, s14
	s_cbranch_execnz .LBB153_413
	s_branch .LBB153_426
.LBB153_411:                            ;   in Loop: Header=BB153_31 Depth=1
	s_set_inst_prefetch_distance 0x2
	s_or_b32 exec_lo, exec_lo, s14
	s_delay_alu instid0(SALU_CYCLE_1)
	s_and_b32 s26, s15, exec_lo
.LBB153_412:                            ;   in Loop: Header=BB153_31 Depth=1
	s_or_b32 exec_lo, exec_lo, s7
	s_mov_b32 s14, 0
	s_mov_b32 s15, -1
	s_mov_b32 s73, s14
	s_branch .LBB153_426
.LBB153_413:                            ;   in Loop: Header=BB153_31 Depth=1
	s_mov_b32 s26, s61
	s_delay_alu instid0(SALU_CYCLE_1)
	s_cmp_lg_u64 s[26:27], 0
	s_cbranch_scc0 .LBB153_446
; %bb.414:                              ;   in Loop: Header=BB153_31 Depth=1
	v_cvt_f32_u32_e32 v4, s33
	s_sub_u32 s9, 0, s33
	s_subb_u32 s14, 0, 0
	s_delay_alu instid0(VALU_DEP_1) | instskip(NEXT) | instid1(VALU_DEP_1)
	v_fmac_f32_e64 v4, 0, 0x4f800000
	v_rcp_f32_e32 v4, v4
	s_waitcnt_depctr 0xfff
	v_mul_f32_e32 v4, 0x5f7ffffc, v4
	s_delay_alu instid0(VALU_DEP_1) | instskip(NEXT) | instid1(VALU_DEP_1)
	v_mul_f32_e32 v5, 0x2f800000, v4
	v_trunc_f32_e32 v5, v5
	s_delay_alu instid0(VALU_DEP_1) | instskip(SKIP_1) | instid1(VALU_DEP_2)
	v_fmac_f32_e32 v4, 0xcf800000, v5
	v_cvt_u32_f32_e32 v5, v5
	v_cvt_u32_f32_e32 v4, v4
	s_delay_alu instid0(VALU_DEP_2) | instskip(NEXT) | instid1(VALU_DEP_2)
	v_readfirstlane_b32 s7, v5
	v_readfirstlane_b32 s8, v4
	s_delay_alu instid0(VALU_DEP_2) | instskip(NEXT) | instid1(VALU_DEP_1)
	s_mul_i32 s15, s9, s7
	s_mul_hi_u32 s47, s9, s8
	s_mul_i32 s26, s14, s8
	s_add_i32 s15, s47, s15
	s_mul_i32 s59, s9, s8
	s_add_i32 s15, s15, s26
	s_mul_hi_u32 s47, s8, s59
	s_mul_hi_u32 s73, s7, s59
	s_mul_i32 s26, s7, s59
	s_mul_hi_u32 s59, s8, s15
	s_mul_i32 s8, s8, s15
	s_mul_hi_u32 s74, s7, s15
	s_add_u32 s8, s47, s8
	s_addc_u32 s47, 0, s59
	s_add_u32 s8, s8, s26
	s_mul_i32 s15, s7, s15
	s_addc_u32 s8, s47, s73
	s_addc_u32 s26, s74, 0
	s_add_u32 s8, s8, s15
	s_addc_u32 s15, 0, s26
	v_add_co_u32 v4, s8, v4, s8
	s_delay_alu instid0(VALU_DEP_1) | instskip(SKIP_1) | instid1(VALU_DEP_1)
	s_cmp_lg_u32 s8, 0
	s_addc_u32 s7, s7, s15
	v_readfirstlane_b32 s8, v4
	s_mul_i32 s15, s9, s7
	s_delay_alu instid0(VALU_DEP_1)
	s_mul_hi_u32 s26, s9, s8
	s_mul_i32 s14, s14, s8
	s_add_i32 s15, s26, s15
	s_mul_i32 s9, s9, s8
	s_add_i32 s15, s15, s14
	s_mul_hi_u32 s26, s7, s9
	s_mul_i32 s47, s7, s9
	s_mul_hi_u32 s9, s8, s9
	s_mul_hi_u32 s59, s8, s15
	s_mul_i32 s8, s8, s15
	s_mul_hi_u32 s14, s7, s15
	s_add_u32 s8, s9, s8
	s_addc_u32 s9, 0, s59
	s_add_u32 s8, s8, s47
	s_mul_i32 s15, s7, s15
	s_addc_u32 s8, s9, s26
	s_addc_u32 s9, s14, 0
	s_add_u32 s8, s8, s15
	s_addc_u32 s9, 0, s9
	v_add_co_u32 v4, s8, v4, s8
	s_delay_alu instid0(VALU_DEP_1) | instskip(SKIP_1) | instid1(VALU_DEP_1)
	s_cmp_lg_u32 s8, 0
	s_addc_u32 s7, s7, s9
	v_readfirstlane_b32 s8, v4
	s_mul_i32 s14, s87, s7
	s_mul_hi_u32 s9, s87, s7
	s_mul_hi_u32 s15, s27, s7
	s_mul_i32 s7, s27, s7
	s_mul_hi_u32 s26, s87, s8
	s_mul_hi_u32 s47, s27, s8
	s_mul_i32 s8, s27, s8
	s_add_u32 s14, s26, s14
	s_addc_u32 s9, 0, s9
	s_add_u32 s8, s14, s8
	s_addc_u32 s8, s9, s47
	s_addc_u32 s9, s15, 0
	s_add_u32 s7, s8, s7
	s_addc_u32 s8, 0, s9
	s_mul_hi_u32 s9, s33, s7
	s_mul_i32 s7, s33, s7
	s_mul_i32 s8, s33, s8
	v_sub_co_u32 v4, s7, s87, s7
	s_add_i32 s9, s9, s8
	s_cmp_lg_u32 s7, 0
	s_delay_alu instid0(VALU_DEP_1) | instskip(SKIP_3) | instid1(VALU_DEP_2)
	v_sub_co_u32 v5, s7, v4, s33
	s_subb_u32 s8, s27, s9
	s_cmp_lg_u32 s7, 0
	v_cmp_le_u32_e32 vcc_lo, s33, v4
	v_cmp_le_u32_e64 s7, s33, v5
	v_sub_co_u32 v6, s9, v5, s33
	s_subb_u32 s14, s8, 0
	s_cmp_lg_u32 s9, 0
	s_delay_alu instid0(VALU_DEP_2)
	v_cndmask_b32_e64 v7, 0, -1, s7
	s_subb_u32 s9, s14, 0
	s_cmp_eq_u32 s14, 0
	v_mov_b32_e32 v9, s9
	v_cndmask_b32_e64 v8, 0, -1, vcc_lo
	s_cselect_b32 vcc_lo, -1, 0
	s_cmp_eq_u32 s8, 0
	v_cndmask_b32_e32 v7, -1, v7, vcc_lo
	s_cselect_b32 vcc_lo, -1, 0
	v_cndmask_b32_e32 v8, -1, v8, vcc_lo
	s_delay_alu instid0(VALU_DEP_2) | instskip(NEXT) | instid1(VALU_DEP_2)
	v_cmp_ne_u32_e32 vcc_lo, 0, v7
	v_cmp_ne_u32_e64 s7, 0, v8
	v_cndmask_b32_e32 v7, s14, v9, vcc_lo
	v_cndmask_b32_e32 v6, v5, v6, vcc_lo
	s_delay_alu instid0(VALU_DEP_2) | instskip(NEXT) | instid1(VALU_DEP_2)
	v_cndmask_b32_e64 v5, s8, v7, s7
	v_cndmask_b32_e64 v4, v4, v6, s7
	s_cbranch_execnz .LBB153_416
.LBB153_415:                            ;   in Loop: Header=BB153_31 Depth=1
	v_cvt_f32_u32_e32 v4, s33
	s_sub_i32 s7, 0, s33
	s_delay_alu instid0(VALU_DEP_1) | instskip(SKIP_2) | instid1(VALU_DEP_1)
	v_rcp_iflag_f32_e32 v4, v4
	s_waitcnt_depctr 0xfff
	v_mul_f32_e32 v4, 0x4f7ffffe, v4
	v_cvt_u32_f32_e32 v4, v4
	s_delay_alu instid0(VALU_DEP_1) | instskip(NEXT) | instid1(VALU_DEP_1)
	v_mul_lo_u32 v5, s7, v4
	v_mul_hi_u32 v5, v4, v5
	s_delay_alu instid0(VALU_DEP_1) | instskip(NEXT) | instid1(VALU_DEP_1)
	v_add_nc_u32_e32 v4, v4, v5
	v_mul_hi_u32 v4, s87, v4
	s_delay_alu instid0(VALU_DEP_1) | instskip(NEXT) | instid1(VALU_DEP_1)
	v_mul_lo_u32 v4, v4, s33
	v_sub_nc_u32_e32 v4, s87, v4
	s_delay_alu instid0(VALU_DEP_1) | instskip(SKIP_1) | instid1(VALU_DEP_2)
	v_subrev_nc_u32_e32 v5, s33, v4
	v_cmp_le_u32_e32 vcc_lo, s33, v4
	v_cndmask_b32_e32 v4, v4, v5, vcc_lo
	s_delay_alu instid0(VALU_DEP_1) | instskip(SKIP_1) | instid1(VALU_DEP_2)
	v_subrev_nc_u32_e32 v5, s33, v4
	v_cmp_le_u32_e32 vcc_lo, s33, v4
	v_cndmask_b32_e32 v12, v4, v5, vcc_lo
	s_delay_alu instid0(VALU_DEP_1)
	v_dual_mov_b32 v4, v12 :: v_dual_mov_b32 v5, v13
.LBB153_416:                            ;   in Loop: Header=BB153_31 Depth=1
	s_delay_alu instid0(VALU_DEP_1) | instskip(NEXT) | instid1(VALU_DEP_2)
	v_sub_co_u32 v4, vcc_lo, s87, v4
	v_sub_co_ci_u32_e32 v5, vcc_lo, s27, v5, vcc_lo
	s_mov_b32 s26, 0
	s_mov_b32 s7, exec_lo
                                        ; implicit-def: $vgpr28
	s_delay_alu instid0(VALU_DEP_1)
	v_cmpx_gt_u64_e64 v[4:5], v[0:1]
	s_cbranch_execz .LBB153_425
; %bb.417:                              ;   in Loop: Header=BB153_31 Depth=1
	v_dual_mov_b32 v6, v24 :: v_dual_mov_b32 v7, v25
	v_dual_mov_b32 v9, v1 :: v_dual_mov_b32 v8, v0
	s_mov_b32 s8, 0
                                        ; implicit-def: $sgpr9
	s_set_inst_prefetch_distance 0x1
	s_branch .LBB153_419
	.p2align	6
.LBB153_418:                            ;   in Loop: Header=BB153_419 Depth=2
	s_or_b32 exec_lo, exec_lo, s14
	s_waitcnt vmcnt(0) lgkmcnt(0)
	s_barrier
	buffer_gl0_inv
	ds_load_b64 v[27:28], v13 offset:3072
	v_add_co_u32 v8, vcc_lo, v8, s33
	v_add_co_ci_u32_e32 v9, vcc_lo, 0, v9, vcc_lo
	s_waitcnt lgkmcnt(0)
	s_barrier
	buffer_gl0_inv
	v_cmp_ge_u64_e32 vcc_lo, v[8:9], v[4:5]
	v_readfirstlane_b32 s14, v27
	s_delay_alu instid0(VALU_DEP_1) | instskip(SKIP_1) | instid1(SALU_CYCLE_1)
	s_cmp_lg_u32 s14, 0
	s_cselect_b32 s14, -1, 0
	s_or_b32 s15, vcc_lo, s14
	v_add_co_u32 v6, vcc_lo, v6, s34
	s_and_b32 s15, exec_lo, s15
	v_add_co_ci_u32_e32 v7, vcc_lo, s35, v7, vcc_lo
	s_or_b32 s8, s15, s8
	s_and_not1_b32 s9, s9, exec_lo
	s_and_b32 s14, s14, exec_lo
	s_delay_alu instid0(SALU_CYCLE_1)
	s_or_b32 s9, s9, s14
	s_and_not1_b32 exec_lo, exec_lo, s8
	s_cbranch_execz .LBB153_424
.LBB153_419:                            ;   Parent Loop BB153_31 Depth=1
                                        ; =>  This Inner Loop Header: Depth=2
	s_delay_alu instid0(VALU_DEP_1)
	v_cmp_gt_u64_e32 vcc_lo, s[36:37], v[8:9]
	v_mov_b32_e32 v27, 0
	s_and_saveexec_b32 s14, vcc_lo
	s_cbranch_execz .LBB153_421
; %bb.420:                              ;   in Loop: Header=BB153_419 Depth=2
	global_load_b32 v27, v[6:7], off
.LBB153_421:                            ;   in Loop: Header=BB153_419 Depth=2
	s_or_b32 exec_lo, exec_lo, s14
	s_and_saveexec_b32 s14, vcc_lo
	s_cbranch_execz .LBB153_418
; %bb.422:                              ;   in Loop: Header=BB153_419 Depth=2
	s_waitcnt vmcnt(0)
	v_xor_b32_e32 v12, 0x80000000, v27
	s_delay_alu instid0(VALU_DEP_1) | instskip(NEXT) | instid1(VALU_DEP_1)
	v_and_b32_e32 v12, v12, v49
	v_cmp_eq_u32_e32 vcc_lo, v12, v50
	s_and_b32 exec_lo, exec_lo, vcc_lo
	s_cbranch_execz .LBB153_418
; %bb.423:                              ;   in Loop: Header=BB153_419 Depth=2
	ds_store_b64 v13, v[26:27] offset:3072
	s_branch .LBB153_418
.LBB153_424:                            ;   in Loop: Header=BB153_31 Depth=1
	s_set_inst_prefetch_distance 0x2
	s_or_b32 exec_lo, exec_lo, s8
	s_delay_alu instid0(SALU_CYCLE_1)
	s_and_b32 s26, s9, exec_lo
.LBB153_425:                            ;   in Loop: Header=BB153_31 Depth=1
	s_or_b32 exec_lo, exec_lo, s7
	s_mov_b32 s15, 0
	s_mov_b32 s14, -1
	s_mov_b32 s73, 0
.LBB153_426:                            ;   in Loop: Header=BB153_31 Depth=1
	s_or_not1_b32 s7, s26, exec_lo
.LBB153_427:                            ;   in Loop: Header=BB153_31 Depth=1
	s_or_b32 exec_lo, exec_lo, s46
	s_mov_b32 s26, 0
                                        ; implicit-def: $vgpr8
	s_and_saveexec_b32 s74, s7
	s_cbranch_execz .LBB153_492
; %bb.428:                              ;   in Loop: Header=BB153_31 Depth=1
	v_mov_b32_e32 v4, 1
	v_dual_mov_b32 v5, 0 :: v_dual_mov_b32 v8, 1
	s_xor_b32 s8, s58, -1
	s_delay_alu instid0(SALU_CYCLE_1)
	s_and_saveexec_b32 s7, s8
	s_cbranch_execz .LBB153_438
; %bb.429:                              ;   in Loop: Header=BB153_31 Depth=1
	s_mov_b32 s9, exec_lo
                                        ; implicit-def: $sgpr26
                                        ; implicit-def: $sgpr8
	v_cmpx_ge_u64_e64 s[12:13], v[2:3]
	s_xor_b32 s9, exec_lo, s9
	s_cbranch_execz .LBB153_435
; %bb.430:                              ;   in Loop: Header=BB153_31 Depth=1
	ds_load_b64 v[4:5], v13 offset:5120
	s_waitcnt lgkmcnt(0)
	v_cmp_ne_u64_e32 vcc_lo, 0, v[4:5]
	s_cbranch_vccnz .LBB153_434
; %bb.431:                              ;   in Loop: Header=BB153_31 Depth=1
	s_and_saveexec_b32 s8, s5
	s_cbranch_execz .LBB153_433
; %bb.432:                              ;   in Loop: Header=BB153_31 Depth=1
	v_dual_mov_b32 v4, s12 :: v_dual_mov_b32 v5, s13
	ds_store_b64 v13, v[4:5] offset:5128
.LBB153_433:                            ;   in Loop: Header=BB153_31 Depth=1
	s_or_b32 exec_lo, exec_lo, s8
	s_waitcnt lgkmcnt(0)
	s_barrier
	buffer_gl0_inv
.LBB153_434:                            ;   in Loop: Header=BB153_31 Depth=1
	s_lshl_b32 s8, 1, s22
	v_or_b32_e32 v49, s20, v49
	v_and_or_b32 v50, v50, s21, s8
	s_mov_b32 s8, 0
	s_mov_b32 s26, 5
.LBB153_435:                            ;   in Loop: Header=BB153_31 Depth=1
	s_or_saveexec_b32 s9, s9
	v_mov_b32_e32 v8, s26
	s_xor_b32 exec_lo, exec_lo, s9
; %bb.436:                              ;   in Loop: Header=BB153_31 Depth=1
	v_sub_co_u32 v2, vcc_lo, v2, s12
	v_subrev_co_ci_u32_e32 v3, vcc_lo, s13, v3, vcc_lo
	v_mov_b32_e32 v8, 0
	s_or_b32 s8, s8, exec_lo
; %bb.437:                              ;   in Loop: Header=BB153_31 Depth=1
	s_or_b32 exec_lo, exec_lo, s9
	s_delay_alu instid0(VALU_DEP_2)
	v_dual_mov_b32 v5, v3 :: v_dual_mov_b32 v4, v2
	s_and_b32 s26, s8, exec_lo
.LBB153_438:                            ;   in Loop: Header=BB153_31 Depth=1
	s_or_b32 exec_lo, exec_lo, s7
	s_mov_b32 s12, -1
                                        ; implicit-def: $sgpr7
                                        ; implicit-def: $sgpr8
                                        ; implicit-def: $sgpr9
	s_and_saveexec_b32 s22, s26
	s_cbranch_execz .LBB153_491
; %bb.439:                              ;   in Loop: Header=BB153_31 Depth=1
	v_cmp_eq_u64_e32 vcc_lo, 1, v[4:5]
	s_cmp_eq_u64 s[10:11], 1
	s_mov_b32 s13, -1
	s_cselect_b32 s7, -1, 0
                                        ; implicit-def: $sgpr8
                                        ; implicit-def: $sgpr9
	s_delay_alu instid0(SALU_CYCLE_1) | instskip(NEXT) | instid1(SALU_CYCLE_1)
	s_and_b32 s58, s7, vcc_lo
                                        ; implicit-def: $sgpr7
	s_and_saveexec_b32 s46, s58
	s_cbranch_execz .LBB153_478
; %bb.440:                              ;   in Loop: Header=BB153_31 Depth=1
	ds_load_b64 v[2:3], v13 offset:5120
	s_waitcnt lgkmcnt(0)
	s_barrier
	buffer_gl0_inv
	v_readfirstlane_b32 s8, v2
	v_readfirstlane_b32 s9, v3
	s_and_saveexec_b32 s7, s6
	s_cbranch_execz .LBB153_442
; %bb.441:                              ;   in Loop: Header=BB153_31 Depth=1
	ds_store_b32 v46, v13
.LBB153_442:                            ;   in Loop: Header=BB153_31 Depth=1
	s_or_b32 exec_lo, exec_lo, s7
	v_and_b32_e32 v50, s21, v50
	v_or_b32_e32 v49, s20, v49
	s_cmp_eq_u64 s[8:9], 0
	s_waitcnt lgkmcnt(0)
	s_barrier
	buffer_gl0_inv
	s_cbranch_scc1 .LBB153_447
; %bb.443:                              ;   in Loop: Header=BB153_31 Depth=1
	s_add_u32 s26, s85, s8
	s_addc_u32 s13, s86, s9
	s_mov_b32 s12, s61
	s_delay_alu instid0(SALU_CYCLE_1)
	s_cmp_lg_u64 s[12:13], 0
	s_cbranch_scc0 .LBB153_448
; %bb.444:                              ;   in Loop: Header=BB153_31 Depth=1
	v_cvt_f32_u32_e32 v2, s33
	s_sub_u32 s47, 0, s33
	s_subb_u32 s59, 0, 0
	s_delay_alu instid0(VALU_DEP_1) | instskip(NEXT) | instid1(VALU_DEP_1)
	v_fmac_f32_e64 v2, 0, 0x4f800000
	v_rcp_f32_e32 v2, v2
	s_waitcnt_depctr 0xfff
	v_mul_f32_e32 v2, 0x5f7ffffc, v2
	s_delay_alu instid0(VALU_DEP_1) | instskip(NEXT) | instid1(VALU_DEP_1)
	v_mul_f32_e32 v3, 0x2f800000, v2
	v_trunc_f32_e32 v3, v3
	s_delay_alu instid0(VALU_DEP_1) | instskip(SKIP_1) | instid1(VALU_DEP_2)
	v_fmac_f32_e32 v2, 0xcf800000, v3
	v_cvt_u32_f32_e32 v3, v3
	v_cvt_u32_f32_e32 v2, v2
	s_delay_alu instid0(VALU_DEP_2) | instskip(NEXT) | instid1(VALU_DEP_2)
	v_readfirstlane_b32 s7, v3
	v_readfirstlane_b32 s12, v2
	s_delay_alu instid0(VALU_DEP_2) | instskip(NEXT) | instid1(VALU_DEP_1)
	s_mul_i32 s75, s47, s7
	s_mul_hi_u32 s77, s47, s12
	s_mul_i32 s76, s59, s12
	s_add_i32 s75, s77, s75
	s_mul_i32 s78, s47, s12
	s_add_i32 s75, s75, s76
	s_mul_hi_u32 s77, s12, s78
	s_mul_hi_u32 s79, s7, s78
	s_mul_i32 s76, s7, s78
	s_mul_hi_u32 s78, s12, s75
	s_mul_i32 s12, s12, s75
	s_mul_hi_u32 vcc_lo, s7, s75
	s_add_u32 s12, s77, s12
	s_addc_u32 s77, 0, s78
	s_add_u32 s12, s12, s76
	s_mul_i32 s75, s7, s75
	s_addc_u32 s12, s77, s79
	s_addc_u32 s76, vcc_lo, 0
	s_add_u32 s12, s12, s75
	s_addc_u32 s75, 0, s76
	v_add_co_u32 v2, s12, v2, s12
	s_delay_alu instid0(VALU_DEP_1) | instskip(SKIP_1) | instid1(VALU_DEP_1)
	s_cmp_lg_u32 s12, 0
	s_addc_u32 s7, s7, s75
	v_readfirstlane_b32 s12, v2
	s_mul_i32 s75, s47, s7
	s_delay_alu instid0(VALU_DEP_1)
	s_mul_hi_u32 s76, s47, s12
	s_mul_i32 s59, s59, s12
	s_add_i32 s75, s76, s75
	s_mul_i32 s47, s47, s12
	s_add_i32 s75, s75, s59
	s_mul_hi_u32 s76, s7, s47
	s_mul_i32 s77, s7, s47
	s_mul_hi_u32 s47, s12, s47
	s_mul_hi_u32 s78, s12, s75
	s_mul_i32 s12, s12, s75
	s_mul_hi_u32 s59, s7, s75
	s_add_u32 s12, s47, s12
	s_addc_u32 s47, 0, s78
	s_add_u32 s12, s12, s77
	s_mul_i32 s75, s7, s75
	s_addc_u32 s12, s47, s76
	s_addc_u32 s47, s59, 0
	s_add_u32 s12, s12, s75
	s_addc_u32 s47, 0, s47
	v_add_co_u32 v2, s12, v2, s12
	s_delay_alu instid0(VALU_DEP_1) | instskip(SKIP_1) | instid1(VALU_DEP_1)
	s_cmp_lg_u32 s12, 0
	s_addc_u32 s7, s7, s47
	v_readfirstlane_b32 s12, v2
	s_mul_i32 s59, s26, s7
	s_mul_hi_u32 s47, s26, s7
	s_mul_hi_u32 s75, s13, s7
	s_mul_i32 s7, s13, s7
	s_mul_hi_u32 s76, s26, s12
	s_mul_hi_u32 s77, s13, s12
	s_mul_i32 s12, s13, s12
	s_add_u32 s59, s76, s59
	s_addc_u32 s47, 0, s47
	s_add_u32 s12, s59, s12
	s_addc_u32 s12, s47, s77
	s_addc_u32 s47, s75, 0
	s_add_u32 s7, s12, s7
	s_addc_u32 s12, 0, s47
	s_mul_hi_u32 s47, s33, s7
	s_mul_i32 s7, s33, s7
	s_mul_i32 s12, s33, s12
	v_sub_co_u32 v2, s7, s26, s7
	s_add_i32 s47, s47, s12
	s_cmp_lg_u32 s7, 0
	s_delay_alu instid0(VALU_DEP_1) | instskip(SKIP_3) | instid1(VALU_DEP_2)
	v_sub_co_u32 v3, s7, v2, s33
	s_subb_u32 s12, s13, s47
	s_cmp_lg_u32 s7, 0
	v_cmp_le_u32_e32 vcc_lo, s33, v2
	v_cmp_le_u32_e64 s7, s33, v3
	v_sub_co_u32 v6, s47, v3, s33
	s_subb_u32 s59, s12, 0
	s_cmp_lg_u32 s47, 0
	s_delay_alu instid0(VALU_DEP_2)
	v_cndmask_b32_e64 v7, 0, -1, s7
	s_subb_u32 s47, s59, 0
	s_cmp_eq_u32 s59, 0
	v_mov_b32_e32 v9, s47
	v_cndmask_b32_e64 v8, 0, -1, vcc_lo
	s_cselect_b32 vcc_lo, -1, 0
	s_cmp_eq_u32 s12, 0
	v_cndmask_b32_e32 v7, -1, v7, vcc_lo
	s_cselect_b32 vcc_lo, -1, 0
	v_cndmask_b32_e32 v8, -1, v8, vcc_lo
	s_delay_alu instid0(VALU_DEP_2) | instskip(NEXT) | instid1(VALU_DEP_2)
	v_cmp_ne_u32_e32 vcc_lo, 0, v7
	v_cmp_ne_u32_e64 s7, 0, v8
	v_cndmask_b32_e32 v7, s59, v9, vcc_lo
	v_cndmask_b32_e32 v6, v3, v6, vcc_lo
	s_delay_alu instid0(VALU_DEP_2) | instskip(NEXT) | instid1(VALU_DEP_2)
	v_cndmask_b32_e64 v3, s12, v7, s7
	v_cndmask_b32_e64 v2, v2, v6, s7
	s_mov_b32 s7, 0
	s_branch .LBB153_449
.LBB153_445:                            ;   in Loop: Header=BB153_31 Depth=1
                                        ; implicit-def: $vgpr4_vgpr5
	s_branch .LBB153_399
.LBB153_446:                            ;   in Loop: Header=BB153_31 Depth=1
                                        ; implicit-def: $vgpr4_vgpr5
	s_branch .LBB153_415
.LBB153_447:                            ;   in Loop: Header=BB153_31 Depth=1
	s_mov_b32 s7, -1
	s_mov_b32 s12, 0
                                        ; implicit-def: $sgpr8
                                        ; implicit-def: $vgpr28
	s_branch .LBB153_461
.LBB153_448:                            ;   in Loop: Header=BB153_31 Depth=1
	s_mov_b32 s7, -1
                                        ; implicit-def: $vgpr2_vgpr3
.LBB153_449:                            ;   in Loop: Header=BB153_31 Depth=1
	s_delay_alu instid0(SALU_CYCLE_1)
	s_and_not1_b32 vcc_lo, exec_lo, s7
	s_cbranch_vccnz .LBB153_451
; %bb.450:                              ;   in Loop: Header=BB153_31 Depth=1
	v_cvt_f32_u32_e32 v2, s33
	s_sub_i32 s7, 0, s33
	s_delay_alu instid0(VALU_DEP_1) | instskip(SKIP_2) | instid1(VALU_DEP_1)
	v_rcp_iflag_f32_e32 v2, v2
	s_waitcnt_depctr 0xfff
	v_mul_f32_e32 v2, 0x4f7ffffe, v2
	v_cvt_u32_f32_e32 v2, v2
	s_delay_alu instid0(VALU_DEP_1) | instskip(NEXT) | instid1(VALU_DEP_1)
	v_mul_lo_u32 v3, s7, v2
	v_mul_hi_u32 v3, v2, v3
	s_delay_alu instid0(VALU_DEP_1) | instskip(NEXT) | instid1(VALU_DEP_1)
	v_add_nc_u32_e32 v2, v2, v3
	v_mul_hi_u32 v2, s26, v2
	s_delay_alu instid0(VALU_DEP_1) | instskip(NEXT) | instid1(VALU_DEP_1)
	v_mul_lo_u32 v2, v2, s33
	v_sub_nc_u32_e32 v2, s26, v2
	s_delay_alu instid0(VALU_DEP_1) | instskip(SKIP_1) | instid1(VALU_DEP_2)
	v_subrev_nc_u32_e32 v3, s33, v2
	v_cmp_le_u32_e32 vcc_lo, s33, v2
	v_cndmask_b32_e32 v2, v2, v3, vcc_lo
	s_delay_alu instid0(VALU_DEP_1) | instskip(SKIP_1) | instid1(VALU_DEP_2)
	v_subrev_nc_u32_e32 v3, s33, v2
	v_cmp_le_u32_e32 vcc_lo, s33, v2
	v_cndmask_b32_e32 v12, v2, v3, vcc_lo
	s_delay_alu instid0(VALU_DEP_1)
	v_dual_mov_b32 v2, v12 :: v_dual_mov_b32 v3, v13
.LBB153_451:                            ;   in Loop: Header=BB153_31 Depth=1
	s_delay_alu instid0(VALU_DEP_1) | instskip(NEXT) | instid1(VALU_DEP_2)
	v_sub_co_u32 v2, vcc_lo, s26, v2
	v_sub_co_ci_u32_e32 v3, vcc_lo, s13, v3, vcc_lo
	s_mov_b32 s12, 0
	s_mov_b32 s7, exec_lo
                                        ; implicit-def: $vgpr28
	s_delay_alu instid0(VALU_DEP_1)
	v_cmpx_gt_u64_e64 v[2:3], v[0:1]
	s_cbranch_execz .LBB153_460
; %bb.452:                              ;   in Loop: Header=BB153_31 Depth=1
	v_dual_mov_b32 v8, v14 :: v_dual_mov_b32 v7, v1
	v_mov_b32_e32 v6, v0
                                        ; implicit-def: $sgpr13
	s_set_inst_prefetch_distance 0x1
	s_branch .LBB153_454
	.p2align	6
.LBB153_453:                            ;   in Loop: Header=BB153_454 Depth=2
	s_or_b32 exec_lo, exec_lo, s26
	s_waitcnt lgkmcnt(0)
	s_barrier
	buffer_gl0_inv
	ds_load_b64 v[27:28], v13 offset:3072
	v_add_co_u32 v6, vcc_lo, v6, s33
	v_add_co_ci_u32_e32 v7, vcc_lo, 0, v7, vcc_lo
	v_add_nc_u32_e32 v8, s93, v8
	s_waitcnt lgkmcnt(0)
	s_barrier
	s_delay_alu instid0(VALU_DEP_2) | instskip(SKIP_2) | instid1(VALU_DEP_1)
	v_cmp_ge_u64_e32 vcc_lo, v[6:7], v[2:3]
	buffer_gl0_inv
	v_readfirstlane_b32 s26, v27
	s_cmp_lg_u32 s26, 0
	s_cselect_b32 s26, -1, 0
	s_delay_alu instid0(SALU_CYCLE_1) | instskip(NEXT) | instid1(SALU_CYCLE_1)
	s_or_b32 s47, vcc_lo, s26
	s_and_b32 s47, exec_lo, s47
	s_delay_alu instid0(SALU_CYCLE_1) | instskip(SKIP_2) | instid1(SALU_CYCLE_1)
	s_or_b32 s12, s47, s12
	s_and_not1_b32 s13, s13, exec_lo
	s_and_b32 s26, s26, exec_lo
	s_or_b32 s13, s13, s26
	s_and_not1_b32 exec_lo, exec_lo, s12
	s_cbranch_execz .LBB153_459
.LBB153_454:                            ;   Parent Loop BB153_31 Depth=1
                                        ; =>  This Inner Loop Header: Depth=2
	s_delay_alu instid0(VALU_DEP_1)
	v_cmp_gt_u64_e32 vcc_lo, s[8:9], v[6:7]
	v_mov_b32_e32 v27, 0
	s_and_saveexec_b32 s26, vcc_lo
	s_cbranch_execz .LBB153_456
; %bb.455:                              ;   in Loop: Header=BB153_454 Depth=2
	ds_load_b32 v27, v8
.LBB153_456:                            ;   in Loop: Header=BB153_454 Depth=2
	s_or_b32 exec_lo, exec_lo, s26
	s_and_saveexec_b32 s26, vcc_lo
	s_cbranch_execz .LBB153_453
; %bb.457:                              ;   in Loop: Header=BB153_454 Depth=2
	s_waitcnt lgkmcnt(0)
	v_xor_b32_e32 v9, 0x80000000, v27
	s_delay_alu instid0(VALU_DEP_1) | instskip(NEXT) | instid1(VALU_DEP_1)
	v_and_b32_e32 v9, v9, v49
	v_cmp_eq_u32_e32 vcc_lo, v9, v50
	s_and_b32 exec_lo, exec_lo, vcc_lo
	s_cbranch_execz .LBB153_453
; %bb.458:                              ;   in Loop: Header=BB153_454 Depth=2
	ds_store_b64 v13, v[26:27] offset:3072
	s_branch .LBB153_453
.LBB153_459:                            ;   in Loop: Header=BB153_31 Depth=1
	s_set_inst_prefetch_distance 0x2
	s_or_b32 exec_lo, exec_lo, s12
	s_delay_alu instid0(SALU_CYCLE_1)
	s_and_b32 s12, s13, exec_lo
.LBB153_460:                            ;   in Loop: Header=BB153_31 Depth=1
	s_or_b32 exec_lo, exec_lo, s7
	s_mov_b32 s7, 0
	s_mov_b32 s8, -1
.LBB153_461:                            ;   in Loop: Header=BB153_31 Depth=1
	s_and_b32 vcc_lo, exec_lo, s7
	s_mov_b32 s9, s7
	s_cbranch_vccz .LBB153_477
; %bb.462:                              ;   in Loop: Header=BB153_31 Depth=1
	s_mov_b32 s26, s61
	s_delay_alu instid0(SALU_CYCLE_1)
	s_cmp_lg_u64 s[26:27], 0
	s_cbranch_scc0 .LBB153_464
; %bb.463:                              ;   in Loop: Header=BB153_31 Depth=1
	v_cvt_f32_u32_e32 v2, s33
	s_sub_u32 s9, 0, s33
	s_subb_u32 s12, 0, 0
	s_delay_alu instid0(VALU_DEP_1) | instskip(NEXT) | instid1(VALU_DEP_1)
	v_fmac_f32_e64 v2, 0, 0x4f800000
	v_rcp_f32_e32 v2, v2
	s_waitcnt_depctr 0xfff
	v_mul_f32_e32 v2, 0x5f7ffffc, v2
	s_delay_alu instid0(VALU_DEP_1) | instskip(NEXT) | instid1(VALU_DEP_1)
	v_mul_f32_e32 v3, 0x2f800000, v2
	v_trunc_f32_e32 v3, v3
	s_delay_alu instid0(VALU_DEP_1) | instskip(SKIP_1) | instid1(VALU_DEP_2)
	v_fmac_f32_e32 v2, 0xcf800000, v3
	v_cvt_u32_f32_e32 v3, v3
	v_cvt_u32_f32_e32 v2, v2
	s_delay_alu instid0(VALU_DEP_2) | instskip(NEXT) | instid1(VALU_DEP_2)
	v_readfirstlane_b32 s7, v3
	v_readfirstlane_b32 s8, v2
	s_delay_alu instid0(VALU_DEP_2) | instskip(NEXT) | instid1(VALU_DEP_1)
	s_mul_i32 s13, s9, s7
	s_mul_hi_u32 s47, s9, s8
	s_mul_i32 s26, s12, s8
	s_add_i32 s13, s47, s13
	s_mul_i32 s59, s9, s8
	s_add_i32 s13, s13, s26
	s_mul_hi_u32 s47, s8, s59
	s_mul_hi_u32 s75, s7, s59
	s_mul_i32 s26, s7, s59
	s_mul_hi_u32 s59, s8, s13
	s_mul_i32 s8, s8, s13
	s_mul_hi_u32 s76, s7, s13
	s_add_u32 s8, s47, s8
	s_addc_u32 s47, 0, s59
	s_add_u32 s8, s8, s26
	s_mul_i32 s13, s7, s13
	s_addc_u32 s8, s47, s75
	s_addc_u32 s26, s76, 0
	s_add_u32 s8, s8, s13
	s_addc_u32 s13, 0, s26
	v_add_co_u32 v2, s8, v2, s8
	s_delay_alu instid0(VALU_DEP_1) | instskip(SKIP_1) | instid1(VALU_DEP_1)
	s_cmp_lg_u32 s8, 0
	s_addc_u32 s7, s7, s13
	v_readfirstlane_b32 s8, v2
	s_mul_i32 s13, s9, s7
	s_delay_alu instid0(VALU_DEP_1)
	s_mul_hi_u32 s26, s9, s8
	s_mul_i32 s12, s12, s8
	s_add_i32 s13, s26, s13
	s_mul_i32 s9, s9, s8
	s_add_i32 s13, s13, s12
	s_mul_hi_u32 s26, s7, s9
	s_mul_i32 s47, s7, s9
	s_mul_hi_u32 s9, s8, s9
	s_mul_hi_u32 s59, s8, s13
	s_mul_i32 s8, s8, s13
	s_mul_hi_u32 s12, s7, s13
	s_add_u32 s8, s9, s8
	s_addc_u32 s9, 0, s59
	s_add_u32 s8, s8, s47
	s_mul_i32 s13, s7, s13
	s_addc_u32 s8, s9, s26
	s_addc_u32 s9, s12, 0
	s_add_u32 s8, s8, s13
	s_addc_u32 s9, 0, s9
	v_add_co_u32 v2, s8, v2, s8
	s_delay_alu instid0(VALU_DEP_1) | instskip(SKIP_1) | instid1(VALU_DEP_1)
	s_cmp_lg_u32 s8, 0
	s_addc_u32 s7, s7, s9
	v_readfirstlane_b32 s8, v2
	s_mul_i32 s12, s87, s7
	s_mul_hi_u32 s9, s87, s7
	s_mul_hi_u32 s13, s27, s7
	s_mul_i32 s7, s27, s7
	s_mul_hi_u32 s26, s87, s8
	s_mul_hi_u32 s47, s27, s8
	s_mul_i32 s8, s27, s8
	s_add_u32 s12, s26, s12
	s_addc_u32 s9, 0, s9
	s_add_u32 s8, s12, s8
	s_addc_u32 s8, s9, s47
	s_addc_u32 s9, s13, 0
	s_add_u32 s7, s8, s7
	s_addc_u32 s8, 0, s9
	s_mul_hi_u32 s9, s33, s7
	s_mul_i32 s7, s33, s7
	s_mul_i32 s8, s33, s8
	v_sub_co_u32 v2, s7, s87, s7
	s_add_i32 s9, s9, s8
	s_cmp_lg_u32 s7, 0
	s_delay_alu instid0(VALU_DEP_1) | instskip(SKIP_3) | instid1(VALU_DEP_2)
	v_sub_co_u32 v3, s7, v2, s33
	s_subb_u32 s8, s27, s9
	s_cmp_lg_u32 s7, 0
	v_cmp_le_u32_e32 vcc_lo, s33, v2
	v_cmp_le_u32_e64 s7, s33, v3
	v_sub_co_u32 v6, s9, v3, s33
	s_subb_u32 s12, s8, 0
	s_cmp_lg_u32 s9, 0
	s_delay_alu instid0(VALU_DEP_2)
	v_cndmask_b32_e64 v7, 0, -1, s7
	s_subb_u32 s9, s12, 0
	s_cmp_eq_u32 s12, 0
	v_mov_b32_e32 v9, s9
	v_cndmask_b32_e64 v8, 0, -1, vcc_lo
	s_cselect_b32 vcc_lo, -1, 0
	s_cmp_eq_u32 s8, 0
	v_cndmask_b32_e32 v7, -1, v7, vcc_lo
	s_cselect_b32 vcc_lo, -1, 0
	v_cndmask_b32_e32 v8, -1, v8, vcc_lo
	s_delay_alu instid0(VALU_DEP_2) | instskip(NEXT) | instid1(VALU_DEP_2)
	v_cmp_ne_u32_e32 vcc_lo, 0, v7
	v_cmp_ne_u32_e64 s7, 0, v8
	v_cndmask_b32_e32 v7, s12, v9, vcc_lo
	v_cndmask_b32_e32 v6, v3, v6, vcc_lo
	s_delay_alu instid0(VALU_DEP_2) | instskip(NEXT) | instid1(VALU_DEP_2)
	v_cndmask_b32_e64 v3, s8, v7, s7
	v_cndmask_b32_e64 v2, v2, v6, s7
	s_mov_b32 s7, 0
	s_branch .LBB153_465
.LBB153_464:                            ;   in Loop: Header=BB153_31 Depth=1
	s_mov_b32 s7, -1
                                        ; implicit-def: $vgpr2_vgpr3
.LBB153_465:                            ;   in Loop: Header=BB153_31 Depth=1
	s_delay_alu instid0(SALU_CYCLE_1)
	s_and_not1_b32 vcc_lo, exec_lo, s7
	s_cbranch_vccnz .LBB153_467
; %bb.466:                              ;   in Loop: Header=BB153_31 Depth=1
	v_cvt_f32_u32_e32 v2, s33
	s_sub_i32 s7, 0, s33
	s_delay_alu instid0(VALU_DEP_1) | instskip(SKIP_2) | instid1(VALU_DEP_1)
	v_rcp_iflag_f32_e32 v2, v2
	s_waitcnt_depctr 0xfff
	v_mul_f32_e32 v2, 0x4f7ffffe, v2
	v_cvt_u32_f32_e32 v2, v2
	s_delay_alu instid0(VALU_DEP_1) | instskip(NEXT) | instid1(VALU_DEP_1)
	v_mul_lo_u32 v3, s7, v2
	v_mul_hi_u32 v3, v2, v3
	s_delay_alu instid0(VALU_DEP_1) | instskip(NEXT) | instid1(VALU_DEP_1)
	v_add_nc_u32_e32 v2, v2, v3
	v_mul_hi_u32 v2, s87, v2
	s_delay_alu instid0(VALU_DEP_1) | instskip(NEXT) | instid1(VALU_DEP_1)
	v_mul_lo_u32 v2, v2, s33
	v_sub_nc_u32_e32 v2, s87, v2
	s_delay_alu instid0(VALU_DEP_1) | instskip(SKIP_1) | instid1(VALU_DEP_2)
	v_subrev_nc_u32_e32 v3, s33, v2
	v_cmp_le_u32_e32 vcc_lo, s33, v2
	v_cndmask_b32_e32 v2, v2, v3, vcc_lo
	s_delay_alu instid0(VALU_DEP_1) | instskip(SKIP_1) | instid1(VALU_DEP_2)
	v_subrev_nc_u32_e32 v3, s33, v2
	v_cmp_le_u32_e32 vcc_lo, s33, v2
	v_cndmask_b32_e32 v12, v2, v3, vcc_lo
	s_delay_alu instid0(VALU_DEP_1)
	v_dual_mov_b32 v2, v12 :: v_dual_mov_b32 v3, v13
.LBB153_467:                            ;   in Loop: Header=BB153_31 Depth=1
	s_delay_alu instid0(VALU_DEP_1) | instskip(NEXT) | instid1(VALU_DEP_2)
	v_sub_co_u32 v2, vcc_lo, s87, v2
	v_sub_co_ci_u32_e32 v3, vcc_lo, s27, v3, vcc_lo
	s_mov_b32 s12, 0
	s_mov_b32 s7, exec_lo
                                        ; implicit-def: $vgpr28
	s_delay_alu instid0(VALU_DEP_1)
	v_cmpx_gt_u64_e64 v[2:3], v[0:1]
	s_cbranch_execz .LBB153_476
; %bb.468:                              ;   in Loop: Header=BB153_31 Depth=1
	v_dual_mov_b32 v6, v24 :: v_dual_mov_b32 v7, v25
	v_dual_mov_b32 v9, v1 :: v_dual_mov_b32 v8, v0
	s_mov_b32 s8, 0
                                        ; implicit-def: $sgpr9
	s_set_inst_prefetch_distance 0x1
	s_branch .LBB153_470
	.p2align	6
.LBB153_469:                            ;   in Loop: Header=BB153_470 Depth=2
	s_or_b32 exec_lo, exec_lo, s12
	s_waitcnt vmcnt(0) lgkmcnt(0)
	s_barrier
	buffer_gl0_inv
	ds_load_b64 v[27:28], v13 offset:3072
	v_add_co_u32 v8, vcc_lo, v8, s33
	v_add_co_ci_u32_e32 v9, vcc_lo, 0, v9, vcc_lo
	s_waitcnt lgkmcnt(0)
	s_barrier
	buffer_gl0_inv
	v_cmp_ge_u64_e32 vcc_lo, v[8:9], v[2:3]
	v_readfirstlane_b32 s12, v27
	s_delay_alu instid0(VALU_DEP_1) | instskip(SKIP_1) | instid1(SALU_CYCLE_1)
	s_cmp_lg_u32 s12, 0
	s_cselect_b32 s12, -1, 0
	s_or_b32 s13, vcc_lo, s12
	v_add_co_u32 v6, vcc_lo, v6, s34
	s_and_b32 s13, exec_lo, s13
	v_add_co_ci_u32_e32 v7, vcc_lo, s35, v7, vcc_lo
	s_or_b32 s8, s13, s8
	s_and_not1_b32 s9, s9, exec_lo
	s_and_b32 s12, s12, exec_lo
	s_delay_alu instid0(SALU_CYCLE_1)
	s_or_b32 s9, s9, s12
	s_and_not1_b32 exec_lo, exec_lo, s8
	s_cbranch_execz .LBB153_475
.LBB153_470:                            ;   Parent Loop BB153_31 Depth=1
                                        ; =>  This Inner Loop Header: Depth=2
	s_delay_alu instid0(VALU_DEP_1)
	v_cmp_gt_u64_e32 vcc_lo, s[36:37], v[8:9]
	v_mov_b32_e32 v27, 0
	s_and_saveexec_b32 s12, vcc_lo
	s_cbranch_execz .LBB153_472
; %bb.471:                              ;   in Loop: Header=BB153_470 Depth=2
	global_load_b32 v27, v[6:7], off
.LBB153_472:                            ;   in Loop: Header=BB153_470 Depth=2
	s_or_b32 exec_lo, exec_lo, s12
	s_and_saveexec_b32 s12, vcc_lo
	s_cbranch_execz .LBB153_469
; %bb.473:                              ;   in Loop: Header=BB153_470 Depth=2
	s_waitcnt vmcnt(0)
	v_xor_b32_e32 v12, 0x80000000, v27
	s_delay_alu instid0(VALU_DEP_1) | instskip(NEXT) | instid1(VALU_DEP_1)
	v_and_b32_e32 v12, v12, v49
	v_cmp_eq_u32_e32 vcc_lo, v12, v50
	s_and_b32 exec_lo, exec_lo, vcc_lo
	s_cbranch_execz .LBB153_469
; %bb.474:                              ;   in Loop: Header=BB153_470 Depth=2
	ds_store_b64 v13, v[26:27] offset:3072
	s_branch .LBB153_469
.LBB153_475:                            ;   in Loop: Header=BB153_31 Depth=1
	s_set_inst_prefetch_distance 0x2
	s_or_b32 exec_lo, exec_lo, s8
	s_delay_alu instid0(SALU_CYCLE_1)
	s_and_b32 s12, s9, exec_lo
.LBB153_476:                            ;   in Loop: Header=BB153_31 Depth=1
	s_or_b32 exec_lo, exec_lo, s7
	s_mov_b32 s8, 0
	s_mov_b32 s7, -1
	s_mov_b32 s9, 0
.LBB153_477:                            ;   in Loop: Header=BB153_31 Depth=1
	s_or_not1_b32 s13, s12, exec_lo
.LBB153_478:                            ;   in Loop: Header=BB153_31 Depth=1
	s_or_b32 exec_lo, exec_lo, s46
	s_mov_b32 s26, 0
                                        ; implicit-def: $vgpr8
                                        ; implicit-def: $vgpr2_vgpr3
	s_and_saveexec_b32 s12, s13
	s_cbranch_execz .LBB153_490
; %bb.479:                              ;   in Loop: Header=BB153_31 Depth=1
	v_mov_b32_e32 v2, 1
	v_dual_mov_b32 v3, 0 :: v_dual_mov_b32 v8, 1
	s_xor_b32 s26, s58, -1
	s_delay_alu instid0(SALU_CYCLE_1)
	s_and_saveexec_b32 s13, s26
	s_cbranch_execz .LBB153_489
; %bb.480:                              ;   in Loop: Header=BB153_31 Depth=1
	s_mov_b32 s26, exec_lo
                                        ; implicit-def: $sgpr46
	v_cmpx_ge_u64_e64 s[10:11], v[4:5]
	s_xor_b32 s26, exec_lo, s26
	s_cbranch_execz .LBB153_486
; %bb.481:                              ;   in Loop: Header=BB153_31 Depth=1
	ds_load_b64 v[2:3], v13 offset:5120
	s_waitcnt lgkmcnt(0)
	v_cmp_ne_u64_e32 vcc_lo, 0, v[2:3]
	s_cbranch_vccnz .LBB153_485
; %bb.482:                              ;   in Loop: Header=BB153_31 Depth=1
	s_and_saveexec_b32 s46, s5
	s_cbranch_execz .LBB153_484
; %bb.483:                              ;   in Loop: Header=BB153_31 Depth=1
	v_dual_mov_b32 v2, s10 :: v_dual_mov_b32 v3, s11
	ds_store_b64 v13, v[2:3] offset:5128
.LBB153_484:                            ;   in Loop: Header=BB153_31 Depth=1
	s_or_b32 exec_lo, exec_lo, s46
	s_waitcnt lgkmcnt(0)
	s_barrier
	buffer_gl0_inv
.LBB153_485:                            ;   in Loop: Header=BB153_31 Depth=1
	v_and_b32_e32 v50, s21, v50
	v_or_b32_e32 v49, s20, v49
	s_mov_b32 s46, 5
.LBB153_486:                            ;   in Loop: Header=BB153_31 Depth=1
	s_or_saveexec_b32 s20, s26
	v_mov_b32_e32 v8, s46
	s_xor_b32 exec_lo, exec_lo, s20
; %bb.487:                              ;   in Loop: Header=BB153_31 Depth=1
	v_sub_co_u32 v4, vcc_lo, v4, s10
	v_subrev_co_ci_u32_e32 v5, vcc_lo, s11, v5, vcc_lo
	v_mov_b32_e32 v8, 5
; %bb.488:                              ;   in Loop: Header=BB153_31 Depth=1
	s_or_b32 exec_lo, exec_lo, s20
	s_delay_alu instid0(VALU_DEP_2)
	v_dual_mov_b32 v2, v4 :: v_dual_mov_b32 v3, v5
.LBB153_489:                            ;   in Loop: Header=BB153_31 Depth=1
	s_or_b32 exec_lo, exec_lo, s13
	s_delay_alu instid0(SALU_CYCLE_1)
	s_mov_b32 s26, exec_lo
.LBB153_490:                            ;   in Loop: Header=BB153_31 Depth=1
	s_or_b32 exec_lo, exec_lo, s12
	s_delay_alu instid0(VALU_DEP_1)
	v_dual_mov_b32 v5, v3 :: v_dual_mov_b32 v4, v2
	s_or_not1_b32 s12, s26, exec_lo
.LBB153_491:                            ;   in Loop: Header=BB153_31 Depth=1
	s_or_b32 exec_lo, exec_lo, s22
	s_delay_alu instid0(SALU_CYCLE_1)
	s_and_not1_b32 s10, s14, exec_lo
	s_and_b32 s7, s7, exec_lo
	s_and_b32 s8, s8, exec_lo
	s_or_b32 s14, s10, s7
	s_and_not1_b32 s7, s15, exec_lo
	s_and_not1_b32 s10, s73, exec_lo
	s_and_b32 s9, s9, exec_lo
	v_dual_mov_b32 v2, v4 :: v_dual_mov_b32 v3, v5
	s_or_b32 s15, s7, s8
	s_or_b32 s73, s10, s9
	s_and_b32 s26, s12, exec_lo
.LBB153_492:                            ;   in Loop: Header=BB153_31 Depth=1
	s_or_b32 exec_lo, exec_lo, s74
	s_delay_alu instid0(SALU_CYCLE_1)
	s_and_b32 s14, s14, exec_lo
	s_and_b32 s9, s15, exec_lo
	;; [unrolled: 1-line block ×3, first 2 shown]
	s_or_not1_b32 s7, s26, exec_lo
.LBB153_493:                            ;   in Loop: Header=BB153_31 Depth=1
	s_or_b32 exec_lo, exec_lo, s72
	s_delay_alu instid0(SALU_CYCLE_1)
	s_and_not1_b32 s10, s16, exec_lo
	s_and_b32 s11, s14, exec_lo
	s_and_b32 s9, s9, exec_lo
	s_or_b32 s16, s10, s11
	s_and_not1_b32 s10, s17, exec_lo
	s_and_not1_b32 s11, s70, exec_lo
	s_and_b32 s8, s8, exec_lo
	v_dual_mov_b32 v5, v3 :: v_dual_mov_b32 v4, v2
	s_or_b32 s17, s10, s9
	s_or_b32 s70, s11, s8
	s_and_b32 s26, s7, exec_lo
.LBB153_494:                            ;   in Loop: Header=BB153_31 Depth=1
	s_or_b32 exec_lo, exec_lo, s71
	s_delay_alu instid0(SALU_CYCLE_1)
	s_and_b32 s16, s16, exec_lo
	s_and_b32 s9, s17, exec_lo
	;; [unrolled: 1-line block ×3, first 2 shown]
	s_or_not1_b32 s17, s26, exec_lo
.LBB153_495:                            ;   in Loop: Header=BB153_31 Depth=1
	s_or_b32 exec_lo, exec_lo, s60
	s_mov_b32 s7, s25
	s_mov_b32 s10, s24
	s_and_saveexec_b32 s11, s17
; %bb.496:                              ;   in Loop: Header=BB153_31 Depth=1
	v_cmp_eq_u32_e32 vcc_lo, 5, v8
	v_cmp_ne_u32_e64 s7, 5, v8
	s_and_not1_b32 s10, s24, exec_lo
	s_and_not1_b32 s12, s25, exec_lo
	;; [unrolled: 1-line block ×3, first 2 shown]
	s_and_b32 s13, vcc_lo, exec_lo
	s_and_b32 s7, s7, exec_lo
	s_and_not1_b32 s9, s9, exec_lo
	s_and_not1_b32 s8, s8, exec_lo
	s_or_b32 s10, s10, s7
	s_or_b32 s7, s12, s13
; %bb.497:                              ;   in Loop: Header=BB153_31 Depth=1
	s_or_b32 exec_lo, exec_lo, s11
	s_delay_alu instid0(SALU_CYCLE_1)
	s_and_not1_b32 s3, s18, exec_lo
	s_and_b32 s11, s16, exec_lo
	s_and_b32 s9, s9, exec_lo
	s_or_b32 s18, s3, s11
	s_and_not1_b32 s3, s19, exec_lo
	s_and_not1_b32 s11, s23, exec_lo
	s_and_b32 s8, s8, exec_lo
	v_dual_mov_b32 v33, v50 :: v_dual_mov_b32 v34, v49
	v_mov_b32_e32 v3, v28
	s_or_b32 s19, s3, s9
	s_or_b32 s23, s11, s8
	s_and_not1_b32 s3, s24, exec_lo
	s_and_b32 s8, s10, exec_lo
	s_and_not1_b32 s9, s25, exec_lo
	s_and_b32 s7, s7, exec_lo
	s_or_b32 s24, s3, s8
	s_or_b32 s25, s9, s7
.LBB153_498:                            ;   in Loop: Header=BB153_31 Depth=1
	s_or_b32 exec_lo, exec_lo, s55
	s_mov_b32 s60, s23
	s_mov_b32 s55, s23
	s_and_saveexec_b32 s7, s25
.LBB153_499:                            ;   in Loop: Header=BB153_31 Depth=1
	v_mov_b32_e32 v8, 0
	s_and_not1_b32 s23, s23, exec_lo
	s_and_not1_b32 s18, s18, exec_lo
	;; [unrolled: 1-line block ×5, first 2 shown]
	s_or_b32 s24, s24, exec_lo
.LBB153_500:                            ;   in Loop: Header=BB153_31 Depth=1
	s_or_b32 exec_lo, exec_lo, s7
	s_delay_alu instid0(SALU_CYCLE_1)
	s_and_not1_b32 s3, s54, exec_lo
	s_and_b32 s7, s23, exec_lo
	s_and_not1_b32 s9, s103, exec_lo
	s_or_b32 s54, s3, s7
	s_and_not1_b32 s3, vcc_hi, exec_lo
	s_and_b32 s7, s18, exec_lo
	s_and_b32 s10, s19, exec_lo
	s_or_b32 vcc_hi, s3, s7
	s_or_b32 s103, s9, s10
	s_and_not1_b32 s3, s104, exec_lo
	s_and_b32 s7, s60, exec_lo
	s_and_not1_b32 s9, s102, exec_lo
	s_and_b32 s10, s55, exec_lo
	s_mov_b32 s8, -1
	s_or_b32 s104, s3, s7
	s_or_b32 s102, s9, s10
                                        ; implicit-def: $vgpr49
                                        ; implicit-def: $vgpr50
                                        ; implicit-def: $vgpr29_vgpr30
                                        ; implicit-def: $vgpr28
	s_and_saveexec_b32 s3, s24
	s_delay_alu instid0(SALU_CYCLE_1)
	s_xor_b32 s7, exec_lo, s3
	s_cbranch_execz .LBB153_30
; %bb.501:                              ;   in Loop: Header=BB153_31 Depth=1
	s_mov_b32 s9, -1
	s_mov_b32 s10, exec_lo
	v_cmpx_eq_u32_e32 0, v8
	s_cbranch_execz .LBB153_29
; %bb.502:                              ;   in Loop: Header=BB153_31 Depth=1
	s_xor_b32 s96, s96, 1
	s_add_i32 s11, s100, -2
	s_cmp_eq_u32 s100, 0
	s_mov_b32 s100, s11
	s_cselect_b32 s8, -1, 0
	s_xor_b32 s9, exec_lo, -1
	s_or_not1_b32 s8, s8, exec_lo
	s_branch .LBB153_29
.LBB153_503:
	s_or_b32 exec_lo, exec_lo, s94
	s_xor_b32 s7, s101, -1
	s_xor_b32 s9, s98, -1
	;; [unrolled: 1-line block ×5, first 2 shown]
	s_mov_b32 s8, 0
	s_and_saveexec_b32 s11, s3
	s_delay_alu instid0(SALU_CYCLE_1)
	s_xor_b32 s12, exec_lo, s11
	s_cbranch_execz .LBB153_560
; %bb.504:
	s_and_saveexec_b32 s3, s10
	s_delay_alu instid0(SALU_CYCLE_1)
	s_xor_b32 s13, exec_lo, s3
	s_cbranch_execz .LBB153_558
; %bb.505:
	;; [unrolled: 5-line block ×4, first 2 shown]
	s_and_saveexec_b32 s3, s6
	s_delay_alu instid0(SALU_CYCLE_1)
	s_xor_b32 s6, exec_lo, s3
; %bb.508:
	v_xor_b32_e32 v3, 0x80000000, v33
; %bb.509:
	s_or_b32 exec_lo, exec_lo, s6
	s_and_saveexec_b32 s6, s5
	s_load_b64 s[42:43], s[0:1], 0x0
	v_readlane_b32 s46, v51, 4
	s_cbranch_execz .LBB153_511
; %bb.510:
	v_mov_b32_e32 v4, 0
	s_delay_alu instid0(VALU_DEP_1)
	v_mov_b32_e32 v5, v4
	ds_store_b64 v4, v[4:5] offset:5136
.LBB153_511:
	s_or_b32 exec_lo, exec_lo, s6
	v_mov_b32_e32 v18, 0
	s_waitcnt lgkmcnt(0)
	s_barrier
	buffer_gl0_inv
	s_and_saveexec_b32 s5, s4
	s_cbranch_execz .LBB153_513
; %bb.512:
	global_load_b32 v18, v[10:11], off
.LBB153_513:
	s_or_b32 exec_lo, exec_lo, s5
	s_clause 0x1
	s_load_b64 s[18:19], s[0:1], 0x440
	s_load_b64 s[20:21], s[0:1], 0x1c8
	v_readlane_b32 s10, v51, 0
	v_readlane_b32 s11, v51, 1
	s_add_u32 s3, s36, 31
	s_addc_u32 s7, s37, 0
	v_add_nc_u32_e32 v2, s33, v0
	s_mul_i32 s5, s10, s41
	s_mul_hi_u32 s6, s10, s40
	s_mul_i32 s8, s11, s40
	s_add_i32 s5, s6, s5
	s_and_b32 s6, s3, 0xffffffe0
	s_add_i32 s9, s5, s8
	s_mul_i32 s8, s10, s40
	s_delay_alu instid0(SALU_CYCLE_1)
	s_lshl_b64 s[16:17], s[8:9], 2
	s_clause 0x1
	s_load_b64 s[8:9], s[0:1], 0x368
	s_load_b64 s[10:11], s[0:1], 0x510
	s_waitcnt lgkmcnt(0)
	s_mul_i32 s3, s18, s53
	s_mul_hi_u32 s5, s18, s52
	s_mul_i32 s18, s18, s52
	s_add_i32 s3, s5, s3
	s_mul_i32 s5, s19, s52
	s_delay_alu instid0(SALU_CYCLE_1)
	s_add_i32 s19, s3, s5
	s_add_u32 s3, s20, s16
	s_addc_u32 s0, s21, s17
	s_lshl_b64 s[16:17], s[28:29], 2
	s_mov_b32 s20, exec_lo
	s_add_u32 s1, s3, s16
	s_addc_u32 s5, s0, s17
	s_lshl_b64 s[16:17], s[18:19], 3
	v_readlane_b32 s18, v51, 2
	v_readlane_b32 s19, v51, 3
	s_delay_alu instid0(VALU_DEP_2) | instskip(NEXT) | instid1(VALU_DEP_1)
	s_add_u32 s0, s18, s16
	s_addc_u32 s3, s19, s17
	s_lshl_b64 s[16:17], s[44:45], 3
	s_mov_b32 s19, 0
	s_add_u32 s16, s0, s16
	s_addc_u32 s17, s3, s17
	s_mov_b32 s0, -1
	s_mov_b32 s18, 0
	v_cmpx_gt_u64_e64 s[6:7], v[0:1]
	s_cbranch_execz .LBB153_529
; %bb.514:
	v_mad_u64_u32 v[4:5], null, s30, v2, 0
	v_readlane_b32 s22, v51, 5
	v_mov_b32_e32 v15, v1
	v_readlane_b32 s23, v51, 6
	s_add_u32 s0, s42, s48
	s_addc_u32 s3, s43, s49
	s_add_u32 s0, s0, s22
	s_delay_alu instid0(VALU_DEP_4) | instskip(SKIP_2) | instid1(VALU_DEP_2)
	v_mad_u64_u32 v[6:7], null, s31, v2, v[5:6]
	s_addc_u32 s3, s3, s23
	v_xor_b32_e32 v19, 0x80000000, v3
                                        ; implicit-def: $sgpr21
                                        ; implicit-def: $vgpr12_vgpr13
	v_dual_mov_b32 v14, v0 :: v_dual_mov_b32 v5, v6
	s_delay_alu instid0(VALU_DEP_1) | instskip(SKIP_1) | instid1(VALU_DEP_2)
	v_lshlrev_b64 v[6:7], 2, v[4:5]
	v_mov_b32_e32 v5, 0
	v_add_co_u32 v6, vcc_lo, s0, v6
	s_delay_alu instid0(VALU_DEP_3)
	v_add_co_ci_u32_e32 v7, vcc_lo, s3, v7, vcc_lo
	s_branch .LBB153_516
.LBB153_515:                            ;   in Loop: Header=BB153_516 Depth=1
	s_or_b32 exec_lo, exec_lo, s22
	s_xor_b32 s3, s24, -1
	s_and_b32 s0, exec_lo, s0
	v_dual_mov_b32 v18, v20 :: v_dual_mov_b32 v15, v9
	s_or_b32 s18, s0, s18
	v_mov_b32_e32 v14, v8
	s_and_not1_b32 s0, s21, exec_lo
	s_and_b32 s3, s3, exec_lo
	s_delay_alu instid0(SALU_CYCLE_1)
	s_or_b32 s21, s0, s3
	s_and_not1_b32 exec_lo, exec_lo, s18
	s_cbranch_execz .LBB153_528
.LBB153_516:                            ; =>This Inner Loop Header: Depth=1
	v_add_co_u32 v8, vcc_lo, v14, s33
	v_add_co_ci_u32_e32 v9, vcc_lo, 0, v15, vcc_lo
	v_mov_b32_e32 v20, 0
	s_mov_b32 s0, exec_lo
	s_delay_alu instid0(VALU_DEP_2)
	v_cmpx_gt_u64_e64 s[36:37], v[8:9]
	s_cbranch_execz .LBB153_518
; %bb.517:                              ;   in Loop: Header=BB153_516 Depth=1
	global_load_b32 v20, v[6:7], off
.LBB153_518:                            ;   in Loop: Header=BB153_516 Depth=1
	s_or_b32 exec_lo, exec_lo, s0
	s_waitcnt vmcnt(0)
	v_xor_b32_e32 v4, 0x80000000, v18
	s_delay_alu instid0(VALU_DEP_1) | instskip(SKIP_4) | instid1(VALU_DEP_2)
	v_cmp_gt_u32_e32 vcc_lo, v4, v19
	v_cndmask_b32_e64 v16, 0, 1, vcc_lo
	v_cmp_lt_u32_e32 vcc_lo, v4, v19
	v_cndmask_b32_e64 v4, 0, 1, vcc_lo
	v_cmp_gt_u64_e32 vcc_lo, s[36:37], v[14:15]
	v_cndmask_b32_e64 v4, v4, v16, s46
	s_delay_alu instid0(VALU_DEP_1) | instskip(NEXT) | instid1(VALU_DEP_1)
	v_and_b32_e32 v4, 1, v4
	v_cmp_eq_u32_e64 s0, 1, v4
	s_delay_alu instid0(VALU_DEP_1) | instskip(NEXT) | instid1(SALU_CYCLE_1)
	s_and_b32 s23, vcc_lo, s0
	v_cndmask_b32_e64 v4, 0, 1, s23
	s_delay_alu instid0(VALU_DEP_1) | instskip(SKIP_2) | instid1(SALU_CYCLE_1)
	v_cmp_ne_u32_e32 vcc_lo, 0, v4
	s_cmp_lg_u32 vcc_lo, 0
	s_cselect_b32 s0, -1, 0
	s_and_b32 s0, s2, s0
	s_delay_alu instid0(SALU_CYCLE_1)
	s_and_saveexec_b32 s22, s0
	s_cbranch_execz .LBB153_522
; %bb.519:                              ;   in Loop: Header=BB153_516 Depth=1
	s_mov_b32 s26, exec_lo
	s_bcnt1_i32_b32 s24, vcc_lo
	v_mbcnt_lo_u32_b32 v16, s26, 0
	s_mov_b32 s25, exec_lo
                                        ; implicit-def: $vgpr12_vgpr13
	s_delay_alu instid0(VALU_DEP_1)
	v_cmpx_eq_u32_e32 0, v16
	s_cbranch_execz .LBB153_521
; %bb.520:                              ;   in Loop: Header=BB153_516 Depth=1
	s_bcnt1_i32_b32 s0, s26
	s_delay_alu instid0(SALU_CYCLE_1) | instskip(NEXT) | instid1(SALU_CYCLE_1)
	s_mul_i32 s0, s24, s0
	v_mov_b32_e32 v4, s0
	s_waitcnt lgkmcnt(0)
	ds_add_rtn_u64 v[12:13], v5, v[4:5] offset:5136
.LBB153_521:                            ;   in Loop: Header=BB153_516 Depth=1
	s_or_b32 exec_lo, exec_lo, s25
	s_waitcnt lgkmcnt(0)
	v_readfirstlane_b32 s27, v13
	v_readfirstlane_b32 s26, v12
	s_delay_alu instid0(VALU_DEP_1)
	v_mad_u64_u32 v[12:13], null, s24, v16, s[26:27]
.LBB153_522:                            ;   in Loop: Header=BB153_516 Depth=1
	s_or_b32 exec_lo, exec_lo, s22
	s_waitcnt lgkmcnt(1)
	ds_bpermute_b32 v12, v5, v12
	s_waitcnt lgkmcnt(1)
	ds_bpermute_b32 v13, v5, v13
	s_mov_b32 s0, -1
	s_mov_b32 s25, -1
                                        ; implicit-def: $sgpr24
	s_and_saveexec_b32 s22, s23
	s_cbranch_execz .LBB153_526
; %bb.523:                              ;   in Loop: Header=BB153_516 Depth=1
	v_and_b32_e32 v4, vcc_lo, v43
	s_mov_b32 s23, 0
	s_mov_b32 s24, exec_lo
	s_delay_alu instid0(VALU_DEP_1) | instskip(SKIP_1) | instid1(VALU_DEP_1)
	v_bcnt_u32_b32 v4, v4, 0
	s_waitcnt lgkmcnt(1)
	v_add_co_u32 v16, vcc_lo, v12, v4
	s_waitcnt lgkmcnt(0)
	v_add_co_ci_u32_e32 v17, vcc_lo, 0, v13, vcc_lo
	s_delay_alu instid0(VALU_DEP_1)
	v_cmpx_gt_u64_e64 s[38:39], v[16:17]
	s_cbranch_execz .LBB153_525
; %bb.524:                              ;   in Loop: Header=BB153_516 Depth=1
	v_mul_lo_u32 v4, v17, s8
	v_mul_lo_u32 v25, v16, s9
	v_mad_u64_u32 v[21:22], null, v16, s8, 0
	v_mul_lo_u32 v17, v17, s10
	v_mul_lo_u32 v26, v16, s11
	v_mad_u64_u32 v[23:24], null, v16, s10, 0
	s_mov_b32 s23, exec_lo
	s_delay_alu instid0(VALU_DEP_4) | instskip(NEXT) | instid1(VALU_DEP_2)
	v_add3_u32 v22, v22, v25, v4
	v_add3_u32 v24, v24, v26, v17
	s_delay_alu instid0(VALU_DEP_2) | instskip(NEXT) | instid1(VALU_DEP_2)
	v_lshlrev_b64 v[16:17], 2, v[21:22]
	v_lshlrev_b64 v[21:22], 3, v[23:24]
	s_delay_alu instid0(VALU_DEP_2) | instskip(NEXT) | instid1(VALU_DEP_3)
	v_add_co_u32 v16, vcc_lo, s1, v16
	v_add_co_ci_u32_e32 v17, vcc_lo, s5, v17, vcc_lo
	s_delay_alu instid0(VALU_DEP_3) | instskip(NEXT) | instid1(VALU_DEP_4)
	v_add_co_u32 v21, vcc_lo, s16, v21
	v_add_co_ci_u32_e32 v22, vcc_lo, s17, v22, vcc_lo
	global_store_b32 v[16:17], v18, off
	global_store_b64 v[21:22], v[14:15], off
.LBB153_525:                            ;   in Loop: Header=BB153_516 Depth=1
	s_or_b32 exec_lo, exec_lo, s24
	s_mov_b32 s24, -1
	s_or_not1_b32 s25, s23, exec_lo
.LBB153_526:                            ;   in Loop: Header=BB153_516 Depth=1
	s_or_b32 exec_lo, exec_lo, s22
	s_and_saveexec_b32 s22, s25
	s_cbranch_execz .LBB153_515
; %bb.527:                              ;   in Loop: Header=BB153_516 Depth=1
	v_cmp_le_u64_e32 vcc_lo, s[6:7], v[8:9]
	v_add_co_u32 v6, s0, v6, s34
	s_delay_alu instid0(VALU_DEP_1)
	v_add_co_ci_u32_e64 v7, s0, s35, v7, s0
	s_and_not1_b32 s24, s24, exec_lo
	s_or_not1_b32 s0, vcc_lo, exec_lo
	s_branch .LBB153_515
.LBB153_528:
	s_or_b32 exec_lo, exec_lo, s18
	s_delay_alu instid0(SALU_CYCLE_1)
	s_mov_b32 s18, exec_lo
	s_or_not1_b32 s0, s21, exec_lo
.LBB153_529:
	s_or_b32 exec_lo, exec_lo, s20
	s_and_saveexec_b32 s3, s0
	s_cbranch_execz .LBB153_552
; %bb.530:
	s_waitcnt lgkmcnt(1)
	v_dual_mov_b32 v5, 0 :: v_dual_mov_b32 v12, 0
	s_waitcnt vmcnt(0) lgkmcnt(0)
	s_waitcnt_vscnt null, 0x0
	s_barrier
	buffer_gl0_inv
	s_and_saveexec_b32 s0, s4
	s_cbranch_execz .LBB153_532
; %bb.531:
	global_load_b32 v12, v[10:11], off
.LBB153_532:
	s_or_b32 exec_lo, exec_lo, s0
	v_mad_u64_u32 v[6:7], null, s30, v2, 0
	v_readlane_b32 s20, v51, 5
	v_readlane_b32 s21, v51, 6
	s_add_u32 s0, s42, s48
	s_addc_u32 s4, s43, s49
	s_mov_b32 s19, 0
	s_add_u32 s0, s0, s20
	s_delay_alu instid0(VALU_DEP_3) | instskip(SKIP_1) | instid1(VALU_DEP_1)
	v_mov_b32_e32 v4, v7
	s_addc_u32 s4, s4, s21
                                        ; implicit-def: $sgpr20
                                        ; implicit-def: $sgpr21
	v_mad_u64_u32 v[7:8], null, s31, v2, v[4:5]
                                        ; implicit-def: $vgpr8_vgpr9
	s_delay_alu instid0(VALU_DEP_1) | instskip(NEXT) | instid1(VALU_DEP_1)
	v_lshlrev_b64 v[6:7], 2, v[6:7]
	v_add_co_u32 v6, vcc_lo, s0, v6
	s_delay_alu instid0(VALU_DEP_2)
	v_add_co_ci_u32_e32 v7, vcc_lo, s4, v7, vcc_lo
                                        ; implicit-def: $sgpr4
	s_branch .LBB153_535
.LBB153_533:                            ;   in Loop: Header=BB153_535 Depth=1
	s_or_b32 exec_lo, exec_lo, s24
	v_dual_mov_b32 v0, v10 :: v_dual_mov_b32 v1, v11
	s_and_not1_b32 s0, s21, exec_lo
	s_and_b32 s21, s26, exec_lo
	s_and_not1_b32 s20, s20, exec_lo
	s_and_b32 s23, s23, exec_lo
	s_or_b32 s21, s0, s21
	s_or_b32 s20, s20, s23
.LBB153_534:                            ;   in Loop: Header=BB153_535 Depth=1
	s_or_b32 exec_lo, exec_lo, s22
	s_xor_b32 s0, s21, -1
	s_and_b32 s22, exec_lo, s20
	s_delay_alu instid0(SALU_CYCLE_1) | instskip(SKIP_2) | instid1(SALU_CYCLE_1)
	s_or_b32 s19, s22, s19
	s_and_not1_b32 s4, s4, exec_lo
	s_and_b32 s0, s0, exec_lo
	s_or_b32 s4, s4, s0
	s_and_not1_b32 exec_lo, exec_lo, s19
	s_cbranch_execz .LBB153_550
.LBB153_535:                            ; =>This Inner Loop Header: Depth=1
	s_or_b32 s21, s21, exec_lo
	s_or_b32 s20, s20, exec_lo
	s_mov_b32 s22, exec_lo
	v_cmpx_gt_u64_e64 s[6:7], v[0:1]
	s_cbranch_execz .LBB153_534
; %bb.536:                              ;   in Loop: Header=BB153_535 Depth=1
	v_add_co_u32 v10, vcc_lo, v0, s33
	v_add_co_ci_u32_e32 v11, vcc_lo, 0, v1, vcc_lo
	v_mov_b32_e32 v2, 0
	s_mov_b32 s0, exec_lo
	s_delay_alu instid0(VALU_DEP_2)
	v_cmpx_gt_u64_e64 s[36:37], v[10:11]
	s_cbranch_execz .LBB153_538
; %bb.537:                              ;   in Loop: Header=BB153_535 Depth=1
	global_load_b32 v2, v[6:7], off
.LBB153_538:                            ;   in Loop: Header=BB153_535 Depth=1
	s_or_b32 exec_lo, exec_lo, s0
	v_cmp_gt_u64_e32 vcc_lo, s[36:37], v[0:1]
	s_waitcnt vmcnt(0)
	v_cmp_eq_u32_e64 s0, v12, v3
	s_delay_alu instid0(VALU_DEP_1) | instskip(NEXT) | instid1(SALU_CYCLE_1)
	s_and_b32 s24, vcc_lo, s0
	v_cndmask_b32_e64 v4, 0, 1, s24
	s_delay_alu instid0(VALU_DEP_1) | instskip(SKIP_2) | instid1(SALU_CYCLE_1)
	v_cmp_ne_u32_e32 vcc_lo, 0, v4
	s_cmp_lg_u32 vcc_lo, 0
	s_cselect_b32 s0, -1, 0
	s_and_b32 s0, s2, s0
	s_delay_alu instid0(SALU_CYCLE_1)
	s_and_saveexec_b32 s23, s0
	s_cbranch_execz .LBB153_542
; %bb.539:                              ;   in Loop: Header=BB153_535 Depth=1
	s_mov_b32 s27, exec_lo
	s_bcnt1_i32_b32 s25, vcc_lo
	v_mbcnt_lo_u32_b32 v13, s27, 0
	s_mov_b32 s26, exec_lo
                                        ; implicit-def: $vgpr8_vgpr9
	s_delay_alu instid0(VALU_DEP_1)
	v_cmpx_eq_u32_e32 0, v13
	s_cbranch_execz .LBB153_541
; %bb.540:                              ;   in Loop: Header=BB153_535 Depth=1
	s_bcnt1_i32_b32 s0, s27
	s_delay_alu instid0(SALU_CYCLE_1) | instskip(NEXT) | instid1(SALU_CYCLE_1)
	s_mul_i32 s0, s25, s0
	v_mov_b32_e32 v4, s0
	ds_add_rtn_u64 v[8:9], v5, v[4:5] offset:5136
.LBB153_541:                            ;   in Loop: Header=BB153_535 Depth=1
	s_or_b32 exec_lo, exec_lo, s26
	s_waitcnt lgkmcnt(0)
	v_readfirstlane_b32 s27, v9
	v_readfirstlane_b32 s26, v8
	s_delay_alu instid0(VALU_DEP_1)
	v_mad_u64_u32 v[8:9], null, s25, v13, s[26:27]
.LBB153_542:                            ;   in Loop: Header=BB153_535 Depth=1
	s_or_b32 exec_lo, exec_lo, s23
	ds_bpermute_b32 v8, v5, v8
	ds_bpermute_b32 v9, v5, v9
	s_cmp_eq_u32 vcc_lo, 0
	s_mov_b32 s23, -1
	s_cselect_b32 s25, -1, 0
	s_mov_b32 s26, -1
	s_waitcnt lgkmcnt(0)
	v_cmp_gt_u64_e64 s0, s[38:39], v[8:9]
	s_delay_alu instid0(VALU_DEP_1) | instskip(SKIP_3) | instid1(SALU_CYCLE_1)
	s_or_b32 s0, s25, s0
	s_mov_b32 s25, -1
	v_cndmask_b32_e64 v12, v12, v2, s0
	s_and_b32 s27, s24, s0
	s_and_saveexec_b32 s24, s27
	s_cbranch_execz .LBB153_548
; %bb.543:                              ;   in Loop: Header=BB153_535 Depth=1
	v_and_b32_e32 v4, vcc_lo, v43
	v_sub_co_u32 v12, vcc_lo, s38, v8
	v_sub_co_ci_u32_e32 v13, vcc_lo, s39, v9, vcc_lo
	s_delay_alu instid0(VALU_DEP_3) | instskip(SKIP_2) | instid1(VALU_DEP_1)
	v_bcnt_u32_b32 v4, v4, 0
	s_mov_b32 s27, -1
	s_mov_b32 s26, exec_lo
	v_cmp_le_u64_e64 s25, v[12:13], v[4:5]
	v_cmpx_gt_u64_e64 v[12:13], v[4:5]
	s_cbranch_execz .LBB153_547
; %bb.544:                              ;   in Loop: Header=BB153_535 Depth=1
	v_add_co_u32 v12, vcc_lo, v8, v4
	v_add_co_ci_u32_e32 v13, vcc_lo, 0, v9, vcc_lo
	s_delay_alu instid0(VALU_DEP_4) | instskip(SKIP_1) | instid1(VALU_DEP_1)
	s_mov_b32 s28, s25
	s_mov_b32 s27, exec_lo
	v_cmpx_gt_u64_e64 s[38:39], v[12:13]
	s_cbranch_execz .LBB153_546
; %bb.545:                              ;   in Loop: Header=BB153_535 Depth=1
	v_mul_lo_u32 v4, v13, s8
	v_mul_lo_u32 v18, v12, s9
	v_mad_u64_u32 v[14:15], null, v12, s8, 0
	v_mul_lo_u32 v13, v13, s10
	v_mul_lo_u32 v19, v12, s11
	v_mad_u64_u32 v[16:17], null, v12, s10, 0
	s_or_b32 s28, s25, exec_lo
	s_delay_alu instid0(VALU_DEP_4) | instskip(NEXT) | instid1(VALU_DEP_2)
	v_add3_u32 v15, v15, v18, v4
	v_add3_u32 v17, v17, v19, v13
	s_delay_alu instid0(VALU_DEP_2) | instskip(NEXT) | instid1(VALU_DEP_2)
	v_lshlrev_b64 v[12:13], 2, v[14:15]
	v_lshlrev_b64 v[14:15], 3, v[16:17]
	s_delay_alu instid0(VALU_DEP_2) | instskip(NEXT) | instid1(VALU_DEP_3)
	v_add_co_u32 v12, vcc_lo, s1, v12
	v_add_co_ci_u32_e32 v13, vcc_lo, s5, v13, vcc_lo
	s_delay_alu instid0(VALU_DEP_3) | instskip(NEXT) | instid1(VALU_DEP_4)
	v_add_co_u32 v14, vcc_lo, s16, v14
	v_add_co_ci_u32_e32 v15, vcc_lo, s17, v15, vcc_lo
	global_store_b32 v[12:13], v3, off
	global_store_b64 v[14:15], v[0:1], off
.LBB153_546:                            ;   in Loop: Header=BB153_535 Depth=1
	s_or_b32 exec_lo, exec_lo, s27
	s_delay_alu instid0(SALU_CYCLE_1)
	s_and_not1_b32 s25, s25, exec_lo
	s_and_b32 s28, s28, exec_lo
	s_xor_b32 s27, exec_lo, -1
	s_or_b32 s25, s25, s28
.LBB153_547:                            ;   in Loop: Header=BB153_535 Depth=1
	s_or_b32 exec_lo, exec_lo, s26
	v_mov_b32_e32 v12, v2
	s_or_not1_b32 s26, s27, exec_lo
	s_or_b32 s0, s0, exec_lo
	s_or_not1_b32 s25, s25, exec_lo
.LBB153_548:                            ;   in Loop: Header=BB153_535 Depth=1
	s_or_b32 exec_lo, exec_lo, s24
	s_and_saveexec_b32 s24, s25
	s_cbranch_execz .LBB153_533
; %bb.549:                              ;   in Loop: Header=BB153_535 Depth=1
	v_add_co_u32 v6, vcc_lo, v6, s34
	v_add_co_ci_u32_e32 v7, vcc_lo, s35, v7, vcc_lo
	s_xor_b32 s0, s0, -1
	s_or_b32 s26, s26, exec_lo
	s_or_not1_b32 s23, s0, exec_lo
	s_branch .LBB153_533
.LBB153_550:
	s_or_b32 exec_lo, exec_lo, s19
	s_mov_b32 s0, 0
	s_and_saveexec_b32 s1, s4
	s_delay_alu instid0(SALU_CYCLE_1)
	s_xor_b32 s1, exec_lo, s1
	s_cbranch_execnz .LBB153_582
.LBB153_551:
	s_or_b32 exec_lo, exec_lo, s1
	s_delay_alu instid0(SALU_CYCLE_1)
	s_and_b32 s19, s0, exec_lo
	s_and_not1_b32 s18, s18, exec_lo
.LBB153_552:
	s_or_b32 exec_lo, exec_lo, s3
	s_and_saveexec_b32 s0, s18
	s_delay_alu instid0(SALU_CYCLE_1)
	s_xor_b32 s0, exec_lo, s0
	s_cbranch_execnz .LBB153_578
.LBB153_553:
	s_or_b32 exec_lo, exec_lo, s0
	s_delay_alu instid0(SALU_CYCLE_1)
	s_and_b32 s8, s19, exec_lo
.LBB153_554:
	s_and_not1_saveexec_b32 s0, s15
	s_cbranch_execnz .LBB153_574
.LBB153_555:
	s_or_b32 exec_lo, exec_lo, s0
	s_delay_alu instid0(SALU_CYCLE_1)
	s_and_b32 s8, s8, exec_lo
.LBB153_556:
	s_and_not1_saveexec_b32 s0, s14
	s_cbranch_execnz .LBB153_570
.LBB153_557:
	s_or_b32 exec_lo, exec_lo, s0
	s_delay_alu instid0(SALU_CYCLE_1)
	s_and_b32 s8, s8, exec_lo
.LBB153_558:
	s_and_not1_saveexec_b32 s0, s13
	s_cbranch_execnz .LBB153_566
.LBB153_559:
	s_or_b32 exec_lo, exec_lo, s0
	s_delay_alu instid0(SALU_CYCLE_1)
	s_and_b32 s8, s8, exec_lo
.LBB153_560:
	s_and_not1_saveexec_b32 s0, s12
	s_cbranch_execnz .LBB153_564
; %bb.561:
	s_or_b32 exec_lo, exec_lo, s0
	s_and_saveexec_b32 s0, s8
.LBB153_562:
	; divergent unreachable
.LBB153_563:
	s_nop 0
	s_sendmsg sendmsg(MSG_DEALLOC_VGPRS)
	s_endpgm
.LBB153_564:
	s_cbranch_execnz .LBB153_568
; %bb.565:
	s_or_b32 s8, s8, exec_lo
	s_or_b32 exec_lo, exec_lo, s0
	s_and_saveexec_b32 s0, s8
	s_cbranch_execnz .LBB153_562
	s_branch .LBB153_563
.LBB153_566:
	s_cbranch_execnz .LBB153_572
; %bb.567:
	s_or_b32 s8, s8, exec_lo
	s_branch .LBB153_559
.LBB153_568:
	s_trap 2
	s_sendmsg_rtn_b32 s0, sendmsg(MSG_RTN_GET_DOORBELL)
	s_mov_b32 ttmp2, m0
	s_waitcnt lgkmcnt(0)
	s_and_b32 s0, s0, 0x3ff
	s_delay_alu instid0(SALU_CYCLE_1) | instskip(NEXT) | instid1(SALU_CYCLE_1)
	s_bitset1_b32 s0, 10
	s_mov_b32 m0, s0
	s_sendmsg sendmsg(MSG_INTERRUPT)
	s_mov_b32 m0, ttmp2
.LBB153_569:                            ; =>This Inner Loop Header: Depth=1
	s_sethalt 5
	s_branch .LBB153_569
.LBB153_570:
	s_cbranch_execnz .LBB153_576
; %bb.571:
	s_or_b32 s8, s8, exec_lo
	s_branch .LBB153_557
.LBB153_572:
	s_trap 2
	s_sendmsg_rtn_b32 s0, sendmsg(MSG_RTN_GET_DOORBELL)
	s_mov_b32 ttmp2, m0
	s_waitcnt lgkmcnt(0)
	s_and_b32 s0, s0, 0x3ff
	s_delay_alu instid0(SALU_CYCLE_1) | instskip(NEXT) | instid1(SALU_CYCLE_1)
	s_bitset1_b32 s0, 10
	s_mov_b32 m0, s0
	s_sendmsg sendmsg(MSG_INTERRUPT)
	s_mov_b32 m0, ttmp2
.LBB153_573:                            ; =>This Inner Loop Header: Depth=1
	s_sethalt 5
	s_branch .LBB153_573
.LBB153_574:
	s_cbranch_execnz .LBB153_580
; %bb.575:
	s_or_b32 s8, s8, exec_lo
	s_branch .LBB153_555
.LBB153_576:
	s_trap 2
	s_sendmsg_rtn_b32 s0, sendmsg(MSG_RTN_GET_DOORBELL)
	s_mov_b32 ttmp2, m0
	s_waitcnt lgkmcnt(0)
	s_and_b32 s0, s0, 0x3ff
	s_delay_alu instid0(SALU_CYCLE_1) | instskip(NEXT) | instid1(SALU_CYCLE_1)
	s_bitset1_b32 s0, 10
	s_mov_b32 m0, s0
	s_sendmsg sendmsg(MSG_INTERRUPT)
	s_mov_b32 m0, ttmp2
.LBB153_577:                            ; =>This Inner Loop Header: Depth=1
	s_sethalt 5
	s_branch .LBB153_577
.LBB153_578:
	s_cbranch_execnz .LBB153_584
; %bb.579:
	s_or_b32 s19, s19, exec_lo
	s_branch .LBB153_553
.LBB153_580:
	s_trap 2
	s_sendmsg_rtn_b32 s0, sendmsg(MSG_RTN_GET_DOORBELL)
	s_mov_b32 ttmp2, m0
	s_waitcnt lgkmcnt(0)
	s_and_b32 s0, s0, 0x3ff
	s_delay_alu instid0(SALU_CYCLE_1) | instskip(NEXT) | instid1(SALU_CYCLE_1)
	s_bitset1_b32 s0, 10
	s_mov_b32 m0, s0
	s_sendmsg sendmsg(MSG_INTERRUPT)
	s_mov_b32 m0, ttmp2
.LBB153_581:                            ; =>This Inner Loop Header: Depth=1
	s_sethalt 5
	s_branch .LBB153_581
.LBB153_582:
	s_cbranch_execnz .LBB153_586
; %bb.583:
	s_mov_b32 s0, exec_lo
	s_branch .LBB153_551
.LBB153_584:
	s_trap 2
	s_sendmsg_rtn_b32 s0, sendmsg(MSG_RTN_GET_DOORBELL)
	s_mov_b32 ttmp2, m0
	s_waitcnt lgkmcnt(0)
	s_and_b32 s0, s0, 0x3ff
	s_delay_alu instid0(SALU_CYCLE_1) | instskip(NEXT) | instid1(SALU_CYCLE_1)
	s_bitset1_b32 s0, 10
	s_mov_b32 m0, s0
	s_sendmsg sendmsg(MSG_INTERRUPT)
	s_mov_b32 m0, ttmp2
.LBB153_585:                            ; =>This Inner Loop Header: Depth=1
	s_sethalt 5
	s_branch .LBB153_585
.LBB153_586:
	s_trap 2
	s_sendmsg_rtn_b32 s0, sendmsg(MSG_RTN_GET_DOORBELL)
	s_mov_b32 ttmp2, m0
	s_waitcnt lgkmcnt(0)
	s_and_b32 s0, s0, 0x3ff
	s_delay_alu instid0(SALU_CYCLE_1) | instskip(NEXT) | instid1(SALU_CYCLE_1)
	s_bitset1_b32 s0, 10
	s_mov_b32 m0, s0
	s_sendmsg sendmsg(MSG_INTERRUPT)
	s_mov_b32 m0, ttmp2
.LBB153_587:                            ; =>This Inner Loop Header: Depth=1
	s_sethalt 5
	s_branch .LBB153_587
	.section	.rodata,"a",@progbits
	.p2align	6, 0x0
	.amdhsa_kernel _ZN2at6native6sbtopk10gatherTopKIimLin1ELb0EEEvNS_4cuda6detail10TensorInfoIKT_T0_EES8_S8_bS8_S8_NS5_IS6_S8_EES8_NS5_IlS8_EES8_PS6_
		.amdhsa_group_segment_fixed_size 5152
		.amdhsa_private_segment_fixed_size 0
		.amdhsa_kernarg_size 1568
		.amdhsa_user_sgpr_count 13
		.amdhsa_user_sgpr_dispatch_ptr 0
		.amdhsa_user_sgpr_queue_ptr 0
		.amdhsa_user_sgpr_kernarg_segment_ptr 1
		.amdhsa_user_sgpr_dispatch_id 0
		.amdhsa_user_sgpr_private_segment_size 0
		.amdhsa_wavefront_size32 1
		.amdhsa_uses_dynamic_stack 0
		.amdhsa_enable_private_segment 0
		.amdhsa_system_sgpr_workgroup_id_x 1
		.amdhsa_system_sgpr_workgroup_id_y 1
		.amdhsa_system_sgpr_workgroup_id_z 1
		.amdhsa_system_sgpr_workgroup_info 0
		.amdhsa_system_vgpr_workitem_id 0
		.amdhsa_next_free_vgpr 52
		.amdhsa_next_free_sgpr 105
		.amdhsa_reserve_vcc 1
		.amdhsa_float_round_mode_32 0
		.amdhsa_float_round_mode_16_64 0
		.amdhsa_float_denorm_mode_32 3
		.amdhsa_float_denorm_mode_16_64 3
		.amdhsa_dx10_clamp 1
		.amdhsa_ieee_mode 1
		.amdhsa_fp16_overflow 0
		.amdhsa_workgroup_processor_mode 1
		.amdhsa_memory_ordered 1
		.amdhsa_forward_progress 0
		.amdhsa_shared_vgpr_count 0
		.amdhsa_exception_fp_ieee_invalid_op 0
		.amdhsa_exception_fp_denorm_src 0
		.amdhsa_exception_fp_ieee_div_zero 0
		.amdhsa_exception_fp_ieee_overflow 0
		.amdhsa_exception_fp_ieee_underflow 0
		.amdhsa_exception_fp_ieee_inexact 0
		.amdhsa_exception_int_div_zero 0
	.end_amdhsa_kernel
	.section	.text._ZN2at6native6sbtopk10gatherTopKIimLin1ELb0EEEvNS_4cuda6detail10TensorInfoIKT_T0_EES8_S8_bS8_S8_NS5_IS6_S8_EES8_NS5_IlS8_EES8_PS6_,"axG",@progbits,_ZN2at6native6sbtopk10gatherTopKIimLin1ELb0EEEvNS_4cuda6detail10TensorInfoIKT_T0_EES8_S8_bS8_S8_NS5_IS6_S8_EES8_NS5_IlS8_EES8_PS6_,comdat
.Lfunc_end153:
	.size	_ZN2at6native6sbtopk10gatherTopKIimLin1ELb0EEEvNS_4cuda6detail10TensorInfoIKT_T0_EES8_S8_bS8_S8_NS5_IS6_S8_EES8_NS5_IlS8_EES8_PS6_, .Lfunc_end153-_ZN2at6native6sbtopk10gatherTopKIimLin1ELb0EEEvNS_4cuda6detail10TensorInfoIKT_T0_EES8_S8_bS8_S8_NS5_IS6_S8_EES8_NS5_IlS8_EES8_PS6_
                                        ; -- End function
	.section	.AMDGPU.csdata,"",@progbits
; Kernel info:
; codeLenInByte = 31228
; NumSgprs: 107
; NumVgprs: 52
; ScratchSize: 0
; MemoryBound: 0
; FloatMode: 240
; IeeeMode: 1
; LDSByteSize: 5152 bytes/workgroup (compile time only)
; SGPRBlocks: 13
; VGPRBlocks: 6
; NumSGPRsForWavesPerEU: 107
; NumVGPRsForWavesPerEU: 52
; Occupancy: 16
; WaveLimiterHint : 1
; COMPUTE_PGM_RSRC2:SCRATCH_EN: 0
; COMPUTE_PGM_RSRC2:USER_SGPR: 13
; COMPUTE_PGM_RSRC2:TRAP_HANDLER: 0
; COMPUTE_PGM_RSRC2:TGID_X_EN: 1
; COMPUTE_PGM_RSRC2:TGID_Y_EN: 1
; COMPUTE_PGM_RSRC2:TGID_Z_EN: 1
; COMPUTE_PGM_RSRC2:TIDIG_COMP_CNT: 0
	.section	.text._ZN2at6native6mbtopk23computeBlockDigitCountsIlmmLi1EEEvNS_4cuda6detail10TensorInfoIKT_T0_EEjPjjS8_iijT1_PSB_Ps,"axG",@progbits,_ZN2at6native6mbtopk23computeBlockDigitCountsIlmmLi1EEEvNS_4cuda6detail10TensorInfoIKT_T0_EEjPjjS8_iijT1_PSB_Ps,comdat
	.protected	_ZN2at6native6mbtopk23computeBlockDigitCountsIlmmLi1EEEvNS_4cuda6detail10TensorInfoIKT_T0_EEjPjjS8_iijT1_PSB_Ps ; -- Begin function _ZN2at6native6mbtopk23computeBlockDigitCountsIlmmLi1EEEvNS_4cuda6detail10TensorInfoIKT_T0_EEjPjjS8_iijT1_PSB_Ps
	.globl	_ZN2at6native6mbtopk23computeBlockDigitCountsIlmmLi1EEEvNS_4cuda6detail10TensorInfoIKT_T0_EEjPjjS8_iijT1_PSB_Ps
	.p2align	8
	.type	_ZN2at6native6mbtopk23computeBlockDigitCountsIlmmLi1EEEvNS_4cuda6detail10TensorInfoIKT_T0_EEjPjjS8_iijT1_PSB_Ps,@function
_ZN2at6native6mbtopk23computeBlockDigitCountsIlmmLi1EEEvNS_4cuda6detail10TensorInfoIKT_T0_EEjPjjS8_iijT1_PSB_Ps: ; @_ZN2at6native6mbtopk23computeBlockDigitCountsIlmmLi1EEEvNS_4cuda6detail10TensorInfoIKT_T0_EEjPjjS8_iijT1_PSB_Ps
; %bb.0:
	s_clause 0x2
	s_load_b128 s[8:11], s[0:1], 0x1c0
	s_load_b32 s5, s[0:1], 0x1b0
	s_load_b64 s[2:3], s[0:1], 0x1e8
	s_waitcnt lgkmcnt(0)
	v_cvt_f32_u32_e32 v1, s10
	s_sub_i32 s6, 0, s10
	s_mul_i32 s3, s3, s15
	s_delay_alu instid0(SALU_CYCLE_1) | instskip(NEXT) | instid1(VALU_DEP_1)
	s_add_i32 s3, s3, s14
	v_rcp_iflag_f32_e32 v1, v1
	s_mul_i32 s14, s3, s2
	s_delay_alu instid0(SALU_CYCLE_1) | instskip(SKIP_3) | instid1(VALU_DEP_1)
	s_add_i32 s14, s14, s13
	s_mov_b32 s13, 0
	s_waitcnt_depctr 0xfff
	v_mul_f32_e32 v1, 0x4f7ffffe, v1
	v_cvt_u32_f32_e32 v1, v1
	s_delay_alu instid0(VALU_DEP_1) | instskip(NEXT) | instid1(VALU_DEP_1)
	v_readfirstlane_b32 s4, v1
	s_mul_i32 s6, s6, s4
	s_delay_alu instid0(SALU_CYCLE_1) | instskip(NEXT) | instid1(SALU_CYCLE_1)
	s_mul_hi_u32 s2, s4, s6
	s_add_i32 s4, s4, s2
	s_delay_alu instid0(SALU_CYCLE_1) | instskip(NEXT) | instid1(SALU_CYCLE_1)
	s_mul_hi_u32 s2, s14, s4
	s_mul_i32 s3, s2, s10
	s_add_i32 s4, s2, 1
	s_sub_i32 s3, s14, s3
	s_delay_alu instid0(SALU_CYCLE_1)
	s_sub_i32 s6, s3, s10
	s_cmp_ge_u32 s3, s10
	s_cselect_b32 s2, s4, s2
	s_cselect_b32 s3, s6, s3
	s_add_i32 s4, s2, 1
	s_cmp_ge_u32 s3, s10
	s_cselect_b32 s12, s4, s2
	s_delay_alu instid0(SALU_CYCLE_1)
	s_cmp_ge_u32 s12, s5
	s_cbranch_scc1 .LBB154_23
; %bb.1:
	s_clause 0x1
	s_load_b128 s[4:7], s[0:1], 0x1d0
	s_load_b64 s[2:3], s[0:1], 0x1e0
	s_lshl_b64 s[16:17], s[12:13], 3
	v_cmp_gt_u32_e32 vcc_lo, 0x100, v0
	v_lshlrev_b32_e32 v3, 2, v0
	s_waitcnt lgkmcnt(0)
	s_add_u32 s6, s6, s16
	s_addc_u32 s7, s7, s17
	s_and_saveexec_b32 s11, vcc_lo
	s_cbranch_execz .LBB154_3
; %bb.2:
	v_mov_b32_e32 v1, 0
	ds_store_b32 v3, v1
.LBB154_3:
	s_or_b32 exec_lo, exec_lo, s11
	s_load_b32 s13, s[0:1], 0x1a0
	s_mul_i32 s11, s12, s10
	s_waitcnt lgkmcnt(0)
	s_sub_i32 s11, s14, s11
	s_barrier
	s_mul_i32 s15, s9, s11
	s_add_i32 s11, s11, 1
	s_lshl_b32 s15, s15, 8
	buffer_gl0_inv
	s_sub_i32 s16, s13, s15
	s_delay_alu instid0(SALU_CYCLE_1) | instskip(SKIP_3) | instid1(VALU_DEP_1)
	s_add_u32 s16, s16, 0xff
	s_addc_u32 s17, 0, 0
	s_cmp_lt_u32 s11, s10
	v_alignbit_b32 v1, s17, s16, 8
	v_readfirstlane_b32 s16, v1
	s_delay_alu instid0(VALU_DEP_1)
	s_cselect_b32 s9, s9, s16
	s_mov_b32 s16, 0
	s_cmp_lt_i32 s9, 1
	s_cbranch_scc1 .LBB154_19
; %bb.4:
	s_clause 0x2
	s_load_b64 s[18:19], s[0:1], 0xd0
	s_load_b64 s[10:11], s[0:1], 0x1b8
	;; [unrolled: 1-line block ×4, first 2 shown]
	v_add_nc_u32_e32 v4, s15, v0
	s_waitcnt lgkmcnt(0)
	s_mul_i32 s17, s19, s12
	s_mul_hi_u32 s19, s18, s12
	s_mul_i32 s18, s18, s12
	s_add_i32 s19, s19, s17
	s_delay_alu instid0(SALU_CYCLE_1) | instskip(NEXT) | instid1(SALU_CYCLE_1)
	s_lshl_b64 s[18:19], s[18:19], 3
	s_add_u32 s12, s0, s18
	s_addc_u32 s15, s1, s19
	s_and_b32 s1, s8, 0xff
	s_cmp_eq_u32 s9, 1
	s_cbranch_scc1 .LBB154_14
; %bb.5:
	v_dual_mov_b32 v5, 1 :: v_dual_mov_b32 v6, v4
	s_and_b32 s8, s9, 0x7ffffffe
	s_branch .LBB154_7
.LBB154_6:                              ;   in Loop: Header=BB154_7 Depth=1
	s_or_b32 exec_lo, exec_lo, s17
	v_add_nc_u32_e32 v6, 0x200, v6
	s_add_i32 s16, s16, 2
	s_delay_alu instid0(SALU_CYCLE_1)
	s_cmp_eq_u32 s8, s16
	s_cbranch_scc1 .LBB154_13
.LBB154_7:                              ; =>This Inner Loop Header: Depth=1
	s_mov_b32 s17, exec_lo
	s_delay_alu instid0(VALU_DEP_1)
	v_cmpx_gt_u32_e64 s13, v6
	s_cbranch_execz .LBB154_10
; %bb.8:                                ;   in Loop: Header=BB154_7 Depth=1
	v_mad_u64_u32 v[1:2], null, v6, s10, 0
	s_delay_alu instid0(VALU_DEP_1) | instskip(NEXT) | instid1(VALU_DEP_1)
	v_mad_u64_u32 v[7:8], null, v6, s11, v[2:3]
	v_mov_b32_e32 v2, v7
	s_delay_alu instid0(VALU_DEP_1) | instskip(NEXT) | instid1(VALU_DEP_1)
	v_lshlrev_b64 v[1:2], 3, v[1:2]
	v_add_co_u32 v1, s0, s12, v1
	s_delay_alu instid0(VALU_DEP_1) | instskip(SKIP_4) | instid1(VALU_DEP_2)
	v_add_co_ci_u32_e64 v2, s0, s15, v2, s0
	global_load_b64 v[1:2], v[1:2], off
	s_waitcnt vmcnt(0)
	v_xor_b32_e32 v2, 0x80000000, v2
	v_xor_b32_e32 v9, s6, v1
	;; [unrolled: 1-line block ×3, first 2 shown]
	s_delay_alu instid0(VALU_DEP_1) | instskip(NEXT) | instid1(VALU_DEP_3)
	v_and_b32_e32 v8, s5, v7
	v_and_b32_e32 v7, s4, v9
	s_delay_alu instid0(VALU_DEP_1) | instskip(NEXT) | instid1(VALU_DEP_1)
	v_cmp_eq_u64_e64 s0, 0, v[7:8]
	s_and_b32 exec_lo, exec_lo, s0
	s_cbranch_execz .LBB154_10
; %bb.9:                                ;   in Loop: Header=BB154_7 Depth=1
	v_lshrrev_b64 v[1:2], s1, v[1:2]
	s_delay_alu instid0(VALU_DEP_1) | instskip(NEXT) | instid1(VALU_DEP_1)
	v_and_b32_e32 v1, 0xff, v1
	v_lshlrev_b32_e32 v1, 2, v1
	ds_add_u32 v1, v5
.LBB154_10:                             ;   in Loop: Header=BB154_7 Depth=1
	s_or_b32 exec_lo, exec_lo, s17
	v_add_nc_u32_e32 v1, 0x100, v6
	s_mov_b32 s17, exec_lo
	s_delay_alu instid0(VALU_DEP_1)
	v_cmpx_gt_u32_e64 s13, v1
	s_cbranch_execz .LBB154_6
; %bb.11:                               ;   in Loop: Header=BB154_7 Depth=1
	v_mad_u64_u32 v[7:8], null, v1, s10, 0
	s_delay_alu instid0(VALU_DEP_1) | instskip(NEXT) | instid1(VALU_DEP_1)
	v_mov_b32_e32 v2, v8
	v_mad_u64_u32 v[8:9], null, v1, s11, v[2:3]
	s_delay_alu instid0(VALU_DEP_1) | instskip(NEXT) | instid1(VALU_DEP_1)
	v_lshlrev_b64 v[1:2], 3, v[7:8]
	v_add_co_u32 v1, s0, s12, v1
	s_delay_alu instid0(VALU_DEP_1) | instskip(SKIP_4) | instid1(VALU_DEP_2)
	v_add_co_ci_u32_e64 v2, s0, s15, v2, s0
	global_load_b64 v[1:2], v[1:2], off
	s_waitcnt vmcnt(0)
	v_xor_b32_e32 v2, 0x80000000, v2
	v_xor_b32_e32 v9, s6, v1
	;; [unrolled: 1-line block ×3, first 2 shown]
	s_delay_alu instid0(VALU_DEP_1) | instskip(NEXT) | instid1(VALU_DEP_3)
	v_and_b32_e32 v8, s5, v7
	v_and_b32_e32 v7, s4, v9
	s_delay_alu instid0(VALU_DEP_1) | instskip(NEXT) | instid1(VALU_DEP_1)
	v_cmp_eq_u64_e64 s0, 0, v[7:8]
	s_and_b32 exec_lo, exec_lo, s0
	s_cbranch_execz .LBB154_6
; %bb.12:                               ;   in Loop: Header=BB154_7 Depth=1
	v_lshrrev_b64 v[1:2], s1, v[1:2]
	s_delay_alu instid0(VALU_DEP_1) | instskip(NEXT) | instid1(VALU_DEP_1)
	v_and_b32_e32 v1, 0xff, v1
	v_lshlrev_b32_e32 v1, 2, v1
	ds_add_u32 v1, v5
	s_branch .LBB154_6
.LBB154_13:
	s_lshl_b32 s16, s8, 8
.LBB154_14:
	s_bitcmp0_b32 s9, 0
	s_cbranch_scc1 .LBB154_19
; %bb.15:
	v_add_nc_u32_e32 v1, s16, v4
	s_mov_b32 s8, exec_lo
	s_delay_alu instid0(VALU_DEP_1)
	v_cmpx_gt_u32_e64 s13, v1
	s_cbranch_execz .LBB154_18
; %bb.16:
	v_mad_u64_u32 v[4:5], null, v1, s10, 0
	s_delay_alu instid0(VALU_DEP_1) | instskip(NEXT) | instid1(VALU_DEP_1)
	v_mov_b32_e32 v2, v5
	v_mad_u64_u32 v[5:6], null, v1, s11, v[2:3]
	s_delay_alu instid0(VALU_DEP_1) | instskip(NEXT) | instid1(VALU_DEP_1)
	v_lshlrev_b64 v[1:2], 3, v[4:5]
	v_add_co_u32 v1, s0, s12, v1
	s_delay_alu instid0(VALU_DEP_1) | instskip(SKIP_4) | instid1(VALU_DEP_2)
	v_add_co_ci_u32_e64 v2, s0, s15, v2, s0
	global_load_b64 v[1:2], v[1:2], off
	s_waitcnt vmcnt(0)
	v_xor_b32_e32 v2, 0x80000000, v2
	v_xor_b32_e32 v6, s6, v1
	;; [unrolled: 1-line block ×3, first 2 shown]
	s_delay_alu instid0(VALU_DEP_1) | instskip(NEXT) | instid1(VALU_DEP_3)
	v_and_b32_e32 v5, s5, v4
	v_and_b32_e32 v4, s4, v6
	s_delay_alu instid0(VALU_DEP_1) | instskip(NEXT) | instid1(VALU_DEP_1)
	v_cmp_eq_u64_e64 s0, 0, v[4:5]
	s_and_b32 exec_lo, exec_lo, s0
	s_cbranch_execz .LBB154_18
; %bb.17:
	v_lshrrev_b64 v[1:2], s1, v[1:2]
	s_delay_alu instid0(VALU_DEP_1) | instskip(NEXT) | instid1(VALU_DEP_1)
	v_dual_mov_b32 v2, 1 :: v_dual_and_b32 v1, 0xff, v1
	v_lshlrev_b32_e32 v1, 2, v1
	ds_add_u32 v1, v2
.LBB154_18:
	s_or_b32 exec_lo, exec_lo, s8
.LBB154_19:
	v_mov_b32_e32 v1, 0
	s_waitcnt lgkmcnt(0)
	s_barrier
	buffer_gl0_inv
	s_and_saveexec_b32 s0, vcc_lo
	s_cbranch_execz .LBB154_21
; %bb.20:
	ds_load_b32 v1, v3
.LBB154_21:
	s_or_b32 exec_lo, exec_lo, s0
	s_and_saveexec_b32 s0, vcc_lo
	s_cbranch_execz .LBB154_23
; %bb.22:
	v_lshl_or_b32 v2, s14, 8, v0
	v_mov_b32_e32 v3, 0
	s_delay_alu instid0(VALU_DEP_1) | instskip(NEXT) | instid1(VALU_DEP_1)
	v_lshlrev_b64 v[2:3], 1, v[2:3]
	v_add_co_u32 v2, vcc_lo, s2, v2
	s_delay_alu instid0(VALU_DEP_2)
	v_add_co_ci_u32_e32 v3, vcc_lo, s3, v3, vcc_lo
	s_waitcnt lgkmcnt(0)
	global_store_b16 v[2:3], v1, off
.LBB154_23:
	s_nop 0
	s_sendmsg sendmsg(MSG_DEALLOC_VGPRS)
	s_endpgm
	.section	.rodata,"a",@progbits
	.p2align	6, 0x0
	.amdhsa_kernel _ZN2at6native6mbtopk23computeBlockDigitCountsIlmmLi1EEEvNS_4cuda6detail10TensorInfoIKT_T0_EEjPjjS8_iijT1_PSB_Ps
		.amdhsa_group_segment_fixed_size 1024
		.amdhsa_private_segment_fixed_size 0
		.amdhsa_kernarg_size 744
		.amdhsa_user_sgpr_count 13
		.amdhsa_user_sgpr_dispatch_ptr 0
		.amdhsa_user_sgpr_queue_ptr 0
		.amdhsa_user_sgpr_kernarg_segment_ptr 1
		.amdhsa_user_sgpr_dispatch_id 0
		.amdhsa_user_sgpr_private_segment_size 0
		.amdhsa_wavefront_size32 1
		.amdhsa_uses_dynamic_stack 0
		.amdhsa_enable_private_segment 0
		.amdhsa_system_sgpr_workgroup_id_x 1
		.amdhsa_system_sgpr_workgroup_id_y 1
		.amdhsa_system_sgpr_workgroup_id_z 1
		.amdhsa_system_sgpr_workgroup_info 0
		.amdhsa_system_vgpr_workitem_id 0
		.amdhsa_next_free_vgpr 10
		.amdhsa_next_free_sgpr 20
		.amdhsa_reserve_vcc 1
		.amdhsa_float_round_mode_32 0
		.amdhsa_float_round_mode_16_64 0
		.amdhsa_float_denorm_mode_32 3
		.amdhsa_float_denorm_mode_16_64 3
		.amdhsa_dx10_clamp 1
		.amdhsa_ieee_mode 1
		.amdhsa_fp16_overflow 0
		.amdhsa_workgroup_processor_mode 1
		.amdhsa_memory_ordered 1
		.amdhsa_forward_progress 0
		.amdhsa_shared_vgpr_count 0
		.amdhsa_exception_fp_ieee_invalid_op 0
		.amdhsa_exception_fp_denorm_src 0
		.amdhsa_exception_fp_ieee_div_zero 0
		.amdhsa_exception_fp_ieee_overflow 0
		.amdhsa_exception_fp_ieee_underflow 0
		.amdhsa_exception_fp_ieee_inexact 0
		.amdhsa_exception_int_div_zero 0
	.end_amdhsa_kernel
	.section	.text._ZN2at6native6mbtopk23computeBlockDigitCountsIlmmLi1EEEvNS_4cuda6detail10TensorInfoIKT_T0_EEjPjjS8_iijT1_PSB_Ps,"axG",@progbits,_ZN2at6native6mbtopk23computeBlockDigitCountsIlmmLi1EEEvNS_4cuda6detail10TensorInfoIKT_T0_EEjPjjS8_iijT1_PSB_Ps,comdat
.Lfunc_end154:
	.size	_ZN2at6native6mbtopk23computeBlockDigitCountsIlmmLi1EEEvNS_4cuda6detail10TensorInfoIKT_T0_EEjPjjS8_iijT1_PSB_Ps, .Lfunc_end154-_ZN2at6native6mbtopk23computeBlockDigitCountsIlmmLi1EEEvNS_4cuda6detail10TensorInfoIKT_T0_EEjPjjS8_iijT1_PSB_Ps
                                        ; -- End function
	.section	.AMDGPU.csdata,"",@progbits
; Kernel info:
; codeLenInByte = 1144
; NumSgprs: 22
; NumVgprs: 10
; ScratchSize: 0
; MemoryBound: 0
; FloatMode: 240
; IeeeMode: 1
; LDSByteSize: 1024 bytes/workgroup (compile time only)
; SGPRBlocks: 2
; VGPRBlocks: 1
; NumSGPRsForWavesPerEU: 22
; NumVGPRsForWavesPerEU: 10
; Occupancy: 16
; WaveLimiterHint : 1
; COMPUTE_PGM_RSRC2:SCRATCH_EN: 0
; COMPUTE_PGM_RSRC2:USER_SGPR: 13
; COMPUTE_PGM_RSRC2:TRAP_HANDLER: 0
; COMPUTE_PGM_RSRC2:TGID_X_EN: 1
; COMPUTE_PGM_RSRC2:TGID_Y_EN: 1
; COMPUTE_PGM_RSRC2:TGID_Z_EN: 1
; COMPUTE_PGM_RSRC2:TIDIG_COMP_CNT: 0
	.section	.text._ZN2at6native6mbtopk10gatherTopKIlmLi1EEEvNS_4cuda6detail10TensorInfoIKT_T0_EES8_S8_bjS8_NS5_IS6_S8_EES8_NS5_IlS8_EES8_jjPS6_PjSD_j,"axG",@progbits,_ZN2at6native6mbtopk10gatherTopKIlmLi1EEEvNS_4cuda6detail10TensorInfoIKT_T0_EES8_S8_bjS8_NS5_IS6_S8_EES8_NS5_IlS8_EES8_jjPS6_PjSD_j,comdat
	.protected	_ZN2at6native6mbtopk10gatherTopKIlmLi1EEEvNS_4cuda6detail10TensorInfoIKT_T0_EES8_S8_bjS8_NS5_IS6_S8_EES8_NS5_IlS8_EES8_jjPS6_PjSD_j ; -- Begin function _ZN2at6native6mbtopk10gatherTopKIlmLi1EEEvNS_4cuda6detail10TensorInfoIKT_T0_EES8_S8_bjS8_NS5_IS6_S8_EES8_NS5_IlS8_EES8_jjPS6_PjSD_j
	.globl	_ZN2at6native6mbtopk10gatherTopKIlmLi1EEEvNS_4cuda6detail10TensorInfoIKT_T0_EES8_S8_bjS8_NS5_IS6_S8_EES8_NS5_IlS8_EES8_jjPS6_PjSD_j
	.p2align	8
	.type	_ZN2at6native6mbtopk10gatherTopKIlmLi1EEEvNS_4cuda6detail10TensorInfoIKT_T0_EES8_S8_bjS8_NS5_IS6_S8_EES8_NS5_IlS8_EES8_jjPS6_PjSD_j,@function
_ZN2at6native6mbtopk10gatherTopKIlmLi1EEEvNS_4cuda6detail10TensorInfoIKT_T0_EES8_S8_bjS8_NS5_IS6_S8_EES8_NS5_IlS8_EES8_jjPS6_PjSD_j: ; @_ZN2at6native6mbtopk10gatherTopKIlmLi1EEEvNS_4cuda6detail10TensorInfoIKT_T0_EES8_S8_bjS8_NS5_IS6_S8_EES8_NS5_IlS8_EES8_jjPS6_PjSD_j
; %bb.0:
	s_clause 0x1
	s_load_b64 s[2:3], s[0:1], 0x538
	s_load_b32 s4, s[0:1], 0x530
	s_waitcnt lgkmcnt(0)
	s_mul_i32 s3, s3, s15
	s_delay_alu instid0(SALU_CYCLE_1) | instskip(NEXT) | instid1(SALU_CYCLE_1)
	s_add_i32 s3, s3, s14
	s_mul_i32 s2, s3, s2
	s_delay_alu instid0(SALU_CYCLE_1) | instskip(NEXT) | instid1(SALU_CYCLE_1)
	s_add_i32 s2, s2, s13
	s_cmp_ge_u32 s2, s4
	s_cbranch_scc1 .LBB155_42
; %bb.1:
	s_load_b64 s[16:17], s[0:1], 0x510
	s_mov_b32 s21, 0
	s_waitcnt lgkmcnt(0)
	v_cvt_f32_u32_e32 v1, s17
	s_sub_i32 s4, 0, s17
	s_lshl_b32 s33, s16, 8
	s_delay_alu instid0(VALU_DEP_1) | instskip(SKIP_2) | instid1(VALU_DEP_1)
	v_rcp_iflag_f32_e32 v1, v1
	s_waitcnt_depctr 0xfff
	v_mul_f32_e32 v1, 0x4f7ffffe, v1
	v_cvt_u32_f32_e32 v1, v1
	s_delay_alu instid0(VALU_DEP_1) | instskip(NEXT) | instid1(VALU_DEP_1)
	v_readfirstlane_b32 s3, v1
	s_mul_i32 s4, s4, s3
	s_delay_alu instid0(SALU_CYCLE_1) | instskip(NEXT) | instid1(SALU_CYCLE_1)
	s_mul_hi_u32 s4, s3, s4
	s_add_i32 s3, s3, s4
	s_load_b128 s[4:7], s[0:1], 0x1a0
	s_mul_hi_u32 s3, s2, s3
	s_delay_alu instid0(SALU_CYCLE_1) | instskip(SKIP_2) | instid1(SALU_CYCLE_1)
	s_mul_i32 s8, s3, s17
	s_add_i32 s9, s3, 1
	s_sub_i32 s8, s2, s8
	s_sub_i32 s10, s8, s17
	s_cmp_ge_u32 s8, s17
	s_cselect_b32 s3, s9, s3
	s_cselect_b32 s8, s10, s8
	s_add_i32 s9, s3, 1
	s_cmp_ge_u32 s8, s17
	s_cselect_b32 s20, s9, s3
	s_delay_alu instid0(SALU_CYCLE_1) | instskip(NEXT) | instid1(SALU_CYCLE_1)
	s_mul_i32 s30, s20, s17
	s_sub_i32 s38, s2, s30
	s_delay_alu instid0(SALU_CYCLE_1) | instskip(NEXT) | instid1(SALU_CYCLE_1)
	s_add_i32 s2, s38, 1
	s_cmp_lt_u32 s2, s17
	s_cbranch_scc1 .LBB155_3
; %bb.2:
	s_mul_i32 s2, s38, s33
	s_waitcnt lgkmcnt(0)
	s_sub_u32 s2, s4, s2
	s_subb_u32 s3, s5, 0
	s_add_u32 s2, s2, 0xff
	s_addc_u32 s3, s3, 0
	s_delay_alu instid0(SALU_CYCLE_1) | instskip(NEXT) | instid1(SALU_CYCLE_1)
	s_ashr_i32 s8, s3, 31
	s_lshr_b32 s8, s8, 24
	s_delay_alu instid0(SALU_CYCLE_1) | instskip(SKIP_1) | instid1(SALU_CYCLE_1)
	s_add_u32 s2, s2, s8
	s_addc_u32 s3, s3, 0
	v_alignbit_b32 v1, s3, s2, 8
	s_delay_alu instid0(VALU_DEP_1)
	v_readfirstlane_b32 s16, v1
.LBB155_3:
	s_load_b128 s[8:11], s[0:1], 0x518
	s_lshl_b64 s[2:3], s[20:21], 3
	s_waitcnt lgkmcnt(0)
	s_add_u32 s2, s8, s2
	s_addc_u32 s3, s9, s3
	s_clause 0x3
	s_load_b64 s[22:23], s[0:1], 0x0
	s_load_b64 s[28:29], s[0:1], 0xd0
	;; [unrolled: 1-line block ×5, first 2 shown]
	v_cmp_ne_u32_e64 s2, 0, v0
	v_cmp_eq_u32_e64 s3, 0, v0
	s_delay_alu instid0(VALU_DEP_1)
	s_and_saveexec_b32 s21, s3
	s_cbranch_execz .LBB155_19
; %bb.4:
	s_load_b64 s[8:9], s[0:1], 0x528
	s_mov_b32 s31, 0
	s_mov_b32 s39, 0
	s_lshl_b64 s[34:35], s[30:31], 2
	s_mov_b32 s30, 0
	s_add_u32 s12, s10, s34
	s_addc_u32 s13, s11, s35
	s_waitcnt lgkmcnt(0)
	s_add_u32 s14, s8, s34
	s_addc_u32 s15, s9, s35
	s_cmp_lt_u32 s17, 4
	s_cbranch_scc1 .LBB155_16
; %bb.5:
	s_mov_b32 s40, 0
.LBB155_6:                              ; =>This Inner Loop Header: Depth=1
	s_add_u32 s12, s10, s34
	s_addc_u32 s13, s11, s35
	s_add_u32 s36, s8, s34
	s_load_b128 s[12:15], s[12:13], 0x0
	s_addc_u32 s37, s9, s35
	s_cmp_ge_u32 s40, s38
	s_cbranch_scc0 .LBB155_13
; %bb.7:                                ;   in Loop: Header=BB155_6 Depth=1
	s_add_i32 s41, s40, 1
	s_delay_alu instid0(SALU_CYCLE_1)
	s_cmp_ge_u32 s41, s38
	s_cbranch_scc0 .LBB155_14
.LBB155_8:                              ;   in Loop: Header=BB155_6 Depth=1
	s_add_i32 s41, s41, 1
	s_delay_alu instid0(SALU_CYCLE_1)
	s_cmp_ge_u32 s41, s38
	s_cbranch_scc0 .LBB155_15
.LBB155_9:                              ;   in Loop: Header=BB155_6 Depth=1
	s_add_i32 s41, s41, 1
	s_delay_alu instid0(SALU_CYCLE_1)
	s_cmp_ge_u32 s41, s38
	s_cbranch_scc1 .LBB155_11
.LBB155_10:                             ;   in Loop: Header=BB155_6 Depth=1
	s_load_b32 s36, s[36:37], 0xc
	s_waitcnt lgkmcnt(0)
	s_add_i32 s31, s31, s15
	s_add_i32 s30, s36, s30
.LBB155_11:                             ;   in Loop: Header=BB155_6 Depth=1
	s_waitcnt lgkmcnt(0)
	s_add_i32 s12, s12, s39
	s_delay_alu instid0(SALU_CYCLE_1) | instskip(NEXT) | instid1(SALU_CYCLE_1)
	s_add_i32 s12, s12, s13
	s_add_i32 s12, s12, s14
	s_delay_alu instid0(SALU_CYCLE_1)
	s_add_i32 s39, s12, s15
	s_add_u32 s10, s10, 16
	s_addc_u32 s11, s11, 0
	s_add_u32 s8, s8, 16
	s_addc_u32 s9, s9, 0
	s_add_i32 s37, s41, 4
	s_add_u32 s14, s8, s34
	s_addc_u32 s15, s9, s35
	s_add_u32 s12, s10, s34
	s_addc_u32 s13, s11, s35
	s_add_i32 s36, s41, 1
	s_cmp_ge_u32 s37, s17
	s_cbranch_scc1 .LBB155_17
; %bb.12:                               ;   in Loop: Header=BB155_6 Depth=1
	s_mov_b32 s40, s36
	s_branch .LBB155_6
.LBB155_13:                             ;   in Loop: Header=BB155_6 Depth=1
	s_load_b32 s41, s[36:37], 0x0
	s_waitcnt lgkmcnt(0)
	s_add_i32 s31, s12, s31
	s_add_i32 s30, s41, s30
	;; [unrolled: 1-line block ×3, first 2 shown]
	s_delay_alu instid0(SALU_CYCLE_1)
	s_cmp_ge_u32 s41, s38
	s_cbranch_scc1 .LBB155_8
.LBB155_14:                             ;   in Loop: Header=BB155_6 Depth=1
	s_load_b32 s42, s[36:37], 0x4
	s_waitcnt lgkmcnt(0)
	s_add_i32 s31, s31, s13
	s_add_i32 s30, s42, s30
	;; [unrolled: 1-line block ×3, first 2 shown]
	s_delay_alu instid0(SALU_CYCLE_1)
	s_cmp_ge_u32 s41, s38
	s_cbranch_scc1 .LBB155_9
.LBB155_15:                             ;   in Loop: Header=BB155_6 Depth=1
	s_load_b32 s42, s[36:37], 0x8
	s_waitcnt lgkmcnt(0)
	s_add_i32 s31, s31, s14
	s_add_i32 s30, s42, s30
	;; [unrolled: 1-line block ×3, first 2 shown]
	s_delay_alu instid0(SALU_CYCLE_1)
	s_cmp_ge_u32 s41, s38
	s_cbranch_scc0 .LBB155_10
	s_branch .LBB155_11
.LBB155_16:
	s_mov_b32 s8, 0
	s_delay_alu instid0(SALU_CYCLE_1)
	s_cmp_ge_u32 s8, s17
	s_cbranch_scc0 .LBB155_40
	s_branch .LBB155_18
.LBB155_17:
	s_add_i32 s8, s40, 4
	s_delay_alu instid0(SALU_CYCLE_1)
	s_cmp_ge_u32 s8, s17
	s_cbranch_scc0 .LBB155_40
.LBB155_18:
	v_dual_mov_b32 v1, s30 :: v_dual_mov_b32 v2, s39
	v_dual_mov_b32 v3, s31 :: v_dual_mov_b32 v4, 0
	ds_store_b96 v4, v[1:3] offset:1056
.LBB155_19:
	s_or_b32 exec_lo, exec_lo, s21
	s_clause 0x1
	s_load_b128 s[8:11], s[0:1], 0x1b8
	s_load_b128 s[12:15], s[0:1], 0x360
	s_cmp_eq_u32 s16, 0
	s_waitcnt lgkmcnt(0)
	s_barrier
	buffer_gl0_inv
	s_cbranch_scc1 .LBB155_42
; %bb.20:
	v_dual_mov_b32 v5, 0 :: v_dual_add_nc_u32 v4, -1, v0
	s_mul_i32 s17, s29, s20
	s_mul_hi_u32 s21, s28, s20
	s_mul_i32 s28, s28, s20
	ds_load_b96 v[1:3], v5 offset:1056
	s_add_i32 s29, s21, s17
	s_mul_i32 s17, s27, s20
	s_mul_hi_u32 s21, s26, s20
	s_lshl_b64 s[28:29], s[28:29], 3
	s_add_i32 s27, s21, s17
	s_mul_i32 s17, s25, s20
	s_mul_hi_u32 s21, s24, s20
	s_mul_i32 s26, s26, s20
	s_add_i32 s25, s21, s17
	s_add_u32 s17, s22, s28
	s_addc_u32 s21, s23, s29
	s_lshl_b64 s[22:23], s[26:27], 3
	s_mul_i32 s24, s24, s20
	s_add_u32 s20, s10, s22
	s_addc_u32 s22, s11, s23
	s_lshl_b64 s[10:11], s[24:25], 3
	v_lshlrev_b32_e32 v8, 3, v0
	s_add_u32 s23, s14, s10
	s_load_b32 s10, s[0:1], 0x1b0
	s_addc_u32 s24, s15, s11
	s_load_b64 s[14:15], s[0:1], 0x508
	s_waitcnt lgkmcnt(0)
	v_add_nc_u32_e32 v1, v1, v2
	v_lshrrev_b32_e32 v2, 5, v0
	v_lshrrev_b32_e32 v9, 2, v0
	;; [unrolled: 1-line block ×3, first 2 shown]
	v_mbcnt_lo_u32_b32 v10, -1, 0
	v_mad_u64_u32 v[6:7], null, s38, s33, v[0:1]
	s_xor_b32 s11, s19, 0x80000000
	v_add_lshl_u32 v11, v2, v0, 2
	v_cmp_gt_u32_e64 s0, 32, v0
	v_add_lshl_u32 v0, v9, v8, 2
	v_add_lshl_u32 v12, v12, v4, 2
	v_dual_mov_b32 v4, v6 :: v_dual_and_b32 v13, 15, v10
	v_bfe_i32 v14, v10, 4, 1
	v_add_nc_u32_e32 v15, -1, v10
                                        ; implicit-def: $vgpr6_vgpr7
	s_bitcmp1_b32 s10, 0
	s_mov_b32 s10, s18
	s_cselect_b32 s1, -1, 0
	s_branch .LBB155_23
.LBB155_21:                             ;   in Loop: Header=BB155_23 Depth=1
	s_or_b32 exec_lo, exec_lo, s25
	v_add_nc_u32_e32 v1, v2, v1
.LBB155_22:                             ;   in Loop: Header=BB155_23 Depth=1
	v_add_nc_u32_e32 v3, v16, v3
	v_add_nc_u32_e32 v4, 0x100, v4
	s_add_i32 s16, s16, -1
	s_delay_alu instid0(SALU_CYCLE_1)
	s_cmp_lg_u32 s16, 0
	s_cbranch_scc0 .LBB155_42
.LBB155_23:                             ; =>This Inner Loop Header: Depth=1
	v_mov_b32_e32 v2, v5
	v_mov_b32_e32 v8, v5
	s_mov_b32 s25, exec_lo
	v_cmpx_gt_u64_e64 s[4:5], v[4:5]
	s_cbranch_execz .LBB155_25
; %bb.24:                               ;   in Loop: Header=BB155_23 Depth=1
	v_mad_u64_u32 v[6:7], null, v4, s8, 0
	s_delay_alu instid0(VALU_DEP_1) | instskip(NEXT) | instid1(VALU_DEP_1)
	v_mov_b32_e32 v2, v7
	v_mad_u64_u32 v[7:8], null, v4, s9, v[2:3]
	s_delay_alu instid0(VALU_DEP_1) | instskip(NEXT) | instid1(VALU_DEP_1)
	v_lshlrev_b64 v[6:7], 3, v[6:7]
	v_add_co_u32 v6, vcc_lo, s17, v6
	s_delay_alu instid0(VALU_DEP_2) | instskip(SKIP_4) | instid1(VALU_DEP_1)
	v_add_co_ci_u32_e32 v7, vcc_lo, s21, v7, vcc_lo
	global_load_b64 v[6:7], v[6:7], off
	s_waitcnt vmcnt(0)
	v_xor_b32_e32 v9, 0x80000000, v7
	v_mov_b32_e32 v8, v6
	v_cmp_lt_u64_e32 vcc_lo, s[10:11], v[8:9]
	v_cndmask_b32_e64 v2, 0, 1, vcc_lo
	v_cmp_gt_u64_e32 vcc_lo, s[10:11], v[8:9]
	v_cndmask_b32_e64 v8, 0, 1, vcc_lo
	v_cmp_eq_u64_e32 vcc_lo, s[18:19], v[6:7]
	s_delay_alu instid0(VALU_DEP_2) | instskip(SKIP_1) | instid1(VALU_DEP_2)
	v_cndmask_b32_e64 v2, v8, v2, s1
	v_cndmask_b32_e64 v8, 0, 1, vcc_lo
	v_and_b32_e32 v2, 1, v2
.LBB155_25:                             ;   in Loop: Header=BB155_23 Depth=1
	s_or_b32 exec_lo, exec_lo, s25
	ds_store_b32 v11, v2
	s_waitcnt lgkmcnt(0)
	s_waitcnt_vscnt null, 0x0
	s_barrier
	buffer_gl0_inv
	s_and_saveexec_b32 s25, s0
	s_cbranch_execz .LBB155_27
; %bb.26:                               ;   in Loop: Header=BB155_23 Depth=1
	ds_load_2addr_b32 v[16:17], v0 offset1:1
	ds_load_2addr_b32 v[18:19], v0 offset0:2 offset1:3
	ds_load_2addr_b32 v[20:21], v0 offset0:4 offset1:5
	;; [unrolled: 1-line block ×3, first 2 shown]
	v_cmp_ne_u32_e32 vcc_lo, 0, v13
	; wave barrier
	s_waitcnt lgkmcnt(3)
	v_add_nc_u32_e32 v9, v17, v16
	s_waitcnt lgkmcnt(2)
	s_delay_alu instid0(VALU_DEP_1) | instskip(SKIP_1) | instid1(VALU_DEP_1)
	v_add3_u32 v9, v9, v18, v19
	s_waitcnt lgkmcnt(1)
	v_add3_u32 v9, v9, v20, v21
	s_waitcnt lgkmcnt(0)
	s_delay_alu instid0(VALU_DEP_1) | instskip(NEXT) | instid1(VALU_DEP_1)
	v_add3_u32 v9, v9, v22, v23
	v_mov_b32_dpp v17, v9 row_shr:1 row_mask:0xf bank_mask:0xf
	s_delay_alu instid0(VALU_DEP_1) | instskip(SKIP_1) | instid1(VALU_DEP_2)
	v_cndmask_b32_e32 v17, 0, v17, vcc_lo
	v_cmp_lt_u32_e32 vcc_lo, 1, v13
	v_add_nc_u32_e32 v9, v17, v9
	s_delay_alu instid0(VALU_DEP_1) | instskip(NEXT) | instid1(VALU_DEP_1)
	v_mov_b32_dpp v17, v9 row_shr:2 row_mask:0xf bank_mask:0xf
	v_cndmask_b32_e32 v17, 0, v17, vcc_lo
	v_cmp_lt_u32_e32 vcc_lo, 3, v13
	s_delay_alu instid0(VALU_DEP_2) | instskip(NEXT) | instid1(VALU_DEP_1)
	v_add_nc_u32_e32 v9, v9, v17
	v_mov_b32_dpp v17, v9 row_shr:4 row_mask:0xf bank_mask:0xf
	s_delay_alu instid0(VALU_DEP_1) | instskip(SKIP_1) | instid1(VALU_DEP_2)
	v_cndmask_b32_e32 v17, 0, v17, vcc_lo
	v_cmp_lt_u32_e32 vcc_lo, 7, v13
	v_add_nc_u32_e32 v9, v9, v17
	s_delay_alu instid0(VALU_DEP_1) | instskip(NEXT) | instid1(VALU_DEP_1)
	v_mov_b32_dpp v17, v9 row_shr:8 row_mask:0xf bank_mask:0xf
	v_cndmask_b32_e32 v17, 0, v17, vcc_lo
	v_cmp_gt_i32_e32 vcc_lo, 0, v15
	s_delay_alu instid0(VALU_DEP_2) | instskip(SKIP_4) | instid1(VALU_DEP_1)
	v_dual_cndmask_b32 v18, v15, v10 :: v_dual_add_nc_u32 v9, v9, v17
	ds_swizzle_b32 v17, v9 offset:swizzle(BROADCAST,32,15)
	v_lshlrev_b32_e32 v18, 2, v18
	s_waitcnt lgkmcnt(0)
	v_and_b32_e32 v17, v14, v17
	v_add_nc_u32_e32 v9, v9, v17
	ds_bpermute_b32 v9, v18, v9
	s_waitcnt lgkmcnt(0)
	v_add_nc_u32_e32 v9, v9, v16
	s_delay_alu instid0(VALU_DEP_1)
	v_cndmask_b32_e64 v9, v9, v2, s3
	ds_store_b32 v0, v9
	; wave barrier
	ds_load_2addr_b32 v[16:17], v0 offset0:1 offset1:2
	ds_load_2addr_b32 v[18:19], v0 offset0:3 offset1:4
	;; [unrolled: 1-line block ×3, first 2 shown]
	ds_load_b32 v22, v0 offset:28
	s_waitcnt lgkmcnt(3)
	v_add_nc_u32_e32 v9, v16, v9
	s_delay_alu instid0(VALU_DEP_1) | instskip(SKIP_1) | instid1(VALU_DEP_1)
	v_add_nc_u32_e32 v16, v17, v9
	s_waitcnt lgkmcnt(2)
	v_add_nc_u32_e32 v17, v18, v16
	s_delay_alu instid0(VALU_DEP_1) | instskip(SKIP_1) | instid1(VALU_DEP_1)
	v_add_nc_u32_e32 v18, v19, v17
	;; [unrolled: 4-line block ×3, first 2 shown]
	s_waitcnt lgkmcnt(0)
	v_add_nc_u32_e32 v21, v22, v20
	ds_store_2addr_b32 v0, v9, v16 offset0:1 offset1:2
	ds_store_2addr_b32 v0, v17, v18 offset0:3 offset1:4
	;; [unrolled: 1-line block ×3, first 2 shown]
	ds_store_b32 v0, v21 offset:28
.LBB155_27:                             ;   in Loop: Header=BB155_23 Depth=1
	s_or_b32 exec_lo, exec_lo, s25
	v_mov_b32_e32 v9, 0
	s_waitcnt lgkmcnt(0)
	s_barrier
	buffer_gl0_inv
	s_and_saveexec_b32 s25, s2
	s_cbranch_execz .LBB155_29
; %bb.28:                               ;   in Loop: Header=BB155_23 Depth=1
	ds_load_b32 v9, v12
.LBB155_29:                             ;   in Loop: Header=BB155_23 Depth=1
	s_or_b32 exec_lo, exec_lo, s25
	ds_load_b32 v16, v5 offset:1048
	s_mov_b32 s25, exec_lo
	s_waitcnt lgkmcnt(0)
	s_barrier
	buffer_gl0_inv
	v_cmpx_ne_u32_e32 0, v2
	s_cbranch_execz .LBB155_31
; %bb.30:                               ;   in Loop: Header=BB155_23 Depth=1
	v_add_nc_u32_e32 v23, v9, v3
	s_delay_alu instid0(VALU_DEP_1) | instskip(NEXT) | instid1(VALU_DEP_1)
	v_mad_u64_u32 v[17:18], null, v23, s12, 0
	v_mov_b32_e32 v2, v18
	v_mad_u64_u32 v[19:20], null, v23, s14, 0
	s_delay_alu instid0(VALU_DEP_1) | instskip(NEXT) | instid1(VALU_DEP_3)
	v_mov_b32_e32 v9, v20
	v_mad_u64_u32 v[20:21], null, v23, s13, v[2:3]
	s_delay_alu instid0(VALU_DEP_2) | instskip(NEXT) | instid1(VALU_DEP_2)
	v_mad_u64_u32 v[21:22], null, v23, s15, v[9:10]
	v_mov_b32_e32 v18, v20
	s_delay_alu instid0(VALU_DEP_2) | instskip(NEXT) | instid1(VALU_DEP_2)
	v_mov_b32_e32 v20, v21
	v_lshlrev_b64 v[17:18], 3, v[17:18]
	s_delay_alu instid0(VALU_DEP_2) | instskip(NEXT) | instid1(VALU_DEP_2)
	v_lshlrev_b64 v[19:20], 3, v[19:20]
	v_add_co_u32 v17, vcc_lo, s20, v17
	s_delay_alu instid0(VALU_DEP_3) | instskip(NEXT) | instid1(VALU_DEP_3)
	v_add_co_ci_u32_e32 v18, vcc_lo, s22, v18, vcc_lo
	v_add_co_u32 v19, vcc_lo, s23, v19
	s_delay_alu instid0(VALU_DEP_4)
	v_add_co_ci_u32_e32 v20, vcc_lo, s24, v20, vcc_lo
	global_store_b64 v[17:18], v[6:7], off
	global_store_b64 v[19:20], v[4:5], off
.LBB155_31:                             ;   in Loop: Header=BB155_23 Depth=1
	s_or_b32 exec_lo, exec_lo, s25
	v_mov_b32_e32 v2, v5
	s_delay_alu instid0(VALU_DEP_1)
	v_cmp_le_u64_e32 vcc_lo, s[6:7], v[1:2]
	s_cbranch_vccnz .LBB155_22
; %bb.32:                               ;   in Loop: Header=BB155_23 Depth=1
	ds_store_b32 v11, v8
	s_waitcnt lgkmcnt(0)
	s_waitcnt_vscnt null, 0x0
	s_barrier
	buffer_gl0_inv
	s_and_saveexec_b32 s25, s0
	s_cbranch_execz .LBB155_34
; %bb.33:                               ;   in Loop: Header=BB155_23 Depth=1
	ds_load_2addr_b32 v[17:18], v0 offset1:1
	ds_load_2addr_b32 v[19:20], v0 offset0:2 offset1:3
	ds_load_2addr_b32 v[21:22], v0 offset0:4 offset1:5
	;; [unrolled: 1-line block ×3, first 2 shown]
	v_cmp_ne_u32_e32 vcc_lo, 0, v13
	; wave barrier
	s_waitcnt lgkmcnt(3)
	v_add_nc_u32_e32 v2, v18, v17
	s_waitcnt lgkmcnt(2)
	s_delay_alu instid0(VALU_DEP_1) | instskip(SKIP_1) | instid1(VALU_DEP_1)
	v_add3_u32 v2, v2, v19, v20
	s_waitcnt lgkmcnt(1)
	v_add3_u32 v2, v2, v21, v22
	s_waitcnt lgkmcnt(0)
	s_delay_alu instid0(VALU_DEP_1) | instskip(NEXT) | instid1(VALU_DEP_1)
	v_add3_u32 v2, v2, v23, v24
	v_mov_b32_dpp v9, v2 row_shr:1 row_mask:0xf bank_mask:0xf
	s_delay_alu instid0(VALU_DEP_1) | instskip(SKIP_1) | instid1(VALU_DEP_2)
	v_cndmask_b32_e32 v9, 0, v9, vcc_lo
	v_cmp_lt_u32_e32 vcc_lo, 1, v13
	v_add_nc_u32_e32 v2, v9, v2
	s_delay_alu instid0(VALU_DEP_1) | instskip(NEXT) | instid1(VALU_DEP_1)
	v_mov_b32_dpp v9, v2 row_shr:2 row_mask:0xf bank_mask:0xf
	v_cndmask_b32_e32 v9, 0, v9, vcc_lo
	v_cmp_lt_u32_e32 vcc_lo, 3, v13
	s_delay_alu instid0(VALU_DEP_2) | instskip(NEXT) | instid1(VALU_DEP_1)
	v_add_nc_u32_e32 v2, v2, v9
	v_mov_b32_dpp v9, v2 row_shr:4 row_mask:0xf bank_mask:0xf
	s_delay_alu instid0(VALU_DEP_1) | instskip(SKIP_1) | instid1(VALU_DEP_2)
	v_cndmask_b32_e32 v9, 0, v9, vcc_lo
	v_cmp_lt_u32_e32 vcc_lo, 7, v13
	v_add_nc_u32_e32 v2, v2, v9
	s_delay_alu instid0(VALU_DEP_1) | instskip(NEXT) | instid1(VALU_DEP_1)
	v_mov_b32_dpp v9, v2 row_shr:8 row_mask:0xf bank_mask:0xf
	v_cndmask_b32_e32 v9, 0, v9, vcc_lo
	v_cmp_gt_i32_e32 vcc_lo, 0, v15
	s_delay_alu instid0(VALU_DEP_2)
	v_add_nc_u32_e32 v2, v2, v9
	v_cndmask_b32_e32 v18, v15, v10, vcc_lo
	ds_swizzle_b32 v9, v2 offset:swizzle(BROADCAST,32,15)
	v_lshlrev_b32_e32 v18, 2, v18
	s_waitcnt lgkmcnt(0)
	v_and_b32_e32 v9, v14, v9
	s_delay_alu instid0(VALU_DEP_1) | instskip(SKIP_3) | instid1(VALU_DEP_1)
	v_add_nc_u32_e32 v2, v2, v9
	ds_bpermute_b32 v2, v18, v2
	s_waitcnt lgkmcnt(0)
	v_add_nc_u32_e32 v2, v2, v17
	v_cndmask_b32_e64 v2, v2, v8, s3
	ds_store_b32 v0, v2
	; wave barrier
	ds_load_2addr_b32 v[17:18], v0 offset0:1 offset1:2
	ds_load_2addr_b32 v[19:20], v0 offset0:3 offset1:4
	;; [unrolled: 1-line block ×3, first 2 shown]
	ds_load_b32 v9, v0 offset:28
	s_waitcnt lgkmcnt(3)
	v_add_nc_u32_e32 v2, v17, v2
	s_delay_alu instid0(VALU_DEP_1) | instskip(SKIP_1) | instid1(VALU_DEP_1)
	v_add_nc_u32_e32 v17, v18, v2
	s_waitcnt lgkmcnt(2)
	v_add_nc_u32_e32 v18, v19, v17
	s_delay_alu instid0(VALU_DEP_1) | instskip(SKIP_1) | instid1(VALU_DEP_1)
	v_add_nc_u32_e32 v19, v20, v18
	;; [unrolled: 4-line block ×3, first 2 shown]
	s_waitcnt lgkmcnt(0)
	v_add_nc_u32_e32 v9, v9, v21
	ds_store_2addr_b32 v0, v2, v17 offset0:1 offset1:2
	ds_store_2addr_b32 v0, v18, v19 offset0:3 offset1:4
	;; [unrolled: 1-line block ×3, first 2 shown]
	ds_store_b32 v0, v9 offset:28
.LBB155_34:                             ;   in Loop: Header=BB155_23 Depth=1
	s_or_b32 exec_lo, exec_lo, s25
	v_mov_b32_e32 v9, 0
	s_waitcnt lgkmcnt(0)
	s_barrier
	buffer_gl0_inv
	s_and_saveexec_b32 s25, s2
	s_cbranch_execz .LBB155_36
; %bb.35:                               ;   in Loop: Header=BB155_23 Depth=1
	ds_load_b32 v9, v12
.LBB155_36:                             ;   in Loop: Header=BB155_23 Depth=1
	s_or_b32 exec_lo, exec_lo, s25
	ds_load_b32 v2, v5 offset:1048
	s_mov_b32 s25, exec_lo
	s_waitcnt lgkmcnt(0)
	s_barrier
	buffer_gl0_inv
	v_cmpx_ne_u32_e32 0, v8
	s_cbranch_execz .LBB155_21
; %bb.37:                               ;   in Loop: Header=BB155_23 Depth=1
	v_add_nc_u32_e32 v8, v9, v1
	v_mov_b32_e32 v9, v5
	s_delay_alu instid0(VALU_DEP_1)
	v_cmp_gt_u64_e32 vcc_lo, s[6:7], v[8:9]
	s_and_b32 exec_lo, exec_lo, vcc_lo
	s_cbranch_execz .LBB155_21
; %bb.38:                               ;   in Loop: Header=BB155_23 Depth=1
	v_mad_u64_u32 v[17:18], null, v8, s12, 0
	v_mad_u64_u32 v[19:20], null, v8, s14, 0
	s_delay_alu instid0(VALU_DEP_1) | instskip(NEXT) | instid1(VALU_DEP_1)
	v_dual_mov_b32 v9, v18 :: v_dual_mov_b32 v18, v20
	v_mad_u64_u32 v[20:21], null, v8, s13, v[9:10]
	s_delay_alu instid0(VALU_DEP_2) | instskip(NEXT) | instid1(VALU_DEP_2)
	v_mad_u64_u32 v[21:22], null, v8, s15, v[18:19]
	v_mov_b32_e32 v18, v20
	s_delay_alu instid0(VALU_DEP_2) | instskip(NEXT) | instid1(VALU_DEP_2)
	v_mov_b32_e32 v20, v21
	v_lshlrev_b64 v[8:9], 3, v[17:18]
	s_delay_alu instid0(VALU_DEP_2) | instskip(NEXT) | instid1(VALU_DEP_2)
	v_lshlrev_b64 v[17:18], 3, v[19:20]
	v_add_co_u32 v8, vcc_lo, s20, v8
	s_delay_alu instid0(VALU_DEP_3) | instskip(NEXT) | instid1(VALU_DEP_3)
	v_add_co_ci_u32_e32 v9, vcc_lo, s22, v9, vcc_lo
	v_add_co_u32 v17, vcc_lo, s23, v17
	s_delay_alu instid0(VALU_DEP_4)
	v_add_co_ci_u32_e32 v18, vcc_lo, s24, v18, vcc_lo
	global_store_b64 v[8:9], v[6:7], off
	global_store_b64 v[17:18], v[4:5], off
	s_branch .LBB155_21
	.p2align	6
.LBB155_39:                             ;   in Loop: Header=BB155_40 Depth=1
	s_add_u32 s12, s12, 4
	s_addc_u32 s13, s13, 0
	s_waitcnt lgkmcnt(0)
	s_add_i32 s39, s9, s39
	s_add_u32 s14, s14, 4
	s_addc_u32 s15, s15, 0
	s_add_i32 s8, s8, 1
	s_delay_alu instid0(SALU_CYCLE_1)
	s_cmp_lt_u32 s8, s17
	s_cbranch_scc0 .LBB155_18
.LBB155_40:                             ; =>This Inner Loop Header: Depth=1
	s_load_b32 s9, s[12:13], 0x0
	s_cmp_ge_u32 s8, s38
	s_cbranch_scc1 .LBB155_39
; %bb.41:                               ;   in Loop: Header=BB155_40 Depth=1
	s_load_b32 s10, s[14:15], 0x0
	s_waitcnt lgkmcnt(0)
	s_add_i32 s31, s9, s31
	s_add_i32 s30, s10, s30
	s_branch .LBB155_39
.LBB155_42:
	s_nop 0
	s_sendmsg sendmsg(MSG_DEALLOC_VGPRS)
	s_endpgm
	.section	.rodata,"a",@progbits
	.p2align	6, 0x0
	.amdhsa_kernel _ZN2at6native6mbtopk10gatherTopKIlmLi1EEEvNS_4cuda6detail10TensorInfoIKT_T0_EES8_S8_bjS8_NS5_IS6_S8_EES8_NS5_IlS8_EES8_jjPS6_PjSD_j
		.amdhsa_group_segment_fixed_size 1068
		.amdhsa_private_segment_fixed_size 0
		.amdhsa_kernarg_size 1592
		.amdhsa_user_sgpr_count 13
		.amdhsa_user_sgpr_dispatch_ptr 0
		.amdhsa_user_sgpr_queue_ptr 0
		.amdhsa_user_sgpr_kernarg_segment_ptr 1
		.amdhsa_user_sgpr_dispatch_id 0
		.amdhsa_user_sgpr_private_segment_size 0
		.amdhsa_wavefront_size32 1
		.amdhsa_uses_dynamic_stack 0
		.amdhsa_enable_private_segment 0
		.amdhsa_system_sgpr_workgroup_id_x 1
		.amdhsa_system_sgpr_workgroup_id_y 1
		.amdhsa_system_sgpr_workgroup_id_z 1
		.amdhsa_system_sgpr_workgroup_info 0
		.amdhsa_system_vgpr_workitem_id 0
		.amdhsa_next_free_vgpr 25
		.amdhsa_next_free_sgpr 43
		.amdhsa_reserve_vcc 1
		.amdhsa_float_round_mode_32 0
		.amdhsa_float_round_mode_16_64 0
		.amdhsa_float_denorm_mode_32 3
		.amdhsa_float_denorm_mode_16_64 3
		.amdhsa_dx10_clamp 1
		.amdhsa_ieee_mode 1
		.amdhsa_fp16_overflow 0
		.amdhsa_workgroup_processor_mode 1
		.amdhsa_memory_ordered 1
		.amdhsa_forward_progress 0
		.amdhsa_shared_vgpr_count 0
		.amdhsa_exception_fp_ieee_invalid_op 0
		.amdhsa_exception_fp_denorm_src 0
		.amdhsa_exception_fp_ieee_div_zero 0
		.amdhsa_exception_fp_ieee_overflow 0
		.amdhsa_exception_fp_ieee_underflow 0
		.amdhsa_exception_fp_ieee_inexact 0
		.amdhsa_exception_int_div_zero 0
	.end_amdhsa_kernel
	.section	.text._ZN2at6native6mbtopk10gatherTopKIlmLi1EEEvNS_4cuda6detail10TensorInfoIKT_T0_EES8_S8_bjS8_NS5_IS6_S8_EES8_NS5_IlS8_EES8_jjPS6_PjSD_j,"axG",@progbits,_ZN2at6native6mbtopk10gatherTopKIlmLi1EEEvNS_4cuda6detail10TensorInfoIKT_T0_EES8_S8_bjS8_NS5_IS6_S8_EES8_NS5_IlS8_EES8_jjPS6_PjSD_j,comdat
.Lfunc_end155:
	.size	_ZN2at6native6mbtopk10gatherTopKIlmLi1EEEvNS_4cuda6detail10TensorInfoIKT_T0_EES8_S8_bjS8_NS5_IS6_S8_EES8_NS5_IlS8_EES8_jjPS6_PjSD_j, .Lfunc_end155-_ZN2at6native6mbtopk10gatherTopKIlmLi1EEEvNS_4cuda6detail10TensorInfoIKT_T0_EES8_S8_bjS8_NS5_IS6_S8_EES8_NS5_IlS8_EES8_jjPS6_PjSD_j
                                        ; -- End function
	.section	.AMDGPU.csdata,"",@progbits
; Kernel info:
; codeLenInByte = 2652
; NumSgprs: 45
; NumVgprs: 25
; ScratchSize: 0
; MemoryBound: 0
; FloatMode: 240
; IeeeMode: 1
; LDSByteSize: 1068 bytes/workgroup (compile time only)
; SGPRBlocks: 5
; VGPRBlocks: 3
; NumSGPRsForWavesPerEU: 45
; NumVGPRsForWavesPerEU: 25
; Occupancy: 16
; WaveLimiterHint : 1
; COMPUTE_PGM_RSRC2:SCRATCH_EN: 0
; COMPUTE_PGM_RSRC2:USER_SGPR: 13
; COMPUTE_PGM_RSRC2:TRAP_HANDLER: 0
; COMPUTE_PGM_RSRC2:TGID_X_EN: 1
; COMPUTE_PGM_RSRC2:TGID_Y_EN: 1
; COMPUTE_PGM_RSRC2:TGID_Z_EN: 1
; COMPUTE_PGM_RSRC2:TIDIG_COMP_CNT: 0
	.section	.text._ZN2at6native6sbtopk10gatherTopKIlmLi1ELb0EEEvNS_4cuda6detail10TensorInfoIKT_T0_EES8_S8_bS8_S8_NS5_IS6_S8_EES8_NS5_IlS8_EES8_PS6_,"axG",@progbits,_ZN2at6native6sbtopk10gatherTopKIlmLi1ELb0EEEvNS_4cuda6detail10TensorInfoIKT_T0_EES8_S8_bS8_S8_NS5_IS6_S8_EES8_NS5_IlS8_EES8_PS6_,comdat
	.protected	_ZN2at6native6sbtopk10gatherTopKIlmLi1ELb0EEEvNS_4cuda6detail10TensorInfoIKT_T0_EES8_S8_bS8_S8_NS5_IS6_S8_EES8_NS5_IlS8_EES8_PS6_ ; -- Begin function _ZN2at6native6sbtopk10gatherTopKIlmLi1ELb0EEEvNS_4cuda6detail10TensorInfoIKT_T0_EES8_S8_bS8_S8_NS5_IS6_S8_EES8_NS5_IlS8_EES8_PS6_
	.globl	_ZN2at6native6sbtopk10gatherTopKIlmLi1ELb0EEEvNS_4cuda6detail10TensorInfoIKT_T0_EES8_S8_bS8_S8_NS5_IS6_S8_EES8_NS5_IlS8_EES8_PS6_
	.p2align	8
	.type	_ZN2at6native6sbtopk10gatherTopKIlmLi1ELb0EEEvNS_4cuda6detail10TensorInfoIKT_T0_EES8_S8_bS8_S8_NS5_IS6_S8_EES8_NS5_IlS8_EES8_PS6_,@function
_ZN2at6native6sbtopk10gatherTopKIlmLi1ELb0EEEvNS_4cuda6detail10TensorInfoIKT_T0_EES8_S8_bS8_S8_NS5_IS6_S8_EES8_NS5_IlS8_EES8_PS6_: ; @_ZN2at6native6sbtopk10gatherTopKIlmLi1ELb0EEEvNS_4cuda6detail10TensorInfoIKT_T0_EES8_S8_bS8_S8_NS5_IS6_S8_EES8_NS5_IlS8_EES8_PS6_
; %bb.0:
	s_clause 0x1
	s_load_b64 s[10:11], s[0:1], 0x520
	s_load_b128 s[36:39], s[0:1], 0x1b8
	s_add_u32 s8, s0, 0x520
	s_addc_u32 s9, s1, 0
	s_mov_b32 s43, 0
	s_waitcnt lgkmcnt(0)
	s_mul_i32 s2, s11, s15
	s_delay_alu instid0(SALU_CYCLE_1) | instskip(NEXT) | instid1(SALU_CYCLE_1)
	s_add_i32 s2, s2, s14
	s_mul_i32 s2, s2, s10
	s_delay_alu instid0(SALU_CYCLE_1) | instskip(NEXT) | instid1(SALU_CYCLE_1)
	s_add_i32 s42, s2, s13
	v_cmp_ge_u64_e64 s2, s[42:43], s[36:37]
	s_delay_alu instid0(VALU_DEP_1)
	s_and_b32 vcc_lo, exec_lo, s2
	s_cbranch_vccnz .LBB156_538
; %bb.1:
	s_clause 0x1
	s_load_b64 s[46:47], s[0:1], 0x440
	s_load_b64 s[2:3], s[0:1], 0x370
                                        ; implicit-def: $vgpr59 : SGPR spill to VGPR lane
	v_cmp_eq_u32_e64 s5, 0, v0
	s_waitcnt lgkmcnt(0)
	v_writelane_b32 v59, s2, 0
	v_writelane_b32 v59, s3, 1
	s_clause 0x2
	s_load_b64 s[50:51], s[0:1], 0x298
	s_load_b128 s[28:31], s[0:1], 0x1a0
	s_load_b64 s[2:3], s[0:1], 0x1c8
	s_waitcnt lgkmcnt(0)
	v_writelane_b32 v59, s2, 2
	v_writelane_b32 v59, s3, 3
	s_clause 0x1
	s_load_b64 s[2:3], s[0:1], 0xd0
	s_load_b64 s[36:37], s[0:1], 0x0
	s_and_saveexec_b32 s4, s5
	s_cbranch_execz .LBB156_3
; %bb.2:
	v_dual_mov_b32 v1, 0 :: v_dual_mov_b32 v4, s29
	s_delay_alu instid0(VALU_DEP_1)
	v_dual_mov_b32 v3, s28 :: v_dual_mov_b32 v2, v1
	ds_store_b32 v1, v1 offset:5144
	ds_store_b128 v1, v[1:4] offset:5120
.LBB156_3:
	s_or_b32 exec_lo, exec_lo, s4
	v_mad_u64_u32 v[2:3], null, v0, s38, 0
	s_load_b32 s4, s[0:1], 0x1b0
	v_lshrrev_b32_e32 v6, 3, v0
	v_mov_b32_e32 v19, 0
	s_waitcnt lgkmcnt(0)
	s_mul_i32 s3, s3, s42
	s_mul_hi_u32 s6, s2, s42
	v_mbcnt_lo_u32_b32 v44, -1, 0
	v_dual_mov_b32 v1, v3 :: v_dual_and_b32 v46, 0x7c, v6
	v_lshlrev_b32_e32 v20, 2, v0
	s_mul_i32 s2, s2, s42
	s_add_i32 s3, s6, s3
	v_lshlrev_b32_e32 v48, 5, v0
	v_mad_u64_u32 v[3:4], null, v0, s39, v[1:2]
	v_mov_b32_e32 v1, v19
	s_barrier
	buffer_gl0_inv
	s_load_b32 s7, s[8:9], 0xc
	s_lshl_b64 s[40:41], s[2:3], 3
	v_lshlrev_b64 v[4:5], 3, v[2:3]
	v_cmp_gt_u32_e32 vcc_lo, 32, v0
	v_cmp_gt_i32_e64 s3, 4, v44
	v_or_b32_e32 v9, 24, v48
	v_or_b32_e32 v10, 16, v48
	s_add_u32 s52, s36, s40
	s_addc_u32 s53, s37, s41
	s_bitcmp1_b32 s4, 0
	v_mad_u64_u32 v[22:23], null, s38, v9, 0
	s_cselect_b32 s4, -1, 0
	s_and_b32 s74, vcc_lo, s3
	v_add_co_u32 v16, vcc_lo, s52, v4
	v_mad_u64_u32 v[24:25], null, s38, v10, 0
	v_add_co_ci_u32_e32 v17, vcc_lo, s53, v5, vcc_lo
	v_lshlrev_b64 v[4:5], v44, -1
	v_or_b32_e32 v11, 8, v48
	v_lshlrev_b32_e32 v45, 3, v0
	s_waitcnt lgkmcnt(0)
	s_and_b32 s33, s7, 0xffff
	v_dual_mov_b32 v5, v25 :: v_dual_mov_b32 v34, s31
	v_mad_u64_u32 v[26:27], null, s38, v11, 0
	v_not_b32_e32 v43, v4
	v_mov_b32_e32 v4, v23
	s_xor_b32 s43, s4, -1
	s_bfe_u32 s11, s7, 0xb0005
	s_add_u32 s76, s33, -1
	s_delay_alu instid0(VALU_DEP_3)
	v_dual_mov_b32 v6, v27 :: v_dual_add_nc_u32 v47, 0xc00, v45
	v_mad_u64_u32 v[7:8], null, s39, v9, v[4:5]
	s_addc_u32 s77, 0, -1
	s_add_u32 s78, s76, s28
	s_addc_u32 s27, s77, s29
	s_cmp_lt_u32 s13, s10
	v_mad_u64_u32 v[8:9], null, s39, v10, v[5:6]
	s_cselect_b32 s10, 12, 18
	s_delay_alu instid0(VALU_DEP_2)
	v_mad_u64_u32 v[4:5], null, s39, v11, v[6:7]
	v_mov_b32_e32 v21, v19
	s_add_u32 s56, s8, s10
	v_dual_mov_b32 v23, v7 :: v_dual_mov_b32 v6, 0
	s_addc_u32 s57, s9, 0
	s_add_i32 s8, s11, -1
	v_mov_b32_e32 v7, 0
	s_bfe_u32 s79, s33, 0x30005
	s_cmp_gt_u32 s8, 6
	v_cmp_lt_u64_e64 s75, 0x180, s[28:29]
	s_cselect_b32 s80, -1, 0
	s_and_b32 s81, s11, 0x7f8
	v_cmp_gt_u64_e64 s3, s[28:29], v[0:1]
	s_cmp_lg_u32 s79, 0
	v_cmp_gt_u16_e64 s82, s7, 31
	v_dual_mov_b32 v25, v8 :: v_dual_mov_b32 v32, v7
	v_dual_mov_b32 v49, v4 :: v_dual_mov_b32 v30, v7
	v_lshlrev_b64 v[27:28], 5, v[2:3]
	s_mul_i32 s7, s39, s33
	s_mul_hi_u32 s8, s38, s33
	v_cmp_eq_u32_e64 s2, 0, v44
	v_cmp_gt_u32_e64 s6, 2, v0
	v_lshl_or_b32 v50, v44, 3, 0xc00
	v_dual_mov_b32 v33, s30 :: v_dual_mov_b32 v2, 1
	v_mov_b32_e32 v31, v6
	v_mov_b32_e32 v29, v6
	s_cselect_b32 s83, -1, 0
	s_add_i32 s9, s8, s7
	s_mul_i32 s8, s38, s33
	s_mov_b32 s55, 0
	s_lshl_b64 s[58:59], s[38:39], 3
	s_lshl_b64 s[60:61], s[38:39], 5
	s_lshl_b32 s84, s33, 3
	s_lshl_b64 s[34:35], s[8:9], 3
	s_mov_b32 s91, 62
	s_mov_b32 s85, 0
	;; [unrolled: 1-line block ×3, first 2 shown]
                                        ; implicit-def: $sgpr86
                                        ; implicit-def: $sgpr90
                                        ; implicit-def: $sgpr89
                                        ; implicit-def: $sgpr92
                                        ; implicit-def: $sgpr88
                                        ; implicit-def: $sgpr93
                                        ; implicit-def: $sgpr95
                                        ; implicit-def: $sgpr94
                                        ; implicit-def: $sgpr96
                                        ; implicit-def: $sgpr97
	s_branch .LBB156_6
.LBB156_4:                              ;   in Loop: Header=BB156_6 Depth=1
	s_or_b32 exec_lo, exec_lo, s10
	v_dual_mov_b32 v30, v15 :: v_dual_mov_b32 v29, v14
	v_dual_mov_b32 v32, v13 :: v_dual_mov_b32 v31, v12
	;; [unrolled: 1-line block ×4, first 2 shown]
	s_and_not1_b32 s10, s97, exec_lo
	s_and_b32 s9, s9, exec_lo
	s_and_not1_b32 s96, s96, exec_lo
	s_or_b32 s97, s10, s9
	s_and_not1_b32 s94, s94, exec_lo
	s_and_not1_b32 s95, s95, exec_lo
	;; [unrolled: 1-line block ×3, first 2 shown]
	s_or_not1_b32 s8, s8, exec_lo
.LBB156_5:                              ;   in Loop: Header=BB156_6 Depth=1
	s_or_b32 exec_lo, exec_lo, s7
	s_delay_alu instid0(SALU_CYCLE_1) | instskip(NEXT) | instid1(SALU_CYCLE_1)
	s_and_b32 s7, exec_lo, s8
	s_or_b32 s85, s7, s85
	s_and_not1_b32 s7, s88, exec_lo
	s_and_b32 s8, s97, exec_lo
	s_and_not1_b32 s9, s92, exec_lo
	s_or_b32 s88, s7, s8
	s_and_b32 s7, s96, exec_lo
	s_and_not1_b32 s8, s89, exec_lo
	s_and_b32 s10, s94, exec_lo
	s_or_b32 s92, s9, s7
	s_or_b32 s89, s8, s10
	s_and_not1_b32 s7, s90, exec_lo
	s_and_b32 s8, s95, exec_lo
	s_and_not1_b32 s9, s86, exec_lo
	s_and_b32 s10, s93, exec_lo
	s_or_b32 s90, s7, s8
	s_or_b32 s86, s9, s10
	s_and_not1_b32 exec_lo, exec_lo, s85
	s_cbranch_execz .LBB156_478
.LBB156_6:                              ; =>This Loop Header: Depth=1
                                        ;     Child Loop BB156_14 Depth 2
                                        ;     Child Loop BB156_32 Depth 2
	;; [unrolled: 1-line block ×24, first 2 shown]
	ds_load_b128 v[8:11], v19 offset:5120
	s_waitcnt lgkmcnt(0)
	v_readfirstlane_b32 s63, v9
	v_readfirstlane_b32 s62, v8
	s_delay_alu instid0(VALU_DEP_1)
	s_cmp_lg_u64 s[62:63], 0
	s_cbranch_scc1 .LBB156_39
; %bb.7:                                ;   in Loop: Header=BB156_6 Depth=1
	s_and_b32 vcc_lo, exec_lo, s75
	s_cbranch_vccz .LBB156_22
; %bb.8:                                ;   in Loop: Header=BB156_6 Depth=1
	v_cmp_gt_u64_e32 vcc_lo, 0x181, v[10:11]
	s_mov_b32 s9, 0
	s_mov_b32 s7, 0
	s_cbranch_vccz .LBB156_23
; %bb.9:                                ;   in Loop: Header=BB156_6 Depth=1
	v_mov_b32_e32 v3, 0
	v_mov_b32_e32 v4, 0
	s_and_saveexec_b32 s7, s3
	s_cbranch_execz .LBB156_11
; %bb.10:                               ;   in Loop: Header=BB156_6 Depth=1
	global_load_b64 v[3:4], v[16:17], off
.LBB156_11:                             ;   in Loop: Header=BB156_6 Depth=1
	s_or_b32 exec_lo, exec_lo, s7
	s_and_saveexec_b32 s10, s3
	s_cbranch_execz .LBB156_24
; %bb.12:                               ;   in Loop: Header=BB156_6 Depth=1
	global_load_u16 v11, v19, s[56:57]
	s_mov_b32 s13, 0
	s_waitcnt vmcnt(0)
	v_readfirstlane_b32 s7, v11
	s_delay_alu instid0(VALU_DEP_1) | instskip(NEXT) | instid1(SALU_CYCLE_1)
	s_and_b32 s7, 0xffff, s7
	v_add_nc_u32_e32 v12, s7, v0
	s_mul_i32 s8, s59, s7
	s_mul_hi_u32 s11, s58, s7
	s_mul_i32 s12, s58, s7
	s_add_i32 s11, s11, s8
	v_mad_u64_u32 v[8:9], null, s58, v12, s[52:53]
	s_delay_alu instid0(VALU_DEP_1) | instskip(NEXT) | instid1(VALU_DEP_1)
	v_mov_b32_e32 v5, v9
	v_mad_u64_u32 v[9:10], null, s59, v12, v[5:6]
	v_and_b32_e32 v5, 0xffff, v11
	v_dual_mov_b32 v11, v1 :: v_dual_mov_b32 v10, v0
	s_branch .LBB156_14
.LBB156_13:                             ;   in Loop: Header=BB156_14 Depth=2
	s_or_b32 exec_lo, exec_lo, s8
	v_add_co_u32 v8, vcc_lo, v8, s12
	v_add_co_ci_u32_e32 v9, vcc_lo, s11, v9, vcc_lo
	s_waitcnt vmcnt(0)
	v_dual_mov_b32 v3, v12 :: v_dual_mov_b32 v4, v13
	s_and_not1_b32 exec_lo, exec_lo, s13
	s_cbranch_execz .LBB156_24
.LBB156_14:                             ;   Parent Loop BB156_6 Depth=1
                                        ; =>  This Inner Loop Header: Depth=2
	s_delay_alu instid0(VALU_DEP_1) | instskip(NEXT) | instid1(VALU_DEP_2)
	v_add_co_u32 v10, vcc_lo, v10, v5
	v_add_co_ci_u32_e32 v11, vcc_lo, 0, v11, vcc_lo
	v_mov_b32_e32 v12, 0
	v_mov_b32_e32 v13, 0
	s_mov_b32 s8, exec_lo
	s_delay_alu instid0(VALU_DEP_3)
	v_cmp_le_u64_e32 vcc_lo, s[28:29], v[10:11]
	v_cmpx_gt_u64_e64 s[28:29], v[10:11]
	s_cbranch_execz .LBB156_16
; %bb.15:                               ;   in Loop: Header=BB156_14 Depth=2
	global_load_b64 v[12:13], v[8:9], off
.LBB156_16:                             ;   in Loop: Header=BB156_14 Depth=2
	s_or_b32 exec_lo, exec_lo, s8
	s_waitcnt lgkmcnt(0)
	v_xor_b32_e32 v14, 0x80000000, v4
	s_delay_alu instid0(VALU_DEP_1) | instskip(SKIP_1) | instid1(VALU_DEP_1)
	v_and_b32_e32 v15, v14, v30
	v_and_b32_e32 v14, v3, v29
	v_cmp_eq_u64_e64 s7, v[14:15], v[31:32]
	v_mov_b32_e32 v14, 0
	s_delay_alu instid0(VALU_DEP_2) | instskip(SKIP_1) | instid1(SALU_CYCLE_1)
	s_cmp_lg_u32 s7, 0
	s_cselect_b32 s8, -1, 0
	s_and_b32 s8, s2, s8
	s_delay_alu instid0(SALU_CYCLE_1)
	s_and_saveexec_b32 s14, s8
	s_cbranch_execz .LBB156_20
; %bb.17:                               ;   in Loop: Header=BB156_14 Depth=2
	s_mov_b32 s17, exec_lo
	s_bcnt1_i32_b32 s15, s7
	v_mbcnt_lo_u32_b32 v14, s17, 0
	s_mov_b32 s16, exec_lo
                                        ; implicit-def: $vgpr15
	s_delay_alu instid0(VALU_DEP_1)
	v_cmpx_eq_u32_e32 0, v14
	s_cbranch_execz .LBB156_19
; %bb.18:                               ;   in Loop: Header=BB156_14 Depth=2
	s_bcnt1_i32_b32 s8, s17
	s_delay_alu instid0(SALU_CYCLE_1) | instskip(NEXT) | instid1(SALU_CYCLE_1)
	s_mul_i32 s8, s15, s8
	v_mov_b32_e32 v15, s8
	ds_add_rtn_u32 v15, v19, v15 offset:5144
.LBB156_19:                             ;   in Loop: Header=BB156_14 Depth=2
	s_or_b32 exec_lo, exec_lo, s16
	s_waitcnt lgkmcnt(0)
	v_readfirstlane_b32 s8, v15
	s_delay_alu instid0(VALU_DEP_1)
	v_mad_u32_u24 v14, s15, v14, s8
.LBB156_20:                             ;   in Loop: Header=BB156_14 Depth=2
	s_or_b32 exec_lo, exec_lo, s14
	ds_bpermute_b32 v14, v19, v14
	s_and_b32 s8, exec_lo, vcc_lo
	s_delay_alu instid0(SALU_CYCLE_1)
	s_or_b32 s13, s8, s13
	s_and_saveexec_b32 s8, s7
	s_cbranch_execz .LBB156_13
; %bb.21:                               ;   in Loop: Header=BB156_14 Depth=2
	v_and_b32_e32 v15, s7, v43
	s_delay_alu instid0(VALU_DEP_1) | instskip(NEXT) | instid1(VALU_DEP_1)
	v_bcnt_u32_b32 v15, v15, 0
	v_lshlrev_b32_e32 v15, 3, v15
	s_waitcnt lgkmcnt(0)
	s_delay_alu instid0(VALU_DEP_1)
	v_lshl_add_u32 v14, v14, 3, v15
	ds_store_b64 v14, v[3:4]
	s_branch .LBB156_13
.LBB156_22:                             ;   in Loop: Header=BB156_6 Depth=1
	s_mov_b32 s7, 0
                                        ; implicit-def: $sgpr62_sgpr63
	s_cbranch_execnz .LBB156_27
	s_branch .LBB156_37
.LBB156_23:                             ;   in Loop: Header=BB156_6 Depth=1
	s_mov_b64 s[62:63], 0
	s_and_b32 vcc_lo, exec_lo, s9
	s_cbranch_vccnz .LBB156_27
	s_branch .LBB156_37
.LBB156_24:                             ;   in Loop: Header=BB156_6 Depth=1
	s_or_b32 exec_lo, exec_lo, s10
	s_waitcnt vmcnt(0) lgkmcnt(0)
	s_barrier
	buffer_gl0_inv
	s_and_saveexec_b32 s7, s5
	s_cbranch_execz .LBB156_26
; %bb.25:                               ;   in Loop: Header=BB156_6 Depth=1
	ds_load_b32 v3, v19 offset:5144
	s_waitcnt lgkmcnt(0)
	v_ashrrev_i32_e32 v4, 31, v3
	ds_store_b64 v19, v[3:4] offset:5120
.LBB156_26:                             ;   in Loop: Header=BB156_6 Depth=1
	s_or_b32 exec_lo, exec_lo, s7
	s_waitcnt lgkmcnt(0)
	s_mov_b32 s7, -1
	s_barrier
	s_mov_b64 s[62:63], 0
	s_and_b32 vcc_lo, exec_lo, s9
	s_cbranch_vccz .LBB156_37
.LBB156_27:                             ;   in Loop: Header=BB156_6 Depth=1
	v_mov_b32_e32 v3, 0
	v_mov_b32_e32 v4, 0
	s_and_saveexec_b32 s7, s3
	s_cbranch_execz .LBB156_29
; %bb.28:                               ;   in Loop: Header=BB156_6 Depth=1
	global_load_b64 v[3:4], v[16:17], off
.LBB156_29:                             ;   in Loop: Header=BB156_6 Depth=1
	s_or_b32 exec_lo, exec_lo, s7
	s_and_saveexec_b32 s8, s3
	s_cbranch_execz .LBB156_34
; %bb.30:                               ;   in Loop: Header=BB156_6 Depth=1
	global_load_u16 v11, v19, s[56:57]
	s_mov_b32 s12, 0
	s_waitcnt vmcnt(0)
	v_readfirstlane_b32 s7, v11
	v_and_b32_e32 v14, 0xffff, v11
	s_delay_alu instid0(VALU_DEP_2) | instskip(NEXT) | instid1(SALU_CYCLE_1)
	s_and_b32 s7, 0xffff, s7
	v_add_nc_u32_e32 v12, s7, v0
	s_mul_i32 s10, s59, s7
	s_mul_hi_u32 s11, s58, s7
	s_lshl_b32 s9, s7, 3
	s_add_i32 s10, s11, s10
	v_mad_u64_u32 v[8:9], null, s58, v12, s[52:53]
	s_mul_i32 s11, s58, s7
	s_delay_alu instid0(VALU_DEP_1) | instskip(NEXT) | instid1(VALU_DEP_1)
	v_mov_b32_e32 v5, v9
	v_mad_u64_u32 v[9:10], null, s59, v12, v[5:6]
	v_mov_b32_e32 v5, v45
	v_dual_mov_b32 v11, v1 :: v_dual_mov_b32 v10, v0
	s_set_inst_prefetch_distance 0x1
	s_branch .LBB156_32
	.p2align	6
.LBB156_31:                             ;   in Loop: Header=BB156_32 Depth=2
	s_or_b32 exec_lo, exec_lo, s13
	s_delay_alu instid0(SALU_CYCLE_1)
	s_and_b32 s7, exec_lo, vcc_lo
	v_add_co_u32 v8, vcc_lo, v8, s11
	ds_store_b64 v5, v[3:4]
	s_waitcnt vmcnt(0)
	v_mov_b32_e32 v3, v12
	v_dual_mov_b32 v4, v13 :: v_dual_add_nc_u32 v5, s9, v5
	v_add_co_ci_u32_e32 v9, vcc_lo, s10, v9, vcc_lo
	s_or_b32 s12, s7, s12
	s_delay_alu instid0(SALU_CYCLE_1)
	s_and_not1_b32 exec_lo, exec_lo, s12
	s_cbranch_execz .LBB156_34
.LBB156_32:                             ;   Parent Loop BB156_6 Depth=1
                                        ; =>  This Inner Loop Header: Depth=2
	s_delay_alu instid0(VALU_DEP_1) | instskip(NEXT) | instid1(VALU_DEP_2)
	v_add_co_u32 v10, vcc_lo, v10, v14
	v_add_co_ci_u32_e32 v11, vcc_lo, 0, v11, vcc_lo
	v_mov_b32_e32 v12, 0
	v_mov_b32_e32 v13, 0
	s_mov_b32 s13, exec_lo
	s_delay_alu instid0(VALU_DEP_3)
	v_cmp_le_u64_e32 vcc_lo, s[28:29], v[10:11]
	v_cmpx_gt_u64_e64 s[28:29], v[10:11]
	s_cbranch_execz .LBB156_31
; %bb.33:                               ;   in Loop: Header=BB156_32 Depth=2
	global_load_b64 v[12:13], v[8:9], off
	s_branch .LBB156_31
.LBB156_34:                             ;   in Loop: Header=BB156_6 Depth=1
	s_set_inst_prefetch_distance 0x2
	s_or_b32 exec_lo, exec_lo, s8
	s_waitcnt vmcnt(0) lgkmcnt(0)
	s_barrier
	buffer_gl0_inv
	s_and_saveexec_b32 s7, s5
	s_cbranch_execz .LBB156_36
; %bb.35:                               ;   in Loop: Header=BB156_6 Depth=1
	v_dual_mov_b32 v3, s28 :: v_dual_mov_b32 v4, s29
	ds_store_b64 v19, v[3:4] offset:5120
.LBB156_36:                             ;   in Loop: Header=BB156_6 Depth=1
	s_or_b32 exec_lo, exec_lo, s7
	s_mov_b32 s7, -1
	s_waitcnt lgkmcnt(0)
	s_barrier
                                        ; implicit-def: $sgpr62_sgpr63
.LBB156_37:                             ;   in Loop: Header=BB156_6 Depth=1
	s_and_b32 vcc_lo, exec_lo, s7
	s_cbranch_vccz .LBB156_39
; %bb.38:                               ;   in Loop: Header=BB156_6 Depth=1
	buffer_gl0_inv
	ds_load_b64 v[3:4], v19 offset:5120
	s_waitcnt lgkmcnt(0)
	v_readfirstlane_b32 s62, v3
.LBB156_39:                             ;   in Loop: Header=BB156_6 Depth=1
	s_delay_alu instid0(VALU_DEP_1)
	s_cmp_lt_i32 s62, 1
	s_cbranch_scc0 .LBB156_54
; %bb.40:                               ;   in Loop: Header=BB156_6 Depth=1
	global_load_u16 v3, v19, s[56:57]
	s_mov_b32 s8, s55
	s_mov_b32 s9, s29
	s_waitcnt vmcnt(0)
	v_readfirstlane_b32 s7, v3
	s_delay_alu instid0(VALU_DEP_1) | instskip(NEXT) | instid1(SALU_CYCLE_1)
	s_and_b32 s54, s7, 0xffff
	s_lshl_b32 s63, s54, 2
	s_cmp_lg_u64 s[8:9], 0
	s_cbranch_scc0 .LBB156_74
; %bb.41:                               ;   in Loop: Header=BB156_6 Depth=1
	v_cvt_f32_u32_e32 v3, s63
	s_sub_u32 s9, 0, s63
	s_subb_u32 s10, 0, 0
	s_delay_alu instid0(VALU_DEP_1) | instskip(NEXT) | instid1(VALU_DEP_1)
	v_fmac_f32_e64 v3, 0, 0x4f800000
	v_rcp_f32_e32 v3, v3
	s_waitcnt_depctr 0xfff
	v_mul_f32_e32 v3, 0x5f7ffffc, v3
	s_delay_alu instid0(VALU_DEP_1) | instskip(NEXT) | instid1(VALU_DEP_1)
	v_mul_f32_e32 v4, 0x2f800000, v3
	v_trunc_f32_e32 v4, v4
	s_delay_alu instid0(VALU_DEP_1) | instskip(SKIP_1) | instid1(VALU_DEP_2)
	v_fmac_f32_e32 v3, 0xcf800000, v4
	v_cvt_u32_f32_e32 v4, v4
	v_cvt_u32_f32_e32 v3, v3
	s_delay_alu instid0(VALU_DEP_2) | instskip(NEXT) | instid1(VALU_DEP_2)
	v_readfirstlane_b32 s7, v4
	v_readfirstlane_b32 s8, v3
	s_delay_alu instid0(VALU_DEP_2) | instskip(NEXT) | instid1(VALU_DEP_1)
	s_mul_i32 s11, s9, s7
	s_mul_hi_u32 s13, s9, s8
	s_mul_i32 s12, s10, s8
	s_add_i32 s11, s13, s11
	s_mul_i32 s14, s9, s8
	s_add_i32 s11, s11, s12
	s_mul_hi_u32 s13, s8, s14
	s_mul_hi_u32 s15, s7, s14
	s_mul_i32 s12, s7, s14
	s_mul_hi_u32 s14, s8, s11
	s_mul_i32 s8, s8, s11
	s_mul_hi_u32 s16, s7, s11
	s_add_u32 s8, s13, s8
	s_addc_u32 s13, 0, s14
	s_add_u32 s8, s8, s12
	s_mul_i32 s11, s7, s11
	s_addc_u32 s8, s13, s15
	s_addc_u32 s12, s16, 0
	s_add_u32 s8, s8, s11
	s_addc_u32 s11, 0, s12
	v_add_co_u32 v3, s8, v3, s8
	s_delay_alu instid0(VALU_DEP_1) | instskip(SKIP_1) | instid1(VALU_DEP_1)
	s_cmp_lg_u32 s8, 0
	s_addc_u32 s7, s7, s11
	v_readfirstlane_b32 s8, v3
	s_mul_i32 s11, s9, s7
	s_delay_alu instid0(VALU_DEP_1)
	s_mul_hi_u32 s12, s9, s8
	s_mul_i32 s10, s10, s8
	s_add_i32 s11, s12, s11
	s_mul_i32 s9, s9, s8
	s_add_i32 s11, s11, s10
	s_mul_hi_u32 s12, s7, s9
	s_mul_i32 s13, s7, s9
	s_mul_hi_u32 s9, s8, s9
	s_mul_hi_u32 s14, s8, s11
	s_mul_i32 s8, s8, s11
	s_mul_hi_u32 s10, s7, s11
	s_add_u32 s8, s9, s8
	s_addc_u32 s9, 0, s14
	s_add_u32 s8, s8, s13
	s_mul_i32 s11, s7, s11
	s_addc_u32 s8, s9, s12
	s_addc_u32 s9, s10, 0
	s_add_u32 s8, s8, s11
	s_addc_u32 s9, 0, s9
	v_add_co_u32 v3, s8, v3, s8
	s_delay_alu instid0(VALU_DEP_1) | instskip(SKIP_1) | instid1(VALU_DEP_1)
	s_cmp_lg_u32 s8, 0
	s_addc_u32 s7, s7, s9
	v_readfirstlane_b32 s8, v3
	s_mul_i32 s10, s28, s7
	s_mul_hi_u32 s9, s28, s7
	s_mul_hi_u32 s11, s29, s7
	s_mul_i32 s7, s29, s7
	s_mul_hi_u32 s12, s28, s8
	s_mul_hi_u32 s13, s29, s8
	s_mul_i32 s8, s29, s8
	s_add_u32 s10, s12, s10
	s_addc_u32 s9, 0, s9
	s_add_u32 s8, s10, s8
	s_addc_u32 s8, s9, s13
	s_addc_u32 s9, s11, 0
	s_add_u32 s7, s8, s7
	s_addc_u32 s8, 0, s9
	s_mul_hi_u32 s9, s63, s7
	s_mul_i32 s7, s63, s7
	s_mul_i32 s8, s63, s8
	v_sub_co_u32 v3, s7, s28, s7
	s_add_i32 s9, s9, s8
	s_cmp_lg_u32 s7, 0
	s_delay_alu instid0(VALU_DEP_1) | instskip(SKIP_2) | instid1(VALU_DEP_1)
	v_sub_co_u32 v4, s7, v3, s63
	s_subb_u32 s8, s29, s9
	s_cmp_lg_u32 s7, 0
	v_cmp_le_u32_e32 vcc_lo, s63, v4
	v_sub_co_u32 v5, s7, v4, s63
	s_subb_u32 s9, s8, 0
	s_cmp_lg_u32 s7, 0
	v_cndmask_b32_e64 v8, 0, -1, vcc_lo
	s_subb_u32 s7, s9, 0
	s_cmp_eq_u32 s9, 0
	v_mov_b32_e32 v10, s7
	s_cselect_b32 vcc_lo, -1, 0
	s_cmp_eq_u32 s8, 0
	v_cndmask_b32_e32 v8, -1, v8, vcc_lo
	v_cmp_le_u32_e32 vcc_lo, s63, v3
	s_cselect_b32 s7, -1, 0
	v_cndmask_b32_e64 v9, 0, -1, vcc_lo
	s_delay_alu instid0(VALU_DEP_3) | instskip(NEXT) | instid1(VALU_DEP_2)
	v_cmp_ne_u32_e32 vcc_lo, 0, v8
	v_cndmask_b32_e64 v8, -1, v9, s7
	v_cndmask_b32_e32 v9, s9, v10, vcc_lo
	v_cndmask_b32_e32 v5, v4, v5, vcc_lo
	s_delay_alu instid0(VALU_DEP_3) | instskip(NEXT) | instid1(VALU_DEP_3)
	v_cmp_ne_u32_e32 vcc_lo, 0, v8
	v_cndmask_b32_e32 v4, s8, v9, vcc_lo
	s_delay_alu instid0(VALU_DEP_3)
	v_cndmask_b32_e32 v3, v3, v5, vcc_lo
	s_cbranch_execnz .LBB156_43
.LBB156_42:                             ;   in Loop: Header=BB156_6 Depth=1
	v_cvt_f32_u32_e32 v3, s63
	s_sub_i32 s7, 0, s63
	s_delay_alu instid0(VALU_DEP_1) | instskip(SKIP_2) | instid1(VALU_DEP_1)
	v_rcp_iflag_f32_e32 v3, v3
	s_waitcnt_depctr 0xfff
	v_mul_f32_e32 v3, 0x4f7ffffe, v3
	v_cvt_u32_f32_e32 v3, v3
	s_delay_alu instid0(VALU_DEP_1) | instskip(NEXT) | instid1(VALU_DEP_1)
	v_mul_lo_u32 v4, s7, v3
	v_mul_hi_u32 v4, v3, v4
	s_delay_alu instid0(VALU_DEP_1) | instskip(NEXT) | instid1(VALU_DEP_1)
	v_add_nc_u32_e32 v3, v3, v4
	v_mul_hi_u32 v3, s28, v3
	s_delay_alu instid0(VALU_DEP_1) | instskip(NEXT) | instid1(VALU_DEP_1)
	v_mul_lo_u32 v3, v3, s63
	v_sub_nc_u32_e32 v3, s28, v3
	s_delay_alu instid0(VALU_DEP_1) | instskip(SKIP_1) | instid1(VALU_DEP_2)
	v_subrev_nc_u32_e32 v4, s63, v3
	v_cmp_le_u32_e32 vcc_lo, s63, v3
	v_cndmask_b32_e32 v3, v3, v4, vcc_lo
	s_delay_alu instid0(VALU_DEP_1) | instskip(SKIP_1) | instid1(VALU_DEP_2)
	v_subrev_nc_u32_e32 v4, s63, v3
	v_cmp_le_u32_e32 vcc_lo, s63, v3
	v_cndmask_b32_e32 v18, v3, v4, vcc_lo
	s_delay_alu instid0(VALU_DEP_1)
	v_dual_mov_b32 v3, v18 :: v_dual_mov_b32 v4, v19
.LBB156_43:                             ;   in Loop: Header=BB156_6 Depth=1
	v_mov_b32_e32 v8, 0
	v_mov_b32_e32 v9, 0
	s_delay_alu instid0(VALU_DEP_3) | instskip(NEXT) | instid1(VALU_DEP_4)
	v_sub_co_u32 v3, vcc_lo, s28, v3
	v_sub_co_ci_u32_e32 v4, vcc_lo, s29, v4, vcc_lo
	s_delay_alu instid0(VALU_DEP_3)
	v_dual_mov_b32 v11, v9 :: v_dual_mov_b32 v10, v8
	v_dual_mov_b32 v13, v9 :: v_dual_mov_b32 v12, v8
	;; [unrolled: 1-line block ×3, first 2 shown]
	s_mov_b64 s[64:65], 0
	s_mov_b32 s98, exec_lo
	v_cmpx_gt_u64_e64 v[3:4], v[20:21]
	s_cbranch_execz .LBB156_47
; %bb.44:                               ;   in Loop: Header=BB156_6 Depth=1
	v_dual_mov_b32 v36, v21 :: v_dual_mov_b32 v35, v20
	s_mul_i32 s7, s61, s54
	s_mul_hi_u32 s8, s60, s54
	s_and_b32 s99, s91, 0xfe
	s_add_i32 s100, s8, s7
	s_mul_i32 s101, s60, s54
	s_mov_b32 s102, 0
	s_mov_b64 s[66:67], s[52:53]
	s_mov_b64 s[68:69], 0
	;; [unrolled: 1-line block ×4, first 2 shown]
.LBB156_45:                             ;   Parent Loop BB156_6 Depth=1
                                        ; =>  This Inner Loop Header: Depth=2
	v_add_co_u32 v8, vcc_lo, s66, v27
	v_add_co_ci_u32_e32 v9, vcc_lo, s67, v28, vcc_lo
	v_add_co_u32 v10, vcc_lo, s66, v26
	v_add_co_ci_u32_e32 v11, vcc_lo, s67, v49, vcc_lo
	;; [unrolled: 2-line block ×4, first 2 shown]
	s_clause 0x3
	global_load_b64 v[8:9], v[8:9], off
	global_load_b64 v[10:11], v[10:11], off
	global_load_b64 v[12:13], v[12:13], off
	global_load_b64 v[14:15], v[14:15], off
	v_mov_b32_e32 v38, v19
	v_mov_b32_e32 v40, v19
	;; [unrolled: 1-line block ×3, first 2 shown]
	v_add_co_u32 v35, vcc_lo, v35, s63
	v_add_co_ci_u32_e32 v36, vcc_lo, 0, v36, vcc_lo
	s_delay_alu instid0(VALU_DEP_1)
	v_cmp_ge_u64_e32 vcc_lo, v[35:36], v[3:4]
	s_waitcnt vmcnt(3)
	v_xor_b32_e32 v9, 0x80000000, v9
	s_waitcnt vmcnt(2)
	v_xor_b32_e32 v11, 0x80000000, v11
	s_waitcnt vmcnt(1)
	v_and_b32_e32 v55, v12, v29
	v_xor_b32_e32 v13, 0x80000000, v13
	v_and_b32_e32 v51, v8, v29
	v_and_b32_e32 v52, v9, v30
	v_lshrrev_b64 v[8:9], s99, v[8:9]
	s_waitcnt vmcnt(0)
	v_xor_b32_e32 v15, 0x80000000, v15
	v_and_b32_e32 v53, v10, v29
	v_lshrrev_b64 v[9:10], s99, v[10:11]
	v_and_b32_e32 v54, v11, v30
	v_lshrrev_b64 v[10:11], s99, v[12:13]
	v_lshrrev_b64 v[11:12], s99, v[14:15]
	v_and_b32_e32 v18, 3, v8
	v_and_b32_e32 v56, v13, v30
	;; [unrolled: 1-line block ×3, first 2 shown]
	v_cmp_eq_u64_e64 s7, v[51:52], v[31:32]
	v_and_b32_e32 v39, 3, v10
	v_cmp_eq_u64_e64 s11, 0, v[18:19]
	v_and_b32_e32 v57, v14, v29
	v_and_b32_e32 v58, v15, v30
	;; [unrolled: 1-line block ×3, first 2 shown]
	v_cmp_eq_u64_e64 s8, v[53:54], v[31:32]
	v_cmp_eq_u64_e64 s12, 0, v[37:38]
	;; [unrolled: 1-line block ×6, first 2 shown]
	s_and_b32 s11, s7, s11
	v_cmp_eq_u64_e64 s15, 1, v[18:19]
	v_cndmask_b32_e64 v5, 0, 1, s11
	s_and_b32 s11, s8, s12
	v_cmp_eq_u64_e64 s16, 1, v[37:38]
	v_cndmask_b32_e64 v8, 0, 1, s11
	;; [unrolled: 3-line block ×3, first 2 shown]
	s_and_b32 s11, s10, s14
	v_cmp_ne_u32_e64 s12, 0, v8
	v_cndmask_b32_e64 v10, 0, 1, s11
	v_cmp_ne_u32_e64 s11, 0, v5
	v_cmp_ne_u32_e64 s13, 0, v9
	v_cmp_eq_u64_e64 s18, 1, v[41:42]
	s_bcnt1_i32_b32 s12, s12
	v_cmp_ne_u32_e64 s14, 0, v10
	s_bcnt1_i32_b32 s11, s11
	s_bcnt1_i32_b32 s13, s13
	s_add_i32 s11, s12, s11
	v_cmp_eq_u64_e64 s19, 2, v[18:19]
	s_bcnt1_i32_b32 s14, s14
	s_add_i32 s11, s11, s13
	v_cmp_eq_u64_e64 s20, 2, v[37:38]
	s_add_i32 s11, s11, s14
	v_cmp_eq_u64_e64 s21, 2, v[39:40]
	s_add_u32 s72, s72, s11
	s_addc_u32 s73, s73, 0
	s_and_b32 s11, s7, s15
	v_cmp_eq_u64_e64 s22, 2, v[41:42]
	v_cndmask_b32_e64 v5, 0, 1, s11
	s_and_b32 s11, s8, s16
	v_cmp_eq_u64_e64 s23, 3, v[18:19]
	v_cndmask_b32_e64 v10, 0, 1, s11
	;; [unrolled: 3-line block ×3, first 2 shown]
	s_and_b32 s11, s10, s18
	v_cmp_ne_u32_e64 s12, 0, v10
	v_cndmask_b32_e64 v12, 0, 1, s11
	v_cmp_ne_u32_e64 s11, 0, v5
	v_cmp_ne_u32_e64 s13, 0, v11
	v_cmp_eq_u64_e64 s25, 3, v[39:40]
	s_bcnt1_i32_b32 s12, s12
	v_cmp_ne_u32_e64 s14, 0, v12
	s_bcnt1_i32_b32 s11, s11
	s_bcnt1_i32_b32 s13, s13
	s_add_i32 s11, s12, s11
	v_cmp_eq_u64_e64 s26, 3, v[41:42]
	s_bcnt1_i32_b32 s14, s14
	s_add_i32 s11, s11, s13
	v_mov_b32_e32 v8, s72
	s_add_i32 s11, s11, s14
	v_mov_b32_e32 v9, s73
	s_add_u32 s70, s70, s11
	s_addc_u32 s71, s71, 0
	s_and_b32 s11, s7, s19
	s_delay_alu instid0(SALU_CYCLE_1) | instskip(SKIP_1) | instid1(SALU_CYCLE_1)
	v_cndmask_b32_e64 v5, 0, 1, s11
	s_and_b32 s11, s8, s20
	v_cndmask_b32_e64 v10, 0, 1, s11
	s_and_b32 s11, s9, s21
	s_delay_alu instid0(SALU_CYCLE_1) | instskip(SKIP_1) | instid1(VALU_DEP_2)
	v_cndmask_b32_e64 v11, 0, 1, s11
	s_and_b32 s11, s10, s22
	v_cmp_ne_u32_e64 s12, 0, v10
	v_cndmask_b32_e64 v12, 0, 1, s11
	v_cmp_ne_u32_e64 s11, 0, v5
	v_cmp_ne_u32_e64 s13, 0, v11
	s_delay_alu instid0(VALU_DEP_4) | instskip(NEXT) | instid1(VALU_DEP_3)
	s_bcnt1_i32_b32 s12, s12
	v_cmp_ne_u32_e64 s14, 0, v12
	s_delay_alu instid0(VALU_DEP_3) | instskip(NEXT) | instid1(VALU_DEP_2)
	s_bcnt1_i32_b32 s11, s11
	s_bcnt1_i32_b32 s13, s13
	s_add_i32 s11, s12, s11
	s_delay_alu instid0(VALU_DEP_1) | instskip(SKIP_1) | instid1(SALU_CYCLE_1)
	s_bcnt1_i32_b32 s14, s14
	s_add_i32 s11, s11, s13
	s_add_i32 s11, s11, s14
	s_delay_alu instid0(SALU_CYCLE_1) | instskip(SKIP_2) | instid1(SALU_CYCLE_1)
	s_add_u32 s68, s68, s11
	s_addc_u32 s69, s69, 0
	s_and_b32 s7, s7, s23
	v_cndmask_b32_e64 v5, 0, 1, s7
	s_and_b32 s7, s8, s24
	s_delay_alu instid0(SALU_CYCLE_1) | instskip(SKIP_1) | instid1(SALU_CYCLE_1)
	v_cndmask_b32_e64 v10, 0, 1, s7
	s_and_b32 s7, s9, s25
	v_cndmask_b32_e64 v11, 0, 1, s7
	s_and_b32 s7, s10, s26
	s_delay_alu instid0(VALU_DEP_2)
	v_cmp_ne_u32_e64 s8, 0, v10
	v_cndmask_b32_e64 v12, 0, 1, s7
	v_cmp_ne_u32_e64 s7, 0, v5
	v_cmp_ne_u32_e64 s9, 0, v11
	v_mov_b32_e32 v10, s70
	s_bcnt1_i32_b32 s8, s8
	v_cmp_ne_u32_e64 s10, 0, v12
	s_bcnt1_i32_b32 s7, s7
	s_bcnt1_i32_b32 s9, s9
	s_add_i32 s7, s8, s7
	v_mov_b32_e32 v12, s68
	s_bcnt1_i32_b32 s8, s10
	s_add_i32 s7, s7, s9
	v_mov_b32_e32 v11, s71
	s_add_i32 s7, s7, s8
	v_mov_b32_e32 v13, s69
	s_add_u32 s64, s64, s7
	s_addc_u32 s65, s65, 0
	s_delay_alu instid0(SALU_CYCLE_1) | instskip(SKIP_3) | instid1(SALU_CYCLE_1)
	v_dual_mov_b32 v14, s64 :: v_dual_mov_b32 v15, s65
	s_add_u32 s66, s66, s101
	s_addc_u32 s67, s67, s100
	s_or_b32 s102, vcc_lo, s102
	s_and_not1_b32 exec_lo, exec_lo, s102
	s_cbranch_execnz .LBB156_45
; %bb.46:                               ;   in Loop: Header=BB156_6 Depth=1
	s_or_b32 exec_lo, exec_lo, s102
.LBB156_47:                             ;   in Loop: Header=BB156_6 Depth=1
	s_delay_alu instid0(SALU_CYCLE_1) | instskip(SKIP_4) | instid1(VALU_DEP_3)
	s_or_b32 exec_lo, exec_lo, s98
	v_add_co_u32 v3, vcc_lo, v3, v0
	v_add_co_ci_u32_e32 v4, vcc_lo, 0, v4, vcc_lo
	v_mov_b32_e32 v37, 0
	v_mov_b32_e32 v38, 0
	v_cmp_gt_u64_e32 vcc_lo, s[28:29], v[3:4]
	s_and_saveexec_b32 s8, vcc_lo
	s_cbranch_execz .LBB156_49
; %bb.48:                               ;   in Loop: Header=BB156_6 Depth=1
	v_mul_lo_u32 v5, v4, s38
	v_mul_lo_u32 v18, v3, s39
	v_mad_u64_u32 v[35:36], null, v3, s38, 0
	s_delay_alu instid0(VALU_DEP_1) | instskip(NEXT) | instid1(VALU_DEP_1)
	v_add3_u32 v36, v36, v18, v5
	v_lshlrev_b64 v[35:36], 3, v[35:36]
	s_delay_alu instid0(VALU_DEP_1) | instskip(NEXT) | instid1(VALU_DEP_1)
	v_add_co_u32 v35, s7, s52, v35
	v_add_co_ci_u32_e64 v36, s7, s53, v36, s7
	global_load_b64 v[37:38], v[35:36], off
.LBB156_49:                             ;   in Loop: Header=BB156_6 Depth=1
	s_or_b32 exec_lo, exec_lo, s8
	s_and_saveexec_b32 s11, vcc_lo
	s_cbranch_execz .LBB156_56
; %bb.50:                               ;   in Loop: Header=BB156_6 Depth=1
	s_and_b32 s12, s91, 0xfe
	s_mov_b32 s13, 0
	s_branch .LBB156_52
.LBB156_51:                             ;   in Loop: Header=BB156_52 Depth=2
	s_or_b32 exec_lo, exec_lo, s8
	s_waitcnt vmcnt(0)
	v_xor_b32_e32 v38, 0x80000000, v38
	s_and_b32 s9, exec_lo, vcc_lo
	s_delay_alu instid0(SALU_CYCLE_1) | instskip(NEXT) | instid1(VALU_DEP_1)
	s_or_b32 s13, s9, s13
	v_lshrrev_b64 v[39:40], s12, v[37:38]
	v_and_b32_e32 v37, v37, v29
	v_and_b32_e32 v38, v38, v30
	s_delay_alu instid0(VALU_DEP_3) | instskip(NEXT) | instid1(VALU_DEP_2)
	v_and_b32_e32 v18, 3, v39
	v_cmp_eq_u64_e64 s7, v[37:38], v[31:32]
	s_delay_alu instid0(VALU_DEP_2) | instskip(SKIP_3) | instid1(VALU_DEP_4)
	v_cmp_eq_u64_e64 s8, 0, v[18:19]
	v_cmp_eq_u64_e32 vcc_lo, 1, v[18:19]
	v_cmp_eq_u64_e64 s9, 2, v[18:19]
	v_cmp_eq_u64_e64 s10, 3, v[18:19]
	s_and_b32 s8, s7, s8
	s_delay_alu instid0(SALU_CYCLE_1) | instskip(SKIP_1) | instid1(SALU_CYCLE_1)
	v_cndmask_b32_e64 v5, 0, 1, s8
	s_and_b32 s8, s7, vcc_lo
	v_cndmask_b32_e64 v18, 0, 1, s8
	s_and_b32 s8, s7, s9
	s_delay_alu instid0(VALU_DEP_2) | instskip(SKIP_2) | instid1(SALU_CYCLE_1)
	v_cmp_ne_u32_e32 vcc_lo, 0, v5
	v_cndmask_b32_e64 v37, 0, 1, s8
	s_and_b32 s7, s7, s10
	v_cndmask_b32_e64 v38, 0, 1, s7
	v_cmp_ne_u32_e64 s7, 0, v18
	s_bcnt1_i32_b32 s10, vcc_lo
	v_cmp_ne_u32_e64 s8, 0, v37
	v_add_co_u32 v8, vcc_lo, v8, s10
	s_delay_alu instid0(VALU_DEP_3)
	s_bcnt1_i32_b32 s7, s7
	v_cmp_ne_u32_e64 s9, 0, v38
	v_add_co_ci_u32_e32 v9, vcc_lo, 0, v9, vcc_lo
	v_add_co_u32 v10, vcc_lo, v10, s7
	s_bcnt1_i32_b32 s8, s8
	v_add_co_ci_u32_e32 v11, vcc_lo, 0, v11, vcc_lo
	v_add_co_u32 v12, vcc_lo, v12, s8
	s_bcnt1_i32_b32 s7, s9
	v_add_co_ci_u32_e32 v13, vcc_lo, 0, v13, vcc_lo
	v_add_co_u32 v14, vcc_lo, v14, s7
	v_dual_mov_b32 v38, v36 :: v_dual_mov_b32 v37, v35
	v_add_co_ci_u32_e32 v15, vcc_lo, 0, v15, vcc_lo
	s_and_not1_b32 exec_lo, exec_lo, s13
	s_cbranch_execz .LBB156_55
.LBB156_52:                             ;   Parent Loop BB156_6 Depth=1
                                        ; =>  This Inner Loop Header: Depth=2
	v_add_co_u32 v3, vcc_lo, v3, s54
	v_add_co_ci_u32_e32 v4, vcc_lo, 0, v4, vcc_lo
	v_mov_b32_e32 v35, 0
	v_mov_b32_e32 v36, 0
	s_mov_b32 s8, exec_lo
	s_delay_alu instid0(VALU_DEP_3)
	v_cmp_le_u64_e32 vcc_lo, s[28:29], v[3:4]
	v_cmpx_gt_u64_e64 s[28:29], v[3:4]
	s_cbranch_execz .LBB156_51
; %bb.53:                               ;   in Loop: Header=BB156_52 Depth=2
	v_mul_lo_u32 v5, v4, s38
	v_mul_lo_u32 v18, v3, s39
	v_mad_u64_u32 v[35:36], null, v3, s38, 0
	s_delay_alu instid0(VALU_DEP_1) | instskip(NEXT) | instid1(VALU_DEP_1)
	v_add3_u32 v36, v36, v18, v5
	v_lshlrev_b64 v[35:36], 3, v[35:36]
	s_delay_alu instid0(VALU_DEP_1) | instskip(NEXT) | instid1(VALU_DEP_1)
	v_add_co_u32 v35, s7, s52, v35
	v_add_co_ci_u32_e64 v36, s7, s53, v36, s7
	global_load_b64 v[35:36], v[35:36], off
	s_branch .LBB156_51
.LBB156_54:                             ;   in Loop: Header=BB156_6 Depth=1
                                        ; implicit-def: $vgpr14_vgpr15
                                        ; implicit-def: $vgpr10_vgpr11
	s_cbranch_execnz .LBB156_57
	s_branch .LBB156_66
.LBB156_55:                             ;   in Loop: Header=BB156_6 Depth=1
	s_or_b32 exec_lo, exec_lo, s13
.LBB156_56:                             ;   in Loop: Header=BB156_6 Depth=1
	s_delay_alu instid0(SALU_CYCLE_1)
	s_or_b32 exec_lo, exec_lo, s11
	s_branch .LBB156_66
.LBB156_57:                             ;   in Loop: Header=BB156_6 Depth=1
	global_load_u16 v3, v19, s[56:57]
	v_mov_b32_e32 v8, 0
	s_mov_b64 s[64:65], 0
	s_mov_b32 s72, exec_lo
	v_mov_b32_e32 v9, 0
	s_delay_alu instid0(VALU_DEP_1)
	v_dual_mov_b32 v11, v9 :: v_dual_mov_b32 v10, v8
	v_dual_mov_b32 v13, v9 :: v_dual_mov_b32 v12, v8
	;; [unrolled: 1-line block ×3, first 2 shown]
	s_waitcnt vmcnt(0)
	v_readfirstlane_b32 s7, v3
	v_and_b32_e32 v5, 0xffff, v3
	s_delay_alu instid0(VALU_DEP_2) | instskip(NEXT) | instid1(SALU_CYCLE_1)
	s_and_b32 s7, 0xffff, s7
	s_lshl_b32 s63, s7, 2
	s_delay_alu instid0(SALU_CYCLE_1) | instskip(SKIP_1) | instid1(VALU_DEP_1)
	v_cvt_f32_u32_e32 v4, s63
	s_sub_i32 s8, 0, s63
	v_rcp_iflag_f32_e32 v4, v4
	s_waitcnt_depctr 0xfff
	v_mul_f32_e32 v4, 0x4f7ffffe, v4
	s_delay_alu instid0(VALU_DEP_1) | instskip(NEXT) | instid1(VALU_DEP_1)
	v_cvt_u32_f32_e32 v4, v4
	v_readfirstlane_b32 s7, v4
	s_delay_alu instid0(VALU_DEP_1) | instskip(NEXT) | instid1(SALU_CYCLE_1)
	s_mul_i32 s8, s8, s7
	s_mul_hi_u32 s8, s7, s8
	s_delay_alu instid0(SALU_CYCLE_1) | instskip(NEXT) | instid1(SALU_CYCLE_1)
	s_add_i32 s7, s7, s8
	s_mul_hi_u32 s7, s62, s7
	s_delay_alu instid0(SALU_CYCLE_1) | instskip(NEXT) | instid1(SALU_CYCLE_1)
	s_mul_i32 s7, s7, s63
	s_sub_i32 s7, s62, s7
	s_delay_alu instid0(SALU_CYCLE_1) | instskip(SKIP_2) | instid1(SALU_CYCLE_1)
	s_sub_i32 s8, s7, s63
	s_cmp_ge_u32 s7, s63
	s_cselect_b32 s7, s8, s7
	s_sub_i32 s8, s7, s63
	s_cmp_ge_u32 s7, s63
	s_cselect_b32 s7, s8, s7
	s_delay_alu instid0(SALU_CYCLE_1) | instskip(NEXT) | instid1(SALU_CYCLE_1)
	s_sub_i32 s54, s62, s7
	v_cmpx_gt_u32_e64 s54, v20
	s_cbranch_execz .LBB156_61
; %bb.58:                               ;   in Loop: Header=BB156_6 Depth=1
	v_dual_mov_b32 v36, v48 :: v_dual_lshlrev_b32 v35, 5, v5
	v_dual_mov_b32 v3, v20 :: v_dual_mov_b32 v4, v21
	s_and_b32 s73, s91, 0xfe
	s_mov_b32 s98, 0
	s_mov_b64 s[66:67], 0
	s_mov_b64 s[68:69], 0
	;; [unrolled: 1-line block ×3, first 2 shown]
.LBB156_59:                             ;   Parent Loop BB156_6 Depth=1
                                        ; =>  This Inner Loop Header: Depth=2
	ds_load_b128 v[8:11], v36
	ds_load_b128 v[12:15], v36 offset:16
	v_mov_b32_e32 v38, v19
	v_mov_b32_e32 v40, v19
	;; [unrolled: 1-line block ×3, first 2 shown]
	v_add_co_u32 v3, vcc_lo, v3, s63
	v_add_co_ci_u32_e32 v4, vcc_lo, 0, v4, vcc_lo
	s_delay_alu instid0(VALU_DEP_1)
	v_cmp_le_u64_e32 vcc_lo, s[54:55], v[3:4]
	s_waitcnt lgkmcnt(1)
	v_xor_b32_e32 v9, 0x80000000, v9
	s_waitcnt lgkmcnt(0)
	v_and_b32_e32 v55, v12, v29
	v_xor_b32_e32 v11, 0x80000000, v11
	v_xor_b32_e32 v13, 0x80000000, v13
	v_and_b32_e32 v51, v8, v29
	v_and_b32_e32 v52, v9, v30
	v_lshrrev_b64 v[8:9], s73, v[8:9]
	v_xor_b32_e32 v15, 0x80000000, v15
	v_and_b32_e32 v53, v10, v29
	v_lshrrev_b64 v[9:10], s73, v[10:11]
	v_and_b32_e32 v54, v11, v30
	v_lshrrev_b64 v[10:11], s73, v[12:13]
	v_lshrrev_b64 v[11:12], s73, v[14:15]
	v_and_b32_e32 v18, 3, v8
	v_and_b32_e32 v56, v13, v30
	v_and_b32_e32 v37, 3, v9
	v_cmp_eq_u64_e64 s7, v[51:52], v[31:32]
	v_and_b32_e32 v39, 3, v10
	v_cmp_eq_u64_e64 s11, 0, v[18:19]
	v_and_b32_e32 v57, v14, v29
	v_and_b32_e32 v58, v15, v30
	;; [unrolled: 1-line block ×3, first 2 shown]
	v_cmp_eq_u64_e64 s8, v[53:54], v[31:32]
	v_cmp_eq_u64_e64 s12, 0, v[37:38]
	;; [unrolled: 1-line block ×6, first 2 shown]
	s_and_b32 s11, s7, s11
	v_cmp_eq_u64_e64 s15, 1, v[18:19]
	v_cndmask_b32_e64 v8, 0, 1, s11
	s_and_b32 s11, s8, s12
	v_cmp_eq_u64_e64 s16, 1, v[37:38]
	v_cndmask_b32_e64 v9, 0, 1, s11
	;; [unrolled: 3-line block ×3, first 2 shown]
	s_and_b32 s11, s10, s14
	v_cmp_ne_u32_e64 s12, 0, v9
	v_cndmask_b32_e64 v11, 0, 1, s11
	v_cmp_ne_u32_e64 s11, 0, v8
	v_cmp_ne_u32_e64 s13, 0, v10
	v_cmp_eq_u64_e64 s18, 1, v[41:42]
	s_bcnt1_i32_b32 s12, s12
	v_cmp_ne_u32_e64 s14, 0, v11
	s_bcnt1_i32_b32 s11, s11
	s_bcnt1_i32_b32 s13, s13
	s_add_i32 s11, s12, s11
	v_cmp_eq_u64_e64 s19, 2, v[18:19]
	s_bcnt1_i32_b32 s14, s14
	s_add_i32 s11, s11, s13
	v_cmp_eq_u64_e64 s20, 2, v[37:38]
	s_add_i32 s11, s11, s14
	v_cmp_eq_u64_e64 s21, 2, v[39:40]
	s_add_u32 s70, s70, s11
	s_addc_u32 s71, s71, 0
	s_and_b32 s11, s7, s15
	v_cmp_eq_u64_e64 s22, 2, v[41:42]
	v_cndmask_b32_e64 v8, 0, 1, s11
	s_and_b32 s11, s8, s16
	v_cmp_eq_u64_e64 s23, 3, v[18:19]
	v_cndmask_b32_e64 v9, 0, 1, s11
	;; [unrolled: 3-line block ×3, first 2 shown]
	s_and_b32 s11, s10, s18
	v_cmp_ne_u32_e64 s12, 0, v9
	v_cndmask_b32_e64 v11, 0, 1, s11
	v_cmp_ne_u32_e64 s11, 0, v8
	v_cmp_ne_u32_e64 s13, 0, v10
	v_cmp_eq_u64_e64 s26, 3, v[41:42]
	s_bcnt1_i32_b32 s12, s12
	v_cmp_ne_u32_e64 s14, 0, v11
	s_bcnt1_i32_b32 s11, s11
	s_bcnt1_i32_b32 s13, s13
	s_add_i32 s11, s12, s11
	v_add_nc_u32_e32 v36, v36, v35
	s_bcnt1_i32_b32 s14, s14
	s_add_i32 s11, s11, s13
	s_delay_alu instid0(SALU_CYCLE_1) | instskip(NEXT) | instid1(SALU_CYCLE_1)
	s_add_i32 s11, s11, s14
	s_add_u32 s68, s68, s11
	s_addc_u32 s69, s69, 0
	s_and_b32 s11, s7, s19
	s_delay_alu instid0(SALU_CYCLE_1) | instskip(SKIP_1) | instid1(SALU_CYCLE_1)
	v_cndmask_b32_e64 v8, 0, 1, s11
	s_and_b32 s11, s8, s20
	v_cndmask_b32_e64 v9, 0, 1, s11
	s_and_b32 s11, s9, s21
	s_delay_alu instid0(SALU_CYCLE_1) | instskip(SKIP_1) | instid1(VALU_DEP_2)
	v_cndmask_b32_e64 v10, 0, 1, s11
	s_and_b32 s11, s10, s22
	v_cmp_ne_u32_e64 s12, 0, v9
	v_cndmask_b32_e64 v11, 0, 1, s11
	v_cmp_ne_u32_e64 s11, 0, v8
	v_cmp_ne_u32_e64 s13, 0, v10
	s_delay_alu instid0(VALU_DEP_4) | instskip(NEXT) | instid1(VALU_DEP_3)
	s_bcnt1_i32_b32 s12, s12
	v_cmp_ne_u32_e64 s14, 0, v11
	s_delay_alu instid0(VALU_DEP_3) | instskip(NEXT) | instid1(VALU_DEP_2)
	s_bcnt1_i32_b32 s11, s11
	s_bcnt1_i32_b32 s13, s13
	s_add_i32 s11, s12, s11
	s_delay_alu instid0(VALU_DEP_1) | instskip(SKIP_1) | instid1(SALU_CYCLE_1)
	s_bcnt1_i32_b32 s14, s14
	s_add_i32 s11, s11, s13
	s_add_i32 s11, s11, s14
	s_delay_alu instid0(SALU_CYCLE_1)
	s_add_u32 s66, s66, s11
	s_addc_u32 s67, s67, 0
	v_mov_b32_e32 v12, s66
	v_cmp_eq_u64_e64 s25, 3, v[39:40]
	s_and_b32 s7, s7, s23
	v_mov_b32_e32 v13, s67
	v_cndmask_b32_e64 v8, 0, 1, s7
	s_and_b32 s7, s8, s24
	s_delay_alu instid0(SALU_CYCLE_1) | instskip(SKIP_1) | instid1(SALU_CYCLE_1)
	v_cndmask_b32_e64 v9, 0, 1, s7
	s_and_b32 s7, s9, s25
	v_cndmask_b32_e64 v10, 0, 1, s7
	s_and_b32 s7, s10, s26
	s_delay_alu instid0(VALU_DEP_2) | instskip(SKIP_4) | instid1(VALU_DEP_4)
	v_cmp_ne_u32_e64 s8, 0, v9
	v_cndmask_b32_e64 v11, 0, 1, s7
	v_cmp_ne_u32_e64 s7, 0, v8
	v_cmp_ne_u32_e64 s9, 0, v10
	v_dual_mov_b32 v8, s70 :: v_dual_mov_b32 v9, s71
	v_cmp_ne_u32_e64 s10, 0, v11
	s_delay_alu instid0(VALU_DEP_4)
	s_bcnt1_i32_b32 s7, s7
	s_bcnt1_i32_b32 s8, s8
	;; [unrolled: 1-line block ×3, first 2 shown]
	s_add_i32 s7, s8, s7
	s_bcnt1_i32_b32 s8, s10
	s_add_i32 s7, s7, s9
	v_mov_b32_e32 v10, s68
	s_add_i32 s7, s7, s8
	v_mov_b32_e32 v11, s69
	s_add_u32 s64, s64, s7
	s_addc_u32 s65, s65, 0
	s_delay_alu instid0(SALU_CYCLE_1) | instskip(SKIP_1) | instid1(SALU_CYCLE_1)
	v_dual_mov_b32 v14, s64 :: v_dual_mov_b32 v15, s65
	s_or_b32 s98, vcc_lo, s98
	s_and_not1_b32 exec_lo, exec_lo, s98
	s_cbranch_execnz .LBB156_59
; %bb.60:                               ;   in Loop: Header=BB156_6 Depth=1
	s_or_b32 exec_lo, exec_lo, s98
.LBB156_61:                             ;   in Loop: Header=BB156_6 Depth=1
	s_delay_alu instid0(SALU_CYCLE_1) | instskip(SKIP_2) | instid1(VALU_DEP_1)
	s_or_b32 exec_lo, exec_lo, s72
	v_add_nc_u32_e32 v18, s54, v0
	s_mov_b32 s14, exec_lo
	v_cmpx_gt_u32_e64 s62, v18
	s_cbranch_execz .LBB156_65
; %bb.62:                               ;   in Loop: Header=BB156_6 Depth=1
	v_dual_mov_b32 v3, v18 :: v_dual_lshlrev_b32 v36, 3, v5
	v_dual_mov_b32 v4, v19 :: v_dual_lshlrev_b32 v35, 3, v18
	s_mov_b32 s13, 0
	s_and_b32 s12, s62, 0x7fffffff
	s_and_b32 s16, s91, 0xfe
	s_mov_b32 s15, s13
.LBB156_63:                             ;   Parent Loop BB156_6 Depth=1
                                        ; =>  This Inner Loop Header: Depth=2
	ds_load_b64 v[37:38], v35
	v_add_co_u32 v3, vcc_lo, v3, v5
	v_add_co_ci_u32_e32 v4, vcc_lo, 0, v4, vcc_lo
	v_add_nc_u32_e32 v35, v35, v36
	s_delay_alu instid0(VALU_DEP_2) | instskip(SKIP_3) | instid1(VALU_DEP_2)
	v_cmp_le_u64_e32 vcc_lo, s[12:13], v[3:4]
	s_waitcnt lgkmcnt(0)
	v_xor_b32_e32 v38, 0x80000000, v38
	v_and_b32_e32 v39, v37, v29
	v_and_b32_e32 v40, v38, v30
	v_lshrrev_b64 v[37:38], s16, v[37:38]
	s_delay_alu instid0(VALU_DEP_2) | instskip(NEXT) | instid1(VALU_DEP_2)
	v_cmp_eq_u64_e64 s7, v[39:40], v[31:32]
	v_and_b32_e32 v18, 3, v37
	s_delay_alu instid0(VALU_DEP_1) | instskip(SKIP_3) | instid1(VALU_DEP_4)
	v_cmp_eq_u64_e64 s8, 0, v[18:19]
	v_cmp_eq_u64_e64 s9, 1, v[18:19]
	;; [unrolled: 1-line block ×4, first 2 shown]
	s_and_b32 s8, s7, s8
	s_delay_alu instid0(SALU_CYCLE_1) | instskip(NEXT) | instid1(VALU_DEP_4)
	v_cndmask_b32_e64 v18, 0, 1, s8
	s_and_b32 s8, s7, s9
	s_delay_alu instid0(SALU_CYCLE_1)
	v_cndmask_b32_e64 v37, 0, 1, s8
	s_and_b32 s8, s7, s10
	s_and_b32 s7, s7, s11
	v_cndmask_b32_e64 v38, 0, 1, s8
	v_cndmask_b32_e64 v39, 0, 1, s7
	v_cmp_ne_u32_e64 s7, 0, v18
	v_cmp_ne_u32_e64 s8, 0, v37
	s_delay_alu instid0(VALU_DEP_4) | instskip(NEXT) | instid1(VALU_DEP_4)
	v_cmp_ne_u32_e64 s9, 0, v38
	v_cmp_ne_u32_e64 s10, 0, v39
	s_delay_alu instid0(VALU_DEP_4) | instskip(NEXT) | instid1(VALU_DEP_3)
	s_bcnt1_i32_b32 s7, s7
	s_bcnt1_i32_b32 s8, s8
	v_add_co_u32 v8, s7, v8, s7
	s_delay_alu instid0(VALU_DEP_1)
	v_add_co_ci_u32_e64 v9, s7, 0, v9, s7
	v_add_co_u32 v10, s7, v10, s8
	s_bcnt1_i32_b32 s9, s9
	v_add_co_ci_u32_e64 v11, s7, 0, v11, s7
	v_add_co_u32 v12, s7, v12, s9
	s_bcnt1_i32_b32 s10, s10
	v_add_co_ci_u32_e64 v13, s7, 0, v13, s7
	v_add_co_u32 v14, s7, v14, s10
	s_delay_alu instid0(VALU_DEP_1) | instskip(SKIP_1) | instid1(SALU_CYCLE_1)
	v_add_co_ci_u32_e64 v15, s7, 0, v15, s7
	s_or_b32 s15, vcc_lo, s15
	s_and_not1_b32 exec_lo, exec_lo, s15
	s_cbranch_execnz .LBB156_63
; %bb.64:                               ;   in Loop: Header=BB156_6 Depth=1
	s_or_b32 exec_lo, exec_lo, s15
.LBB156_65:                             ;   in Loop: Header=BB156_6 Depth=1
	s_delay_alu instid0(SALU_CYCLE_1)
	s_or_b32 exec_lo, exec_lo, s14
.LBB156_66:                             ;   in Loop: Header=BB156_6 Depth=1
	s_lshl_b32 s7, s87, 7
	s_and_saveexec_b32 s8, s2
	s_cbranch_execz .LBB156_68
; %bb.67:                               ;   in Loop: Header=BB156_6 Depth=1
	v_or_b32_e32 v3, s7, v46
	s_delay_alu instid0(VALU_DEP_1)
	v_lshlrev_b32_e32 v3, 3, v3
	ds_store_b128 v3, v[8:11] offset:3072
	ds_store_b128 v3, v[12:15] offset:3088
.LBB156_68:                             ;   in Loop: Header=BB156_6 Depth=1
	s_or_b32 exec_lo, exec_lo, s8
	s_waitcnt vmcnt(0) lgkmcnt(0)
	s_barrier
	buffer_gl0_inv
	s_and_saveexec_b32 s8, s74
	s_cbranch_execz .LBB156_79
; %bb.69:                               ;   in Loop: Header=BB156_6 Depth=1
	v_mov_b32_e32 v3, 0
	v_mov_b32_e32 v4, 0
	s_and_not1_b32 vcc_lo, exec_lo, s82
	s_cbranch_vccnz .LBB156_78
; %bb.70:                               ;   in Loop: Header=BB156_6 Depth=1
	v_mov_b32_e32 v3, 0
	v_mov_b32_e32 v4, 0
	s_and_not1_b32 vcc_lo, exec_lo, s80
	s_cbranch_vccnz .LBB156_75
; %bb.71:                               ;   in Loop: Header=BB156_6 Depth=1
	v_lshl_add_u32 v5, s87, 10, v50
	s_mov_b32 s9, 0
	s_set_inst_prefetch_distance 0x1
	.p2align	6
.LBB156_72:                             ;   Parent Loop BB156_6 Depth=1
                                        ; =>  This Inner Loop Header: Depth=2
	ds_load_2addr_b64 v[8:11], v5 offset1:4
	ds_load_2addr_b64 v[12:15], v5 offset0:8 offset1:12
	ds_load_2addr_b64 v[35:38], v5 offset0:16 offset1:20
	s_add_i32 s9, s9, 8
	s_delay_alu instid0(SALU_CYCLE_1) | instskip(SKIP_3) | instid1(VALU_DEP_2)
	s_cmp_eq_u32 s81, s9
	s_waitcnt lgkmcnt(2)
	v_add_co_u32 v3, vcc_lo, v8, v3
	v_add_co_ci_u32_e32 v4, vcc_lo, v9, v4, vcc_lo
	v_add_co_u32 v3, vcc_lo, v10, v3
	s_delay_alu instid0(VALU_DEP_2)
	v_add_co_ci_u32_e32 v4, vcc_lo, v11, v4, vcc_lo
	ds_load_2addr_b64 v[8:11], v5 offset0:24 offset1:28
	s_waitcnt lgkmcnt(2)
	v_add_co_u32 v3, vcc_lo, v12, v3
	v_add_co_ci_u32_e32 v4, vcc_lo, v13, v4, vcc_lo
	v_add_nc_u32_e32 v5, 0x100, v5
	s_delay_alu instid0(VALU_DEP_3) | instskip(NEXT) | instid1(VALU_DEP_3)
	v_add_co_u32 v3, vcc_lo, v14, v3
	v_add_co_ci_u32_e32 v4, vcc_lo, v15, v4, vcc_lo
	s_waitcnt lgkmcnt(1)
	s_delay_alu instid0(VALU_DEP_2) | instskip(NEXT) | instid1(VALU_DEP_2)
	v_add_co_u32 v3, vcc_lo, v35, v3
	v_add_co_ci_u32_e32 v4, vcc_lo, v36, v4, vcc_lo
	s_delay_alu instid0(VALU_DEP_2) | instskip(NEXT) | instid1(VALU_DEP_2)
	v_add_co_u32 v3, vcc_lo, v37, v3
	v_add_co_ci_u32_e32 v4, vcc_lo, v38, v4, vcc_lo
	s_waitcnt lgkmcnt(0)
	s_delay_alu instid0(VALU_DEP_2) | instskip(NEXT) | instid1(VALU_DEP_2)
	v_add_co_u32 v3, vcc_lo, v8, v3
	v_add_co_ci_u32_e32 v4, vcc_lo, v9, v4, vcc_lo
	s_delay_alu instid0(VALU_DEP_2) | instskip(NEXT) | instid1(VALU_DEP_2)
	v_add_co_u32 v3, vcc_lo, v10, v3
	v_add_co_ci_u32_e32 v4, vcc_lo, v11, v4, vcc_lo
	s_cbranch_scc0 .LBB156_72
; %bb.73:                               ;   in Loop: Header=BB156_6 Depth=1
	s_set_inst_prefetch_distance 0x2
	s_mov_b32 s9, s81
	s_and_not1_b32 vcc_lo, exec_lo, s83
	s_cbranch_vccz .LBB156_76
	s_branch .LBB156_78
.LBB156_74:                             ;   in Loop: Header=BB156_6 Depth=1
                                        ; implicit-def: $vgpr3_vgpr4
	s_branch .LBB156_42
.LBB156_75:                             ;   in Loop: Header=BB156_6 Depth=1
	s_mov_b32 s9, 0
	s_and_not1_b32 vcc_lo, exec_lo, s83
	s_cbranch_vccnz .LBB156_78
.LBB156_76:                             ;   in Loop: Header=BB156_6 Depth=1
	s_lshl_b32 s10, s87, 10
	s_lshl_b32 s9, s9, 5
	s_delay_alu instid0(SALU_CYCLE_1)
	v_add3_u32 v5, s10, s9, v50
	s_mov_b32 s9, s79
.LBB156_77:                             ;   Parent Loop BB156_6 Depth=1
                                        ; =>  This Inner Loop Header: Depth=2
	ds_load_b64 v[8:9], v5
	v_add_nc_u32_e32 v5, 32, v5
	s_add_i32 s9, s9, -1
	s_delay_alu instid0(SALU_CYCLE_1)
	s_cmp_lg_u32 s9, 0
	s_waitcnt lgkmcnt(0)
	v_add_co_u32 v3, vcc_lo, v8, v3
	v_add_co_ci_u32_e32 v4, vcc_lo, v9, v4, vcc_lo
	s_cbranch_scc1 .LBB156_77
.LBB156_78:                             ;   in Loop: Header=BB156_6 Depth=1
	v_add_lshl_u32 v5, s7, v44, 3
	ds_store_b64 v5, v[3:4] offset:3072
.LBB156_79:                             ;   in Loop: Header=BB156_6 Depth=1
	s_or_b32 exec_lo, exec_lo, s8
	s_lshl_b32 s7, s7, 3
	s_waitcnt lgkmcnt(0)
	v_mov_b32_e32 v3, s7
	s_barrier
	buffer_gl0_inv
	s_and_b32 s24, s91, 0xfe
	v_cmp_eq_u64_e64 s7, 1, v[33:34]
	ds_load_b128 v[8:11], v3 offset:3072
	ds_load_b128 v[12:15], v3 offset:3088
	s_lshl_b64 s[12:13], 3, s24
	s_mov_b32 s62, 0
	s_and_not1_b32 vcc_lo, exec_lo, s43
	s_not_b64 s[14:15], s[12:13]
	s_waitcnt lgkmcnt(1)
	v_readfirstlane_b32 s11, v9
	v_readfirstlane_b32 s10, v8
	;; [unrolled: 1-line block ×4, first 2 shown]
	s_waitcnt lgkmcnt(0)
	v_readfirstlane_b32 s19, v13
	v_readfirstlane_b32 s18, v12
	;; [unrolled: 1-line block ×4, first 2 shown]
	s_cbranch_vccnz .LBB156_95
; %bb.80:                               ;   in Loop: Header=BB156_6 Depth=1
	s_cmp_eq_u64 s[10:11], 1
	v_dual_mov_b32 v12, v31 :: v_dual_mov_b32 v13, v32
	v_dual_mov_b32 v14, v29 :: v_dual_mov_b32 v15, v30
	;; [unrolled: 1-line block ×3, first 2 shown]
	s_cselect_b32 s8, -1, 0
                                        ; implicit-def: $sgpr25
                                        ; implicit-def: $sgpr64
                                        ; implicit-def: $sgpr63
	s_delay_alu instid0(SALU_CYCLE_1)
	s_and_b32 s67, s8, s7
	s_mov_b32 s8, -1
	s_and_saveexec_b32 s54, s67
	s_cbranch_execz .LBB156_114
; %bb.81:                               ;   in Loop: Header=BB156_6 Depth=1
	ds_load_b64 v[3:4], v19 offset:5120
	s_waitcnt lgkmcnt(0)
	s_barrier
	buffer_gl0_inv
	v_readfirstlane_b32 s22, v3
	v_readfirstlane_b32 s23, v4
	s_and_saveexec_b32 s8, s6
	s_cbranch_execz .LBB156_83
; %bb.82:                               ;   in Loop: Header=BB156_6 Depth=1
	v_mov_b32_e32 v18, v19
	ds_store_b64 v47, v[18:19]
.LBB156_83:                             ;   in Loop: Header=BB156_6 Depth=1
	s_or_b32 exec_lo, exec_lo, s8
	v_and_b32_e32 v13, s15, v32
	v_and_b32_e32 v12, s14, v31
	v_or_b32_e32 v15, s13, v30
	v_or_b32_e32 v14, s12, v29
	s_cmp_eq_u64 s[22:23], 0
	s_waitcnt lgkmcnt(0)
	s_barrier
	buffer_gl0_inv
	s_cbranch_scc1 .LBB156_97
; %bb.84:                               ;   in Loop: Header=BB156_6 Depth=1
	s_add_u32 s25, s76, s22
	s_addc_u32 s9, s77, s23
	s_mov_b32 s8, s55
	s_delay_alu instid0(SALU_CYCLE_1)
	s_cmp_lg_u64 s[8:9], 0
	s_cbranch_scc0 .LBB156_141
; %bb.85:                               ;   in Loop: Header=BB156_6 Depth=1
	v_cvt_f32_u32_e32 v3, s33
	s_sub_u32 s44, 0, s33
	s_subb_u32 s45, 0, 0
	s_delay_alu instid0(VALU_DEP_1) | instskip(NEXT) | instid1(VALU_DEP_1)
	v_fmac_f32_e64 v3, 0, 0x4f800000
	v_rcp_f32_e32 v3, v3
	s_waitcnt_depctr 0xfff
	v_mul_f32_e32 v3, 0x5f7ffffc, v3
	s_delay_alu instid0(VALU_DEP_1) | instskip(NEXT) | instid1(VALU_DEP_1)
	v_mul_f32_e32 v4, 0x2f800000, v3
	v_trunc_f32_e32 v4, v4
	s_delay_alu instid0(VALU_DEP_1) | instskip(SKIP_1) | instid1(VALU_DEP_2)
	v_fmac_f32_e32 v3, 0xcf800000, v4
	v_cvt_u32_f32_e32 v4, v4
	v_cvt_u32_f32_e32 v3, v3
	s_delay_alu instid0(VALU_DEP_2) | instskip(NEXT) | instid1(VALU_DEP_2)
	v_readfirstlane_b32 s8, v4
	v_readfirstlane_b32 s26, v3
	s_delay_alu instid0(VALU_DEP_2) | instskip(NEXT) | instid1(VALU_DEP_1)
	s_mul_i32 s48, s44, s8
	s_mul_hi_u32 s62, s44, s26
	s_mul_i32 s49, s45, s26
	s_add_i32 s48, s62, s48
	s_mul_i32 s63, s44, s26
	s_add_i32 s48, s48, s49
	s_mul_hi_u32 s62, s26, s63
	s_mul_hi_u32 s64, s8, s63
	s_mul_i32 s49, s8, s63
	s_mul_hi_u32 s63, s26, s48
	s_mul_i32 s26, s26, s48
	s_mul_hi_u32 s65, s8, s48
	s_add_u32 s26, s62, s26
	s_addc_u32 s62, 0, s63
	s_add_u32 s26, s26, s49
	s_mul_i32 s48, s8, s48
	s_addc_u32 s26, s62, s64
	s_addc_u32 s49, s65, 0
	s_add_u32 s26, s26, s48
	s_addc_u32 s48, 0, s49
	v_add_co_u32 v3, s26, v3, s26
	s_delay_alu instid0(VALU_DEP_1) | instskip(SKIP_1) | instid1(VALU_DEP_1)
	s_cmp_lg_u32 s26, 0
	s_addc_u32 s8, s8, s48
	v_readfirstlane_b32 s26, v3
	s_mul_i32 s48, s44, s8
	s_delay_alu instid0(VALU_DEP_1)
	s_mul_hi_u32 s49, s44, s26
	s_mul_i32 s45, s45, s26
	s_add_i32 s48, s49, s48
	s_mul_i32 s44, s44, s26
	s_add_i32 s48, s48, s45
	s_mul_hi_u32 s49, s8, s44
	s_mul_i32 s62, s8, s44
	s_mul_hi_u32 s44, s26, s44
	s_mul_hi_u32 s63, s26, s48
	s_mul_i32 s26, s26, s48
	s_mul_hi_u32 s45, s8, s48
	s_add_u32 s26, s44, s26
	s_addc_u32 s44, 0, s63
	s_add_u32 s26, s26, s62
	s_mul_i32 s48, s8, s48
	s_addc_u32 s26, s44, s49
	s_addc_u32 s44, s45, 0
	s_add_u32 s26, s26, s48
	s_addc_u32 s44, 0, s44
	v_add_co_u32 v3, s26, v3, s26
	s_delay_alu instid0(VALU_DEP_1) | instskip(SKIP_1) | instid1(VALU_DEP_1)
	s_cmp_lg_u32 s26, 0
	s_addc_u32 s8, s8, s44
	v_readfirstlane_b32 s26, v3
	s_mul_i32 s45, s25, s8
	s_mul_hi_u32 s44, s25, s8
	s_mul_hi_u32 s48, s9, s8
	s_mul_i32 s8, s9, s8
	s_mul_hi_u32 s49, s25, s26
	s_mul_hi_u32 s62, s9, s26
	s_mul_i32 s26, s9, s26
	s_add_u32 s45, s49, s45
	s_addc_u32 s44, 0, s44
	s_add_u32 s26, s45, s26
	s_addc_u32 s26, s44, s62
	s_addc_u32 s44, s48, 0
	s_add_u32 s8, s26, s8
	s_addc_u32 s26, 0, s44
	s_mul_hi_u32 s44, s33, s8
	s_mul_i32 s8, s33, s8
	s_mul_i32 s26, s33, s26
	v_sub_co_u32 v3, s8, s25, s8
	s_add_i32 s44, s44, s26
	s_cmp_lg_u32 s8, 0
	s_delay_alu instid0(VALU_DEP_1) | instskip(SKIP_2) | instid1(VALU_DEP_1)
	v_sub_co_u32 v4, s8, v3, s33
	s_subb_u32 s26, s9, s44
	s_cmp_lg_u32 s8, 0
	v_cmp_le_u32_e32 vcc_lo, s33, v4
	v_sub_co_u32 v5, s8, v4, s33
	s_subb_u32 s44, s26, 0
	s_cmp_lg_u32 s8, 0
	v_cndmask_b32_e64 v8, 0, -1, vcc_lo
	s_subb_u32 s8, s44, 0
	s_cmp_eq_u32 s44, 0
	v_mov_b32_e32 v10, s8
	s_cselect_b32 vcc_lo, -1, 0
	s_cmp_eq_u32 s26, 0
	v_cndmask_b32_e32 v8, -1, v8, vcc_lo
	v_cmp_le_u32_e32 vcc_lo, s33, v3
	s_cselect_b32 s8, -1, 0
	v_cndmask_b32_e64 v9, 0, -1, vcc_lo
	s_delay_alu instid0(VALU_DEP_3) | instskip(NEXT) | instid1(VALU_DEP_2)
	v_cmp_ne_u32_e32 vcc_lo, 0, v8
	v_cndmask_b32_e64 v8, -1, v9, s8
	v_cndmask_b32_e32 v9, s44, v10, vcc_lo
	v_cndmask_b32_e32 v5, v4, v5, vcc_lo
	s_delay_alu instid0(VALU_DEP_3) | instskip(NEXT) | instid1(VALU_DEP_3)
	v_cmp_ne_u32_e32 vcc_lo, 0, v8
	v_cndmask_b32_e32 v4, s26, v9, vcc_lo
	s_delay_alu instid0(VALU_DEP_3)
	v_cndmask_b32_e32 v3, v3, v5, vcc_lo
	s_cbranch_execnz .LBB156_87
.LBB156_86:                             ;   in Loop: Header=BB156_6 Depth=1
	v_cvt_f32_u32_e32 v3, s33
	s_sub_i32 s8, 0, s33
	s_delay_alu instid0(VALU_DEP_1) | instskip(SKIP_2) | instid1(VALU_DEP_1)
	v_rcp_iflag_f32_e32 v3, v3
	s_waitcnt_depctr 0xfff
	v_mul_f32_e32 v3, 0x4f7ffffe, v3
	v_cvt_u32_f32_e32 v3, v3
	s_delay_alu instid0(VALU_DEP_1) | instskip(NEXT) | instid1(VALU_DEP_1)
	v_mul_lo_u32 v4, s8, v3
	v_mul_hi_u32 v4, v3, v4
	s_delay_alu instid0(VALU_DEP_1) | instskip(NEXT) | instid1(VALU_DEP_1)
	v_add_nc_u32_e32 v3, v3, v4
	v_mul_hi_u32 v3, s25, v3
	s_delay_alu instid0(VALU_DEP_1) | instskip(NEXT) | instid1(VALU_DEP_1)
	v_mul_lo_u32 v3, v3, s33
	v_sub_nc_u32_e32 v3, s25, v3
	s_delay_alu instid0(VALU_DEP_1) | instskip(SKIP_1) | instid1(VALU_DEP_2)
	v_subrev_nc_u32_e32 v4, s33, v3
	v_cmp_le_u32_e32 vcc_lo, s33, v3
	v_cndmask_b32_e32 v3, v3, v4, vcc_lo
	s_delay_alu instid0(VALU_DEP_1) | instskip(SKIP_1) | instid1(VALU_DEP_2)
	v_subrev_nc_u32_e32 v4, s33, v3
	v_cmp_le_u32_e32 vcc_lo, s33, v3
	v_cndmask_b32_e32 v18, v3, v4, vcc_lo
	s_delay_alu instid0(VALU_DEP_1)
	v_dual_mov_b32 v3, v18 :: v_dual_mov_b32 v4, v19
.LBB156_87:                             ;   in Loop: Header=BB156_6 Depth=1
	s_delay_alu instid0(VALU_DEP_1) | instskip(NEXT) | instid1(VALU_DEP_2)
	v_sub_co_u32 v35, vcc_lo, s25, v3
	v_sub_co_ci_u32_e32 v36, vcc_lo, s9, v4, vcc_lo
	s_mov_b32 s9, 0
	s_mov_b32 s8, exec_lo
                                        ; implicit-def: $vgpr10_vgpr11
	s_delay_alu instid0(VALU_DEP_1)
	v_cmpx_gt_u64_e64 v[35:36], v[0:1]
	s_cbranch_execz .LBB156_99
; %bb.88:                               ;   in Loop: Header=BB156_6 Depth=1
	v_mov_b32_e32 v38, v1
	v_dual_mov_b32 v18, v45 :: v_dual_mov_b32 v37, v0
	s_mov_b32 s25, 0
                                        ; implicit-def: $sgpr9
	s_set_inst_prefetch_distance 0x1
	s_branch .LBB156_90
	.p2align	6
.LBB156_89:                             ;   in Loop: Header=BB156_90 Depth=2
	s_or_b32 exec_lo, exec_lo, s26
	s_waitcnt lgkmcnt(0)
	s_barrier
	buffer_gl0_inv
	ds_load_b128 v[8:11], v19 offset:3072
	v_add_co_u32 v37, vcc_lo, v37, s33
	v_add_co_ci_u32_e32 v38, vcc_lo, 0, v38, vcc_lo
	v_add_nc_u32_e32 v18, s84, v18
	s_waitcnt lgkmcnt(0)
	s_barrier
	s_delay_alu instid0(VALU_DEP_2) | instskip(SKIP_3) | instid1(VALU_DEP_1)
	v_cmp_ge_u64_e32 vcc_lo, v[37:38], v[35:36]
	buffer_gl0_inv
	v_readfirstlane_b32 s63, v9
	v_readfirstlane_b32 s62, v8
	s_cmp_lg_u64 s[62:63], 0
	s_cselect_b32 s26, -1, 0
	s_delay_alu instid0(SALU_CYCLE_1) | instskip(NEXT) | instid1(SALU_CYCLE_1)
	s_or_b32 s44, vcc_lo, s26
	s_and_b32 s44, exec_lo, s44
	s_delay_alu instid0(SALU_CYCLE_1) | instskip(SKIP_2) | instid1(SALU_CYCLE_1)
	s_or_b32 s25, s44, s25
	s_and_not1_b32 s9, s9, exec_lo
	s_and_b32 s26, s26, exec_lo
	s_or_b32 s9, s9, s26
	s_and_not1_b32 exec_lo, exec_lo, s25
	s_cbranch_execz .LBB156_98
.LBB156_90:                             ;   Parent Loop BB156_6 Depth=1
                                        ; =>  This Inner Loop Header: Depth=2
	s_delay_alu instid0(VALU_DEP_1)
	v_cmp_gt_u64_e32 vcc_lo, s[22:23], v[37:38]
	v_mov_b32_e32 v4, 0
	v_mov_b32_e32 v5, 0
	s_and_saveexec_b32 s26, vcc_lo
	s_cbranch_execz .LBB156_92
; %bb.91:                               ;   in Loop: Header=BB156_90 Depth=2
	ds_load_b64 v[4:5], v18
.LBB156_92:                             ;   in Loop: Header=BB156_90 Depth=2
	s_or_b32 exec_lo, exec_lo, s26
	s_and_saveexec_b32 s26, vcc_lo
	s_cbranch_execz .LBB156_89
; %bb.93:                               ;   in Loop: Header=BB156_90 Depth=2
	s_waitcnt lgkmcnt(0)
	v_xor_b32_e32 v3, 0x80000000, v5
	v_and_b32_e32 v8, v4, v14
	s_delay_alu instid0(VALU_DEP_2) | instskip(NEXT) | instid1(VALU_DEP_1)
	v_and_b32_e32 v9, v3, v15
	v_cmp_eq_u64_e32 vcc_lo, v[8:9], v[12:13]
	s_and_b32 exec_lo, exec_lo, vcc_lo
	s_cbranch_execz .LBB156_89
; %bb.94:                               ;   in Loop: Header=BB156_90 Depth=2
	v_mov_b32_e32 v3, v19
	ds_store_b128 v19, v[2:5] offset:3072
	s_branch .LBB156_89
.LBB156_95:                             ;   in Loop: Header=BB156_6 Depth=1
	s_mov_b32 s54, 0
                                        ; implicit-def: $sgpr63
                                        ; implicit-def: $sgpr64
                                        ; implicit-def: $sgpr25
                                        ; implicit-def: $vgpr5
                                        ; implicit-def: $vgpr35_vgpr36
                                        ; implicit-def: $vgpr12_vgpr13
                                        ; implicit-def: $vgpr14_vgpr15
                                        ; implicit-def: $vgpr10_vgpr11
	s_cbranch_execnz .LBB156_278
.LBB156_96:                             ;   in Loop: Header=BB156_6 Depth=1
	s_mov_b32 s22, s25
	s_mov_b32 s23, s25
	s_and_saveexec_b32 s7, s62
	s_cbranch_execnz .LBB156_474
	s_branch .LBB156_475
.LBB156_97:                             ;   in Loop: Header=BB156_6 Depth=1
	s_mov_b32 s25, -1
	s_mov_b32 s9, 0
                                        ; implicit-def: $sgpr63
                                        ; implicit-def: $vgpr10_vgpr11
	s_mov_b32 s64, s25
	s_cbranch_execnz .LBB156_100
	s_branch .LBB156_113
.LBB156_98:                             ;   in Loop: Header=BB156_6 Depth=1
	s_set_inst_prefetch_distance 0x2
	s_or_b32 exec_lo, exec_lo, s25
	s_delay_alu instid0(SALU_CYCLE_1)
	s_and_b32 s9, s9, exec_lo
.LBB156_99:                             ;   in Loop: Header=BB156_6 Depth=1
	s_or_b32 exec_lo, exec_lo, s8
	s_mov_b32 s63, -1
	s_mov_b32 s25, 0
	s_delay_alu instid0(SALU_CYCLE_1)
	s_mov_b32 s64, s25
	s_branch .LBB156_113
.LBB156_100:                            ;   in Loop: Header=BB156_6 Depth=1
	s_mov_b32 s26, s55
	s_delay_alu instid0(SALU_CYCLE_1)
	s_cmp_lg_u64 s[26:27], 0
	s_cbranch_scc0 .LBB156_142
; %bb.101:                              ;   in Loop: Header=BB156_6 Depth=1
	v_cvt_f32_u32_e32 v3, s33
	s_sub_u32 s22, 0, s33
	s_subb_u32 s23, 0, 0
	s_delay_alu instid0(VALU_DEP_1) | instskip(NEXT) | instid1(VALU_DEP_1)
	v_fmac_f32_e64 v3, 0, 0x4f800000
	v_rcp_f32_e32 v3, v3
	s_waitcnt_depctr 0xfff
	v_mul_f32_e32 v3, 0x5f7ffffc, v3
	s_delay_alu instid0(VALU_DEP_1) | instskip(NEXT) | instid1(VALU_DEP_1)
	v_mul_f32_e32 v4, 0x2f800000, v3
	v_trunc_f32_e32 v4, v4
	s_delay_alu instid0(VALU_DEP_1) | instskip(SKIP_1) | instid1(VALU_DEP_2)
	v_fmac_f32_e32 v3, 0xcf800000, v4
	v_cvt_u32_f32_e32 v4, v4
	v_cvt_u32_f32_e32 v3, v3
	s_delay_alu instid0(VALU_DEP_2) | instskip(NEXT) | instid1(VALU_DEP_2)
	v_readfirstlane_b32 s8, v4
	v_readfirstlane_b32 s9, v3
	s_delay_alu instid0(VALU_DEP_2) | instskip(NEXT) | instid1(VALU_DEP_1)
	s_mul_i32 s25, s22, s8
	s_mul_hi_u32 s44, s22, s9
	s_mul_i32 s26, s23, s9
	s_add_i32 s25, s44, s25
	s_mul_i32 s45, s22, s9
	s_add_i32 s25, s25, s26
	s_mul_hi_u32 s44, s9, s45
	s_mul_hi_u32 s48, s8, s45
	s_mul_i32 s26, s8, s45
	s_mul_hi_u32 s45, s9, s25
	s_mul_i32 s9, s9, s25
	s_mul_hi_u32 s49, s8, s25
	s_add_u32 s9, s44, s9
	s_addc_u32 s44, 0, s45
	s_add_u32 s9, s9, s26
	s_mul_i32 s25, s8, s25
	s_addc_u32 s9, s44, s48
	s_addc_u32 s26, s49, 0
	s_add_u32 s9, s9, s25
	s_addc_u32 s25, 0, s26
	v_add_co_u32 v3, s9, v3, s9
	s_delay_alu instid0(VALU_DEP_1) | instskip(SKIP_1) | instid1(VALU_DEP_1)
	s_cmp_lg_u32 s9, 0
	s_addc_u32 s8, s8, s25
	v_readfirstlane_b32 s9, v3
	s_mul_i32 s25, s22, s8
	s_delay_alu instid0(VALU_DEP_1)
	s_mul_hi_u32 s26, s22, s9
	s_mul_i32 s23, s23, s9
	s_add_i32 s25, s26, s25
	s_mul_i32 s22, s22, s9
	s_add_i32 s25, s25, s23
	s_mul_hi_u32 s26, s8, s22
	s_mul_i32 s44, s8, s22
	s_mul_hi_u32 s22, s9, s22
	s_mul_hi_u32 s45, s9, s25
	s_mul_i32 s9, s9, s25
	s_mul_hi_u32 s23, s8, s25
	s_add_u32 s9, s22, s9
	s_addc_u32 s22, 0, s45
	s_add_u32 s9, s9, s44
	s_mul_i32 s25, s8, s25
	s_addc_u32 s9, s22, s26
	s_addc_u32 s22, s23, 0
	s_add_u32 s9, s9, s25
	s_addc_u32 s22, 0, s22
	v_add_co_u32 v3, s9, v3, s9
	s_delay_alu instid0(VALU_DEP_1) | instskip(SKIP_1) | instid1(VALU_DEP_1)
	s_cmp_lg_u32 s9, 0
	s_addc_u32 s8, s8, s22
	v_readfirstlane_b32 s9, v3
	s_mul_i32 s23, s78, s8
	s_mul_hi_u32 s22, s78, s8
	s_mul_hi_u32 s25, s27, s8
	s_mul_i32 s8, s27, s8
	s_mul_hi_u32 s26, s78, s9
	s_mul_hi_u32 s44, s27, s9
	s_mul_i32 s9, s27, s9
	s_add_u32 s23, s26, s23
	s_addc_u32 s22, 0, s22
	s_add_u32 s9, s23, s9
	s_addc_u32 s9, s22, s44
	s_addc_u32 s22, s25, 0
	s_add_u32 s8, s9, s8
	s_addc_u32 s9, 0, s22
	s_mul_hi_u32 s22, s33, s8
	s_mul_i32 s8, s33, s8
	s_mul_i32 s9, s33, s9
	v_sub_co_u32 v3, s8, s78, s8
	s_add_i32 s22, s22, s9
	s_cmp_lg_u32 s8, 0
	s_delay_alu instid0(VALU_DEP_1) | instskip(SKIP_2) | instid1(VALU_DEP_1)
	v_sub_co_u32 v4, s8, v3, s33
	s_subb_u32 s9, s27, s22
	s_cmp_lg_u32 s8, 0
	v_cmp_le_u32_e32 vcc_lo, s33, v4
	v_sub_co_u32 v5, s8, v4, s33
	s_subb_u32 s22, s9, 0
	s_cmp_lg_u32 s8, 0
	v_cndmask_b32_e64 v8, 0, -1, vcc_lo
	s_subb_u32 s8, s22, 0
	s_cmp_eq_u32 s22, 0
	v_mov_b32_e32 v10, s8
	s_cselect_b32 vcc_lo, -1, 0
	s_cmp_eq_u32 s9, 0
	v_cndmask_b32_e32 v8, -1, v8, vcc_lo
	v_cmp_le_u32_e32 vcc_lo, s33, v3
	s_cselect_b32 s8, -1, 0
	v_cndmask_b32_e64 v9, 0, -1, vcc_lo
	s_delay_alu instid0(VALU_DEP_3) | instskip(NEXT) | instid1(VALU_DEP_2)
	v_cmp_ne_u32_e32 vcc_lo, 0, v8
	v_cndmask_b32_e64 v8, -1, v9, s8
	v_cndmask_b32_e32 v9, s22, v10, vcc_lo
	v_cndmask_b32_e32 v5, v4, v5, vcc_lo
	s_delay_alu instid0(VALU_DEP_3) | instskip(NEXT) | instid1(VALU_DEP_3)
	v_cmp_ne_u32_e32 vcc_lo, 0, v8
	v_cndmask_b32_e32 v4, s9, v9, vcc_lo
	s_delay_alu instid0(VALU_DEP_3)
	v_cndmask_b32_e32 v3, v3, v5, vcc_lo
	s_cbranch_execnz .LBB156_103
.LBB156_102:                            ;   in Loop: Header=BB156_6 Depth=1
	v_cvt_f32_u32_e32 v3, s33
	s_sub_i32 s8, 0, s33
	s_delay_alu instid0(VALU_DEP_1) | instskip(SKIP_2) | instid1(VALU_DEP_1)
	v_rcp_iflag_f32_e32 v3, v3
	s_waitcnt_depctr 0xfff
	v_mul_f32_e32 v3, 0x4f7ffffe, v3
	v_cvt_u32_f32_e32 v3, v3
	s_delay_alu instid0(VALU_DEP_1) | instskip(NEXT) | instid1(VALU_DEP_1)
	v_mul_lo_u32 v4, s8, v3
	v_mul_hi_u32 v4, v3, v4
	s_delay_alu instid0(VALU_DEP_1) | instskip(NEXT) | instid1(VALU_DEP_1)
	v_add_nc_u32_e32 v3, v3, v4
	v_mul_hi_u32 v3, s78, v3
	s_delay_alu instid0(VALU_DEP_1) | instskip(NEXT) | instid1(VALU_DEP_1)
	v_mul_lo_u32 v3, v3, s33
	v_sub_nc_u32_e32 v3, s78, v3
	s_delay_alu instid0(VALU_DEP_1) | instskip(SKIP_1) | instid1(VALU_DEP_2)
	v_subrev_nc_u32_e32 v4, s33, v3
	v_cmp_le_u32_e32 vcc_lo, s33, v3
	v_cndmask_b32_e32 v3, v3, v4, vcc_lo
	s_delay_alu instid0(VALU_DEP_1) | instskip(SKIP_1) | instid1(VALU_DEP_2)
	v_subrev_nc_u32_e32 v4, s33, v3
	v_cmp_le_u32_e32 vcc_lo, s33, v3
	v_cndmask_b32_e32 v18, v3, v4, vcc_lo
	s_delay_alu instid0(VALU_DEP_1)
	v_dual_mov_b32 v3, v18 :: v_dual_mov_b32 v4, v19
.LBB156_103:                            ;   in Loop: Header=BB156_6 Depth=1
	s_delay_alu instid0(VALU_DEP_1) | instskip(NEXT) | instid1(VALU_DEP_2)
	v_sub_co_u32 v35, vcc_lo, s78, v3
	v_sub_co_ci_u32_e32 v36, vcc_lo, s27, v4, vcc_lo
	s_mov_b32 s9, 0
	s_mov_b32 s8, exec_lo
                                        ; implicit-def: $vgpr10_vgpr11
	s_delay_alu instid0(VALU_DEP_1)
	v_cmpx_gt_u64_e64 v[35:36], v[0:1]
	s_cbranch_execz .LBB156_112
; %bb.104:                              ;   in Loop: Header=BB156_6 Depth=1
	v_dual_mov_b32 v38, v17 :: v_dual_mov_b32 v37, v16
	v_dual_mov_b32 v40, v1 :: v_dual_mov_b32 v39, v0
	s_mov_b32 s22, 0
                                        ; implicit-def: $sgpr9
	s_set_inst_prefetch_distance 0x1
	s_branch .LBB156_106
	.p2align	6
.LBB156_105:                            ;   in Loop: Header=BB156_106 Depth=2
	s_or_b32 exec_lo, exec_lo, s23
	s_waitcnt vmcnt(0) lgkmcnt(0)
	s_barrier
	buffer_gl0_inv
	ds_load_b128 v[8:11], v19 offset:3072
	v_add_co_u32 v39, vcc_lo, v39, s33
	v_add_co_ci_u32_e32 v40, vcc_lo, 0, v40, vcc_lo
	s_waitcnt lgkmcnt(0)
	s_barrier
	buffer_gl0_inv
	v_cmp_ge_u64_e32 vcc_lo, v[39:40], v[35:36]
	v_readfirstlane_b32 s63, v9
	v_readfirstlane_b32 s62, v8
	s_delay_alu instid0(VALU_DEP_1) | instskip(SKIP_1) | instid1(SALU_CYCLE_1)
	s_cmp_lg_u64 s[62:63], 0
	s_cselect_b32 s23, -1, 0
	s_or_b32 s25, vcc_lo, s23
	v_add_co_u32 v37, vcc_lo, v37, s34
	s_and_b32 s25, exec_lo, s25
	v_add_co_ci_u32_e32 v38, vcc_lo, s35, v38, vcc_lo
	s_or_b32 s22, s25, s22
	s_and_not1_b32 s9, s9, exec_lo
	s_and_b32 s23, s23, exec_lo
	s_delay_alu instid0(SALU_CYCLE_1)
	s_or_b32 s9, s9, s23
	s_and_not1_b32 exec_lo, exec_lo, s22
	s_cbranch_execz .LBB156_111
.LBB156_106:                            ;   Parent Loop BB156_6 Depth=1
                                        ; =>  This Inner Loop Header: Depth=2
	s_delay_alu instid0(VALU_DEP_1)
	v_cmp_gt_u64_e32 vcc_lo, s[28:29], v[39:40]
	v_mov_b32_e32 v4, 0
	v_mov_b32_e32 v5, 0
	s_and_saveexec_b32 s23, vcc_lo
	s_cbranch_execz .LBB156_108
; %bb.107:                              ;   in Loop: Header=BB156_106 Depth=2
	global_load_b64 v[4:5], v[37:38], off
.LBB156_108:                            ;   in Loop: Header=BB156_106 Depth=2
	s_or_b32 exec_lo, exec_lo, s23
	s_and_saveexec_b32 s23, vcc_lo
	s_cbranch_execz .LBB156_105
; %bb.109:                              ;   in Loop: Header=BB156_106 Depth=2
	s_waitcnt vmcnt(0)
	v_xor_b32_e32 v3, 0x80000000, v5
	v_and_b32_e32 v8, v4, v14
	s_delay_alu instid0(VALU_DEP_2) | instskip(NEXT) | instid1(VALU_DEP_1)
	v_and_b32_e32 v9, v3, v15
	v_cmp_eq_u64_e32 vcc_lo, v[8:9], v[12:13]
	s_and_b32 exec_lo, exec_lo, vcc_lo
	s_cbranch_execz .LBB156_105
; %bb.110:                              ;   in Loop: Header=BB156_106 Depth=2
	v_mov_b32_e32 v3, v19
	ds_store_b128 v19, v[2:5] offset:3072
	s_branch .LBB156_105
.LBB156_111:                            ;   in Loop: Header=BB156_6 Depth=1
	s_set_inst_prefetch_distance 0x2
	s_or_b32 exec_lo, exec_lo, s22
	s_delay_alu instid0(SALU_CYCLE_1)
	s_and_b32 s9, s9, exec_lo
.LBB156_112:                            ;   in Loop: Header=BB156_6 Depth=1
	s_or_b32 exec_lo, exec_lo, s8
	s_mov_b32 s64, -1
	s_mov_b32 s25, 0
	s_mov_b32 s63, 0
.LBB156_113:                            ;   in Loop: Header=BB156_6 Depth=1
	s_or_not1_b32 s8, s9, exec_lo
.LBB156_114:                            ;   in Loop: Header=BB156_6 Depth=1
	s_or_b32 exec_lo, exec_lo, s54
	s_mov_b32 s65, 0
	s_mov_b32 s62, 0
	;; [unrolled: 1-line block ×3, first 2 shown]
                                        ; implicit-def: $vgpr5
                                        ; implicit-def: $vgpr35_vgpr36
	s_and_saveexec_b32 s66, s8
	s_cbranch_execz .LBB156_277
; %bb.115:                              ;   in Loop: Header=BB156_6 Depth=1
	v_mov_b32_e32 v35, 1
	v_dual_mov_b32 v36, 0 :: v_dual_mov_b32 v5, 1
	s_xor_b32 s9, s67, -1
	s_mov_b32 s26, 0
	s_and_saveexec_b32 s8, s9
	s_cbranch_execz .LBB156_125
; %bb.116:                              ;   in Loop: Header=BB156_6 Depth=1
	s_mov_b32 s22, exec_lo
                                        ; implicit-def: $sgpr23
                                        ; implicit-def: $sgpr9
	v_cmpx_ge_u64_e64 s[10:11], v[33:34]
	s_xor_b32 s22, exec_lo, s22
	s_cbranch_execz .LBB156_122
; %bb.117:                              ;   in Loop: Header=BB156_6 Depth=1
	ds_load_b64 v[3:4], v19 offset:5120
	s_waitcnt lgkmcnt(0)
	v_cmp_ne_u64_e32 vcc_lo, 0, v[3:4]
	s_cbranch_vccnz .LBB156_121
; %bb.118:                              ;   in Loop: Header=BB156_6 Depth=1
	s_and_saveexec_b32 s9, s5
	s_cbranch_execz .LBB156_120
; %bb.119:                              ;   in Loop: Header=BB156_6 Depth=1
	v_dual_mov_b32 v3, s10 :: v_dual_mov_b32 v4, s11
	ds_store_b64 v19, v[3:4] offset:5128
.LBB156_120:                            ;   in Loop: Header=BB156_6 Depth=1
	s_or_b32 exec_lo, exec_lo, s9
	s_waitcnt lgkmcnt(0)
	s_barrier
	buffer_gl0_inv
.LBB156_121:                            ;   in Loop: Header=BB156_6 Depth=1
	v_and_b32_e32 v13, s15, v13
	v_and_b32_e32 v12, s14, v12
	v_or_b32_e32 v15, s13, v15
	v_or_b32_e32 v14, s12, v14
	s_mov_b32 s9, 0
	s_mov_b32 s23, 8
.LBB156_122:                            ;   in Loop: Header=BB156_6 Depth=1
	s_or_saveexec_b32 s22, s22
	v_dual_mov_b32 v5, s23 :: v_dual_mov_b32 v36, v34
	v_mov_b32_e32 v35, v33
	s_xor_b32 exec_lo, exec_lo, s22
; %bb.123:                              ;   in Loop: Header=BB156_6 Depth=1
	v_sub_co_u32 v35, vcc_lo, v33, s10
	v_subrev_co_ci_u32_e32 v36, vcc_lo, s11, v34, vcc_lo
	v_mov_b32_e32 v5, 0
	s_or_b32 s9, s9, exec_lo
; %bb.124:                              ;   in Loop: Header=BB156_6 Depth=1
	s_or_b32 exec_lo, exec_lo, s22
	s_delay_alu instid0(SALU_CYCLE_1)
	s_and_b32 s26, s9, exec_lo
.LBB156_125:                            ;   in Loop: Header=BB156_6 Depth=1
	s_or_b32 exec_lo, exec_lo, s8
	s_mov_b32 s62, -1
                                        ; implicit-def: $sgpr9
                                        ; implicit-def: $sgpr22
                                        ; implicit-def: $sgpr23
	s_and_saveexec_b32 s8, s26
	s_delay_alu instid0(SALU_CYCLE_1)
	s_xor_b32 s54, exec_lo, s8
	s_cbranch_execz .LBB156_274
; %bb.126:                              ;   in Loop: Header=BB156_6 Depth=1
	v_cmp_eq_u64_e32 vcc_lo, 1, v[35:36]
	s_cmp_eq_u64 s[16:17], 1
                                        ; implicit-def: $sgpr62
                                        ; implicit-def: $sgpr68
                                        ; implicit-def: $sgpr67
	s_cselect_b32 s8, -1, 0
	s_delay_alu instid0(SALU_CYCLE_1)
	s_and_b32 s70, s8, vcc_lo
	s_mov_b32 s8, -1
	s_and_saveexec_b32 s69, s70
	s_cbranch_execz .LBB156_160
; %bb.127:                              ;   in Loop: Header=BB156_6 Depth=1
	ds_load_b64 v[3:4], v19 offset:5120
	s_waitcnt lgkmcnt(0)
	s_barrier
	buffer_gl0_inv
	v_readfirstlane_b32 s22, v3
	v_readfirstlane_b32 s23, v4
	s_and_saveexec_b32 s8, s6
	s_cbranch_execz .LBB156_129
; %bb.128:                              ;   in Loop: Header=BB156_6 Depth=1
	v_mov_b32_e32 v18, v19
	ds_store_b64 v47, v[18:19]
.LBB156_129:                            ;   in Loop: Header=BB156_6 Depth=1
	s_or_b32 exec_lo, exec_lo, s8
	v_and_b32_e32 v3, s15, v13
	v_and_b32_e32 v4, s14, v12
	s_lshl_b64 s[8:9], 1, s24
	v_or_b32_e32 v15, s13, v15
	v_or_b32_e32 v14, s12, v14
	;; [unrolled: 1-line block ×4, first 2 shown]
	s_cmp_eq_u64 s[22:23], 0
	s_waitcnt lgkmcnt(0)
	s_barrier
	buffer_gl0_inv
	s_cbranch_scc1 .LBB156_143
; %bb.130:                              ;   in Loop: Header=BB156_6 Depth=1
	s_add_u32 s26, s76, s22
	s_addc_u32 s9, s77, s23
	s_mov_b32 s8, s55
	s_delay_alu instid0(SALU_CYCLE_1)
	s_cmp_lg_u64 s[8:9], 0
	s_cbranch_scc0 .LBB156_187
; %bb.131:                              ;   in Loop: Header=BB156_6 Depth=1
	v_cvt_f32_u32_e32 v3, s33
	s_sub_u32 s67, 0, s33
	s_subb_u32 s68, 0, 0
	s_delay_alu instid0(VALU_DEP_1) | instskip(NEXT) | instid1(VALU_DEP_1)
	v_fmac_f32_e64 v3, 0, 0x4f800000
	v_rcp_f32_e32 v3, v3
	s_waitcnt_depctr 0xfff
	v_mul_f32_e32 v3, 0x5f7ffffc, v3
	s_delay_alu instid0(VALU_DEP_1) | instskip(NEXT) | instid1(VALU_DEP_1)
	v_mul_f32_e32 v4, 0x2f800000, v3
	v_trunc_f32_e32 v4, v4
	s_delay_alu instid0(VALU_DEP_1) | instskip(SKIP_1) | instid1(VALU_DEP_2)
	v_fmac_f32_e32 v3, 0xcf800000, v4
	v_cvt_u32_f32_e32 v4, v4
	v_cvt_u32_f32_e32 v3, v3
	s_delay_alu instid0(VALU_DEP_2) | instskip(NEXT) | instid1(VALU_DEP_2)
	v_readfirstlane_b32 s8, v4
	v_readfirstlane_b32 s62, v3
	s_delay_alu instid0(VALU_DEP_2) | instskip(NEXT) | instid1(VALU_DEP_1)
	s_mul_i32 s71, s67, s8
	s_mul_hi_u32 s73, s67, s62
	s_mul_i32 s72, s68, s62
	s_add_i32 s71, s73, s71
	s_mul_i32 s98, s67, s62
	s_add_i32 s71, s71, s72
	s_mul_hi_u32 s73, s62, s98
	s_mul_hi_u32 s99, s8, s98
	s_mul_i32 s72, s8, s98
	s_mul_hi_u32 s98, s62, s71
	s_mul_i32 s62, s62, s71
	s_mul_hi_u32 s100, s8, s71
	s_add_u32 s62, s73, s62
	s_addc_u32 s73, 0, s98
	s_add_u32 s62, s62, s72
	s_mul_i32 s71, s8, s71
	s_addc_u32 s62, s73, s99
	s_addc_u32 s72, s100, 0
	s_add_u32 s62, s62, s71
	s_addc_u32 s71, 0, s72
	v_add_co_u32 v3, s62, v3, s62
	s_delay_alu instid0(VALU_DEP_1) | instskip(SKIP_1) | instid1(VALU_DEP_1)
	s_cmp_lg_u32 s62, 0
	s_addc_u32 s8, s8, s71
	v_readfirstlane_b32 s62, v3
	s_mul_i32 s71, s67, s8
	s_delay_alu instid0(VALU_DEP_1)
	s_mul_hi_u32 s72, s67, s62
	s_mul_i32 s68, s68, s62
	s_add_i32 s71, s72, s71
	s_mul_i32 s67, s67, s62
	s_add_i32 s71, s71, s68
	s_mul_hi_u32 s72, s8, s67
	s_mul_i32 s73, s8, s67
	s_mul_hi_u32 s67, s62, s67
	s_mul_hi_u32 s98, s62, s71
	s_mul_i32 s62, s62, s71
	s_mul_hi_u32 s68, s8, s71
	s_add_u32 s62, s67, s62
	s_addc_u32 s67, 0, s98
	s_add_u32 s62, s62, s73
	s_mul_i32 s71, s8, s71
	s_addc_u32 s62, s67, s72
	s_addc_u32 s67, s68, 0
	s_add_u32 s62, s62, s71
	s_addc_u32 s67, 0, s67
	v_add_co_u32 v3, s62, v3, s62
	s_delay_alu instid0(VALU_DEP_1) | instskip(SKIP_1) | instid1(VALU_DEP_1)
	s_cmp_lg_u32 s62, 0
	s_addc_u32 s8, s8, s67
	v_readfirstlane_b32 s62, v3
	s_mul_i32 s68, s26, s8
	s_mul_hi_u32 s67, s26, s8
	s_mul_hi_u32 s71, s9, s8
	s_mul_i32 s8, s9, s8
	s_mul_hi_u32 s72, s26, s62
	s_mul_hi_u32 s73, s9, s62
	s_mul_i32 s62, s9, s62
	s_add_u32 s68, s72, s68
	s_addc_u32 s67, 0, s67
	s_add_u32 s62, s68, s62
	s_addc_u32 s62, s67, s73
	s_addc_u32 s67, s71, 0
	s_add_u32 s8, s62, s8
	s_addc_u32 s62, 0, s67
	s_mul_hi_u32 s67, s33, s8
	s_mul_i32 s8, s33, s8
	s_mul_i32 s62, s33, s62
	v_sub_co_u32 v3, s8, s26, s8
	s_add_i32 s67, s67, s62
	s_cmp_lg_u32 s8, 0
	s_delay_alu instid0(VALU_DEP_1) | instskip(SKIP_2) | instid1(VALU_DEP_1)
	v_sub_co_u32 v4, s8, v3, s33
	s_subb_u32 s62, s9, s67
	s_cmp_lg_u32 s8, 0
	v_cmp_le_u32_e32 vcc_lo, s33, v4
	v_sub_co_u32 v5, s8, v4, s33
	s_subb_u32 s67, s62, 0
	s_cmp_lg_u32 s8, 0
	v_cndmask_b32_e64 v8, 0, -1, vcc_lo
	s_subb_u32 s8, s67, 0
	s_cmp_eq_u32 s67, 0
	v_mov_b32_e32 v10, s8
	s_cselect_b32 vcc_lo, -1, 0
	s_cmp_eq_u32 s62, 0
	v_cndmask_b32_e32 v8, -1, v8, vcc_lo
	v_cmp_le_u32_e32 vcc_lo, s33, v3
	s_cselect_b32 s8, -1, 0
	v_cndmask_b32_e64 v9, 0, -1, vcc_lo
	s_delay_alu instid0(VALU_DEP_3) | instskip(NEXT) | instid1(VALU_DEP_2)
	v_cmp_ne_u32_e32 vcc_lo, 0, v8
	v_cndmask_b32_e64 v8, -1, v9, s8
	v_cndmask_b32_e32 v9, s67, v10, vcc_lo
	v_cndmask_b32_e32 v5, v4, v5, vcc_lo
	s_delay_alu instid0(VALU_DEP_3) | instskip(NEXT) | instid1(VALU_DEP_3)
	v_cmp_ne_u32_e32 vcc_lo, 0, v8
	v_cndmask_b32_e32 v4, s62, v9, vcc_lo
	s_delay_alu instid0(VALU_DEP_3)
	v_cndmask_b32_e32 v3, v3, v5, vcc_lo
	s_cbranch_execnz .LBB156_133
.LBB156_132:                            ;   in Loop: Header=BB156_6 Depth=1
	v_cvt_f32_u32_e32 v3, s33
	s_sub_i32 s8, 0, s33
	s_delay_alu instid0(VALU_DEP_1) | instskip(SKIP_2) | instid1(VALU_DEP_1)
	v_rcp_iflag_f32_e32 v3, v3
	s_waitcnt_depctr 0xfff
	v_mul_f32_e32 v3, 0x4f7ffffe, v3
	v_cvt_u32_f32_e32 v3, v3
	s_delay_alu instid0(VALU_DEP_1) | instskip(NEXT) | instid1(VALU_DEP_1)
	v_mul_lo_u32 v4, s8, v3
	v_mul_hi_u32 v4, v3, v4
	s_delay_alu instid0(VALU_DEP_1) | instskip(NEXT) | instid1(VALU_DEP_1)
	v_add_nc_u32_e32 v3, v3, v4
	v_mul_hi_u32 v3, s26, v3
	s_delay_alu instid0(VALU_DEP_1) | instskip(NEXT) | instid1(VALU_DEP_1)
	v_mul_lo_u32 v3, v3, s33
	v_sub_nc_u32_e32 v3, s26, v3
	s_delay_alu instid0(VALU_DEP_1) | instskip(SKIP_1) | instid1(VALU_DEP_2)
	v_subrev_nc_u32_e32 v4, s33, v3
	v_cmp_le_u32_e32 vcc_lo, s33, v3
	v_cndmask_b32_e32 v3, v3, v4, vcc_lo
	s_delay_alu instid0(VALU_DEP_1) | instskip(SKIP_1) | instid1(VALU_DEP_2)
	v_subrev_nc_u32_e32 v4, s33, v3
	v_cmp_le_u32_e32 vcc_lo, s33, v3
	v_cndmask_b32_e32 v18, v3, v4, vcc_lo
	s_delay_alu instid0(VALU_DEP_1)
	v_dual_mov_b32 v3, v18 :: v_dual_mov_b32 v4, v19
.LBB156_133:                            ;   in Loop: Header=BB156_6 Depth=1
	s_delay_alu instid0(VALU_DEP_1) | instskip(NEXT) | instid1(VALU_DEP_2)
	v_sub_co_u32 v37, vcc_lo, s26, v3
	v_sub_co_ci_u32_e32 v38, vcc_lo, s9, v4, vcc_lo
	s_mov_b32 s9, 0
	s_mov_b32 s8, exec_lo
                                        ; implicit-def: $vgpr10_vgpr11
	s_delay_alu instid0(VALU_DEP_1)
	v_cmpx_gt_u64_e64 v[37:38], v[0:1]
	s_cbranch_execz .LBB156_145
; %bb.134:                              ;   in Loop: Header=BB156_6 Depth=1
	v_mov_b32_e32 v40, v1
	v_dual_mov_b32 v18, v45 :: v_dual_mov_b32 v39, v0
	s_mov_b32 s26, 0
                                        ; implicit-def: $sgpr9
	s_set_inst_prefetch_distance 0x1
	s_branch .LBB156_136
	.p2align	6
.LBB156_135:                            ;   in Loop: Header=BB156_136 Depth=2
	s_or_b32 exec_lo, exec_lo, s62
	s_waitcnt lgkmcnt(0)
	s_barrier
	buffer_gl0_inv
	ds_load_b128 v[8:11], v19 offset:3072
	v_add_co_u32 v39, vcc_lo, v39, s33
	v_add_co_ci_u32_e32 v40, vcc_lo, 0, v40, vcc_lo
	v_add_nc_u32_e32 v18, s84, v18
	s_waitcnt lgkmcnt(0)
	s_barrier
	s_delay_alu instid0(VALU_DEP_2) | instskip(SKIP_3) | instid1(VALU_DEP_1)
	v_cmp_ge_u64_e32 vcc_lo, v[39:40], v[37:38]
	buffer_gl0_inv
	v_readfirstlane_b32 s73, v9
	v_readfirstlane_b32 s72, v8
	s_cmp_lg_u64 s[72:73], 0
	s_cselect_b32 s62, -1, 0
	s_delay_alu instid0(SALU_CYCLE_1) | instskip(NEXT) | instid1(SALU_CYCLE_1)
	s_or_b32 s67, vcc_lo, s62
	s_and_b32 s67, exec_lo, s67
	s_delay_alu instid0(SALU_CYCLE_1) | instskip(SKIP_2) | instid1(SALU_CYCLE_1)
	s_or_b32 s26, s67, s26
	s_and_not1_b32 s9, s9, exec_lo
	s_and_b32 s62, s62, exec_lo
	s_or_b32 s9, s9, s62
	s_and_not1_b32 exec_lo, exec_lo, s26
	s_cbranch_execz .LBB156_144
.LBB156_136:                            ;   Parent Loop BB156_6 Depth=1
                                        ; =>  This Inner Loop Header: Depth=2
	s_delay_alu instid0(VALU_DEP_1)
	v_cmp_gt_u64_e32 vcc_lo, s[22:23], v[39:40]
	v_mov_b32_e32 v4, 0
	v_mov_b32_e32 v5, 0
	s_and_saveexec_b32 s62, vcc_lo
	s_cbranch_execz .LBB156_138
; %bb.137:                              ;   in Loop: Header=BB156_136 Depth=2
	ds_load_b64 v[4:5], v18
.LBB156_138:                            ;   in Loop: Header=BB156_136 Depth=2
	s_or_b32 exec_lo, exec_lo, s62
	s_and_saveexec_b32 s62, vcc_lo
	s_cbranch_execz .LBB156_135
; %bb.139:                              ;   in Loop: Header=BB156_136 Depth=2
	s_waitcnt lgkmcnt(0)
	v_xor_b32_e32 v3, 0x80000000, v5
	v_and_b32_e32 v8, v4, v14
	s_delay_alu instid0(VALU_DEP_2) | instskip(NEXT) | instid1(VALU_DEP_1)
	v_and_b32_e32 v9, v3, v15
	v_cmp_eq_u64_e32 vcc_lo, v[8:9], v[12:13]
	s_and_b32 exec_lo, exec_lo, vcc_lo
	s_cbranch_execz .LBB156_135
; %bb.140:                              ;   in Loop: Header=BB156_136 Depth=2
	v_mov_b32_e32 v3, v19
	ds_store_b128 v19, v[2:5] offset:3072
	s_branch .LBB156_135
.LBB156_141:                            ;   in Loop: Header=BB156_6 Depth=1
                                        ; implicit-def: $vgpr3_vgpr4
	s_branch .LBB156_86
.LBB156_142:                            ;   in Loop: Header=BB156_6 Depth=1
                                        ; implicit-def: $vgpr3_vgpr4
	s_branch .LBB156_102
.LBB156_143:                            ;   in Loop: Header=BB156_6 Depth=1
	s_mov_b32 s62, -1
	s_mov_b32 s9, 0
                                        ; implicit-def: $sgpr67
                                        ; implicit-def: $vgpr10_vgpr11
	s_mov_b32 s68, s62
	s_cbranch_execnz .LBB156_146
	s_branch .LBB156_159
.LBB156_144:                            ;   in Loop: Header=BB156_6 Depth=1
	s_set_inst_prefetch_distance 0x2
	s_or_b32 exec_lo, exec_lo, s26
	s_delay_alu instid0(SALU_CYCLE_1)
	s_and_b32 s9, s9, exec_lo
.LBB156_145:                            ;   in Loop: Header=BB156_6 Depth=1
	s_or_b32 exec_lo, exec_lo, s8
	s_mov_b32 s67, -1
	s_mov_b32 s62, 0
	s_delay_alu instid0(SALU_CYCLE_1)
	s_mov_b32 s68, s62
	s_branch .LBB156_159
.LBB156_146:                            ;   in Loop: Header=BB156_6 Depth=1
	s_mov_b32 s26, s55
	s_delay_alu instid0(SALU_CYCLE_1)
	s_cmp_lg_u64 s[26:27], 0
	s_cbranch_scc0 .LBB156_188
; %bb.147:                              ;   in Loop: Header=BB156_6 Depth=1
	v_cvt_f32_u32_e32 v3, s33
	s_sub_u32 s22, 0, s33
	s_subb_u32 s23, 0, 0
	s_delay_alu instid0(VALU_DEP_1) | instskip(NEXT) | instid1(VALU_DEP_1)
	v_fmac_f32_e64 v3, 0, 0x4f800000
	v_rcp_f32_e32 v3, v3
	s_waitcnt_depctr 0xfff
	v_mul_f32_e32 v3, 0x5f7ffffc, v3
	s_delay_alu instid0(VALU_DEP_1) | instskip(NEXT) | instid1(VALU_DEP_1)
	v_mul_f32_e32 v4, 0x2f800000, v3
	v_trunc_f32_e32 v4, v4
	s_delay_alu instid0(VALU_DEP_1) | instskip(SKIP_1) | instid1(VALU_DEP_2)
	v_fmac_f32_e32 v3, 0xcf800000, v4
	v_cvt_u32_f32_e32 v4, v4
	v_cvt_u32_f32_e32 v3, v3
	s_delay_alu instid0(VALU_DEP_2) | instskip(NEXT) | instid1(VALU_DEP_2)
	v_readfirstlane_b32 s8, v4
	v_readfirstlane_b32 s9, v3
	s_delay_alu instid0(VALU_DEP_2) | instskip(NEXT) | instid1(VALU_DEP_1)
	s_mul_i32 s26, s22, s8
	s_mul_hi_u32 s67, s22, s9
	s_mul_i32 s62, s23, s9
	s_add_i32 s26, s67, s26
	s_mul_i32 s68, s22, s9
	s_add_i32 s26, s26, s62
	s_mul_hi_u32 s67, s9, s68
	s_mul_hi_u32 s71, s8, s68
	s_mul_i32 s62, s8, s68
	s_mul_hi_u32 s68, s9, s26
	s_mul_i32 s9, s9, s26
	s_mul_hi_u32 s72, s8, s26
	s_add_u32 s9, s67, s9
	s_addc_u32 s67, 0, s68
	s_add_u32 s9, s9, s62
	s_mul_i32 s26, s8, s26
	s_addc_u32 s9, s67, s71
	s_addc_u32 s62, s72, 0
	s_add_u32 s9, s9, s26
	s_addc_u32 s26, 0, s62
	v_add_co_u32 v3, s9, v3, s9
	s_delay_alu instid0(VALU_DEP_1) | instskip(SKIP_1) | instid1(VALU_DEP_1)
	s_cmp_lg_u32 s9, 0
	s_addc_u32 s8, s8, s26
	v_readfirstlane_b32 s9, v3
	s_mul_i32 s26, s22, s8
	s_delay_alu instid0(VALU_DEP_1)
	s_mul_hi_u32 s62, s22, s9
	s_mul_i32 s23, s23, s9
	s_add_i32 s26, s62, s26
	s_mul_i32 s22, s22, s9
	s_add_i32 s26, s26, s23
	s_mul_hi_u32 s62, s8, s22
	s_mul_i32 s67, s8, s22
	s_mul_hi_u32 s22, s9, s22
	s_mul_hi_u32 s68, s9, s26
	s_mul_i32 s9, s9, s26
	s_mul_hi_u32 s23, s8, s26
	s_add_u32 s9, s22, s9
	s_addc_u32 s22, 0, s68
	s_add_u32 s9, s9, s67
	s_mul_i32 s26, s8, s26
	s_addc_u32 s9, s22, s62
	s_addc_u32 s22, s23, 0
	s_add_u32 s9, s9, s26
	s_addc_u32 s22, 0, s22
	v_add_co_u32 v3, s9, v3, s9
	s_delay_alu instid0(VALU_DEP_1) | instskip(SKIP_1) | instid1(VALU_DEP_1)
	s_cmp_lg_u32 s9, 0
	s_addc_u32 s8, s8, s22
	v_readfirstlane_b32 s9, v3
	s_mul_i32 s23, s78, s8
	s_mul_hi_u32 s22, s78, s8
	s_mul_hi_u32 s26, s27, s8
	s_mul_i32 s8, s27, s8
	s_mul_hi_u32 s62, s78, s9
	s_mul_hi_u32 s67, s27, s9
	s_mul_i32 s9, s27, s9
	s_add_u32 s23, s62, s23
	s_addc_u32 s22, 0, s22
	s_add_u32 s9, s23, s9
	s_addc_u32 s9, s22, s67
	s_addc_u32 s22, s26, 0
	s_add_u32 s8, s9, s8
	s_addc_u32 s9, 0, s22
	s_mul_hi_u32 s22, s33, s8
	s_mul_i32 s8, s33, s8
	s_mul_i32 s9, s33, s9
	v_sub_co_u32 v3, s8, s78, s8
	s_add_i32 s22, s22, s9
	s_cmp_lg_u32 s8, 0
	s_delay_alu instid0(VALU_DEP_1) | instskip(SKIP_2) | instid1(VALU_DEP_1)
	v_sub_co_u32 v4, s8, v3, s33
	s_subb_u32 s9, s27, s22
	s_cmp_lg_u32 s8, 0
	v_cmp_le_u32_e32 vcc_lo, s33, v4
	v_sub_co_u32 v5, s8, v4, s33
	s_subb_u32 s22, s9, 0
	s_cmp_lg_u32 s8, 0
	v_cndmask_b32_e64 v8, 0, -1, vcc_lo
	s_subb_u32 s8, s22, 0
	s_cmp_eq_u32 s22, 0
	v_mov_b32_e32 v10, s8
	s_cselect_b32 vcc_lo, -1, 0
	s_cmp_eq_u32 s9, 0
	v_cndmask_b32_e32 v8, -1, v8, vcc_lo
	v_cmp_le_u32_e32 vcc_lo, s33, v3
	s_cselect_b32 s8, -1, 0
	v_cndmask_b32_e64 v9, 0, -1, vcc_lo
	s_delay_alu instid0(VALU_DEP_3) | instskip(NEXT) | instid1(VALU_DEP_2)
	v_cmp_ne_u32_e32 vcc_lo, 0, v8
	v_cndmask_b32_e64 v8, -1, v9, s8
	v_cndmask_b32_e32 v9, s22, v10, vcc_lo
	v_cndmask_b32_e32 v5, v4, v5, vcc_lo
	s_delay_alu instid0(VALU_DEP_3) | instskip(NEXT) | instid1(VALU_DEP_3)
	v_cmp_ne_u32_e32 vcc_lo, 0, v8
	v_cndmask_b32_e32 v4, s9, v9, vcc_lo
	s_delay_alu instid0(VALU_DEP_3)
	v_cndmask_b32_e32 v3, v3, v5, vcc_lo
	s_cbranch_execnz .LBB156_149
.LBB156_148:                            ;   in Loop: Header=BB156_6 Depth=1
	v_cvt_f32_u32_e32 v3, s33
	s_sub_i32 s8, 0, s33
	s_delay_alu instid0(VALU_DEP_1) | instskip(SKIP_2) | instid1(VALU_DEP_1)
	v_rcp_iflag_f32_e32 v3, v3
	s_waitcnt_depctr 0xfff
	v_mul_f32_e32 v3, 0x4f7ffffe, v3
	v_cvt_u32_f32_e32 v3, v3
	s_delay_alu instid0(VALU_DEP_1) | instskip(NEXT) | instid1(VALU_DEP_1)
	v_mul_lo_u32 v4, s8, v3
	v_mul_hi_u32 v4, v3, v4
	s_delay_alu instid0(VALU_DEP_1) | instskip(NEXT) | instid1(VALU_DEP_1)
	v_add_nc_u32_e32 v3, v3, v4
	v_mul_hi_u32 v3, s78, v3
	s_delay_alu instid0(VALU_DEP_1) | instskip(NEXT) | instid1(VALU_DEP_1)
	v_mul_lo_u32 v3, v3, s33
	v_sub_nc_u32_e32 v3, s78, v3
	s_delay_alu instid0(VALU_DEP_1) | instskip(SKIP_1) | instid1(VALU_DEP_2)
	v_subrev_nc_u32_e32 v4, s33, v3
	v_cmp_le_u32_e32 vcc_lo, s33, v3
	v_cndmask_b32_e32 v3, v3, v4, vcc_lo
	s_delay_alu instid0(VALU_DEP_1) | instskip(SKIP_1) | instid1(VALU_DEP_2)
	v_subrev_nc_u32_e32 v4, s33, v3
	v_cmp_le_u32_e32 vcc_lo, s33, v3
	v_cndmask_b32_e32 v18, v3, v4, vcc_lo
	s_delay_alu instid0(VALU_DEP_1)
	v_dual_mov_b32 v3, v18 :: v_dual_mov_b32 v4, v19
.LBB156_149:                            ;   in Loop: Header=BB156_6 Depth=1
	s_delay_alu instid0(VALU_DEP_1) | instskip(NEXT) | instid1(VALU_DEP_2)
	v_sub_co_u32 v37, vcc_lo, s78, v3
	v_sub_co_ci_u32_e32 v38, vcc_lo, s27, v4, vcc_lo
	s_mov_b32 s9, 0
	s_mov_b32 s8, exec_lo
                                        ; implicit-def: $vgpr10_vgpr11
	s_delay_alu instid0(VALU_DEP_1)
	v_cmpx_gt_u64_e64 v[37:38], v[0:1]
	s_cbranch_execz .LBB156_158
; %bb.150:                              ;   in Loop: Header=BB156_6 Depth=1
	v_dual_mov_b32 v40, v17 :: v_dual_mov_b32 v39, v16
	v_dual_mov_b32 v42, v1 :: v_dual_mov_b32 v41, v0
	s_mov_b32 s22, 0
                                        ; implicit-def: $sgpr9
	s_set_inst_prefetch_distance 0x1
	s_branch .LBB156_152
	.p2align	6
.LBB156_151:                            ;   in Loop: Header=BB156_152 Depth=2
	s_or_b32 exec_lo, exec_lo, s23
	s_waitcnt vmcnt(0) lgkmcnt(0)
	s_barrier
	buffer_gl0_inv
	ds_load_b128 v[8:11], v19 offset:3072
	v_add_co_u32 v41, vcc_lo, v41, s33
	v_add_co_ci_u32_e32 v42, vcc_lo, 0, v42, vcc_lo
	s_waitcnt lgkmcnt(0)
	s_barrier
	buffer_gl0_inv
	v_cmp_ge_u64_e32 vcc_lo, v[41:42], v[37:38]
	v_readfirstlane_b32 s73, v9
	v_readfirstlane_b32 s72, v8
	s_delay_alu instid0(VALU_DEP_1) | instskip(SKIP_1) | instid1(SALU_CYCLE_1)
	s_cmp_lg_u64 s[72:73], 0
	s_cselect_b32 s23, -1, 0
	s_or_b32 s26, vcc_lo, s23
	v_add_co_u32 v39, vcc_lo, v39, s34
	s_and_b32 s26, exec_lo, s26
	v_add_co_ci_u32_e32 v40, vcc_lo, s35, v40, vcc_lo
	s_or_b32 s22, s26, s22
	s_and_not1_b32 s9, s9, exec_lo
	s_and_b32 s23, s23, exec_lo
	s_delay_alu instid0(SALU_CYCLE_1)
	s_or_b32 s9, s9, s23
	s_and_not1_b32 exec_lo, exec_lo, s22
	s_cbranch_execz .LBB156_157
.LBB156_152:                            ;   Parent Loop BB156_6 Depth=1
                                        ; =>  This Inner Loop Header: Depth=2
	s_delay_alu instid0(VALU_DEP_1)
	v_cmp_gt_u64_e32 vcc_lo, s[28:29], v[41:42]
	v_mov_b32_e32 v4, 0
	v_mov_b32_e32 v5, 0
	s_and_saveexec_b32 s23, vcc_lo
	s_cbranch_execz .LBB156_154
; %bb.153:                              ;   in Loop: Header=BB156_152 Depth=2
	global_load_b64 v[4:5], v[39:40], off
.LBB156_154:                            ;   in Loop: Header=BB156_152 Depth=2
	s_or_b32 exec_lo, exec_lo, s23
	s_and_saveexec_b32 s23, vcc_lo
	s_cbranch_execz .LBB156_151
; %bb.155:                              ;   in Loop: Header=BB156_152 Depth=2
	s_waitcnt vmcnt(0)
	v_xor_b32_e32 v3, 0x80000000, v5
	v_and_b32_e32 v8, v4, v14
	s_delay_alu instid0(VALU_DEP_2) | instskip(NEXT) | instid1(VALU_DEP_1)
	v_and_b32_e32 v9, v3, v15
	v_cmp_eq_u64_e32 vcc_lo, v[8:9], v[12:13]
	s_and_b32 exec_lo, exec_lo, vcc_lo
	s_cbranch_execz .LBB156_151
; %bb.156:                              ;   in Loop: Header=BB156_152 Depth=2
	v_mov_b32_e32 v3, v19
	ds_store_b128 v19, v[2:5] offset:3072
	s_branch .LBB156_151
.LBB156_157:                            ;   in Loop: Header=BB156_6 Depth=1
	s_set_inst_prefetch_distance 0x2
	s_or_b32 exec_lo, exec_lo, s22
	s_delay_alu instid0(SALU_CYCLE_1)
	s_and_b32 s9, s9, exec_lo
.LBB156_158:                            ;   in Loop: Header=BB156_6 Depth=1
	s_or_b32 exec_lo, exec_lo, s8
	s_mov_b32 s68, -1
	s_mov_b32 s62, 0
	s_mov_b32 s67, 0
.LBB156_159:                            ;   in Loop: Header=BB156_6 Depth=1
	s_or_not1_b32 s8, s9, exec_lo
.LBB156_160:                            ;   in Loop: Header=BB156_6 Depth=1
	s_or_b32 exec_lo, exec_lo, s69
	s_mov_b32 s26, 0
                                        ; implicit-def: $vgpr5
	s_and_saveexec_b32 s69, s8
	s_cbranch_execz .LBB156_273
; %bb.161:                              ;   in Loop: Header=BB156_6 Depth=1
	v_mov_b32_e32 v37, 1
	v_dual_mov_b32 v38, 0 :: v_dual_mov_b32 v5, 1
	s_xor_b32 s9, s70, -1
	s_delay_alu instid0(SALU_CYCLE_1)
	s_and_saveexec_b32 s8, s9
	s_cbranch_execz .LBB156_171
; %bb.162:                              ;   in Loop: Header=BB156_6 Depth=1
	s_mov_b32 s22, exec_lo
                                        ; implicit-def: $sgpr23
                                        ; implicit-def: $sgpr9
	v_cmpx_ge_u64_e64 s[16:17], v[35:36]
	s_xor_b32 s22, exec_lo, s22
	s_cbranch_execz .LBB156_168
; %bb.163:                              ;   in Loop: Header=BB156_6 Depth=1
	ds_load_b64 v[3:4], v19 offset:5120
	s_waitcnt lgkmcnt(0)
	v_cmp_ne_u64_e32 vcc_lo, 0, v[3:4]
	s_cbranch_vccnz .LBB156_167
; %bb.164:                              ;   in Loop: Header=BB156_6 Depth=1
	s_and_saveexec_b32 s9, s5
	s_cbranch_execz .LBB156_166
; %bb.165:                              ;   in Loop: Header=BB156_6 Depth=1
	v_dual_mov_b32 v3, s16 :: v_dual_mov_b32 v4, s17
	ds_store_b64 v19, v[3:4] offset:5128
.LBB156_166:                            ;   in Loop: Header=BB156_6 Depth=1
	s_or_b32 exec_lo, exec_lo, s9
	s_waitcnt lgkmcnt(0)
	s_barrier
	buffer_gl0_inv
.LBB156_167:                            ;   in Loop: Header=BB156_6 Depth=1
	v_and_b32_e32 v3, s15, v13
	v_and_b32_e32 v4, s14, v12
	s_lshl_b64 s[70:71], 1, s24
	v_or_b32_e32 v15, s13, v15
	v_or_b32_e32 v14, s12, v14
	;; [unrolled: 1-line block ×4, first 2 shown]
	s_mov_b32 s9, 0
	s_mov_b32 s23, 8
.LBB156_168:                            ;   in Loop: Header=BB156_6 Depth=1
	s_or_saveexec_b32 s22, s22
	v_mov_b32_e32 v5, s23
	s_xor_b32 exec_lo, exec_lo, s22
; %bb.169:                              ;   in Loop: Header=BB156_6 Depth=1
	v_sub_co_u32 v35, vcc_lo, v35, s16
	v_subrev_co_ci_u32_e32 v36, vcc_lo, s17, v36, vcc_lo
	v_mov_b32_e32 v5, 0
	s_or_b32 s9, s9, exec_lo
; %bb.170:                              ;   in Loop: Header=BB156_6 Depth=1
	s_or_b32 exec_lo, exec_lo, s22
	s_delay_alu instid0(VALU_DEP_2)
	v_dual_mov_b32 v38, v36 :: v_dual_mov_b32 v37, v35
	s_and_b32 s26, s9, exec_lo
.LBB156_171:                            ;   in Loop: Header=BB156_6 Depth=1
	s_or_b32 exec_lo, exec_lo, s8
	s_mov_b32 s8, -1
                                        ; implicit-def: $sgpr9
                                        ; implicit-def: $sgpr22
                                        ; implicit-def: $sgpr23
	s_and_saveexec_b32 s70, s26
	s_cbranch_execz .LBB156_272
; %bb.172:                              ;   in Loop: Header=BB156_6 Depth=1
	v_cmp_eq_u64_e32 vcc_lo, 1, v[37:38]
	s_cmp_eq_u64 s[18:19], 1
                                        ; implicit-def: $sgpr71
                                        ; implicit-def: $sgpr73
                                        ; implicit-def: $sgpr72
	s_cselect_b32 s8, -1, 0
	s_delay_alu instid0(SALU_CYCLE_1)
	s_and_b32 s99, s8, vcc_lo
	s_mov_b32 s8, -1
	s_and_saveexec_b32 s98, s99
	s_cbranch_execz .LBB156_206
; %bb.173:                              ;   in Loop: Header=BB156_6 Depth=1
	ds_load_b64 v[3:4], v19 offset:5120
	s_waitcnt lgkmcnt(0)
	s_barrier
	buffer_gl0_inv
	v_readfirstlane_b32 s22, v3
	v_readfirstlane_b32 s23, v4
	s_and_saveexec_b32 s8, s6
	s_cbranch_execz .LBB156_175
; %bb.174:                              ;   in Loop: Header=BB156_6 Depth=1
	v_mov_b32_e32 v18, v19
	ds_store_b64 v47, v[18:19]
.LBB156_175:                            ;   in Loop: Header=BB156_6 Depth=1
	s_or_b32 exec_lo, exec_lo, s8
	v_and_b32_e32 v3, s15, v13
	v_and_b32_e32 v4, s14, v12
	s_lshl_b64 s[8:9], 2, s24
	v_or_b32_e32 v15, s13, v15
	v_or_b32_e32 v14, s12, v14
	;; [unrolled: 1-line block ×4, first 2 shown]
	s_cmp_eq_u64 s[22:23], 0
	s_waitcnt lgkmcnt(0)
	s_barrier
	buffer_gl0_inv
	s_cbranch_scc1 .LBB156_189
; %bb.176:                              ;   in Loop: Header=BB156_6 Depth=1
	s_add_u32 s26, s76, s22
	s_addc_u32 s9, s77, s23
	s_mov_b32 s8, s55
	s_delay_alu instid0(SALU_CYCLE_1)
	s_cmp_lg_u64 s[8:9], 0
	s_cbranch_scc0 .LBB156_224
; %bb.177:                              ;   in Loop: Header=BB156_6 Depth=1
	v_cvt_f32_u32_e32 v3, s33
	s_sub_u32 s72, 0, s33
	s_subb_u32 s73, 0, 0
	s_delay_alu instid0(VALU_DEP_1) | instskip(NEXT) | instid1(VALU_DEP_1)
	v_fmac_f32_e64 v3, 0, 0x4f800000
	v_rcp_f32_e32 v3, v3
	s_waitcnt_depctr 0xfff
	v_mul_f32_e32 v3, 0x5f7ffffc, v3
	s_delay_alu instid0(VALU_DEP_1) | instskip(NEXT) | instid1(VALU_DEP_1)
	v_mul_f32_e32 v4, 0x2f800000, v3
	v_trunc_f32_e32 v4, v4
	s_delay_alu instid0(VALU_DEP_1) | instskip(SKIP_1) | instid1(VALU_DEP_2)
	v_fmac_f32_e32 v3, 0xcf800000, v4
	v_cvt_u32_f32_e32 v4, v4
	v_cvt_u32_f32_e32 v3, v3
	s_delay_alu instid0(VALU_DEP_2) | instskip(NEXT) | instid1(VALU_DEP_2)
	v_readfirstlane_b32 s8, v4
	v_readfirstlane_b32 s71, v3
	s_delay_alu instid0(VALU_DEP_2) | instskip(NEXT) | instid1(VALU_DEP_1)
	s_mul_i32 s100, s72, s8
	s_mul_hi_u32 s102, s72, s71
	s_mul_i32 s101, s73, s71
	s_add_i32 s100, s102, s100
	s_mul_i32 s103, s72, s71
	s_add_i32 s100, s100, s101
	s_mul_hi_u32 s102, s71, s103
	s_mul_hi_u32 s104, s8, s103
	s_mul_i32 s101, s8, s103
	s_mul_hi_u32 s103, s71, s100
	s_mul_i32 s71, s71, s100
	s_mul_hi_u32 vcc_lo, s8, s100
	s_add_u32 s71, s102, s71
	s_addc_u32 s102, 0, s103
	s_add_u32 s71, s71, s101
	s_mul_i32 s100, s8, s100
	s_addc_u32 s71, s102, s104
	s_addc_u32 s101, vcc_lo, 0
	s_add_u32 s71, s71, s100
	s_addc_u32 s100, 0, s101
	v_add_co_u32 v3, s71, v3, s71
	s_delay_alu instid0(VALU_DEP_1) | instskip(SKIP_1) | instid1(VALU_DEP_1)
	s_cmp_lg_u32 s71, 0
	s_addc_u32 s8, s8, s100
	v_readfirstlane_b32 s71, v3
	s_mul_i32 s100, s72, s8
	s_delay_alu instid0(VALU_DEP_1)
	s_mul_hi_u32 s101, s72, s71
	s_mul_i32 s73, s73, s71
	s_add_i32 s100, s101, s100
	s_mul_i32 s72, s72, s71
	s_add_i32 s100, s100, s73
	s_mul_hi_u32 s101, s8, s72
	s_mul_i32 s102, s8, s72
	s_mul_hi_u32 s72, s71, s72
	s_mul_hi_u32 s103, s71, s100
	s_mul_i32 s71, s71, s100
	s_mul_hi_u32 s73, s8, s100
	s_add_u32 s71, s72, s71
	s_addc_u32 s72, 0, s103
	s_add_u32 s71, s71, s102
	s_mul_i32 s100, s8, s100
	s_addc_u32 s71, s72, s101
	s_addc_u32 s72, s73, 0
	s_add_u32 s71, s71, s100
	s_addc_u32 s72, 0, s72
	v_add_co_u32 v3, s71, v3, s71
	s_delay_alu instid0(VALU_DEP_1) | instskip(SKIP_1) | instid1(VALU_DEP_1)
	s_cmp_lg_u32 s71, 0
	s_addc_u32 s8, s8, s72
	v_readfirstlane_b32 s71, v3
	s_mul_i32 s73, s26, s8
	s_mul_hi_u32 s72, s26, s8
	s_mul_hi_u32 s100, s9, s8
	s_mul_i32 s8, s9, s8
	s_mul_hi_u32 s101, s26, s71
	s_mul_hi_u32 s102, s9, s71
	s_mul_i32 s71, s9, s71
	s_add_u32 s73, s101, s73
	s_addc_u32 s72, 0, s72
	s_add_u32 s71, s73, s71
	s_addc_u32 s71, s72, s102
	s_addc_u32 s72, s100, 0
	s_add_u32 s8, s71, s8
	s_addc_u32 s71, 0, s72
	s_mul_hi_u32 s72, s33, s8
	s_mul_i32 s8, s33, s8
	s_mul_i32 s71, s33, s71
	v_sub_co_u32 v3, s8, s26, s8
	s_add_i32 s72, s72, s71
	s_cmp_lg_u32 s8, 0
	s_delay_alu instid0(VALU_DEP_1) | instskip(SKIP_2) | instid1(VALU_DEP_1)
	v_sub_co_u32 v4, s8, v3, s33
	s_subb_u32 s71, s9, s72
	s_cmp_lg_u32 s8, 0
	v_cmp_le_u32_e32 vcc_lo, s33, v4
	v_sub_co_u32 v5, s8, v4, s33
	s_subb_u32 s72, s71, 0
	s_cmp_lg_u32 s8, 0
	v_cndmask_b32_e64 v8, 0, -1, vcc_lo
	s_subb_u32 s8, s72, 0
	s_cmp_eq_u32 s72, 0
	v_mov_b32_e32 v10, s8
	s_cselect_b32 vcc_lo, -1, 0
	s_cmp_eq_u32 s71, 0
	v_cndmask_b32_e32 v8, -1, v8, vcc_lo
	v_cmp_le_u32_e32 vcc_lo, s33, v3
	s_cselect_b32 s8, -1, 0
	v_cndmask_b32_e64 v9, 0, -1, vcc_lo
	s_delay_alu instid0(VALU_DEP_3) | instskip(NEXT) | instid1(VALU_DEP_2)
	v_cmp_ne_u32_e32 vcc_lo, 0, v8
	v_cndmask_b32_e64 v8, -1, v9, s8
	v_cndmask_b32_e32 v9, s72, v10, vcc_lo
	v_cndmask_b32_e32 v5, v4, v5, vcc_lo
	s_delay_alu instid0(VALU_DEP_3) | instskip(NEXT) | instid1(VALU_DEP_3)
	v_cmp_ne_u32_e32 vcc_lo, 0, v8
	v_cndmask_b32_e32 v4, s71, v9, vcc_lo
	s_delay_alu instid0(VALU_DEP_3)
	v_cndmask_b32_e32 v3, v3, v5, vcc_lo
	s_cbranch_execnz .LBB156_179
.LBB156_178:                            ;   in Loop: Header=BB156_6 Depth=1
	v_cvt_f32_u32_e32 v3, s33
	s_sub_i32 s8, 0, s33
	s_delay_alu instid0(VALU_DEP_1) | instskip(SKIP_2) | instid1(VALU_DEP_1)
	v_rcp_iflag_f32_e32 v3, v3
	s_waitcnt_depctr 0xfff
	v_mul_f32_e32 v3, 0x4f7ffffe, v3
	v_cvt_u32_f32_e32 v3, v3
	s_delay_alu instid0(VALU_DEP_1) | instskip(NEXT) | instid1(VALU_DEP_1)
	v_mul_lo_u32 v4, s8, v3
	v_mul_hi_u32 v4, v3, v4
	s_delay_alu instid0(VALU_DEP_1) | instskip(NEXT) | instid1(VALU_DEP_1)
	v_add_nc_u32_e32 v3, v3, v4
	v_mul_hi_u32 v3, s26, v3
	s_delay_alu instid0(VALU_DEP_1) | instskip(NEXT) | instid1(VALU_DEP_1)
	v_mul_lo_u32 v3, v3, s33
	v_sub_nc_u32_e32 v3, s26, v3
	s_delay_alu instid0(VALU_DEP_1) | instskip(SKIP_1) | instid1(VALU_DEP_2)
	v_subrev_nc_u32_e32 v4, s33, v3
	v_cmp_le_u32_e32 vcc_lo, s33, v3
	v_cndmask_b32_e32 v3, v3, v4, vcc_lo
	s_delay_alu instid0(VALU_DEP_1) | instskip(SKIP_1) | instid1(VALU_DEP_2)
	v_subrev_nc_u32_e32 v4, s33, v3
	v_cmp_le_u32_e32 vcc_lo, s33, v3
	v_cndmask_b32_e32 v18, v3, v4, vcc_lo
	s_delay_alu instid0(VALU_DEP_1)
	v_dual_mov_b32 v3, v18 :: v_dual_mov_b32 v4, v19
.LBB156_179:                            ;   in Loop: Header=BB156_6 Depth=1
	s_delay_alu instid0(VALU_DEP_1) | instskip(NEXT) | instid1(VALU_DEP_2)
	v_sub_co_u32 v35, vcc_lo, s26, v3
	v_sub_co_ci_u32_e32 v36, vcc_lo, s9, v4, vcc_lo
	s_mov_b32 s9, 0
	s_mov_b32 s8, exec_lo
                                        ; implicit-def: $vgpr10_vgpr11
	s_delay_alu instid0(VALU_DEP_1)
	v_cmpx_gt_u64_e64 v[35:36], v[0:1]
	s_cbranch_execz .LBB156_191
; %bb.180:                              ;   in Loop: Header=BB156_6 Depth=1
	v_mov_b32_e32 v40, v1
	v_dual_mov_b32 v18, v45 :: v_dual_mov_b32 v39, v0
	s_mov_b32 s26, 0
                                        ; implicit-def: $sgpr9
	s_set_inst_prefetch_distance 0x1
	s_branch .LBB156_182
	.p2align	6
.LBB156_181:                            ;   in Loop: Header=BB156_182 Depth=2
	s_or_b32 exec_lo, exec_lo, s71
	s_waitcnt lgkmcnt(0)
	s_barrier
	buffer_gl0_inv
	ds_load_b128 v[8:11], v19 offset:3072
	v_add_co_u32 v39, vcc_lo, v39, s33
	v_add_co_ci_u32_e32 v40, vcc_lo, 0, v40, vcc_lo
	v_add_nc_u32_e32 v18, s84, v18
	s_waitcnt lgkmcnt(0)
	s_barrier
	s_delay_alu instid0(VALU_DEP_2) | instskip(SKIP_3) | instid1(VALU_DEP_1)
	v_cmp_ge_u64_e32 vcc_lo, v[39:40], v[35:36]
	buffer_gl0_inv
	v_readfirstlane_b32 s73, v9
	v_readfirstlane_b32 s72, v8
	s_cmp_lg_u64 s[72:73], 0
	s_cselect_b32 s71, -1, 0
	s_delay_alu instid0(SALU_CYCLE_1) | instskip(NEXT) | instid1(SALU_CYCLE_1)
	s_or_b32 s72, vcc_lo, s71
	s_and_b32 s72, exec_lo, s72
	s_delay_alu instid0(SALU_CYCLE_1) | instskip(SKIP_2) | instid1(SALU_CYCLE_1)
	s_or_b32 s26, s72, s26
	s_and_not1_b32 s9, s9, exec_lo
	s_and_b32 s71, s71, exec_lo
	s_or_b32 s9, s9, s71
	s_and_not1_b32 exec_lo, exec_lo, s26
	s_cbranch_execz .LBB156_190
.LBB156_182:                            ;   Parent Loop BB156_6 Depth=1
                                        ; =>  This Inner Loop Header: Depth=2
	s_delay_alu instid0(VALU_DEP_1)
	v_cmp_gt_u64_e32 vcc_lo, s[22:23], v[39:40]
	v_mov_b32_e32 v4, 0
	v_mov_b32_e32 v5, 0
	s_and_saveexec_b32 s71, vcc_lo
	s_cbranch_execz .LBB156_184
; %bb.183:                              ;   in Loop: Header=BB156_182 Depth=2
	ds_load_b64 v[4:5], v18
.LBB156_184:                            ;   in Loop: Header=BB156_182 Depth=2
	s_or_b32 exec_lo, exec_lo, s71
	s_and_saveexec_b32 s71, vcc_lo
	s_cbranch_execz .LBB156_181
; %bb.185:                              ;   in Loop: Header=BB156_182 Depth=2
	s_waitcnt lgkmcnt(0)
	v_xor_b32_e32 v3, 0x80000000, v5
	v_and_b32_e32 v8, v4, v14
	s_delay_alu instid0(VALU_DEP_2) | instskip(NEXT) | instid1(VALU_DEP_1)
	v_and_b32_e32 v9, v3, v15
	v_cmp_eq_u64_e32 vcc_lo, v[8:9], v[12:13]
	s_and_b32 exec_lo, exec_lo, vcc_lo
	s_cbranch_execz .LBB156_181
; %bb.186:                              ;   in Loop: Header=BB156_182 Depth=2
	v_mov_b32_e32 v3, v19
	ds_store_b128 v19, v[2:5] offset:3072
	s_branch .LBB156_181
.LBB156_187:                            ;   in Loop: Header=BB156_6 Depth=1
                                        ; implicit-def: $vgpr3_vgpr4
	s_branch .LBB156_132
.LBB156_188:                            ;   in Loop: Header=BB156_6 Depth=1
                                        ; implicit-def: $vgpr3_vgpr4
	s_branch .LBB156_148
.LBB156_189:                            ;   in Loop: Header=BB156_6 Depth=1
	s_mov_b32 s71, -1
	s_mov_b32 s9, 0
                                        ; implicit-def: $sgpr72
                                        ; implicit-def: $vgpr10_vgpr11
	s_mov_b32 s73, s71
	s_cbranch_execnz .LBB156_192
	s_branch .LBB156_205
.LBB156_190:                            ;   in Loop: Header=BB156_6 Depth=1
	s_set_inst_prefetch_distance 0x2
	s_or_b32 exec_lo, exec_lo, s26
	s_delay_alu instid0(SALU_CYCLE_1)
	s_and_b32 s9, s9, exec_lo
.LBB156_191:                            ;   in Loop: Header=BB156_6 Depth=1
	s_or_b32 exec_lo, exec_lo, s8
	s_mov_b32 s72, -1
	s_mov_b32 s71, 0
	s_delay_alu instid0(SALU_CYCLE_1)
	s_mov_b32 s73, s71
	s_branch .LBB156_205
.LBB156_192:                            ;   in Loop: Header=BB156_6 Depth=1
	s_mov_b32 s26, s55
	s_delay_alu instid0(SALU_CYCLE_1)
	s_cmp_lg_u64 s[26:27], 0
	s_cbranch_scc0 .LBB156_225
; %bb.193:                              ;   in Loop: Header=BB156_6 Depth=1
	v_cvt_f32_u32_e32 v3, s33
	s_sub_u32 s22, 0, s33
	s_subb_u32 s23, 0, 0
	s_delay_alu instid0(VALU_DEP_1) | instskip(NEXT) | instid1(VALU_DEP_1)
	v_fmac_f32_e64 v3, 0, 0x4f800000
	v_rcp_f32_e32 v3, v3
	s_waitcnt_depctr 0xfff
	v_mul_f32_e32 v3, 0x5f7ffffc, v3
	s_delay_alu instid0(VALU_DEP_1) | instskip(NEXT) | instid1(VALU_DEP_1)
	v_mul_f32_e32 v4, 0x2f800000, v3
	v_trunc_f32_e32 v4, v4
	s_delay_alu instid0(VALU_DEP_1) | instskip(SKIP_1) | instid1(VALU_DEP_2)
	v_fmac_f32_e32 v3, 0xcf800000, v4
	v_cvt_u32_f32_e32 v4, v4
	v_cvt_u32_f32_e32 v3, v3
	s_delay_alu instid0(VALU_DEP_2) | instskip(NEXT) | instid1(VALU_DEP_2)
	v_readfirstlane_b32 s8, v4
	v_readfirstlane_b32 s9, v3
	s_delay_alu instid0(VALU_DEP_2) | instskip(NEXT) | instid1(VALU_DEP_1)
	s_mul_i32 s26, s22, s8
	s_mul_hi_u32 s72, s22, s9
	s_mul_i32 s71, s23, s9
	s_add_i32 s26, s72, s26
	s_mul_i32 s73, s22, s9
	s_add_i32 s26, s26, s71
	s_mul_hi_u32 s72, s9, s73
	s_mul_hi_u32 s100, s8, s73
	s_mul_i32 s71, s8, s73
	s_mul_hi_u32 s73, s9, s26
	s_mul_i32 s9, s9, s26
	s_mul_hi_u32 s101, s8, s26
	s_add_u32 s9, s72, s9
	s_addc_u32 s72, 0, s73
	s_add_u32 s9, s9, s71
	s_mul_i32 s26, s8, s26
	s_addc_u32 s9, s72, s100
	s_addc_u32 s71, s101, 0
	s_add_u32 s9, s9, s26
	s_addc_u32 s26, 0, s71
	v_add_co_u32 v3, s9, v3, s9
	s_delay_alu instid0(VALU_DEP_1) | instskip(SKIP_1) | instid1(VALU_DEP_1)
	s_cmp_lg_u32 s9, 0
	s_addc_u32 s8, s8, s26
	v_readfirstlane_b32 s9, v3
	s_mul_i32 s26, s22, s8
	s_delay_alu instid0(VALU_DEP_1)
	s_mul_hi_u32 s71, s22, s9
	s_mul_i32 s23, s23, s9
	s_add_i32 s26, s71, s26
	s_mul_i32 s22, s22, s9
	s_add_i32 s26, s26, s23
	s_mul_hi_u32 s71, s8, s22
	s_mul_i32 s72, s8, s22
	s_mul_hi_u32 s22, s9, s22
	s_mul_hi_u32 s73, s9, s26
	s_mul_i32 s9, s9, s26
	s_mul_hi_u32 s23, s8, s26
	s_add_u32 s9, s22, s9
	s_addc_u32 s22, 0, s73
	s_add_u32 s9, s9, s72
	s_mul_i32 s26, s8, s26
	s_addc_u32 s9, s22, s71
	s_addc_u32 s22, s23, 0
	s_add_u32 s9, s9, s26
	s_addc_u32 s22, 0, s22
	v_add_co_u32 v3, s9, v3, s9
	s_delay_alu instid0(VALU_DEP_1) | instskip(SKIP_1) | instid1(VALU_DEP_1)
	s_cmp_lg_u32 s9, 0
	s_addc_u32 s8, s8, s22
	v_readfirstlane_b32 s9, v3
	s_mul_i32 s23, s78, s8
	s_mul_hi_u32 s22, s78, s8
	s_mul_hi_u32 s26, s27, s8
	s_mul_i32 s8, s27, s8
	s_mul_hi_u32 s71, s78, s9
	s_mul_hi_u32 s72, s27, s9
	s_mul_i32 s9, s27, s9
	s_add_u32 s23, s71, s23
	s_addc_u32 s22, 0, s22
	s_add_u32 s9, s23, s9
	s_addc_u32 s9, s22, s72
	s_addc_u32 s22, s26, 0
	s_add_u32 s8, s9, s8
	s_addc_u32 s9, 0, s22
	s_mul_hi_u32 s22, s33, s8
	s_mul_i32 s8, s33, s8
	s_mul_i32 s9, s33, s9
	v_sub_co_u32 v3, s8, s78, s8
	s_add_i32 s22, s22, s9
	s_cmp_lg_u32 s8, 0
	s_delay_alu instid0(VALU_DEP_1) | instskip(SKIP_2) | instid1(VALU_DEP_1)
	v_sub_co_u32 v4, s8, v3, s33
	s_subb_u32 s9, s27, s22
	s_cmp_lg_u32 s8, 0
	v_cmp_le_u32_e32 vcc_lo, s33, v4
	v_sub_co_u32 v5, s8, v4, s33
	s_subb_u32 s22, s9, 0
	s_cmp_lg_u32 s8, 0
	v_cndmask_b32_e64 v8, 0, -1, vcc_lo
	s_subb_u32 s8, s22, 0
	s_cmp_eq_u32 s22, 0
	v_mov_b32_e32 v10, s8
	s_cselect_b32 vcc_lo, -1, 0
	s_cmp_eq_u32 s9, 0
	v_cndmask_b32_e32 v8, -1, v8, vcc_lo
	v_cmp_le_u32_e32 vcc_lo, s33, v3
	s_cselect_b32 s8, -1, 0
	v_cndmask_b32_e64 v9, 0, -1, vcc_lo
	s_delay_alu instid0(VALU_DEP_3) | instskip(NEXT) | instid1(VALU_DEP_2)
	v_cmp_ne_u32_e32 vcc_lo, 0, v8
	v_cndmask_b32_e64 v8, -1, v9, s8
	v_cndmask_b32_e32 v9, s22, v10, vcc_lo
	v_cndmask_b32_e32 v5, v4, v5, vcc_lo
	s_delay_alu instid0(VALU_DEP_3) | instskip(NEXT) | instid1(VALU_DEP_3)
	v_cmp_ne_u32_e32 vcc_lo, 0, v8
	v_cndmask_b32_e32 v4, s9, v9, vcc_lo
	s_delay_alu instid0(VALU_DEP_3)
	v_cndmask_b32_e32 v3, v3, v5, vcc_lo
	s_cbranch_execnz .LBB156_195
.LBB156_194:                            ;   in Loop: Header=BB156_6 Depth=1
	v_cvt_f32_u32_e32 v3, s33
	s_sub_i32 s8, 0, s33
	s_delay_alu instid0(VALU_DEP_1) | instskip(SKIP_2) | instid1(VALU_DEP_1)
	v_rcp_iflag_f32_e32 v3, v3
	s_waitcnt_depctr 0xfff
	v_mul_f32_e32 v3, 0x4f7ffffe, v3
	v_cvt_u32_f32_e32 v3, v3
	s_delay_alu instid0(VALU_DEP_1) | instskip(NEXT) | instid1(VALU_DEP_1)
	v_mul_lo_u32 v4, s8, v3
	v_mul_hi_u32 v4, v3, v4
	s_delay_alu instid0(VALU_DEP_1) | instskip(NEXT) | instid1(VALU_DEP_1)
	v_add_nc_u32_e32 v3, v3, v4
	v_mul_hi_u32 v3, s78, v3
	s_delay_alu instid0(VALU_DEP_1) | instskip(NEXT) | instid1(VALU_DEP_1)
	v_mul_lo_u32 v3, v3, s33
	v_sub_nc_u32_e32 v3, s78, v3
	s_delay_alu instid0(VALU_DEP_1) | instskip(SKIP_1) | instid1(VALU_DEP_2)
	v_subrev_nc_u32_e32 v4, s33, v3
	v_cmp_le_u32_e32 vcc_lo, s33, v3
	v_cndmask_b32_e32 v3, v3, v4, vcc_lo
	s_delay_alu instid0(VALU_DEP_1) | instskip(SKIP_1) | instid1(VALU_DEP_2)
	v_subrev_nc_u32_e32 v4, s33, v3
	v_cmp_le_u32_e32 vcc_lo, s33, v3
	v_cndmask_b32_e32 v18, v3, v4, vcc_lo
	s_delay_alu instid0(VALU_DEP_1)
	v_dual_mov_b32 v3, v18 :: v_dual_mov_b32 v4, v19
.LBB156_195:                            ;   in Loop: Header=BB156_6 Depth=1
	s_delay_alu instid0(VALU_DEP_1) | instskip(NEXT) | instid1(VALU_DEP_2)
	v_sub_co_u32 v35, vcc_lo, s78, v3
	v_sub_co_ci_u32_e32 v36, vcc_lo, s27, v4, vcc_lo
	s_mov_b32 s9, 0
	s_mov_b32 s8, exec_lo
                                        ; implicit-def: $vgpr10_vgpr11
	s_delay_alu instid0(VALU_DEP_1)
	v_cmpx_gt_u64_e64 v[35:36], v[0:1]
	s_cbranch_execz .LBB156_204
; %bb.196:                              ;   in Loop: Header=BB156_6 Depth=1
	v_dual_mov_b32 v40, v17 :: v_dual_mov_b32 v39, v16
	v_dual_mov_b32 v42, v1 :: v_dual_mov_b32 v41, v0
	s_mov_b32 s22, 0
                                        ; implicit-def: $sgpr9
	s_set_inst_prefetch_distance 0x1
	s_branch .LBB156_198
	.p2align	6
.LBB156_197:                            ;   in Loop: Header=BB156_198 Depth=2
	s_or_b32 exec_lo, exec_lo, s23
	s_waitcnt vmcnt(0) lgkmcnt(0)
	s_barrier
	buffer_gl0_inv
	ds_load_b128 v[8:11], v19 offset:3072
	v_add_co_u32 v41, vcc_lo, v41, s33
	v_add_co_ci_u32_e32 v42, vcc_lo, 0, v42, vcc_lo
	s_waitcnt lgkmcnt(0)
	s_barrier
	buffer_gl0_inv
	v_cmp_ge_u64_e32 vcc_lo, v[41:42], v[35:36]
	v_readfirstlane_b32 s73, v9
	v_readfirstlane_b32 s72, v8
	s_delay_alu instid0(VALU_DEP_1) | instskip(SKIP_1) | instid1(SALU_CYCLE_1)
	s_cmp_lg_u64 s[72:73], 0
	s_cselect_b32 s23, -1, 0
	s_or_b32 s26, vcc_lo, s23
	v_add_co_u32 v39, vcc_lo, v39, s34
	s_and_b32 s26, exec_lo, s26
	v_add_co_ci_u32_e32 v40, vcc_lo, s35, v40, vcc_lo
	s_or_b32 s22, s26, s22
	s_and_not1_b32 s9, s9, exec_lo
	s_and_b32 s23, s23, exec_lo
	s_delay_alu instid0(SALU_CYCLE_1)
	s_or_b32 s9, s9, s23
	s_and_not1_b32 exec_lo, exec_lo, s22
	s_cbranch_execz .LBB156_203
.LBB156_198:                            ;   Parent Loop BB156_6 Depth=1
                                        ; =>  This Inner Loop Header: Depth=2
	s_delay_alu instid0(VALU_DEP_1)
	v_cmp_gt_u64_e32 vcc_lo, s[28:29], v[41:42]
	v_mov_b32_e32 v4, 0
	v_mov_b32_e32 v5, 0
	s_and_saveexec_b32 s23, vcc_lo
	s_cbranch_execz .LBB156_200
; %bb.199:                              ;   in Loop: Header=BB156_198 Depth=2
	global_load_b64 v[4:5], v[39:40], off
.LBB156_200:                            ;   in Loop: Header=BB156_198 Depth=2
	s_or_b32 exec_lo, exec_lo, s23
	s_and_saveexec_b32 s23, vcc_lo
	s_cbranch_execz .LBB156_197
; %bb.201:                              ;   in Loop: Header=BB156_198 Depth=2
	s_waitcnt vmcnt(0)
	v_xor_b32_e32 v3, 0x80000000, v5
	v_and_b32_e32 v8, v4, v14
	s_delay_alu instid0(VALU_DEP_2) | instskip(NEXT) | instid1(VALU_DEP_1)
	v_and_b32_e32 v9, v3, v15
	v_cmp_eq_u64_e32 vcc_lo, v[8:9], v[12:13]
	s_and_b32 exec_lo, exec_lo, vcc_lo
	s_cbranch_execz .LBB156_197
; %bb.202:                              ;   in Loop: Header=BB156_198 Depth=2
	v_mov_b32_e32 v3, v19
	ds_store_b128 v19, v[2:5] offset:3072
	s_branch .LBB156_197
.LBB156_203:                            ;   in Loop: Header=BB156_6 Depth=1
	s_set_inst_prefetch_distance 0x2
	s_or_b32 exec_lo, exec_lo, s22
	s_delay_alu instid0(SALU_CYCLE_1)
	s_and_b32 s9, s9, exec_lo
.LBB156_204:                            ;   in Loop: Header=BB156_6 Depth=1
	s_or_b32 exec_lo, exec_lo, s8
	s_mov_b32 s73, -1
	s_mov_b32 s71, 0
	s_mov_b32 s72, 0
.LBB156_205:                            ;   in Loop: Header=BB156_6 Depth=1
	s_or_not1_b32 s8, s9, exec_lo
.LBB156_206:                            ;   in Loop: Header=BB156_6 Depth=1
	s_or_b32 exec_lo, exec_lo, s98
	s_mov_b32 s26, 0
                                        ; implicit-def: $vgpr5
	s_and_saveexec_b32 s98, s8
	s_cbranch_execz .LBB156_271
; %bb.207:                              ;   in Loop: Header=BB156_6 Depth=1
	v_mov_b32_e32 v35, 1
	v_dual_mov_b32 v36, 0 :: v_dual_mov_b32 v5, 1
	s_xor_b32 s9, s99, -1
	s_delay_alu instid0(SALU_CYCLE_1)
	s_and_saveexec_b32 s8, s9
	s_cbranch_execz .LBB156_217
; %bb.208:                              ;   in Loop: Header=BB156_6 Depth=1
	s_mov_b32 s22, exec_lo
                                        ; implicit-def: $sgpr23
                                        ; implicit-def: $sgpr9
	v_cmpx_ge_u64_e64 s[18:19], v[37:38]
	s_xor_b32 s22, exec_lo, s22
	s_cbranch_execz .LBB156_214
; %bb.209:                              ;   in Loop: Header=BB156_6 Depth=1
	ds_load_b64 v[3:4], v19 offset:5120
	s_waitcnt lgkmcnt(0)
	v_cmp_ne_u64_e32 vcc_lo, 0, v[3:4]
	s_cbranch_vccnz .LBB156_213
; %bb.210:                              ;   in Loop: Header=BB156_6 Depth=1
	s_and_saveexec_b32 s9, s5
	s_cbranch_execz .LBB156_212
; %bb.211:                              ;   in Loop: Header=BB156_6 Depth=1
	v_dual_mov_b32 v3, s18 :: v_dual_mov_b32 v4, s19
	ds_store_b64 v19, v[3:4] offset:5128
.LBB156_212:                            ;   in Loop: Header=BB156_6 Depth=1
	s_or_b32 exec_lo, exec_lo, s9
	s_waitcnt lgkmcnt(0)
	s_barrier
	buffer_gl0_inv
.LBB156_213:                            ;   in Loop: Header=BB156_6 Depth=1
	v_and_b32_e32 v3, s15, v13
	v_and_b32_e32 v4, s14, v12
	s_lshl_b64 s[100:101], 2, s24
	v_or_b32_e32 v15, s13, v15
	v_or_b32_e32 v14, s12, v14
	;; [unrolled: 1-line block ×4, first 2 shown]
	s_mov_b32 s9, 0
	s_mov_b32 s23, 8
.LBB156_214:                            ;   in Loop: Header=BB156_6 Depth=1
	s_or_saveexec_b32 s22, s22
	v_mov_b32_e32 v5, s23
	s_xor_b32 exec_lo, exec_lo, s22
; %bb.215:                              ;   in Loop: Header=BB156_6 Depth=1
	v_sub_co_u32 v37, vcc_lo, v37, s18
	v_subrev_co_ci_u32_e32 v38, vcc_lo, s19, v38, vcc_lo
	v_mov_b32_e32 v5, 0
	s_or_b32 s9, s9, exec_lo
; %bb.216:                              ;   in Loop: Header=BB156_6 Depth=1
	s_or_b32 exec_lo, exec_lo, s22
	s_delay_alu instid0(VALU_DEP_2)
	v_dual_mov_b32 v35, v37 :: v_dual_mov_b32 v36, v38
	s_and_b32 s26, s9, exec_lo
.LBB156_217:                            ;   in Loop: Header=BB156_6 Depth=1
	s_or_b32 exec_lo, exec_lo, s8
	s_mov_b32 s23, -1
                                        ; implicit-def: $sgpr8
                                        ; implicit-def: $sgpr22
                                        ; implicit-def: $sgpr9
	s_and_saveexec_b32 s99, s26
	s_cbranch_execz .LBB156_270
; %bb.218:                              ;   in Loop: Header=BB156_6 Depth=1
	v_cmp_eq_u64_e32 vcc_lo, 1, v[35:36]
	s_cmp_eq_u64 s[20:21], 1
	s_mov_b32 s26, -1
	s_cselect_b32 s8, -1, 0
                                        ; implicit-def: $sgpr22
                                        ; implicit-def: $sgpr9
	s_delay_alu instid0(SALU_CYCLE_1) | instskip(NEXT) | instid1(SALU_CYCLE_1)
	s_and_b32 s100, s8, vcc_lo
                                        ; implicit-def: $sgpr8
	s_and_saveexec_b32 s101, s100
	s_cbranch_execz .LBB156_257
; %bb.219:                              ;   in Loop: Header=BB156_6 Depth=1
	ds_load_b64 v[3:4], v19 offset:5120
	s_waitcnt lgkmcnt(0)
	s_barrier
	buffer_gl0_inv
	v_readfirstlane_b32 s22, v3
	v_readfirstlane_b32 s23, v4
	s_and_saveexec_b32 s8, s6
	s_cbranch_execz .LBB156_221
; %bb.220:                              ;   in Loop: Header=BB156_6 Depth=1
	v_mov_b32_e32 v18, v19
	ds_store_b64 v47, v[18:19]
.LBB156_221:                            ;   in Loop: Header=BB156_6 Depth=1
	s_or_b32 exec_lo, exec_lo, s8
	v_or_b32_e32 v13, s13, v13
	v_or_b32_e32 v12, s12, v12
	;; [unrolled: 1-line block ×4, first 2 shown]
	s_cmp_eq_u64 s[22:23], 0
	s_waitcnt lgkmcnt(0)
	s_barrier
	buffer_gl0_inv
	s_cbranch_scc1 .LBB156_226
; %bb.222:                              ;   in Loop: Header=BB156_6 Depth=1
	s_add_u32 s26, s76, s22
	s_addc_u32 s9, s77, s23
	s_mov_b32 s8, s55
	s_delay_alu instid0(SALU_CYCLE_1)
	s_cmp_lg_u64 s[8:9], 0
	s_cbranch_scc0 .LBB156_227
; %bb.223:                              ;   in Loop: Header=BB156_6 Depth=1
	v_cvt_f32_u32_e32 v3, s33
	s_sub_u32 s103, 0, s33
	s_subb_u32 s104, 0, 0
	s_delay_alu instid0(VALU_DEP_1) | instskip(NEXT) | instid1(VALU_DEP_1)
	v_fmac_f32_e64 v3, 0, 0x4f800000
	v_rcp_f32_e32 v3, v3
	s_waitcnt_depctr 0xfff
	v_mul_f32_e32 v3, 0x5f7ffffc, v3
	s_delay_alu instid0(VALU_DEP_1) | instskip(NEXT) | instid1(VALU_DEP_1)
	v_mul_f32_e32 v4, 0x2f800000, v3
	v_trunc_f32_e32 v4, v4
	s_delay_alu instid0(VALU_DEP_1) | instskip(SKIP_1) | instid1(VALU_DEP_2)
	v_fmac_f32_e32 v3, 0xcf800000, v4
	v_cvt_u32_f32_e32 v4, v4
	v_cvt_u32_f32_e32 v3, v3
	s_delay_alu instid0(VALU_DEP_2) | instskip(NEXT) | instid1(VALU_DEP_2)
	v_readfirstlane_b32 s8, v4
	v_readfirstlane_b32 s102, v3
	s_delay_alu instid0(VALU_DEP_2) | instskip(NEXT) | instid1(VALU_DEP_1)
	s_mul_i32 vcc_lo, s103, s8
	s_mul_hi_u32 s44, s103, s102
	s_mul_i32 vcc_hi, s104, s102
	s_add_i32 s44, s44, vcc_lo
	s_mul_i32 s45, s103, s102
	s_add_i32 s44, s44, vcc_hi
	s_mul_hi_u32 vcc_lo, s102, s45
	s_mul_hi_u32 s49, s102, s44
	s_mul_i32 s102, s102, s44
	s_mul_hi_u32 s48, s8, s45
	s_mul_i32 s45, s8, s45
	s_add_u32 s102, vcc_lo, s102
	s_addc_u32 s49, 0, s49
	s_mul_hi_u32 vcc_hi, s8, s44
	s_add_u32 s45, s102, s45
	s_mul_i32 s44, s8, s44
	s_addc_u32 s45, s49, s48
	s_addc_u32 s48, vcc_hi, 0
	s_add_u32 s44, s45, s44
	s_addc_u32 s45, 0, s48
	v_add_co_u32 v3, s44, v3, s44
	s_delay_alu instid0(VALU_DEP_1) | instskip(SKIP_1) | instid1(VALU_DEP_1)
	s_cmp_lg_u32 s44, 0
	s_addc_u32 s8, s8, s45
	v_readfirstlane_b32 s44, v3
	s_mul_i32 s45, s103, s8
	s_delay_alu instid0(VALU_DEP_1)
	s_mul_hi_u32 s48, s103, s44
	s_mul_i32 s104, s104, s44
	s_add_i32 s45, s48, s45
	s_mul_i32 s103, s103, s44
	s_add_i32 s45, s45, s104
	s_mul_hi_u32 s102, s44, s103
	s_mul_hi_u32 s104, s44, s45
	s_mul_i32 s44, s44, s45
	s_mul_i32 s49, s8, s103
	s_add_u32 s44, s102, s44
	s_mul_hi_u32 s48, s8, s103
	s_addc_u32 s102, 0, s104
	s_mul_hi_u32 s103, s8, s45
	s_add_u32 s44, s44, s49
	s_mul_i32 s45, s8, s45
	s_addc_u32 s44, s102, s48
	s_addc_u32 s48, s103, 0
	s_add_u32 s44, s44, s45
	s_addc_u32 s45, 0, s48
	v_add_co_u32 v3, s44, v3, s44
	s_delay_alu instid0(VALU_DEP_1) | instskip(SKIP_1) | instid1(VALU_DEP_1)
	s_cmp_lg_u32 s44, 0
	s_addc_u32 s8, s8, s45
	v_readfirstlane_b32 s44, v3
	s_mul_i32 s48, s26, s8
	s_mul_hi_u32 s45, s26, s8
	s_mul_hi_u32 s49, s9, s8
	s_mul_i32 s8, s9, s8
	s_mul_hi_u32 s102, s26, s44
	s_mul_hi_u32 s103, s9, s44
	s_mul_i32 s44, s9, s44
	s_add_u32 s48, s102, s48
	s_addc_u32 s45, 0, s45
	s_add_u32 s44, s48, s44
	s_addc_u32 s44, s45, s103
	s_addc_u32 s45, s49, 0
	s_add_u32 s8, s44, s8
	s_addc_u32 s44, 0, s45
	s_mul_hi_u32 s45, s33, s8
	s_mul_i32 s8, s33, s8
	s_mul_i32 s44, s33, s44
	v_sub_co_u32 v3, s8, s26, s8
	s_add_i32 s45, s45, s44
	s_cmp_lg_u32 s8, 0
	s_delay_alu instid0(VALU_DEP_1) | instskip(SKIP_3) | instid1(VALU_DEP_2)
	v_sub_co_u32 v4, s8, v3, s33
	s_subb_u32 s44, s9, s45
	s_cmp_lg_u32 s8, 0
	v_cmp_le_u32_e32 vcc_lo, s33, v3
	v_cmp_le_u32_e64 s8, s33, v4
	v_sub_co_u32 v5, s45, v4, s33
	s_subb_u32 s48, s44, 0
	s_cmp_lg_u32 s45, 0
	s_delay_alu instid0(VALU_DEP_2)
	v_cndmask_b32_e64 v8, 0, -1, s8
	s_subb_u32 s45, s48, 0
	s_cmp_eq_u32 s48, 0
	v_mov_b32_e32 v10, s45
	v_cndmask_b32_e64 v9, 0, -1, vcc_lo
	s_cselect_b32 vcc_lo, -1, 0
	s_cmp_eq_u32 s44, 0
	v_cndmask_b32_e32 v8, -1, v8, vcc_lo
	s_cselect_b32 vcc_lo, -1, 0
	v_cndmask_b32_e32 v9, -1, v9, vcc_lo
	s_delay_alu instid0(VALU_DEP_2) | instskip(NEXT) | instid1(VALU_DEP_2)
	v_cmp_ne_u32_e32 vcc_lo, 0, v8
	v_cmp_ne_u32_e64 s8, 0, v9
	v_cndmask_b32_e32 v8, s48, v10, vcc_lo
	v_cndmask_b32_e32 v5, v4, v5, vcc_lo
	s_delay_alu instid0(VALU_DEP_2) | instskip(NEXT) | instid1(VALU_DEP_2)
	v_cndmask_b32_e64 v4, s44, v8, s8
	v_cndmask_b32_e64 v3, v3, v5, s8
	s_mov_b32 s8, 0
	s_branch .LBB156_228
.LBB156_224:                            ;   in Loop: Header=BB156_6 Depth=1
                                        ; implicit-def: $vgpr3_vgpr4
	s_branch .LBB156_178
.LBB156_225:                            ;   in Loop: Header=BB156_6 Depth=1
                                        ; implicit-def: $vgpr3_vgpr4
	s_branch .LBB156_194
.LBB156_226:                            ;   in Loop: Header=BB156_6 Depth=1
	s_mov_b32 s8, -1
	s_mov_b32 s26, 0
                                        ; implicit-def: $sgpr9
                                        ; implicit-def: $vgpr10_vgpr11
	s_branch .LBB156_240
.LBB156_227:                            ;   in Loop: Header=BB156_6 Depth=1
	s_mov_b32 s8, -1
                                        ; implicit-def: $vgpr3_vgpr4
.LBB156_228:                            ;   in Loop: Header=BB156_6 Depth=1
	s_delay_alu instid0(SALU_CYCLE_1)
	s_and_not1_b32 vcc_lo, exec_lo, s8
	s_cbranch_vccnz .LBB156_230
; %bb.229:                              ;   in Loop: Header=BB156_6 Depth=1
	v_cvt_f32_u32_e32 v3, s33
	s_sub_i32 s8, 0, s33
	s_delay_alu instid0(VALU_DEP_1) | instskip(SKIP_2) | instid1(VALU_DEP_1)
	v_rcp_iflag_f32_e32 v3, v3
	s_waitcnt_depctr 0xfff
	v_mul_f32_e32 v3, 0x4f7ffffe, v3
	v_cvt_u32_f32_e32 v3, v3
	s_delay_alu instid0(VALU_DEP_1) | instskip(NEXT) | instid1(VALU_DEP_1)
	v_mul_lo_u32 v4, s8, v3
	v_mul_hi_u32 v4, v3, v4
	s_delay_alu instid0(VALU_DEP_1) | instskip(NEXT) | instid1(VALU_DEP_1)
	v_add_nc_u32_e32 v3, v3, v4
	v_mul_hi_u32 v3, s26, v3
	s_delay_alu instid0(VALU_DEP_1) | instskip(NEXT) | instid1(VALU_DEP_1)
	v_mul_lo_u32 v3, v3, s33
	v_sub_nc_u32_e32 v3, s26, v3
	s_delay_alu instid0(VALU_DEP_1) | instskip(SKIP_1) | instid1(VALU_DEP_2)
	v_subrev_nc_u32_e32 v4, s33, v3
	v_cmp_le_u32_e32 vcc_lo, s33, v3
	v_cndmask_b32_e32 v3, v3, v4, vcc_lo
	s_delay_alu instid0(VALU_DEP_1) | instskip(SKIP_1) | instid1(VALU_DEP_2)
	v_subrev_nc_u32_e32 v4, s33, v3
	v_cmp_le_u32_e32 vcc_lo, s33, v3
	v_cndmask_b32_e32 v18, v3, v4, vcc_lo
	s_delay_alu instid0(VALU_DEP_1)
	v_dual_mov_b32 v3, v18 :: v_dual_mov_b32 v4, v19
.LBB156_230:                            ;   in Loop: Header=BB156_6 Depth=1
	s_delay_alu instid0(VALU_DEP_1) | instskip(NEXT) | instid1(VALU_DEP_2)
	v_sub_co_u32 v37, vcc_lo, s26, v3
	v_sub_co_ci_u32_e32 v38, vcc_lo, s9, v4, vcc_lo
	s_mov_b32 s26, 0
	s_mov_b32 s8, exec_lo
                                        ; implicit-def: $vgpr10_vgpr11
	s_delay_alu instid0(VALU_DEP_1)
	v_cmpx_gt_u64_e64 v[37:38], v[0:1]
	s_cbranch_execz .LBB156_239
; %bb.231:                              ;   in Loop: Header=BB156_6 Depth=1
	v_mov_b32_e32 v40, v1
	v_dual_mov_b32 v18, v45 :: v_dual_mov_b32 v39, v0
                                        ; implicit-def: $sgpr9
	s_set_inst_prefetch_distance 0x1
	s_branch .LBB156_233
	.p2align	6
.LBB156_232:                            ;   in Loop: Header=BB156_233 Depth=2
	s_or_b32 exec_lo, exec_lo, s102
	s_waitcnt lgkmcnt(0)
	s_barrier
	buffer_gl0_inv
	ds_load_b128 v[8:11], v19 offset:3072
	v_add_co_u32 v39, vcc_lo, v39, s33
	v_add_co_ci_u32_e32 v40, vcc_lo, 0, v40, vcc_lo
	v_add_nc_u32_e32 v18, s84, v18
	s_waitcnt lgkmcnt(0)
	s_barrier
	s_delay_alu instid0(VALU_DEP_2) | instskip(SKIP_3) | instid1(VALU_DEP_1)
	v_cmp_ge_u64_e32 vcc_lo, v[39:40], v[37:38]
	buffer_gl0_inv
	v_readfirstlane_b32 s103, v9
	v_readfirstlane_b32 s102, v8
	s_cmp_lg_u64 s[102:103], 0
	s_cselect_b32 s44, -1, 0
	s_delay_alu instid0(SALU_CYCLE_1) | instskip(NEXT) | instid1(SALU_CYCLE_1)
	s_or_b32 s45, vcc_lo, s44
	s_and_b32 s45, exec_lo, s45
	s_delay_alu instid0(SALU_CYCLE_1) | instskip(SKIP_2) | instid1(SALU_CYCLE_1)
	s_or_b32 s26, s45, s26
	s_and_not1_b32 s9, s9, exec_lo
	s_and_b32 s44, s44, exec_lo
	s_or_b32 s9, s9, s44
	s_and_not1_b32 exec_lo, exec_lo, s26
	s_cbranch_execz .LBB156_238
.LBB156_233:                            ;   Parent Loop BB156_6 Depth=1
                                        ; =>  This Inner Loop Header: Depth=2
	s_delay_alu instid0(VALU_DEP_1)
	v_cmp_gt_u64_e32 vcc_lo, s[22:23], v[39:40]
	v_mov_b32_e32 v4, 0
	v_mov_b32_e32 v5, 0
	s_and_saveexec_b32 s102, vcc_lo
	s_cbranch_execz .LBB156_235
; %bb.234:                              ;   in Loop: Header=BB156_233 Depth=2
	ds_load_b64 v[4:5], v18
.LBB156_235:                            ;   in Loop: Header=BB156_233 Depth=2
	s_or_b32 exec_lo, exec_lo, s102
	s_and_saveexec_b32 s102, vcc_lo
	s_cbranch_execz .LBB156_232
; %bb.236:                              ;   in Loop: Header=BB156_233 Depth=2
	s_waitcnt lgkmcnt(0)
	v_xor_b32_e32 v3, 0x80000000, v5
	v_and_b32_e32 v8, v4, v14
	s_delay_alu instid0(VALU_DEP_2) | instskip(NEXT) | instid1(VALU_DEP_1)
	v_and_b32_e32 v9, v3, v15
	v_cmp_eq_u64_e32 vcc_lo, v[8:9], v[12:13]
	s_and_b32 exec_lo, exec_lo, vcc_lo
	s_cbranch_execz .LBB156_232
; %bb.237:                              ;   in Loop: Header=BB156_233 Depth=2
	v_mov_b32_e32 v3, v19
	ds_store_b128 v19, v[2:5] offset:3072
	s_branch .LBB156_232
.LBB156_238:                            ;   in Loop: Header=BB156_6 Depth=1
	s_set_inst_prefetch_distance 0x2
	s_or_b32 exec_lo, exec_lo, s26
	s_delay_alu instid0(SALU_CYCLE_1)
	s_and_b32 s26, s9, exec_lo
.LBB156_239:                            ;   in Loop: Header=BB156_6 Depth=1
	s_or_b32 exec_lo, exec_lo, s8
	s_mov_b32 s9, -1
	s_mov_b32 s8, 0
.LBB156_240:                            ;   in Loop: Header=BB156_6 Depth=1
	s_delay_alu instid0(SALU_CYCLE_1)
	s_and_b32 vcc_lo, exec_lo, s8
	s_mov_b32 s22, s8
	s_cbranch_vccz .LBB156_256
; %bb.241:                              ;   in Loop: Header=BB156_6 Depth=1
	s_mov_b32 s26, s55
	s_delay_alu instid0(SALU_CYCLE_1)
	s_cmp_lg_u64 s[26:27], 0
	s_cbranch_scc0 .LBB156_243
; %bb.242:                              ;   in Loop: Header=BB156_6 Depth=1
	v_cvt_f32_u32_e32 v3, s33
	s_sub_u32 s22, 0, s33
	s_subb_u32 s23, 0, 0
	s_delay_alu instid0(VALU_DEP_1) | instskip(NEXT) | instid1(VALU_DEP_1)
	v_fmac_f32_e64 v3, 0, 0x4f800000
	v_rcp_f32_e32 v3, v3
	s_waitcnt_depctr 0xfff
	v_mul_f32_e32 v3, 0x5f7ffffc, v3
	s_delay_alu instid0(VALU_DEP_1) | instskip(NEXT) | instid1(VALU_DEP_1)
	v_mul_f32_e32 v4, 0x2f800000, v3
	v_trunc_f32_e32 v4, v4
	s_delay_alu instid0(VALU_DEP_1) | instskip(SKIP_1) | instid1(VALU_DEP_2)
	v_fmac_f32_e32 v3, 0xcf800000, v4
	v_cvt_u32_f32_e32 v4, v4
	v_cvt_u32_f32_e32 v3, v3
	s_delay_alu instid0(VALU_DEP_2) | instskip(NEXT) | instid1(VALU_DEP_2)
	v_readfirstlane_b32 s8, v4
	v_readfirstlane_b32 s9, v3
	s_delay_alu instid0(VALU_DEP_2) | instskip(NEXT) | instid1(VALU_DEP_1)
	s_mul_i32 s26, s22, s8
	s_mul_hi_u32 s45, s22, s9
	s_mul_i32 s44, s23, s9
	s_add_i32 s26, s45, s26
	s_mul_i32 s48, s22, s9
	s_add_i32 s26, s26, s44
	s_mul_hi_u32 s45, s9, s48
	s_mul_hi_u32 s49, s8, s48
	s_mul_i32 s44, s8, s48
	s_mul_hi_u32 s48, s9, s26
	s_mul_i32 s9, s9, s26
	s_mul_hi_u32 s102, s8, s26
	s_add_u32 s9, s45, s9
	s_addc_u32 s45, 0, s48
	s_add_u32 s9, s9, s44
	s_mul_i32 s26, s8, s26
	s_addc_u32 s9, s45, s49
	s_addc_u32 s44, s102, 0
	s_add_u32 s9, s9, s26
	s_addc_u32 s26, 0, s44
	v_add_co_u32 v3, s9, v3, s9
	s_delay_alu instid0(VALU_DEP_1) | instskip(SKIP_1) | instid1(VALU_DEP_1)
	s_cmp_lg_u32 s9, 0
	s_addc_u32 s8, s8, s26
	v_readfirstlane_b32 s9, v3
	s_mul_i32 s26, s22, s8
	s_delay_alu instid0(VALU_DEP_1)
	s_mul_hi_u32 s44, s22, s9
	s_mul_i32 s23, s23, s9
	s_add_i32 s26, s44, s26
	s_mul_i32 s22, s22, s9
	s_add_i32 s26, s26, s23
	s_mul_hi_u32 s44, s8, s22
	s_mul_i32 s45, s8, s22
	s_mul_hi_u32 s22, s9, s22
	s_mul_hi_u32 s48, s9, s26
	s_mul_i32 s9, s9, s26
	s_mul_hi_u32 s23, s8, s26
	s_add_u32 s9, s22, s9
	s_addc_u32 s22, 0, s48
	s_add_u32 s9, s9, s45
	s_mul_i32 s26, s8, s26
	s_addc_u32 s9, s22, s44
	s_addc_u32 s22, s23, 0
	s_add_u32 s9, s9, s26
	s_addc_u32 s22, 0, s22
	v_add_co_u32 v3, s9, v3, s9
	s_delay_alu instid0(VALU_DEP_1) | instskip(SKIP_1) | instid1(VALU_DEP_1)
	s_cmp_lg_u32 s9, 0
	s_addc_u32 s8, s8, s22
	v_readfirstlane_b32 s9, v3
	s_mul_i32 s23, s78, s8
	s_mul_hi_u32 s22, s78, s8
	s_mul_hi_u32 s26, s27, s8
	s_mul_i32 s8, s27, s8
	s_mul_hi_u32 s44, s78, s9
	s_mul_hi_u32 s45, s27, s9
	s_mul_i32 s9, s27, s9
	s_add_u32 s23, s44, s23
	s_addc_u32 s22, 0, s22
	s_add_u32 s9, s23, s9
	s_addc_u32 s9, s22, s45
	s_addc_u32 s22, s26, 0
	s_add_u32 s8, s9, s8
	s_addc_u32 s9, 0, s22
	s_mul_hi_u32 s22, s33, s8
	s_mul_i32 s8, s33, s8
	s_mul_i32 s9, s33, s9
	v_sub_co_u32 v3, s8, s78, s8
	s_add_i32 s22, s22, s9
	s_cmp_lg_u32 s8, 0
	s_delay_alu instid0(VALU_DEP_1) | instskip(SKIP_3) | instid1(VALU_DEP_2)
	v_sub_co_u32 v4, s8, v3, s33
	s_subb_u32 s9, s27, s22
	s_cmp_lg_u32 s8, 0
	v_cmp_le_u32_e32 vcc_lo, s33, v3
	v_cmp_le_u32_e64 s8, s33, v4
	v_sub_co_u32 v5, s22, v4, s33
	s_subb_u32 s23, s9, 0
	s_cmp_lg_u32 s22, 0
	s_delay_alu instid0(VALU_DEP_2)
	v_cndmask_b32_e64 v8, 0, -1, s8
	s_subb_u32 s22, s23, 0
	s_cmp_eq_u32 s23, 0
	v_mov_b32_e32 v10, s22
	v_cndmask_b32_e64 v9, 0, -1, vcc_lo
	s_cselect_b32 vcc_lo, -1, 0
	s_cmp_eq_u32 s9, 0
	v_cndmask_b32_e32 v8, -1, v8, vcc_lo
	s_cselect_b32 vcc_lo, -1, 0
	v_cndmask_b32_e32 v9, -1, v9, vcc_lo
	s_delay_alu instid0(VALU_DEP_2) | instskip(NEXT) | instid1(VALU_DEP_2)
	v_cmp_ne_u32_e32 vcc_lo, 0, v8
	v_cmp_ne_u32_e64 s8, 0, v9
	v_cndmask_b32_e32 v8, s23, v10, vcc_lo
	v_cndmask_b32_e32 v5, v4, v5, vcc_lo
	s_delay_alu instid0(VALU_DEP_2) | instskip(NEXT) | instid1(VALU_DEP_2)
	v_cndmask_b32_e64 v4, s9, v8, s8
	v_cndmask_b32_e64 v3, v3, v5, s8
	s_mov_b32 s8, 0
	s_branch .LBB156_244
.LBB156_243:                            ;   in Loop: Header=BB156_6 Depth=1
	s_mov_b32 s8, -1
                                        ; implicit-def: $vgpr3_vgpr4
.LBB156_244:                            ;   in Loop: Header=BB156_6 Depth=1
	s_delay_alu instid0(SALU_CYCLE_1)
	s_and_not1_b32 vcc_lo, exec_lo, s8
	s_cbranch_vccnz .LBB156_246
; %bb.245:                              ;   in Loop: Header=BB156_6 Depth=1
	v_cvt_f32_u32_e32 v3, s33
	s_sub_i32 s8, 0, s33
	s_delay_alu instid0(VALU_DEP_1) | instskip(SKIP_2) | instid1(VALU_DEP_1)
	v_rcp_iflag_f32_e32 v3, v3
	s_waitcnt_depctr 0xfff
	v_mul_f32_e32 v3, 0x4f7ffffe, v3
	v_cvt_u32_f32_e32 v3, v3
	s_delay_alu instid0(VALU_DEP_1) | instskip(NEXT) | instid1(VALU_DEP_1)
	v_mul_lo_u32 v4, s8, v3
	v_mul_hi_u32 v4, v3, v4
	s_delay_alu instid0(VALU_DEP_1) | instskip(NEXT) | instid1(VALU_DEP_1)
	v_add_nc_u32_e32 v3, v3, v4
	v_mul_hi_u32 v3, s78, v3
	s_delay_alu instid0(VALU_DEP_1) | instskip(NEXT) | instid1(VALU_DEP_1)
	v_mul_lo_u32 v3, v3, s33
	v_sub_nc_u32_e32 v3, s78, v3
	s_delay_alu instid0(VALU_DEP_1) | instskip(SKIP_1) | instid1(VALU_DEP_2)
	v_subrev_nc_u32_e32 v4, s33, v3
	v_cmp_le_u32_e32 vcc_lo, s33, v3
	v_cndmask_b32_e32 v3, v3, v4, vcc_lo
	s_delay_alu instid0(VALU_DEP_1) | instskip(SKIP_1) | instid1(VALU_DEP_2)
	v_subrev_nc_u32_e32 v4, s33, v3
	v_cmp_le_u32_e32 vcc_lo, s33, v3
	v_cndmask_b32_e32 v18, v3, v4, vcc_lo
	s_delay_alu instid0(VALU_DEP_1)
	v_dual_mov_b32 v3, v18 :: v_dual_mov_b32 v4, v19
.LBB156_246:                            ;   in Loop: Header=BB156_6 Depth=1
	s_delay_alu instid0(VALU_DEP_1) | instskip(NEXT) | instid1(VALU_DEP_2)
	v_sub_co_u32 v37, vcc_lo, s78, v3
	v_sub_co_ci_u32_e32 v38, vcc_lo, s27, v4, vcc_lo
	s_mov_b32 s26, 0
	s_mov_b32 s8, exec_lo
                                        ; implicit-def: $vgpr10_vgpr11
	s_delay_alu instid0(VALU_DEP_1)
	v_cmpx_gt_u64_e64 v[37:38], v[0:1]
	s_cbranch_execz .LBB156_255
; %bb.247:                              ;   in Loop: Header=BB156_6 Depth=1
	v_dual_mov_b32 v40, v17 :: v_dual_mov_b32 v39, v16
	v_dual_mov_b32 v42, v1 :: v_dual_mov_b32 v41, v0
	s_mov_b32 s22, 0
                                        ; implicit-def: $sgpr9
	s_set_inst_prefetch_distance 0x1
	s_branch .LBB156_249
	.p2align	6
.LBB156_248:                            ;   in Loop: Header=BB156_249 Depth=2
	s_or_b32 exec_lo, exec_lo, s23
	s_waitcnt vmcnt(0) lgkmcnt(0)
	s_barrier
	buffer_gl0_inv
	ds_load_b128 v[8:11], v19 offset:3072
	v_add_co_u32 v41, vcc_lo, v41, s33
	v_add_co_ci_u32_e32 v42, vcc_lo, 0, v42, vcc_lo
	s_waitcnt lgkmcnt(0)
	s_barrier
	buffer_gl0_inv
	v_cmp_ge_u64_e32 vcc_lo, v[41:42], v[37:38]
	v_readfirstlane_b32 s103, v9
	v_readfirstlane_b32 s102, v8
	s_delay_alu instid0(VALU_DEP_1) | instskip(SKIP_1) | instid1(SALU_CYCLE_1)
	s_cmp_lg_u64 s[102:103], 0
	s_cselect_b32 s23, -1, 0
	s_or_b32 s26, vcc_lo, s23
	v_add_co_u32 v39, vcc_lo, v39, s34
	s_and_b32 s26, exec_lo, s26
	v_add_co_ci_u32_e32 v40, vcc_lo, s35, v40, vcc_lo
	s_or_b32 s22, s26, s22
	s_and_not1_b32 s9, s9, exec_lo
	s_and_b32 s23, s23, exec_lo
	s_delay_alu instid0(SALU_CYCLE_1)
	s_or_b32 s9, s9, s23
	s_and_not1_b32 exec_lo, exec_lo, s22
	s_cbranch_execz .LBB156_254
.LBB156_249:                            ;   Parent Loop BB156_6 Depth=1
                                        ; =>  This Inner Loop Header: Depth=2
	s_delay_alu instid0(VALU_DEP_1)
	v_cmp_gt_u64_e32 vcc_lo, s[28:29], v[41:42]
	v_mov_b32_e32 v4, 0
	v_mov_b32_e32 v5, 0
	s_and_saveexec_b32 s23, vcc_lo
	s_cbranch_execz .LBB156_251
; %bb.250:                              ;   in Loop: Header=BB156_249 Depth=2
	global_load_b64 v[4:5], v[39:40], off
.LBB156_251:                            ;   in Loop: Header=BB156_249 Depth=2
	s_or_b32 exec_lo, exec_lo, s23
	s_and_saveexec_b32 s23, vcc_lo
	s_cbranch_execz .LBB156_248
; %bb.252:                              ;   in Loop: Header=BB156_249 Depth=2
	s_waitcnt vmcnt(0)
	v_xor_b32_e32 v3, 0x80000000, v5
	v_and_b32_e32 v8, v4, v14
	s_delay_alu instid0(VALU_DEP_2) | instskip(NEXT) | instid1(VALU_DEP_1)
	v_and_b32_e32 v9, v3, v15
	v_cmp_eq_u64_e32 vcc_lo, v[8:9], v[12:13]
	s_and_b32 exec_lo, exec_lo, vcc_lo
	s_cbranch_execz .LBB156_248
; %bb.253:                              ;   in Loop: Header=BB156_249 Depth=2
	v_mov_b32_e32 v3, v19
	ds_store_b128 v19, v[2:5] offset:3072
	s_branch .LBB156_248
.LBB156_254:                            ;   in Loop: Header=BB156_6 Depth=1
	s_set_inst_prefetch_distance 0x2
	s_or_b32 exec_lo, exec_lo, s22
	s_delay_alu instid0(SALU_CYCLE_1)
	s_and_b32 s26, s9, exec_lo
.LBB156_255:                            ;   in Loop: Header=BB156_6 Depth=1
	s_or_b32 exec_lo, exec_lo, s8
	s_mov_b32 s22, -1
	s_mov_b32 s8, 0
	s_mov_b32 s9, 0
.LBB156_256:                            ;   in Loop: Header=BB156_6 Depth=1
	s_or_not1_b32 s26, s26, exec_lo
.LBB156_257:                            ;   in Loop: Header=BB156_6 Depth=1
	s_or_b32 exec_lo, exec_lo, s101
	s_mov_b32 s101, 0
                                        ; implicit-def: $vgpr5
                                        ; implicit-def: $vgpr3_vgpr4
	s_and_saveexec_b32 s23, s26
	s_cbranch_execz .LBB156_269
; %bb.258:                              ;   in Loop: Header=BB156_6 Depth=1
	v_mov_b32_e32 v3, 1
	v_dual_mov_b32 v4, 0 :: v_dual_mov_b32 v5, 1
	s_xor_b32 s44, s100, -1
	s_delay_alu instid0(SALU_CYCLE_1)
	s_and_saveexec_b32 s26, s44
	s_cbranch_execz .LBB156_268
; %bb.259:                              ;   in Loop: Header=BB156_6 Depth=1
                                        ; implicit-def: $sgpr101
	s_mov_b32 s44, exec_lo
	v_cmpx_ge_u64_e64 s[20:21], v[35:36]
	s_xor_b32 s100, exec_lo, s44
	s_cbranch_execz .LBB156_265
; %bb.260:                              ;   in Loop: Header=BB156_6 Depth=1
	ds_load_b64 v[3:4], v19 offset:5120
	s_waitcnt lgkmcnt(0)
	v_cmp_ne_u64_e32 vcc_lo, 0, v[3:4]
	s_cbranch_vccnz .LBB156_264
; %bb.261:                              ;   in Loop: Header=BB156_6 Depth=1
	s_and_saveexec_b32 s101, s5
	s_cbranch_execz .LBB156_263
; %bb.262:                              ;   in Loop: Header=BB156_6 Depth=1
	v_dual_mov_b32 v3, s20 :: v_dual_mov_b32 v4, s21
	ds_store_b64 v19, v[3:4] offset:5128
.LBB156_263:                            ;   in Loop: Header=BB156_6 Depth=1
	s_or_b32 exec_lo, exec_lo, s101
	s_waitcnt lgkmcnt(0)
	s_barrier
	buffer_gl0_inv
.LBB156_264:                            ;   in Loop: Header=BB156_6 Depth=1
	v_or_b32_e32 v13, s13, v13
	v_or_b32_e32 v12, s12, v12
	;; [unrolled: 1-line block ×4, first 2 shown]
	s_mov_b32 s101, 8
.LBB156_265:                            ;   in Loop: Header=BB156_6 Depth=1
	s_or_saveexec_b32 s100, s100
	v_mov_b32_e32 v5, s101
	s_xor_b32 exec_lo, exec_lo, s100
; %bb.266:                              ;   in Loop: Header=BB156_6 Depth=1
	v_sub_co_u32 v35, vcc_lo, v35, s20
	v_subrev_co_ci_u32_e32 v36, vcc_lo, s21, v36, vcc_lo
	v_mov_b32_e32 v5, 8
; %bb.267:                              ;   in Loop: Header=BB156_6 Depth=1
	s_or_b32 exec_lo, exec_lo, s100
	s_delay_alu instid0(VALU_DEP_2)
	v_dual_mov_b32 v3, v35 :: v_dual_mov_b32 v4, v36
.LBB156_268:                            ;   in Loop: Header=BB156_6 Depth=1
	s_or_b32 exec_lo, exec_lo, s26
	s_delay_alu instid0(SALU_CYCLE_1)
	s_mov_b32 s101, exec_lo
.LBB156_269:                            ;   in Loop: Header=BB156_6 Depth=1
	s_or_b32 exec_lo, exec_lo, s23
	s_delay_alu instid0(VALU_DEP_1)
	v_dual_mov_b32 v36, v4 :: v_dual_mov_b32 v35, v3
	s_or_not1_b32 s23, s101, exec_lo
.LBB156_270:                            ;   in Loop: Header=BB156_6 Depth=1
	s_or_b32 exec_lo, exec_lo, s99
	s_delay_alu instid0(SALU_CYCLE_1)
	s_and_not1_b32 s26, s71, exec_lo
	s_and_b32 s8, s8, exec_lo
	v_dual_mov_b32 v38, v36 :: v_dual_mov_b32 v37, v35
	s_or_b32 s71, s26, s8
	s_and_not1_b32 s8, s73, exec_lo
	s_and_b32 s22, s22, exec_lo
	s_and_not1_b32 s26, s72, exec_lo
	s_and_b32 s9, s9, exec_lo
	s_or_b32 s73, s8, s22
	s_or_b32 s72, s26, s9
	s_and_b32 s26, s23, exec_lo
.LBB156_271:                            ;   in Loop: Header=BB156_6 Depth=1
	s_or_b32 exec_lo, exec_lo, s98
	s_delay_alu instid0(SALU_CYCLE_1)
	s_and_b32 s23, s71, exec_lo
	s_and_b32 s22, s73, exec_lo
	;; [unrolled: 1-line block ×3, first 2 shown]
	s_or_not1_b32 s8, s26, exec_lo
.LBB156_272:                            ;   in Loop: Header=BB156_6 Depth=1
	s_or_b32 exec_lo, exec_lo, s70
	s_delay_alu instid0(SALU_CYCLE_1)
	s_and_not1_b32 s26, s62, exec_lo
	s_and_b32 s23, s23, exec_lo
	v_dual_mov_b32 v35, v37 :: v_dual_mov_b32 v36, v38
	s_or_b32 s62, s26, s23
	s_and_not1_b32 s23, s68, exec_lo
	s_and_b32 s22, s22, exec_lo
	s_and_not1_b32 s26, s67, exec_lo
	s_and_b32 s9, s9, exec_lo
	s_or_b32 s68, s23, s22
	s_or_b32 s67, s26, s9
	s_and_b32 s26, s8, exec_lo
.LBB156_273:                            ;   in Loop: Header=BB156_6 Depth=1
	s_or_b32 exec_lo, exec_lo, s69
	s_delay_alu instid0(SALU_CYCLE_1)
	s_and_b32 s23, s62, exec_lo
	s_and_b32 s22, s68, exec_lo
	s_and_b32 s9, s67, exec_lo
	s_or_not1_b32 s62, s26, exec_lo
.LBB156_274:                            ;   in Loop: Header=BB156_6 Depth=1
	s_or_b32 exec_lo, exec_lo, s54
	s_mov_b32 s8, 0
	s_mov_b32 s26, 0
	s_and_saveexec_b32 s54, s62
	s_delay_alu instid0(SALU_CYCLE_1)
	s_xor_b32 s54, exec_lo, s54
; %bb.275:                              ;   in Loop: Header=BB156_6 Depth=1
	v_cmp_ne_u32_e32 vcc_lo, 8, v5
	v_cmp_eq_u32_e64 s8, 8, v5
	s_and_not1_b32 s23, s23, exec_lo
	s_and_not1_b32 s22, s22, exec_lo
	;; [unrolled: 1-line block ×3, first 2 shown]
	s_and_b32 s26, vcc_lo, exec_lo
	s_and_b32 s8, s8, exec_lo
; %bb.276:                              ;   in Loop: Header=BB156_6 Depth=1
	s_or_b32 exec_lo, exec_lo, s54
	s_delay_alu instid0(SALU_CYCLE_1)
	s_and_not1_b32 s25, s25, exec_lo
	s_and_b32 s23, s23, exec_lo
	s_and_b32 s22, s22, exec_lo
	s_or_b32 s25, s25, s23
	s_and_not1_b32 s23, s64, exec_lo
	s_and_not1_b32 s54, s63, exec_lo
	s_and_b32 s9, s9, exec_lo
	s_or_b32 s64, s23, s22
	s_or_b32 s63, s54, s9
	s_and_b32 s54, s26, exec_lo
	s_and_b32 s62, s8, exec_lo
.LBB156_277:                            ;   in Loop: Header=BB156_6 Depth=1
	s_or_b32 exec_lo, exec_lo, s66
	s_delay_alu instid0(SALU_CYCLE_1)
	s_and_b32 vcc_lo, exec_lo, s65
	s_cbranch_vccz .LBB156_96
.LBB156_278:                            ;   in Loop: Header=BB156_6 Depth=1
	s_delay_alu instid0(VALU_DEP_1) | instskip(SKIP_1) | instid1(SALU_CYCLE_1)
	s_cmp_eq_u64 s[20:21], 1
                                        ; implicit-def: $sgpr22
                                        ; implicit-def: $sgpr23
                                        ; implicit-def: $sgpr25
	s_cselect_b32 s8, -1, 0
	s_and_b32 s64, s8, s7
	s_mov_b32 s7, -1
	s_and_saveexec_b32 s63, s64
	s_cbranch_execz .LBB156_310
; %bb.279:                              ;   in Loop: Header=BB156_6 Depth=1
	ds_load_b64 v[3:4], v19 offset:5120
	s_waitcnt lgkmcnt(0)
	s_barrier
	buffer_gl0_inv
	v_readfirstlane_b32 s8, v3
	v_readfirstlane_b32 s9, v4
	s_and_saveexec_b32 s7, s6
	s_cbranch_execz .LBB156_281
; %bb.280:                              ;   in Loop: Header=BB156_6 Depth=1
	v_mov_b32_e32 v18, v19
	ds_store_b64 v47, v[18:19]
.LBB156_281:                            ;   in Loop: Header=BB156_6 Depth=1
	s_or_b32 exec_lo, exec_lo, s7
	v_or_b32_e32 v32, s13, v32
	v_or_b32_e32 v31, s12, v31
	;; [unrolled: 1-line block ×4, first 2 shown]
	s_cmp_eq_u64 s[8:9], 0
	s_waitcnt lgkmcnt(0)
	s_barrier
	buffer_gl0_inv
	s_cbranch_scc1 .LBB156_293
; %bb.282:                              ;   in Loop: Header=BB156_6 Depth=1
	s_add_u32 s25, s76, s8
	s_addc_u32 s23, s77, s9
	s_mov_b32 s22, s55
	s_delay_alu instid0(SALU_CYCLE_1)
	s_cmp_lg_u64 s[22:23], 0
	s_cbranch_scc0 .LBB156_337
; %bb.283:                              ;   in Loop: Header=BB156_6 Depth=1
	v_cvt_f32_u32_e32 v3, s33
	s_sub_u32 s26, 0, s33
	s_subb_u32 s65, 0, 0
	s_delay_alu instid0(VALU_DEP_1) | instskip(NEXT) | instid1(VALU_DEP_1)
	v_fmac_f32_e64 v3, 0, 0x4f800000
	v_rcp_f32_e32 v3, v3
	s_waitcnt_depctr 0xfff
	v_mul_f32_e32 v3, 0x5f7ffffc, v3
	s_delay_alu instid0(VALU_DEP_1) | instskip(NEXT) | instid1(VALU_DEP_1)
	v_mul_f32_e32 v4, 0x2f800000, v3
	v_trunc_f32_e32 v4, v4
	s_delay_alu instid0(VALU_DEP_1) | instskip(SKIP_1) | instid1(VALU_DEP_2)
	v_fmac_f32_e32 v3, 0xcf800000, v4
	v_cvt_u32_f32_e32 v4, v4
	v_cvt_u32_f32_e32 v3, v3
	s_delay_alu instid0(VALU_DEP_2) | instskip(NEXT) | instid1(VALU_DEP_2)
	v_readfirstlane_b32 s7, v4
	v_readfirstlane_b32 s22, v3
	s_delay_alu instid0(VALU_DEP_2) | instskip(NEXT) | instid1(VALU_DEP_1)
	s_mul_i32 s66, s26, s7
	s_mul_hi_u32 s68, s26, s22
	s_mul_i32 s67, s65, s22
	s_add_i32 s66, s68, s66
	s_mul_i32 s69, s26, s22
	s_add_i32 s66, s66, s67
	s_mul_hi_u32 s68, s22, s69
	s_mul_hi_u32 s70, s7, s69
	s_mul_i32 s67, s7, s69
	s_mul_hi_u32 s69, s22, s66
	s_mul_i32 s22, s22, s66
	s_mul_hi_u32 s71, s7, s66
	s_add_u32 s22, s68, s22
	s_addc_u32 s68, 0, s69
	s_add_u32 s22, s22, s67
	s_mul_i32 s66, s7, s66
	s_addc_u32 s22, s68, s70
	s_addc_u32 s67, s71, 0
	s_add_u32 s22, s22, s66
	s_addc_u32 s66, 0, s67
	v_add_co_u32 v3, s22, v3, s22
	s_delay_alu instid0(VALU_DEP_1) | instskip(SKIP_1) | instid1(VALU_DEP_1)
	s_cmp_lg_u32 s22, 0
	s_addc_u32 s7, s7, s66
	v_readfirstlane_b32 s22, v3
	s_mul_i32 s66, s26, s7
	s_delay_alu instid0(VALU_DEP_1)
	s_mul_hi_u32 s67, s26, s22
	s_mul_i32 s65, s65, s22
	s_add_i32 s66, s67, s66
	s_mul_i32 s26, s26, s22
	s_add_i32 s66, s66, s65
	s_mul_hi_u32 s67, s7, s26
	s_mul_i32 s68, s7, s26
	s_mul_hi_u32 s26, s22, s26
	s_mul_hi_u32 s69, s22, s66
	s_mul_i32 s22, s22, s66
	s_mul_hi_u32 s65, s7, s66
	s_add_u32 s22, s26, s22
	s_addc_u32 s26, 0, s69
	s_add_u32 s22, s22, s68
	s_mul_i32 s66, s7, s66
	s_addc_u32 s22, s26, s67
	s_addc_u32 s26, s65, 0
	s_add_u32 s22, s22, s66
	s_addc_u32 s26, 0, s26
	v_add_co_u32 v3, s22, v3, s22
	s_delay_alu instid0(VALU_DEP_1) | instskip(SKIP_1) | instid1(VALU_DEP_1)
	s_cmp_lg_u32 s22, 0
	s_addc_u32 s7, s7, s26
	v_readfirstlane_b32 s22, v3
	s_mul_i32 s65, s25, s7
	s_mul_hi_u32 s26, s25, s7
	s_mul_hi_u32 s66, s23, s7
	s_mul_i32 s7, s23, s7
	s_mul_hi_u32 s67, s25, s22
	s_mul_hi_u32 s68, s23, s22
	s_mul_i32 s22, s23, s22
	s_add_u32 s65, s67, s65
	s_addc_u32 s26, 0, s26
	s_add_u32 s22, s65, s22
	s_addc_u32 s22, s26, s68
	s_addc_u32 s26, s66, 0
	s_add_u32 s7, s22, s7
	s_addc_u32 s22, 0, s26
	s_mul_hi_u32 s26, s33, s7
	s_mul_i32 s7, s33, s7
	s_mul_i32 s22, s33, s22
	v_sub_co_u32 v3, s7, s25, s7
	s_add_i32 s26, s26, s22
	s_cmp_lg_u32 s7, 0
	s_delay_alu instid0(VALU_DEP_1) | instskip(SKIP_2) | instid1(VALU_DEP_1)
	v_sub_co_u32 v4, s7, v3, s33
	s_subb_u32 s22, s23, s26
	s_cmp_lg_u32 s7, 0
	v_cmp_le_u32_e32 vcc_lo, s33, v4
	v_sub_co_u32 v5, s7, v4, s33
	s_subb_u32 s26, s22, 0
	s_cmp_lg_u32 s7, 0
	v_cndmask_b32_e64 v6, 0, -1, vcc_lo
	s_subb_u32 s7, s26, 0
	s_cmp_eq_u32 s26, 0
	v_mov_b32_e32 v8, s7
	s_cselect_b32 vcc_lo, -1, 0
	s_cmp_eq_u32 s22, 0
	v_cndmask_b32_e32 v6, -1, v6, vcc_lo
	v_cmp_le_u32_e32 vcc_lo, s33, v3
	s_cselect_b32 s7, -1, 0
	v_cndmask_b32_e64 v7, 0, -1, vcc_lo
	s_delay_alu instid0(VALU_DEP_3) | instskip(NEXT) | instid1(VALU_DEP_2)
	v_cmp_ne_u32_e32 vcc_lo, 0, v6
	v_cndmask_b32_e64 v6, -1, v7, s7
	v_cndmask_b32_e32 v7, s26, v8, vcc_lo
	v_cndmask_b32_e32 v5, v4, v5, vcc_lo
	s_delay_alu instid0(VALU_DEP_3) | instskip(NEXT) | instid1(VALU_DEP_3)
	v_cmp_ne_u32_e32 vcc_lo, 0, v6
	v_cndmask_b32_e32 v4, s22, v7, vcc_lo
	s_delay_alu instid0(VALU_DEP_3)
	v_cndmask_b32_e32 v3, v3, v5, vcc_lo
	s_cbranch_execnz .LBB156_285
.LBB156_284:                            ;   in Loop: Header=BB156_6 Depth=1
	v_cvt_f32_u32_e32 v3, s33
	s_sub_i32 s7, 0, s33
	s_delay_alu instid0(VALU_DEP_1) | instskip(SKIP_2) | instid1(VALU_DEP_1)
	v_rcp_iflag_f32_e32 v3, v3
	s_waitcnt_depctr 0xfff
	v_mul_f32_e32 v3, 0x4f7ffffe, v3
	v_cvt_u32_f32_e32 v3, v3
	s_delay_alu instid0(VALU_DEP_1) | instskip(NEXT) | instid1(VALU_DEP_1)
	v_mul_lo_u32 v4, s7, v3
	v_mul_hi_u32 v4, v3, v4
	s_delay_alu instid0(VALU_DEP_1) | instskip(NEXT) | instid1(VALU_DEP_1)
	v_add_nc_u32_e32 v3, v3, v4
	v_mul_hi_u32 v3, s25, v3
	s_delay_alu instid0(VALU_DEP_1) | instskip(NEXT) | instid1(VALU_DEP_1)
	v_mul_lo_u32 v3, v3, s33
	v_sub_nc_u32_e32 v3, s25, v3
	s_delay_alu instid0(VALU_DEP_1) | instskip(SKIP_1) | instid1(VALU_DEP_2)
	v_subrev_nc_u32_e32 v4, s33, v3
	v_cmp_le_u32_e32 vcc_lo, s33, v3
	v_cndmask_b32_e32 v3, v3, v4, vcc_lo
	s_delay_alu instid0(VALU_DEP_1) | instskip(SKIP_1) | instid1(VALU_DEP_2)
	v_subrev_nc_u32_e32 v4, s33, v3
	v_cmp_le_u32_e32 vcc_lo, s33, v3
	v_cndmask_b32_e32 v18, v3, v4, vcc_lo
	s_delay_alu instid0(VALU_DEP_1)
	v_dual_mov_b32 v3, v18 :: v_dual_mov_b32 v4, v19
.LBB156_285:                            ;   in Loop: Header=BB156_6 Depth=1
	s_delay_alu instid0(VALU_DEP_1) | instskip(NEXT) | instid1(VALU_DEP_2)
	v_sub_co_u32 v8, vcc_lo, s25, v3
	v_sub_co_ci_u32_e32 v9, vcc_lo, s23, v4, vcc_lo
	s_mov_b32 s26, 0
	s_mov_b32 s7, exec_lo
                                        ; implicit-def: $vgpr6_vgpr7
	s_delay_alu instid0(VALU_DEP_1)
	v_cmpx_gt_u64_e64 v[8:9], v[0:1]
	s_cbranch_execz .LBB156_295
; %bb.286:                              ;   in Loop: Header=BB156_6 Depth=1
	v_mov_b32_e32 v12, v45
	v_dual_mov_b32 v11, v1 :: v_dual_mov_b32 v10, v0
	s_mov_b32 s23, 0
                                        ; implicit-def: $sgpr22
	s_set_inst_prefetch_distance 0x1
	s_branch .LBB156_288
	.p2align	6
.LBB156_287:                            ;   in Loop: Header=BB156_288 Depth=2
	s_or_b32 exec_lo, exec_lo, s25
	s_waitcnt lgkmcnt(0)
	s_barrier
	buffer_gl0_inv
	ds_load_b128 v[4:7], v19 offset:3072
	v_add_co_u32 v10, vcc_lo, v10, s33
	v_add_co_ci_u32_e32 v11, vcc_lo, 0, v11, vcc_lo
	v_add_nc_u32_e32 v12, s84, v12
	s_waitcnt lgkmcnt(0)
	s_barrier
	s_delay_alu instid0(VALU_DEP_2) | instskip(SKIP_3) | instid1(VALU_DEP_1)
	v_cmp_ge_u64_e32 vcc_lo, v[10:11], v[8:9]
	buffer_gl0_inv
	v_readfirstlane_b32 s67, v5
	v_readfirstlane_b32 s66, v4
	s_cmp_lg_u64 s[66:67], 0
	s_cselect_b32 s25, -1, 0
	s_delay_alu instid0(SALU_CYCLE_1) | instskip(NEXT) | instid1(SALU_CYCLE_1)
	s_or_b32 s26, vcc_lo, s25
	s_and_b32 s26, exec_lo, s26
	s_delay_alu instid0(SALU_CYCLE_1) | instskip(SKIP_2) | instid1(SALU_CYCLE_1)
	s_or_b32 s23, s26, s23
	s_and_not1_b32 s22, s22, exec_lo
	s_and_b32 s25, s25, exec_lo
	s_or_b32 s22, s22, s25
	s_and_not1_b32 exec_lo, exec_lo, s23
	s_cbranch_execz .LBB156_294
.LBB156_288:                            ;   Parent Loop BB156_6 Depth=1
                                        ; =>  This Inner Loop Header: Depth=2
	s_delay_alu instid0(VALU_DEP_1)
	v_cmp_gt_u64_e32 vcc_lo, s[8:9], v[10:11]
	v_mov_b32_e32 v4, 0
	v_mov_b32_e32 v5, 0
	s_and_saveexec_b32 s25, vcc_lo
	s_cbranch_execz .LBB156_290
; %bb.289:                              ;   in Loop: Header=BB156_288 Depth=2
	ds_load_b64 v[4:5], v12
.LBB156_290:                            ;   in Loop: Header=BB156_288 Depth=2
	s_or_b32 exec_lo, exec_lo, s25
	s_and_saveexec_b32 s25, vcc_lo
	s_cbranch_execz .LBB156_287
; %bb.291:                              ;   in Loop: Header=BB156_288 Depth=2
	s_waitcnt lgkmcnt(0)
	v_xor_b32_e32 v3, 0x80000000, v5
	v_and_b32_e32 v6, v4, v29
	s_delay_alu instid0(VALU_DEP_2) | instskip(NEXT) | instid1(VALU_DEP_1)
	v_and_b32_e32 v7, v3, v30
	v_cmp_eq_u64_e32 vcc_lo, v[6:7], v[31:32]
	s_and_b32 exec_lo, exec_lo, vcc_lo
	s_cbranch_execz .LBB156_287
; %bb.292:                              ;   in Loop: Header=BB156_288 Depth=2
	v_mov_b32_e32 v3, v19
	ds_store_b128 v19, v[2:5] offset:3072
	s_branch .LBB156_287
.LBB156_293:                            ;   in Loop: Header=BB156_6 Depth=1
	s_mov_b32 s22, -1
	s_mov_b32 s26, 0
                                        ; implicit-def: $sgpr23
                                        ; implicit-def: $vgpr6_vgpr7
	s_mov_b32 s25, s22
	s_cbranch_execnz .LBB156_296
	s_branch .LBB156_309
.LBB156_294:                            ;   in Loop: Header=BB156_6 Depth=1
	s_set_inst_prefetch_distance 0x2
	s_or_b32 exec_lo, exec_lo, s23
	s_delay_alu instid0(SALU_CYCLE_1)
	s_and_b32 s26, s22, exec_lo
.LBB156_295:                            ;   in Loop: Header=BB156_6 Depth=1
	s_or_b32 exec_lo, exec_lo, s7
	s_mov_b32 s22, 0
	s_mov_b32 s23, -1
	s_mov_b32 s25, s22
	s_branch .LBB156_309
.LBB156_296:                            ;   in Loop: Header=BB156_6 Depth=1
	s_mov_b32 s26, s55
	s_delay_alu instid0(SALU_CYCLE_1)
	s_cmp_lg_u64 s[26:27], 0
	s_cbranch_scc0 .LBB156_338
; %bb.297:                              ;   in Loop: Header=BB156_6 Depth=1
	v_cvt_f32_u32_e32 v3, s33
	s_sub_u32 s9, 0, s33
	s_subb_u32 s22, 0, 0
	s_delay_alu instid0(VALU_DEP_1) | instskip(NEXT) | instid1(VALU_DEP_1)
	v_fmac_f32_e64 v3, 0, 0x4f800000
	v_rcp_f32_e32 v3, v3
	s_waitcnt_depctr 0xfff
	v_mul_f32_e32 v3, 0x5f7ffffc, v3
	s_delay_alu instid0(VALU_DEP_1) | instskip(NEXT) | instid1(VALU_DEP_1)
	v_mul_f32_e32 v4, 0x2f800000, v3
	v_trunc_f32_e32 v4, v4
	s_delay_alu instid0(VALU_DEP_1) | instskip(SKIP_1) | instid1(VALU_DEP_2)
	v_fmac_f32_e32 v3, 0xcf800000, v4
	v_cvt_u32_f32_e32 v4, v4
	v_cvt_u32_f32_e32 v3, v3
	s_delay_alu instid0(VALU_DEP_2) | instskip(NEXT) | instid1(VALU_DEP_2)
	v_readfirstlane_b32 s7, v4
	v_readfirstlane_b32 s8, v3
	s_delay_alu instid0(VALU_DEP_2) | instskip(NEXT) | instid1(VALU_DEP_1)
	s_mul_i32 s23, s9, s7
	s_mul_hi_u32 s26, s9, s8
	s_mul_i32 s25, s22, s8
	s_add_i32 s23, s26, s23
	s_mul_i32 s65, s9, s8
	s_add_i32 s23, s23, s25
	s_mul_hi_u32 s26, s8, s65
	s_mul_hi_u32 s66, s7, s65
	s_mul_i32 s25, s7, s65
	s_mul_hi_u32 s65, s8, s23
	s_mul_i32 s8, s8, s23
	s_mul_hi_u32 s67, s7, s23
	s_add_u32 s8, s26, s8
	s_addc_u32 s26, 0, s65
	s_add_u32 s8, s8, s25
	s_mul_i32 s23, s7, s23
	s_addc_u32 s8, s26, s66
	s_addc_u32 s25, s67, 0
	s_add_u32 s8, s8, s23
	s_addc_u32 s23, 0, s25
	v_add_co_u32 v3, s8, v3, s8
	s_delay_alu instid0(VALU_DEP_1) | instskip(SKIP_1) | instid1(VALU_DEP_1)
	s_cmp_lg_u32 s8, 0
	s_addc_u32 s7, s7, s23
	v_readfirstlane_b32 s8, v3
	s_mul_i32 s23, s9, s7
	s_delay_alu instid0(VALU_DEP_1)
	s_mul_hi_u32 s25, s9, s8
	s_mul_i32 s22, s22, s8
	s_add_i32 s23, s25, s23
	s_mul_i32 s9, s9, s8
	s_add_i32 s23, s23, s22
	s_mul_hi_u32 s25, s7, s9
	s_mul_i32 s26, s7, s9
	s_mul_hi_u32 s9, s8, s9
	s_mul_hi_u32 s65, s8, s23
	s_mul_i32 s8, s8, s23
	s_mul_hi_u32 s22, s7, s23
	s_add_u32 s8, s9, s8
	s_addc_u32 s9, 0, s65
	s_add_u32 s8, s8, s26
	s_mul_i32 s23, s7, s23
	s_addc_u32 s8, s9, s25
	s_addc_u32 s9, s22, 0
	s_add_u32 s8, s8, s23
	s_addc_u32 s9, 0, s9
	v_add_co_u32 v3, s8, v3, s8
	s_delay_alu instid0(VALU_DEP_1) | instskip(SKIP_1) | instid1(VALU_DEP_1)
	s_cmp_lg_u32 s8, 0
	s_addc_u32 s7, s7, s9
	v_readfirstlane_b32 s8, v3
	s_mul_i32 s22, s78, s7
	s_mul_hi_u32 s9, s78, s7
	s_mul_hi_u32 s23, s27, s7
	s_mul_i32 s7, s27, s7
	s_mul_hi_u32 s25, s78, s8
	s_mul_hi_u32 s26, s27, s8
	s_mul_i32 s8, s27, s8
	s_add_u32 s22, s25, s22
	s_addc_u32 s9, 0, s9
	s_add_u32 s8, s22, s8
	s_addc_u32 s8, s9, s26
	s_addc_u32 s9, s23, 0
	s_add_u32 s7, s8, s7
	s_addc_u32 s8, 0, s9
	s_mul_hi_u32 s9, s33, s7
	s_mul_i32 s7, s33, s7
	s_mul_i32 s8, s33, s8
	v_sub_co_u32 v3, s7, s78, s7
	s_add_i32 s9, s9, s8
	s_cmp_lg_u32 s7, 0
	s_delay_alu instid0(VALU_DEP_1) | instskip(SKIP_2) | instid1(VALU_DEP_1)
	v_sub_co_u32 v4, s7, v3, s33
	s_subb_u32 s8, s27, s9
	s_cmp_lg_u32 s7, 0
	v_cmp_le_u32_e32 vcc_lo, s33, v4
	v_sub_co_u32 v5, s7, v4, s33
	s_subb_u32 s9, s8, 0
	s_cmp_lg_u32 s7, 0
	v_cndmask_b32_e64 v6, 0, -1, vcc_lo
	s_subb_u32 s7, s9, 0
	s_cmp_eq_u32 s9, 0
	v_mov_b32_e32 v8, s7
	s_cselect_b32 vcc_lo, -1, 0
	s_cmp_eq_u32 s8, 0
	v_cndmask_b32_e32 v6, -1, v6, vcc_lo
	v_cmp_le_u32_e32 vcc_lo, s33, v3
	s_cselect_b32 s7, -1, 0
	v_cndmask_b32_e64 v7, 0, -1, vcc_lo
	s_delay_alu instid0(VALU_DEP_3) | instskip(NEXT) | instid1(VALU_DEP_2)
	v_cmp_ne_u32_e32 vcc_lo, 0, v6
	v_cndmask_b32_e64 v6, -1, v7, s7
	v_cndmask_b32_e32 v7, s9, v8, vcc_lo
	v_cndmask_b32_e32 v5, v4, v5, vcc_lo
	s_delay_alu instid0(VALU_DEP_3) | instskip(NEXT) | instid1(VALU_DEP_3)
	v_cmp_ne_u32_e32 vcc_lo, 0, v6
	v_cndmask_b32_e32 v4, s8, v7, vcc_lo
	s_delay_alu instid0(VALU_DEP_3)
	v_cndmask_b32_e32 v3, v3, v5, vcc_lo
	s_cbranch_execnz .LBB156_299
.LBB156_298:                            ;   in Loop: Header=BB156_6 Depth=1
	v_cvt_f32_u32_e32 v3, s33
	s_sub_i32 s7, 0, s33
	s_delay_alu instid0(VALU_DEP_1) | instskip(SKIP_2) | instid1(VALU_DEP_1)
	v_rcp_iflag_f32_e32 v3, v3
	s_waitcnt_depctr 0xfff
	v_mul_f32_e32 v3, 0x4f7ffffe, v3
	v_cvt_u32_f32_e32 v3, v3
	s_delay_alu instid0(VALU_DEP_1) | instskip(NEXT) | instid1(VALU_DEP_1)
	v_mul_lo_u32 v4, s7, v3
	v_mul_hi_u32 v4, v3, v4
	s_delay_alu instid0(VALU_DEP_1) | instskip(NEXT) | instid1(VALU_DEP_1)
	v_add_nc_u32_e32 v3, v3, v4
	v_mul_hi_u32 v3, s78, v3
	s_delay_alu instid0(VALU_DEP_1) | instskip(NEXT) | instid1(VALU_DEP_1)
	v_mul_lo_u32 v3, v3, s33
	v_sub_nc_u32_e32 v3, s78, v3
	s_delay_alu instid0(VALU_DEP_1) | instskip(SKIP_1) | instid1(VALU_DEP_2)
	v_subrev_nc_u32_e32 v4, s33, v3
	v_cmp_le_u32_e32 vcc_lo, s33, v3
	v_cndmask_b32_e32 v3, v3, v4, vcc_lo
	s_delay_alu instid0(VALU_DEP_1) | instskip(SKIP_1) | instid1(VALU_DEP_2)
	v_subrev_nc_u32_e32 v4, s33, v3
	v_cmp_le_u32_e32 vcc_lo, s33, v3
	v_cndmask_b32_e32 v18, v3, v4, vcc_lo
	s_delay_alu instid0(VALU_DEP_1)
	v_dual_mov_b32 v3, v18 :: v_dual_mov_b32 v4, v19
.LBB156_299:                            ;   in Loop: Header=BB156_6 Depth=1
	s_delay_alu instid0(VALU_DEP_1) | instskip(NEXT) | instid1(VALU_DEP_2)
	v_sub_co_u32 v8, vcc_lo, s78, v3
	v_sub_co_ci_u32_e32 v9, vcc_lo, s27, v4, vcc_lo
	s_mov_b32 s26, 0
	s_mov_b32 s7, exec_lo
                                        ; implicit-def: $vgpr6_vgpr7
	s_delay_alu instid0(VALU_DEP_1)
	v_cmpx_gt_u64_e64 v[8:9], v[0:1]
	s_cbranch_execz .LBB156_308
; %bb.300:                              ;   in Loop: Header=BB156_6 Depth=1
	v_dual_mov_b32 v10, v16 :: v_dual_mov_b32 v11, v17
	v_dual_mov_b32 v13, v1 :: v_dual_mov_b32 v12, v0
	s_mov_b32 s9, 0
                                        ; implicit-def: $sgpr8
	s_set_inst_prefetch_distance 0x1
	s_branch .LBB156_302
	.p2align	6
.LBB156_301:                            ;   in Loop: Header=BB156_302 Depth=2
	s_or_b32 exec_lo, exec_lo, s22
	s_waitcnt vmcnt(0) lgkmcnt(0)
	s_barrier
	buffer_gl0_inv
	ds_load_b128 v[4:7], v19 offset:3072
	v_add_co_u32 v12, vcc_lo, v12, s33
	v_add_co_ci_u32_e32 v13, vcc_lo, 0, v13, vcc_lo
	s_waitcnt lgkmcnt(0)
	s_barrier
	buffer_gl0_inv
	v_cmp_ge_u64_e32 vcc_lo, v[12:13], v[8:9]
	v_readfirstlane_b32 s23, v5
	v_readfirstlane_b32 s22, v4
	s_delay_alu instid0(VALU_DEP_1) | instskip(SKIP_1) | instid1(SALU_CYCLE_1)
	s_cmp_lg_u64 s[22:23], 0
	s_cselect_b32 s22, -1, 0
	s_or_b32 s23, vcc_lo, s22
	v_add_co_u32 v10, vcc_lo, v10, s34
	s_and_b32 s23, exec_lo, s23
	v_add_co_ci_u32_e32 v11, vcc_lo, s35, v11, vcc_lo
	s_or_b32 s9, s23, s9
	s_and_not1_b32 s8, s8, exec_lo
	s_and_b32 s22, s22, exec_lo
	s_delay_alu instid0(SALU_CYCLE_1)
	s_or_b32 s8, s8, s22
	s_and_not1_b32 exec_lo, exec_lo, s9
	s_cbranch_execz .LBB156_307
.LBB156_302:                            ;   Parent Loop BB156_6 Depth=1
                                        ; =>  This Inner Loop Header: Depth=2
	s_delay_alu instid0(VALU_DEP_1)
	v_cmp_gt_u64_e32 vcc_lo, s[28:29], v[12:13]
	v_mov_b32_e32 v4, 0
	v_mov_b32_e32 v5, 0
	s_and_saveexec_b32 s22, vcc_lo
	s_cbranch_execz .LBB156_304
; %bb.303:                              ;   in Loop: Header=BB156_302 Depth=2
	global_load_b64 v[4:5], v[10:11], off
.LBB156_304:                            ;   in Loop: Header=BB156_302 Depth=2
	s_or_b32 exec_lo, exec_lo, s22
	s_and_saveexec_b32 s22, vcc_lo
	s_cbranch_execz .LBB156_301
; %bb.305:                              ;   in Loop: Header=BB156_302 Depth=2
	s_waitcnt vmcnt(0)
	v_xor_b32_e32 v3, 0x80000000, v5
	v_and_b32_e32 v6, v4, v29
	s_delay_alu instid0(VALU_DEP_2) | instskip(NEXT) | instid1(VALU_DEP_1)
	v_and_b32_e32 v7, v3, v30
	v_cmp_eq_u64_e32 vcc_lo, v[6:7], v[31:32]
	s_and_b32 exec_lo, exec_lo, vcc_lo
	s_cbranch_execz .LBB156_301
; %bb.306:                              ;   in Loop: Header=BB156_302 Depth=2
	v_mov_b32_e32 v3, v19
	ds_store_b128 v19, v[2:5] offset:3072
	s_branch .LBB156_301
.LBB156_307:                            ;   in Loop: Header=BB156_6 Depth=1
	s_set_inst_prefetch_distance 0x2
	s_or_b32 exec_lo, exec_lo, s9
	s_delay_alu instid0(SALU_CYCLE_1)
	s_and_b32 s26, s8, exec_lo
.LBB156_308:                            ;   in Loop: Header=BB156_6 Depth=1
	s_or_b32 exec_lo, exec_lo, s7
	s_mov_b32 s23, 0
	s_mov_b32 s22, -1
	s_mov_b32 s25, 0
.LBB156_309:                            ;   in Loop: Header=BB156_6 Depth=1
	s_or_not1_b32 s7, s26, exec_lo
.LBB156_310:                            ;   in Loop: Header=BB156_6 Depth=1
	s_or_b32 exec_lo, exec_lo, s63
                                        ; implicit-def: $vgpr5
                                        ; implicit-def: $vgpr35_vgpr36
                                        ; implicit-def: $vgpr12_vgpr13
                                        ; implicit-def: $vgpr14_vgpr15
                                        ; implicit-def: $vgpr10_vgpr11
	s_and_saveexec_b32 s63, s7
	s_cbranch_execz .LBB156_473
; %bb.311:                              ;   in Loop: Header=BB156_6 Depth=1
	v_mov_b32_e32 v35, 1
	v_dual_mov_b32 v36, 0 :: v_dual_mov_b32 v5, 1
	s_xor_b32 s8, s64, -1
	s_mov_b32 s26, 0
	s_and_saveexec_b32 s7, s8
	s_cbranch_execz .LBB156_321
; %bb.312:                              ;   in Loop: Header=BB156_6 Depth=1
	s_mov_b32 s9, exec_lo
                                        ; implicit-def: $sgpr26
                                        ; implicit-def: $sgpr8
	v_cmpx_ge_u64_e64 s[20:21], v[33:34]
	s_xor_b32 s9, exec_lo, s9
	s_cbranch_execz .LBB156_318
; %bb.313:                              ;   in Loop: Header=BB156_6 Depth=1
	ds_load_b64 v[3:4], v19 offset:5120
	s_waitcnt lgkmcnt(0)
	v_cmp_ne_u64_e32 vcc_lo, 0, v[3:4]
	s_cbranch_vccnz .LBB156_317
; %bb.314:                              ;   in Loop: Header=BB156_6 Depth=1
	s_and_saveexec_b32 s8, s5
	s_cbranch_execz .LBB156_316
; %bb.315:                              ;   in Loop: Header=BB156_6 Depth=1
	v_dual_mov_b32 v3, s20 :: v_dual_mov_b32 v4, s21
	ds_store_b64 v19, v[3:4] offset:5128
.LBB156_316:                            ;   in Loop: Header=BB156_6 Depth=1
	s_or_b32 exec_lo, exec_lo, s8
	s_waitcnt lgkmcnt(0)
	s_barrier
	buffer_gl0_inv
.LBB156_317:                            ;   in Loop: Header=BB156_6 Depth=1
	v_or_b32_e32 v32, s13, v32
	v_or_b32_e32 v31, s12, v31
	;; [unrolled: 1-line block ×4, first 2 shown]
	s_mov_b32 s8, 0
	s_mov_b32 s26, 5
.LBB156_318:                            ;   in Loop: Header=BB156_6 Depth=1
	s_or_saveexec_b32 s9, s9
	v_mov_b32_e32 v5, s26
	s_xor_b32 exec_lo, exec_lo, s9
; %bb.319:                              ;   in Loop: Header=BB156_6 Depth=1
	v_sub_co_u32 v33, vcc_lo, v33, s20
	v_subrev_co_ci_u32_e32 v34, vcc_lo, s21, v34, vcc_lo
	v_mov_b32_e32 v5, 0
	s_or_b32 s8, s8, exec_lo
; %bb.320:                              ;   in Loop: Header=BB156_6 Depth=1
	s_or_b32 exec_lo, exec_lo, s9
	s_delay_alu instid0(VALU_DEP_2)
	v_dual_mov_b32 v36, v34 :: v_dual_mov_b32 v35, v33
	s_and_b32 s26, s8, exec_lo
.LBB156_321:                            ;   in Loop: Header=BB156_6 Depth=1
	s_or_b32 exec_lo, exec_lo, s7
	s_mov_b32 s21, -1
                                        ; implicit-def: $sgpr8
                                        ; implicit-def: $sgpr9
                                        ; implicit-def: $sgpr20
	s_and_saveexec_b32 s7, s26
	s_delay_alu instid0(SALU_CYCLE_1)
	s_xor_b32 s64, exec_lo, s7
	s_cbranch_execz .LBB156_470
; %bb.322:                              ;   in Loop: Header=BB156_6 Depth=1
	v_cmp_eq_u64_e32 vcc_lo, 1, v[35:36]
	s_cmp_eq_u64 s[18:19], 1
                                        ; implicit-def: $sgpr20
                                        ; implicit-def: $sgpr21
                                        ; implicit-def: $sgpr65
	s_cselect_b32 s7, -1, 0
	s_delay_alu instid0(SALU_CYCLE_1)
	s_and_b32 s67, s7, vcc_lo
	s_mov_b32 s7, -1
	s_and_saveexec_b32 s66, s67
	s_cbranch_execz .LBB156_356
; %bb.323:                              ;   in Loop: Header=BB156_6 Depth=1
	ds_load_b64 v[3:4], v19 offset:5120
	s_waitcnt lgkmcnt(0)
	s_barrier
	buffer_gl0_inv
	v_readfirstlane_b32 s8, v3
	v_readfirstlane_b32 s9, v4
	s_and_saveexec_b32 s7, s6
	s_cbranch_execz .LBB156_325
; %bb.324:                              ;   in Loop: Header=BB156_6 Depth=1
	v_mov_b32_e32 v18, v19
	ds_store_b64 v47, v[18:19]
.LBB156_325:                            ;   in Loop: Header=BB156_6 Depth=1
	s_or_b32 exec_lo, exec_lo, s7
	v_and_b32_e32 v3, s15, v32
	v_and_b32_e32 v4, s14, v31
	s_lshl_b64 s[20:21], 2, s24
	v_or_b32_e32 v30, s13, v30
	v_or_b32_e32 v29, s12, v29
	;; [unrolled: 1-line block ×4, first 2 shown]
	s_cmp_eq_u64 s[8:9], 0
	s_waitcnt lgkmcnt(0)
	s_barrier
	buffer_gl0_inv
	s_cbranch_scc1 .LBB156_339
; %bb.326:                              ;   in Loop: Header=BB156_6 Depth=1
	s_add_u32 s26, s76, s8
	s_addc_u32 s21, s77, s9
	s_mov_b32 s20, s55
	s_delay_alu instid0(SALU_CYCLE_1)
	s_cmp_lg_u64 s[20:21], 0
	s_cbranch_scc0 .LBB156_383
; %bb.327:                              ;   in Loop: Header=BB156_6 Depth=1
	v_cvt_f32_u32_e32 v3, s33
	s_sub_u32 s65, 0, s33
	s_subb_u32 s68, 0, 0
	s_delay_alu instid0(VALU_DEP_1) | instskip(NEXT) | instid1(VALU_DEP_1)
	v_fmac_f32_e64 v3, 0, 0x4f800000
	v_rcp_f32_e32 v3, v3
	s_waitcnt_depctr 0xfff
	v_mul_f32_e32 v3, 0x5f7ffffc, v3
	s_delay_alu instid0(VALU_DEP_1) | instskip(NEXT) | instid1(VALU_DEP_1)
	v_mul_f32_e32 v4, 0x2f800000, v3
	v_trunc_f32_e32 v4, v4
	s_delay_alu instid0(VALU_DEP_1) | instskip(SKIP_1) | instid1(VALU_DEP_2)
	v_fmac_f32_e32 v3, 0xcf800000, v4
	v_cvt_u32_f32_e32 v4, v4
	v_cvt_u32_f32_e32 v3, v3
	s_delay_alu instid0(VALU_DEP_2) | instskip(NEXT) | instid1(VALU_DEP_2)
	v_readfirstlane_b32 s7, v4
	v_readfirstlane_b32 s20, v3
	s_delay_alu instid0(VALU_DEP_2) | instskip(NEXT) | instid1(VALU_DEP_1)
	s_mul_i32 s69, s65, s7
	s_mul_hi_u32 s71, s65, s20
	s_mul_i32 s70, s68, s20
	s_add_i32 s69, s71, s69
	s_mul_i32 s72, s65, s20
	s_add_i32 s69, s69, s70
	s_mul_hi_u32 s71, s20, s72
	s_mul_hi_u32 s73, s7, s72
	s_mul_i32 s70, s7, s72
	s_mul_hi_u32 s72, s20, s69
	s_mul_i32 s20, s20, s69
	s_mul_hi_u32 s98, s7, s69
	s_add_u32 s20, s71, s20
	s_addc_u32 s71, 0, s72
	s_add_u32 s20, s20, s70
	s_mul_i32 s69, s7, s69
	s_addc_u32 s20, s71, s73
	s_addc_u32 s70, s98, 0
	s_add_u32 s20, s20, s69
	s_addc_u32 s69, 0, s70
	v_add_co_u32 v3, s20, v3, s20
	s_delay_alu instid0(VALU_DEP_1) | instskip(SKIP_1) | instid1(VALU_DEP_1)
	s_cmp_lg_u32 s20, 0
	s_addc_u32 s7, s7, s69
	v_readfirstlane_b32 s20, v3
	s_mul_i32 s69, s65, s7
	s_delay_alu instid0(VALU_DEP_1)
	s_mul_hi_u32 s70, s65, s20
	s_mul_i32 s68, s68, s20
	s_add_i32 s69, s70, s69
	s_mul_i32 s65, s65, s20
	s_add_i32 s69, s69, s68
	s_mul_hi_u32 s70, s7, s65
	s_mul_i32 s71, s7, s65
	s_mul_hi_u32 s65, s20, s65
	s_mul_hi_u32 s72, s20, s69
	s_mul_i32 s20, s20, s69
	s_mul_hi_u32 s68, s7, s69
	s_add_u32 s20, s65, s20
	s_addc_u32 s65, 0, s72
	s_add_u32 s20, s20, s71
	s_mul_i32 s69, s7, s69
	s_addc_u32 s20, s65, s70
	s_addc_u32 s65, s68, 0
	s_add_u32 s20, s20, s69
	s_addc_u32 s65, 0, s65
	v_add_co_u32 v3, s20, v3, s20
	s_delay_alu instid0(VALU_DEP_1) | instskip(SKIP_1) | instid1(VALU_DEP_1)
	s_cmp_lg_u32 s20, 0
	s_addc_u32 s7, s7, s65
	v_readfirstlane_b32 s20, v3
	s_mul_i32 s68, s26, s7
	s_mul_hi_u32 s65, s26, s7
	s_mul_hi_u32 s69, s21, s7
	s_mul_i32 s7, s21, s7
	s_mul_hi_u32 s70, s26, s20
	s_mul_hi_u32 s71, s21, s20
	s_mul_i32 s20, s21, s20
	s_add_u32 s68, s70, s68
	s_addc_u32 s65, 0, s65
	s_add_u32 s20, s68, s20
	s_addc_u32 s20, s65, s71
	s_addc_u32 s65, s69, 0
	s_add_u32 s7, s20, s7
	s_addc_u32 s20, 0, s65
	s_mul_hi_u32 s65, s33, s7
	s_mul_i32 s7, s33, s7
	s_mul_i32 s20, s33, s20
	v_sub_co_u32 v3, s7, s26, s7
	s_add_i32 s65, s65, s20
	s_cmp_lg_u32 s7, 0
	s_delay_alu instid0(VALU_DEP_1) | instskip(SKIP_2) | instid1(VALU_DEP_1)
	v_sub_co_u32 v4, s7, v3, s33
	s_subb_u32 s20, s21, s65
	s_cmp_lg_u32 s7, 0
	v_cmp_le_u32_e32 vcc_lo, s33, v4
	v_sub_co_u32 v5, s7, v4, s33
	s_subb_u32 s65, s20, 0
	s_cmp_lg_u32 s7, 0
	v_cndmask_b32_e64 v6, 0, -1, vcc_lo
	s_subb_u32 s7, s65, 0
	s_cmp_eq_u32 s65, 0
	v_mov_b32_e32 v8, s7
	s_cselect_b32 vcc_lo, -1, 0
	s_cmp_eq_u32 s20, 0
	v_cndmask_b32_e32 v6, -1, v6, vcc_lo
	v_cmp_le_u32_e32 vcc_lo, s33, v3
	s_cselect_b32 s7, -1, 0
	v_cndmask_b32_e64 v7, 0, -1, vcc_lo
	s_delay_alu instid0(VALU_DEP_3) | instskip(NEXT) | instid1(VALU_DEP_2)
	v_cmp_ne_u32_e32 vcc_lo, 0, v6
	v_cndmask_b32_e64 v6, -1, v7, s7
	v_cndmask_b32_e32 v7, s65, v8, vcc_lo
	v_cndmask_b32_e32 v5, v4, v5, vcc_lo
	s_delay_alu instid0(VALU_DEP_3) | instskip(NEXT) | instid1(VALU_DEP_3)
	v_cmp_ne_u32_e32 vcc_lo, 0, v6
	v_cndmask_b32_e32 v4, s20, v7, vcc_lo
	s_delay_alu instid0(VALU_DEP_3)
	v_cndmask_b32_e32 v3, v3, v5, vcc_lo
	s_cbranch_execnz .LBB156_329
.LBB156_328:                            ;   in Loop: Header=BB156_6 Depth=1
	v_cvt_f32_u32_e32 v3, s33
	s_sub_i32 s7, 0, s33
	s_delay_alu instid0(VALU_DEP_1) | instskip(SKIP_2) | instid1(VALU_DEP_1)
	v_rcp_iflag_f32_e32 v3, v3
	s_waitcnt_depctr 0xfff
	v_mul_f32_e32 v3, 0x4f7ffffe, v3
	v_cvt_u32_f32_e32 v3, v3
	s_delay_alu instid0(VALU_DEP_1) | instskip(NEXT) | instid1(VALU_DEP_1)
	v_mul_lo_u32 v4, s7, v3
	v_mul_hi_u32 v4, v3, v4
	s_delay_alu instid0(VALU_DEP_1) | instskip(NEXT) | instid1(VALU_DEP_1)
	v_add_nc_u32_e32 v3, v3, v4
	v_mul_hi_u32 v3, s26, v3
	s_delay_alu instid0(VALU_DEP_1) | instskip(NEXT) | instid1(VALU_DEP_1)
	v_mul_lo_u32 v3, v3, s33
	v_sub_nc_u32_e32 v3, s26, v3
	s_delay_alu instid0(VALU_DEP_1) | instskip(SKIP_1) | instid1(VALU_DEP_2)
	v_subrev_nc_u32_e32 v4, s33, v3
	v_cmp_le_u32_e32 vcc_lo, s33, v3
	v_cndmask_b32_e32 v3, v3, v4, vcc_lo
	s_delay_alu instid0(VALU_DEP_1) | instskip(SKIP_1) | instid1(VALU_DEP_2)
	v_subrev_nc_u32_e32 v4, s33, v3
	v_cmp_le_u32_e32 vcc_lo, s33, v3
	v_cndmask_b32_e32 v18, v3, v4, vcc_lo
	s_delay_alu instid0(VALU_DEP_1)
	v_dual_mov_b32 v3, v18 :: v_dual_mov_b32 v4, v19
.LBB156_329:                            ;   in Loop: Header=BB156_6 Depth=1
	s_delay_alu instid0(VALU_DEP_1) | instskip(NEXT) | instid1(VALU_DEP_2)
	v_sub_co_u32 v8, vcc_lo, s26, v3
	v_sub_co_ci_u32_e32 v9, vcc_lo, s21, v4, vcc_lo
	s_mov_b32 s26, 0
	s_mov_b32 s7, exec_lo
                                        ; implicit-def: $vgpr6_vgpr7
	s_delay_alu instid0(VALU_DEP_1)
	v_cmpx_gt_u64_e64 v[8:9], v[0:1]
	s_cbranch_execz .LBB156_341
; %bb.330:                              ;   in Loop: Header=BB156_6 Depth=1
	v_mov_b32_e32 v12, v45
	v_dual_mov_b32 v11, v1 :: v_dual_mov_b32 v10, v0
	s_mov_b32 s21, 0
                                        ; implicit-def: $sgpr20
	s_set_inst_prefetch_distance 0x1
	s_branch .LBB156_332
	.p2align	6
.LBB156_331:                            ;   in Loop: Header=BB156_332 Depth=2
	s_or_b32 exec_lo, exec_lo, s26
	s_waitcnt lgkmcnt(0)
	s_barrier
	buffer_gl0_inv
	ds_load_b128 v[4:7], v19 offset:3072
	v_add_co_u32 v10, vcc_lo, v10, s33
	v_add_co_ci_u32_e32 v11, vcc_lo, 0, v11, vcc_lo
	v_add_nc_u32_e32 v12, s84, v12
	s_waitcnt lgkmcnt(0)
	s_barrier
	s_delay_alu instid0(VALU_DEP_2) | instskip(SKIP_3) | instid1(VALU_DEP_1)
	v_cmp_ge_u64_e32 vcc_lo, v[10:11], v[8:9]
	buffer_gl0_inv
	v_readfirstlane_b32 s69, v5
	v_readfirstlane_b32 s68, v4
	s_cmp_lg_u64 s[68:69], 0
	s_cselect_b32 s26, -1, 0
	s_delay_alu instid0(SALU_CYCLE_1) | instskip(NEXT) | instid1(SALU_CYCLE_1)
	s_or_b32 s65, vcc_lo, s26
	s_and_b32 s65, exec_lo, s65
	s_delay_alu instid0(SALU_CYCLE_1) | instskip(SKIP_2) | instid1(SALU_CYCLE_1)
	s_or_b32 s21, s65, s21
	s_and_not1_b32 s20, s20, exec_lo
	s_and_b32 s26, s26, exec_lo
	s_or_b32 s20, s20, s26
	s_and_not1_b32 exec_lo, exec_lo, s21
	s_cbranch_execz .LBB156_340
.LBB156_332:                            ;   Parent Loop BB156_6 Depth=1
                                        ; =>  This Inner Loop Header: Depth=2
	s_delay_alu instid0(VALU_DEP_1)
	v_cmp_gt_u64_e32 vcc_lo, s[8:9], v[10:11]
	v_mov_b32_e32 v4, 0
	v_mov_b32_e32 v5, 0
	s_and_saveexec_b32 s26, vcc_lo
	s_cbranch_execz .LBB156_334
; %bb.333:                              ;   in Loop: Header=BB156_332 Depth=2
	ds_load_b64 v[4:5], v12
.LBB156_334:                            ;   in Loop: Header=BB156_332 Depth=2
	s_or_b32 exec_lo, exec_lo, s26
	s_and_saveexec_b32 s26, vcc_lo
	s_cbranch_execz .LBB156_331
; %bb.335:                              ;   in Loop: Header=BB156_332 Depth=2
	s_waitcnt lgkmcnt(0)
	v_xor_b32_e32 v3, 0x80000000, v5
	v_and_b32_e32 v6, v4, v29
	s_delay_alu instid0(VALU_DEP_2) | instskip(NEXT) | instid1(VALU_DEP_1)
	v_and_b32_e32 v7, v3, v30
	v_cmp_eq_u64_e32 vcc_lo, v[6:7], v[31:32]
	s_and_b32 exec_lo, exec_lo, vcc_lo
	s_cbranch_execz .LBB156_331
; %bb.336:                              ;   in Loop: Header=BB156_332 Depth=2
	v_mov_b32_e32 v3, v19
	ds_store_b128 v19, v[2:5] offset:3072
	s_branch .LBB156_331
.LBB156_337:                            ;   in Loop: Header=BB156_6 Depth=1
                                        ; implicit-def: $vgpr3_vgpr4
	s_branch .LBB156_284
.LBB156_338:                            ;   in Loop: Header=BB156_6 Depth=1
                                        ; implicit-def: $vgpr3_vgpr4
	s_branch .LBB156_298
.LBB156_339:                            ;   in Loop: Header=BB156_6 Depth=1
	s_mov_b32 s20, -1
	s_mov_b32 s26, 0
                                        ; implicit-def: $sgpr21
                                        ; implicit-def: $vgpr6_vgpr7
	s_mov_b32 s65, s20
	s_cbranch_execnz .LBB156_342
	s_branch .LBB156_355
.LBB156_340:                            ;   in Loop: Header=BB156_6 Depth=1
	s_set_inst_prefetch_distance 0x2
	s_or_b32 exec_lo, exec_lo, s21
	s_delay_alu instid0(SALU_CYCLE_1)
	s_and_b32 s26, s20, exec_lo
.LBB156_341:                            ;   in Loop: Header=BB156_6 Depth=1
	s_or_b32 exec_lo, exec_lo, s7
	s_mov_b32 s20, 0
	s_mov_b32 s21, -1
	s_mov_b32 s65, s20
	s_branch .LBB156_355
.LBB156_342:                            ;   in Loop: Header=BB156_6 Depth=1
	s_mov_b32 s26, s55
	s_delay_alu instid0(SALU_CYCLE_1)
	s_cmp_lg_u64 s[26:27], 0
	s_cbranch_scc0 .LBB156_384
; %bb.343:                              ;   in Loop: Header=BB156_6 Depth=1
	v_cvt_f32_u32_e32 v3, s33
	s_sub_u32 s9, 0, s33
	s_subb_u32 s20, 0, 0
	s_delay_alu instid0(VALU_DEP_1) | instskip(NEXT) | instid1(VALU_DEP_1)
	v_fmac_f32_e64 v3, 0, 0x4f800000
	v_rcp_f32_e32 v3, v3
	s_waitcnt_depctr 0xfff
	v_mul_f32_e32 v3, 0x5f7ffffc, v3
	s_delay_alu instid0(VALU_DEP_1) | instskip(NEXT) | instid1(VALU_DEP_1)
	v_mul_f32_e32 v4, 0x2f800000, v3
	v_trunc_f32_e32 v4, v4
	s_delay_alu instid0(VALU_DEP_1) | instskip(SKIP_1) | instid1(VALU_DEP_2)
	v_fmac_f32_e32 v3, 0xcf800000, v4
	v_cvt_u32_f32_e32 v4, v4
	v_cvt_u32_f32_e32 v3, v3
	s_delay_alu instid0(VALU_DEP_2) | instskip(NEXT) | instid1(VALU_DEP_2)
	v_readfirstlane_b32 s7, v4
	v_readfirstlane_b32 s8, v3
	s_delay_alu instid0(VALU_DEP_2) | instskip(NEXT) | instid1(VALU_DEP_1)
	s_mul_i32 s21, s9, s7
	s_mul_hi_u32 s65, s9, s8
	s_mul_i32 s26, s20, s8
	s_add_i32 s21, s65, s21
	s_mul_i32 s68, s9, s8
	s_add_i32 s21, s21, s26
	s_mul_hi_u32 s65, s8, s68
	s_mul_hi_u32 s69, s7, s68
	s_mul_i32 s26, s7, s68
	s_mul_hi_u32 s68, s8, s21
	s_mul_i32 s8, s8, s21
	s_mul_hi_u32 s70, s7, s21
	s_add_u32 s8, s65, s8
	s_addc_u32 s65, 0, s68
	s_add_u32 s8, s8, s26
	s_mul_i32 s21, s7, s21
	s_addc_u32 s8, s65, s69
	s_addc_u32 s26, s70, 0
	s_add_u32 s8, s8, s21
	s_addc_u32 s21, 0, s26
	v_add_co_u32 v3, s8, v3, s8
	s_delay_alu instid0(VALU_DEP_1) | instskip(SKIP_1) | instid1(VALU_DEP_1)
	s_cmp_lg_u32 s8, 0
	s_addc_u32 s7, s7, s21
	v_readfirstlane_b32 s8, v3
	s_mul_i32 s21, s9, s7
	s_delay_alu instid0(VALU_DEP_1)
	s_mul_hi_u32 s26, s9, s8
	s_mul_i32 s20, s20, s8
	s_add_i32 s21, s26, s21
	s_mul_i32 s9, s9, s8
	s_add_i32 s21, s21, s20
	s_mul_hi_u32 s26, s7, s9
	s_mul_i32 s65, s7, s9
	s_mul_hi_u32 s9, s8, s9
	s_mul_hi_u32 s68, s8, s21
	s_mul_i32 s8, s8, s21
	s_mul_hi_u32 s20, s7, s21
	s_add_u32 s8, s9, s8
	s_addc_u32 s9, 0, s68
	s_add_u32 s8, s8, s65
	s_mul_i32 s21, s7, s21
	s_addc_u32 s8, s9, s26
	s_addc_u32 s9, s20, 0
	s_add_u32 s8, s8, s21
	s_addc_u32 s9, 0, s9
	v_add_co_u32 v3, s8, v3, s8
	s_delay_alu instid0(VALU_DEP_1) | instskip(SKIP_1) | instid1(VALU_DEP_1)
	s_cmp_lg_u32 s8, 0
	s_addc_u32 s7, s7, s9
	v_readfirstlane_b32 s8, v3
	s_mul_i32 s20, s78, s7
	s_mul_hi_u32 s9, s78, s7
	s_mul_hi_u32 s21, s27, s7
	s_mul_i32 s7, s27, s7
	s_mul_hi_u32 s26, s78, s8
	s_mul_hi_u32 s65, s27, s8
	s_mul_i32 s8, s27, s8
	s_add_u32 s20, s26, s20
	s_addc_u32 s9, 0, s9
	s_add_u32 s8, s20, s8
	s_addc_u32 s8, s9, s65
	s_addc_u32 s9, s21, 0
	s_add_u32 s7, s8, s7
	s_addc_u32 s8, 0, s9
	s_mul_hi_u32 s9, s33, s7
	s_mul_i32 s7, s33, s7
	s_mul_i32 s8, s33, s8
	v_sub_co_u32 v3, s7, s78, s7
	s_add_i32 s9, s9, s8
	s_cmp_lg_u32 s7, 0
	s_delay_alu instid0(VALU_DEP_1) | instskip(SKIP_2) | instid1(VALU_DEP_1)
	v_sub_co_u32 v4, s7, v3, s33
	s_subb_u32 s8, s27, s9
	s_cmp_lg_u32 s7, 0
	v_cmp_le_u32_e32 vcc_lo, s33, v4
	v_sub_co_u32 v5, s7, v4, s33
	s_subb_u32 s9, s8, 0
	s_cmp_lg_u32 s7, 0
	v_cndmask_b32_e64 v6, 0, -1, vcc_lo
	s_subb_u32 s7, s9, 0
	s_cmp_eq_u32 s9, 0
	v_mov_b32_e32 v8, s7
	s_cselect_b32 vcc_lo, -1, 0
	s_cmp_eq_u32 s8, 0
	v_cndmask_b32_e32 v6, -1, v6, vcc_lo
	v_cmp_le_u32_e32 vcc_lo, s33, v3
	s_cselect_b32 s7, -1, 0
	v_cndmask_b32_e64 v7, 0, -1, vcc_lo
	s_delay_alu instid0(VALU_DEP_3) | instskip(NEXT) | instid1(VALU_DEP_2)
	v_cmp_ne_u32_e32 vcc_lo, 0, v6
	v_cndmask_b32_e64 v6, -1, v7, s7
	v_cndmask_b32_e32 v7, s9, v8, vcc_lo
	v_cndmask_b32_e32 v5, v4, v5, vcc_lo
	s_delay_alu instid0(VALU_DEP_3) | instskip(NEXT) | instid1(VALU_DEP_3)
	v_cmp_ne_u32_e32 vcc_lo, 0, v6
	v_cndmask_b32_e32 v4, s8, v7, vcc_lo
	s_delay_alu instid0(VALU_DEP_3)
	v_cndmask_b32_e32 v3, v3, v5, vcc_lo
	s_cbranch_execnz .LBB156_345
.LBB156_344:                            ;   in Loop: Header=BB156_6 Depth=1
	v_cvt_f32_u32_e32 v3, s33
	s_sub_i32 s7, 0, s33
	s_delay_alu instid0(VALU_DEP_1) | instskip(SKIP_2) | instid1(VALU_DEP_1)
	v_rcp_iflag_f32_e32 v3, v3
	s_waitcnt_depctr 0xfff
	v_mul_f32_e32 v3, 0x4f7ffffe, v3
	v_cvt_u32_f32_e32 v3, v3
	s_delay_alu instid0(VALU_DEP_1) | instskip(NEXT) | instid1(VALU_DEP_1)
	v_mul_lo_u32 v4, s7, v3
	v_mul_hi_u32 v4, v3, v4
	s_delay_alu instid0(VALU_DEP_1) | instskip(NEXT) | instid1(VALU_DEP_1)
	v_add_nc_u32_e32 v3, v3, v4
	v_mul_hi_u32 v3, s78, v3
	s_delay_alu instid0(VALU_DEP_1) | instskip(NEXT) | instid1(VALU_DEP_1)
	v_mul_lo_u32 v3, v3, s33
	v_sub_nc_u32_e32 v3, s78, v3
	s_delay_alu instid0(VALU_DEP_1) | instskip(SKIP_1) | instid1(VALU_DEP_2)
	v_subrev_nc_u32_e32 v4, s33, v3
	v_cmp_le_u32_e32 vcc_lo, s33, v3
	v_cndmask_b32_e32 v3, v3, v4, vcc_lo
	s_delay_alu instid0(VALU_DEP_1) | instskip(SKIP_1) | instid1(VALU_DEP_2)
	v_subrev_nc_u32_e32 v4, s33, v3
	v_cmp_le_u32_e32 vcc_lo, s33, v3
	v_cndmask_b32_e32 v18, v3, v4, vcc_lo
	s_delay_alu instid0(VALU_DEP_1)
	v_dual_mov_b32 v3, v18 :: v_dual_mov_b32 v4, v19
.LBB156_345:                            ;   in Loop: Header=BB156_6 Depth=1
	s_delay_alu instid0(VALU_DEP_1) | instskip(NEXT) | instid1(VALU_DEP_2)
	v_sub_co_u32 v8, vcc_lo, s78, v3
	v_sub_co_ci_u32_e32 v9, vcc_lo, s27, v4, vcc_lo
	s_mov_b32 s26, 0
	s_mov_b32 s7, exec_lo
                                        ; implicit-def: $vgpr6_vgpr7
	s_delay_alu instid0(VALU_DEP_1)
	v_cmpx_gt_u64_e64 v[8:9], v[0:1]
	s_cbranch_execz .LBB156_354
; %bb.346:                              ;   in Loop: Header=BB156_6 Depth=1
	v_dual_mov_b32 v10, v16 :: v_dual_mov_b32 v11, v17
	v_dual_mov_b32 v13, v1 :: v_dual_mov_b32 v12, v0
	s_mov_b32 s9, 0
                                        ; implicit-def: $sgpr8
	s_set_inst_prefetch_distance 0x1
	s_branch .LBB156_348
	.p2align	6
.LBB156_347:                            ;   in Loop: Header=BB156_348 Depth=2
	s_or_b32 exec_lo, exec_lo, s20
	s_waitcnt vmcnt(0) lgkmcnt(0)
	s_barrier
	buffer_gl0_inv
	ds_load_b128 v[4:7], v19 offset:3072
	v_add_co_u32 v12, vcc_lo, v12, s33
	v_add_co_ci_u32_e32 v13, vcc_lo, 0, v13, vcc_lo
	s_waitcnt lgkmcnt(0)
	s_barrier
	buffer_gl0_inv
	v_cmp_ge_u64_e32 vcc_lo, v[12:13], v[8:9]
	v_readfirstlane_b32 s21, v5
	v_readfirstlane_b32 s20, v4
	s_delay_alu instid0(VALU_DEP_1) | instskip(SKIP_1) | instid1(SALU_CYCLE_1)
	s_cmp_lg_u64 s[20:21], 0
	s_cselect_b32 s20, -1, 0
	s_or_b32 s21, vcc_lo, s20
	v_add_co_u32 v10, vcc_lo, v10, s34
	s_and_b32 s21, exec_lo, s21
	v_add_co_ci_u32_e32 v11, vcc_lo, s35, v11, vcc_lo
	s_or_b32 s9, s21, s9
	s_and_not1_b32 s8, s8, exec_lo
	s_and_b32 s20, s20, exec_lo
	s_delay_alu instid0(SALU_CYCLE_1)
	s_or_b32 s8, s8, s20
	s_and_not1_b32 exec_lo, exec_lo, s9
	s_cbranch_execz .LBB156_353
.LBB156_348:                            ;   Parent Loop BB156_6 Depth=1
                                        ; =>  This Inner Loop Header: Depth=2
	s_delay_alu instid0(VALU_DEP_1)
	v_cmp_gt_u64_e32 vcc_lo, s[28:29], v[12:13]
	v_mov_b32_e32 v4, 0
	v_mov_b32_e32 v5, 0
	s_and_saveexec_b32 s20, vcc_lo
	s_cbranch_execz .LBB156_350
; %bb.349:                              ;   in Loop: Header=BB156_348 Depth=2
	global_load_b64 v[4:5], v[10:11], off
.LBB156_350:                            ;   in Loop: Header=BB156_348 Depth=2
	s_or_b32 exec_lo, exec_lo, s20
	s_and_saveexec_b32 s20, vcc_lo
	s_cbranch_execz .LBB156_347
; %bb.351:                              ;   in Loop: Header=BB156_348 Depth=2
	s_waitcnt vmcnt(0)
	v_xor_b32_e32 v3, 0x80000000, v5
	v_and_b32_e32 v6, v4, v29
	s_delay_alu instid0(VALU_DEP_2) | instskip(NEXT) | instid1(VALU_DEP_1)
	v_and_b32_e32 v7, v3, v30
	v_cmp_eq_u64_e32 vcc_lo, v[6:7], v[31:32]
	s_and_b32 exec_lo, exec_lo, vcc_lo
	s_cbranch_execz .LBB156_347
; %bb.352:                              ;   in Loop: Header=BB156_348 Depth=2
	v_mov_b32_e32 v3, v19
	ds_store_b128 v19, v[2:5] offset:3072
	s_branch .LBB156_347
.LBB156_353:                            ;   in Loop: Header=BB156_6 Depth=1
	s_set_inst_prefetch_distance 0x2
	s_or_b32 exec_lo, exec_lo, s9
	s_delay_alu instid0(SALU_CYCLE_1)
	s_and_b32 s26, s8, exec_lo
.LBB156_354:                            ;   in Loop: Header=BB156_6 Depth=1
	s_or_b32 exec_lo, exec_lo, s7
	s_mov_b32 s21, 0
	s_mov_b32 s20, -1
	s_mov_b32 s65, 0
.LBB156_355:                            ;   in Loop: Header=BB156_6 Depth=1
	s_or_not1_b32 s7, s26, exec_lo
.LBB156_356:                            ;   in Loop: Header=BB156_6 Depth=1
	s_or_b32 exec_lo, exec_lo, s66
	s_mov_b32 s26, 0
                                        ; implicit-def: $vgpr5
	s_and_saveexec_b32 s66, s7
	s_cbranch_execz .LBB156_469
; %bb.357:                              ;   in Loop: Header=BB156_6 Depth=1
	v_dual_mov_b32 v8, 1 :: v_dual_mov_b32 v5, 1
	v_mov_b32_e32 v9, 0
	s_xor_b32 s8, s67, -1
	s_delay_alu instid0(SALU_CYCLE_1)
	s_and_saveexec_b32 s7, s8
	s_cbranch_execz .LBB156_367
; %bb.358:                              ;   in Loop: Header=BB156_6 Depth=1
	s_mov_b32 s9, exec_lo
                                        ; implicit-def: $sgpr26
                                        ; implicit-def: $sgpr8
	v_cmpx_ge_u64_e64 s[18:19], v[35:36]
	s_xor_b32 s9, exec_lo, s9
	s_cbranch_execz .LBB156_364
; %bb.359:                              ;   in Loop: Header=BB156_6 Depth=1
	ds_load_b64 v[3:4], v19 offset:5120
	s_waitcnt lgkmcnt(0)
	v_cmp_ne_u64_e32 vcc_lo, 0, v[3:4]
	s_cbranch_vccnz .LBB156_363
; %bb.360:                              ;   in Loop: Header=BB156_6 Depth=1
	s_and_saveexec_b32 s8, s5
	s_cbranch_execz .LBB156_362
; %bb.361:                              ;   in Loop: Header=BB156_6 Depth=1
	v_dual_mov_b32 v3, s18 :: v_dual_mov_b32 v4, s19
	ds_store_b64 v19, v[3:4] offset:5128
.LBB156_362:                            ;   in Loop: Header=BB156_6 Depth=1
	s_or_b32 exec_lo, exec_lo, s8
	s_waitcnt lgkmcnt(0)
	s_barrier
	buffer_gl0_inv
.LBB156_363:                            ;   in Loop: Header=BB156_6 Depth=1
	v_and_b32_e32 v3, s15, v32
	v_and_b32_e32 v4, s14, v31
	s_lshl_b64 s[68:69], 2, s24
	v_or_b32_e32 v30, s13, v30
	v_or_b32_e32 v29, s12, v29
	;; [unrolled: 1-line block ×4, first 2 shown]
	s_mov_b32 s8, 0
	s_mov_b32 s26, 5
.LBB156_364:                            ;   in Loop: Header=BB156_6 Depth=1
	s_or_saveexec_b32 s9, s9
	v_mov_b32_e32 v5, s26
	s_xor_b32 exec_lo, exec_lo, s9
; %bb.365:                              ;   in Loop: Header=BB156_6 Depth=1
	v_sub_co_u32 v35, vcc_lo, v35, s18
	v_subrev_co_ci_u32_e32 v36, vcc_lo, s19, v36, vcc_lo
	v_mov_b32_e32 v5, 0
	s_or_b32 s8, s8, exec_lo
; %bb.366:                              ;   in Loop: Header=BB156_6 Depth=1
	s_or_b32 exec_lo, exec_lo, s9
	s_delay_alu instid0(VALU_DEP_2)
	v_dual_mov_b32 v8, v35 :: v_dual_mov_b32 v9, v36
	s_and_b32 s26, s8, exec_lo
.LBB156_367:                            ;   in Loop: Header=BB156_6 Depth=1
	s_or_b32 exec_lo, exec_lo, s7
	s_mov_b32 s7, -1
                                        ; implicit-def: $sgpr8
                                        ; implicit-def: $sgpr9
                                        ; implicit-def: $sgpr18
	s_and_saveexec_b32 s67, s26
	s_cbranch_execz .LBB156_468
; %bb.368:                              ;   in Loop: Header=BB156_6 Depth=1
	v_cmp_eq_u64_e32 vcc_lo, 1, v[8:9]
	s_cmp_eq_u64 s[16:17], 1
                                        ; implicit-def: $sgpr18
                                        ; implicit-def: $sgpr19
                                        ; implicit-def: $sgpr68
	s_cselect_b32 s7, -1, 0
	s_delay_alu instid0(SALU_CYCLE_1)
	s_and_b32 s70, s7, vcc_lo
	s_mov_b32 s7, -1
	s_and_saveexec_b32 s69, s70
	s_cbranch_execz .LBB156_402
; %bb.369:                              ;   in Loop: Header=BB156_6 Depth=1
	ds_load_b64 v[3:4], v19 offset:5120
	s_waitcnt lgkmcnt(0)
	s_barrier
	buffer_gl0_inv
	v_readfirstlane_b32 s8, v3
	v_readfirstlane_b32 s9, v4
	s_and_saveexec_b32 s7, s6
	s_cbranch_execz .LBB156_371
; %bb.370:                              ;   in Loop: Header=BB156_6 Depth=1
	v_mov_b32_e32 v18, v19
	ds_store_b64 v47, v[18:19]
.LBB156_371:                            ;   in Loop: Header=BB156_6 Depth=1
	s_or_b32 exec_lo, exec_lo, s7
	v_and_b32_e32 v3, s15, v32
	v_and_b32_e32 v4, s14, v31
	s_lshl_b64 s[18:19], 1, s24
	v_or_b32_e32 v30, s13, v30
	v_or_b32_e32 v29, s12, v29
	;; [unrolled: 1-line block ×4, first 2 shown]
	s_cmp_eq_u64 s[8:9], 0
	s_waitcnt lgkmcnt(0)
	s_barrier
	buffer_gl0_inv
	s_cbranch_scc1 .LBB156_385
; %bb.372:                              ;   in Loop: Header=BB156_6 Depth=1
	s_add_u32 s26, s76, s8
	s_addc_u32 s19, s77, s9
	s_mov_b32 s18, s55
	s_delay_alu instid0(SALU_CYCLE_1)
	s_cmp_lg_u64 s[18:19], 0
	s_cbranch_scc0 .LBB156_420
; %bb.373:                              ;   in Loop: Header=BB156_6 Depth=1
	v_cvt_f32_u32_e32 v3, s33
	s_sub_u32 s68, 0, s33
	s_subb_u32 s71, 0, 0
	s_delay_alu instid0(VALU_DEP_1) | instskip(NEXT) | instid1(VALU_DEP_1)
	v_fmac_f32_e64 v3, 0, 0x4f800000
	v_rcp_f32_e32 v3, v3
	s_waitcnt_depctr 0xfff
	v_mul_f32_e32 v3, 0x5f7ffffc, v3
	s_delay_alu instid0(VALU_DEP_1) | instskip(NEXT) | instid1(VALU_DEP_1)
	v_mul_f32_e32 v4, 0x2f800000, v3
	v_trunc_f32_e32 v4, v4
	s_delay_alu instid0(VALU_DEP_1) | instskip(SKIP_1) | instid1(VALU_DEP_2)
	v_fmac_f32_e32 v3, 0xcf800000, v4
	v_cvt_u32_f32_e32 v4, v4
	v_cvt_u32_f32_e32 v3, v3
	s_delay_alu instid0(VALU_DEP_2) | instskip(NEXT) | instid1(VALU_DEP_2)
	v_readfirstlane_b32 s7, v4
	v_readfirstlane_b32 s18, v3
	s_delay_alu instid0(VALU_DEP_2) | instskip(NEXT) | instid1(VALU_DEP_1)
	s_mul_i32 s72, s68, s7
	s_mul_hi_u32 s98, s68, s18
	s_mul_i32 s73, s71, s18
	s_add_i32 s72, s98, s72
	s_mul_i32 s99, s68, s18
	s_add_i32 s72, s72, s73
	s_mul_hi_u32 s98, s18, s99
	s_mul_hi_u32 s100, s7, s99
	s_mul_i32 s73, s7, s99
	s_mul_hi_u32 s99, s18, s72
	s_mul_i32 s18, s18, s72
	s_mul_hi_u32 s101, s7, s72
	s_add_u32 s18, s98, s18
	s_addc_u32 s98, 0, s99
	s_add_u32 s18, s18, s73
	s_mul_i32 s72, s7, s72
	s_addc_u32 s18, s98, s100
	s_addc_u32 s73, s101, 0
	s_add_u32 s18, s18, s72
	s_addc_u32 s72, 0, s73
	v_add_co_u32 v3, s18, v3, s18
	s_delay_alu instid0(VALU_DEP_1) | instskip(SKIP_1) | instid1(VALU_DEP_1)
	s_cmp_lg_u32 s18, 0
	s_addc_u32 s7, s7, s72
	v_readfirstlane_b32 s18, v3
	s_mul_i32 s72, s68, s7
	s_delay_alu instid0(VALU_DEP_1)
	s_mul_hi_u32 s73, s68, s18
	s_mul_i32 s71, s71, s18
	s_add_i32 s72, s73, s72
	s_mul_i32 s68, s68, s18
	s_add_i32 s72, s72, s71
	s_mul_hi_u32 s73, s7, s68
	s_mul_i32 s98, s7, s68
	s_mul_hi_u32 s68, s18, s68
	s_mul_hi_u32 s99, s18, s72
	s_mul_i32 s18, s18, s72
	s_mul_hi_u32 s71, s7, s72
	s_add_u32 s18, s68, s18
	s_addc_u32 s68, 0, s99
	s_add_u32 s18, s18, s98
	s_mul_i32 s72, s7, s72
	s_addc_u32 s18, s68, s73
	s_addc_u32 s68, s71, 0
	s_add_u32 s18, s18, s72
	s_addc_u32 s68, 0, s68
	v_add_co_u32 v3, s18, v3, s18
	s_delay_alu instid0(VALU_DEP_1) | instskip(SKIP_1) | instid1(VALU_DEP_1)
	s_cmp_lg_u32 s18, 0
	s_addc_u32 s7, s7, s68
	v_readfirstlane_b32 s18, v3
	s_mul_i32 s71, s26, s7
	s_mul_hi_u32 s68, s26, s7
	s_mul_hi_u32 s72, s19, s7
	s_mul_i32 s7, s19, s7
	s_mul_hi_u32 s73, s26, s18
	s_mul_hi_u32 s98, s19, s18
	s_mul_i32 s18, s19, s18
	s_add_u32 s71, s73, s71
	s_addc_u32 s68, 0, s68
	s_add_u32 s18, s71, s18
	s_addc_u32 s18, s68, s98
	s_addc_u32 s68, s72, 0
	s_add_u32 s7, s18, s7
	s_addc_u32 s18, 0, s68
	s_mul_hi_u32 s68, s33, s7
	s_mul_i32 s7, s33, s7
	s_mul_i32 s18, s33, s18
	v_sub_co_u32 v3, s7, s26, s7
	s_add_i32 s68, s68, s18
	s_cmp_lg_u32 s7, 0
	s_delay_alu instid0(VALU_DEP_1) | instskip(SKIP_2) | instid1(VALU_DEP_1)
	v_sub_co_u32 v4, s7, v3, s33
	s_subb_u32 s18, s19, s68
	s_cmp_lg_u32 s7, 0
	v_cmp_le_u32_e32 vcc_lo, s33, v4
	v_sub_co_u32 v5, s7, v4, s33
	s_subb_u32 s68, s18, 0
	s_cmp_lg_u32 s7, 0
	v_cndmask_b32_e64 v6, 0, -1, vcc_lo
	s_subb_u32 s7, s68, 0
	s_cmp_eq_u32 s68, 0
	v_mov_b32_e32 v10, s7
	s_cselect_b32 vcc_lo, -1, 0
	s_cmp_eq_u32 s18, 0
	v_cndmask_b32_e32 v6, -1, v6, vcc_lo
	v_cmp_le_u32_e32 vcc_lo, s33, v3
	s_cselect_b32 s7, -1, 0
	v_cndmask_b32_e64 v7, 0, -1, vcc_lo
	s_delay_alu instid0(VALU_DEP_3) | instskip(NEXT) | instid1(VALU_DEP_2)
	v_cmp_ne_u32_e32 vcc_lo, 0, v6
	v_cndmask_b32_e64 v6, -1, v7, s7
	v_cndmask_b32_e32 v7, s68, v10, vcc_lo
	v_cndmask_b32_e32 v5, v4, v5, vcc_lo
	s_delay_alu instid0(VALU_DEP_3) | instskip(NEXT) | instid1(VALU_DEP_3)
	v_cmp_ne_u32_e32 vcc_lo, 0, v6
	v_cndmask_b32_e32 v4, s18, v7, vcc_lo
	s_delay_alu instid0(VALU_DEP_3)
	v_cndmask_b32_e32 v3, v3, v5, vcc_lo
	s_cbranch_execnz .LBB156_375
.LBB156_374:                            ;   in Loop: Header=BB156_6 Depth=1
	v_cvt_f32_u32_e32 v3, s33
	s_sub_i32 s7, 0, s33
	s_delay_alu instid0(VALU_DEP_1) | instskip(SKIP_2) | instid1(VALU_DEP_1)
	v_rcp_iflag_f32_e32 v3, v3
	s_waitcnt_depctr 0xfff
	v_mul_f32_e32 v3, 0x4f7ffffe, v3
	v_cvt_u32_f32_e32 v3, v3
	s_delay_alu instid0(VALU_DEP_1) | instskip(NEXT) | instid1(VALU_DEP_1)
	v_mul_lo_u32 v4, s7, v3
	v_mul_hi_u32 v4, v3, v4
	s_delay_alu instid0(VALU_DEP_1) | instskip(NEXT) | instid1(VALU_DEP_1)
	v_add_nc_u32_e32 v3, v3, v4
	v_mul_hi_u32 v3, s26, v3
	s_delay_alu instid0(VALU_DEP_1) | instskip(NEXT) | instid1(VALU_DEP_1)
	v_mul_lo_u32 v3, v3, s33
	v_sub_nc_u32_e32 v3, s26, v3
	s_delay_alu instid0(VALU_DEP_1) | instskip(SKIP_1) | instid1(VALU_DEP_2)
	v_subrev_nc_u32_e32 v4, s33, v3
	v_cmp_le_u32_e32 vcc_lo, s33, v3
	v_cndmask_b32_e32 v3, v3, v4, vcc_lo
	s_delay_alu instid0(VALU_DEP_1) | instskip(SKIP_1) | instid1(VALU_DEP_2)
	v_subrev_nc_u32_e32 v4, s33, v3
	v_cmp_le_u32_e32 vcc_lo, s33, v3
	v_cndmask_b32_e32 v18, v3, v4, vcc_lo
	s_delay_alu instid0(VALU_DEP_1)
	v_dual_mov_b32 v3, v18 :: v_dual_mov_b32 v4, v19
.LBB156_375:                            ;   in Loop: Header=BB156_6 Depth=1
	s_delay_alu instid0(VALU_DEP_1) | instskip(NEXT) | instid1(VALU_DEP_2)
	v_sub_co_u32 v10, vcc_lo, s26, v3
	v_sub_co_ci_u32_e32 v11, vcc_lo, s19, v4, vcc_lo
	s_mov_b32 s26, 0
	s_mov_b32 s7, exec_lo
                                        ; implicit-def: $vgpr6_vgpr7
	s_delay_alu instid0(VALU_DEP_1)
	v_cmpx_gt_u64_e64 v[10:11], v[0:1]
	s_cbranch_execz .LBB156_387
; %bb.376:                              ;   in Loop: Header=BB156_6 Depth=1
	v_mov_b32_e32 v14, v45
	v_dual_mov_b32 v13, v1 :: v_dual_mov_b32 v12, v0
	s_mov_b32 s19, 0
                                        ; implicit-def: $sgpr18
	s_set_inst_prefetch_distance 0x1
	s_branch .LBB156_378
	.p2align	6
.LBB156_377:                            ;   in Loop: Header=BB156_378 Depth=2
	s_or_b32 exec_lo, exec_lo, s26
	s_waitcnt lgkmcnt(0)
	s_barrier
	buffer_gl0_inv
	ds_load_b128 v[4:7], v19 offset:3072
	v_add_co_u32 v12, vcc_lo, v12, s33
	v_add_co_ci_u32_e32 v13, vcc_lo, 0, v13, vcc_lo
	v_add_nc_u32_e32 v14, s84, v14
	s_waitcnt lgkmcnt(0)
	s_barrier
	s_delay_alu instid0(VALU_DEP_2) | instskip(SKIP_3) | instid1(VALU_DEP_1)
	v_cmp_ge_u64_e32 vcc_lo, v[12:13], v[10:11]
	buffer_gl0_inv
	v_readfirstlane_b32 s73, v5
	v_readfirstlane_b32 s72, v4
	s_cmp_lg_u64 s[72:73], 0
	s_cselect_b32 s26, -1, 0
	s_delay_alu instid0(SALU_CYCLE_1) | instskip(NEXT) | instid1(SALU_CYCLE_1)
	s_or_b32 s68, vcc_lo, s26
	s_and_b32 s68, exec_lo, s68
	s_delay_alu instid0(SALU_CYCLE_1) | instskip(SKIP_2) | instid1(SALU_CYCLE_1)
	s_or_b32 s19, s68, s19
	s_and_not1_b32 s18, s18, exec_lo
	s_and_b32 s26, s26, exec_lo
	s_or_b32 s18, s18, s26
	s_and_not1_b32 exec_lo, exec_lo, s19
	s_cbranch_execz .LBB156_386
.LBB156_378:                            ;   Parent Loop BB156_6 Depth=1
                                        ; =>  This Inner Loop Header: Depth=2
	s_delay_alu instid0(VALU_DEP_1)
	v_cmp_gt_u64_e32 vcc_lo, s[8:9], v[12:13]
	v_mov_b32_e32 v4, 0
	v_mov_b32_e32 v5, 0
	s_and_saveexec_b32 s26, vcc_lo
	s_cbranch_execz .LBB156_380
; %bb.379:                              ;   in Loop: Header=BB156_378 Depth=2
	ds_load_b64 v[4:5], v14
.LBB156_380:                            ;   in Loop: Header=BB156_378 Depth=2
	s_or_b32 exec_lo, exec_lo, s26
	s_and_saveexec_b32 s26, vcc_lo
	s_cbranch_execz .LBB156_377
; %bb.381:                              ;   in Loop: Header=BB156_378 Depth=2
	s_waitcnt lgkmcnt(0)
	v_xor_b32_e32 v3, 0x80000000, v5
	v_and_b32_e32 v6, v4, v29
	s_delay_alu instid0(VALU_DEP_2) | instskip(NEXT) | instid1(VALU_DEP_1)
	v_and_b32_e32 v7, v3, v30
	v_cmp_eq_u64_e32 vcc_lo, v[6:7], v[31:32]
	s_and_b32 exec_lo, exec_lo, vcc_lo
	s_cbranch_execz .LBB156_377
; %bb.382:                              ;   in Loop: Header=BB156_378 Depth=2
	v_mov_b32_e32 v3, v19
	ds_store_b128 v19, v[2:5] offset:3072
	s_branch .LBB156_377
.LBB156_383:                            ;   in Loop: Header=BB156_6 Depth=1
                                        ; implicit-def: $vgpr3_vgpr4
	s_branch .LBB156_328
.LBB156_384:                            ;   in Loop: Header=BB156_6 Depth=1
                                        ; implicit-def: $vgpr3_vgpr4
	s_branch .LBB156_344
.LBB156_385:                            ;   in Loop: Header=BB156_6 Depth=1
	s_mov_b32 s18, -1
	s_mov_b32 s26, 0
                                        ; implicit-def: $sgpr19
                                        ; implicit-def: $vgpr6_vgpr7
	s_mov_b32 s68, s18
	s_cbranch_execnz .LBB156_388
	s_branch .LBB156_401
.LBB156_386:                            ;   in Loop: Header=BB156_6 Depth=1
	s_set_inst_prefetch_distance 0x2
	s_or_b32 exec_lo, exec_lo, s19
	s_delay_alu instid0(SALU_CYCLE_1)
	s_and_b32 s26, s18, exec_lo
.LBB156_387:                            ;   in Loop: Header=BB156_6 Depth=1
	s_or_b32 exec_lo, exec_lo, s7
	s_mov_b32 s18, 0
	s_mov_b32 s19, -1
	s_mov_b32 s68, s18
	s_branch .LBB156_401
.LBB156_388:                            ;   in Loop: Header=BB156_6 Depth=1
	s_mov_b32 s26, s55
	s_delay_alu instid0(SALU_CYCLE_1)
	s_cmp_lg_u64 s[26:27], 0
	s_cbranch_scc0 .LBB156_421
; %bb.389:                              ;   in Loop: Header=BB156_6 Depth=1
	v_cvt_f32_u32_e32 v3, s33
	s_sub_u32 s9, 0, s33
	s_subb_u32 s18, 0, 0
	s_delay_alu instid0(VALU_DEP_1) | instskip(NEXT) | instid1(VALU_DEP_1)
	v_fmac_f32_e64 v3, 0, 0x4f800000
	v_rcp_f32_e32 v3, v3
	s_waitcnt_depctr 0xfff
	v_mul_f32_e32 v3, 0x5f7ffffc, v3
	s_delay_alu instid0(VALU_DEP_1) | instskip(NEXT) | instid1(VALU_DEP_1)
	v_mul_f32_e32 v4, 0x2f800000, v3
	v_trunc_f32_e32 v4, v4
	s_delay_alu instid0(VALU_DEP_1) | instskip(SKIP_1) | instid1(VALU_DEP_2)
	v_fmac_f32_e32 v3, 0xcf800000, v4
	v_cvt_u32_f32_e32 v4, v4
	v_cvt_u32_f32_e32 v3, v3
	s_delay_alu instid0(VALU_DEP_2) | instskip(NEXT) | instid1(VALU_DEP_2)
	v_readfirstlane_b32 s7, v4
	v_readfirstlane_b32 s8, v3
	s_delay_alu instid0(VALU_DEP_2) | instskip(NEXT) | instid1(VALU_DEP_1)
	s_mul_i32 s19, s9, s7
	s_mul_hi_u32 s68, s9, s8
	s_mul_i32 s26, s18, s8
	s_add_i32 s19, s68, s19
	s_mul_i32 s71, s9, s8
	s_add_i32 s19, s19, s26
	s_mul_hi_u32 s68, s8, s71
	s_mul_hi_u32 s72, s7, s71
	s_mul_i32 s26, s7, s71
	s_mul_hi_u32 s71, s8, s19
	s_mul_i32 s8, s8, s19
	s_mul_hi_u32 s73, s7, s19
	s_add_u32 s8, s68, s8
	s_addc_u32 s68, 0, s71
	s_add_u32 s8, s8, s26
	s_mul_i32 s19, s7, s19
	s_addc_u32 s8, s68, s72
	s_addc_u32 s26, s73, 0
	s_add_u32 s8, s8, s19
	s_addc_u32 s19, 0, s26
	v_add_co_u32 v3, s8, v3, s8
	s_delay_alu instid0(VALU_DEP_1) | instskip(SKIP_1) | instid1(VALU_DEP_1)
	s_cmp_lg_u32 s8, 0
	s_addc_u32 s7, s7, s19
	v_readfirstlane_b32 s8, v3
	s_mul_i32 s19, s9, s7
	s_delay_alu instid0(VALU_DEP_1)
	s_mul_hi_u32 s26, s9, s8
	s_mul_i32 s18, s18, s8
	s_add_i32 s19, s26, s19
	s_mul_i32 s9, s9, s8
	s_add_i32 s19, s19, s18
	s_mul_hi_u32 s26, s7, s9
	s_mul_i32 s68, s7, s9
	s_mul_hi_u32 s9, s8, s9
	s_mul_hi_u32 s71, s8, s19
	s_mul_i32 s8, s8, s19
	s_mul_hi_u32 s18, s7, s19
	s_add_u32 s8, s9, s8
	s_addc_u32 s9, 0, s71
	s_add_u32 s8, s8, s68
	s_mul_i32 s19, s7, s19
	s_addc_u32 s8, s9, s26
	s_addc_u32 s9, s18, 0
	s_add_u32 s8, s8, s19
	s_addc_u32 s9, 0, s9
	v_add_co_u32 v3, s8, v3, s8
	s_delay_alu instid0(VALU_DEP_1) | instskip(SKIP_1) | instid1(VALU_DEP_1)
	s_cmp_lg_u32 s8, 0
	s_addc_u32 s7, s7, s9
	v_readfirstlane_b32 s8, v3
	s_mul_i32 s18, s78, s7
	s_mul_hi_u32 s9, s78, s7
	s_mul_hi_u32 s19, s27, s7
	s_mul_i32 s7, s27, s7
	s_mul_hi_u32 s26, s78, s8
	s_mul_hi_u32 s68, s27, s8
	s_mul_i32 s8, s27, s8
	s_add_u32 s18, s26, s18
	s_addc_u32 s9, 0, s9
	s_add_u32 s8, s18, s8
	s_addc_u32 s8, s9, s68
	s_addc_u32 s9, s19, 0
	s_add_u32 s7, s8, s7
	s_addc_u32 s8, 0, s9
	s_mul_hi_u32 s9, s33, s7
	s_mul_i32 s7, s33, s7
	s_mul_i32 s8, s33, s8
	v_sub_co_u32 v3, s7, s78, s7
	s_add_i32 s9, s9, s8
	s_cmp_lg_u32 s7, 0
	s_delay_alu instid0(VALU_DEP_1) | instskip(SKIP_2) | instid1(VALU_DEP_1)
	v_sub_co_u32 v4, s7, v3, s33
	s_subb_u32 s8, s27, s9
	s_cmp_lg_u32 s7, 0
	v_cmp_le_u32_e32 vcc_lo, s33, v4
	v_sub_co_u32 v5, s7, v4, s33
	s_subb_u32 s9, s8, 0
	s_cmp_lg_u32 s7, 0
	v_cndmask_b32_e64 v6, 0, -1, vcc_lo
	s_subb_u32 s7, s9, 0
	s_cmp_eq_u32 s9, 0
	v_mov_b32_e32 v10, s7
	s_cselect_b32 vcc_lo, -1, 0
	s_cmp_eq_u32 s8, 0
	v_cndmask_b32_e32 v6, -1, v6, vcc_lo
	v_cmp_le_u32_e32 vcc_lo, s33, v3
	s_cselect_b32 s7, -1, 0
	v_cndmask_b32_e64 v7, 0, -1, vcc_lo
	s_delay_alu instid0(VALU_DEP_3) | instskip(NEXT) | instid1(VALU_DEP_2)
	v_cmp_ne_u32_e32 vcc_lo, 0, v6
	v_cndmask_b32_e64 v6, -1, v7, s7
	v_cndmask_b32_e32 v7, s9, v10, vcc_lo
	v_cndmask_b32_e32 v5, v4, v5, vcc_lo
	s_delay_alu instid0(VALU_DEP_3) | instskip(NEXT) | instid1(VALU_DEP_3)
	v_cmp_ne_u32_e32 vcc_lo, 0, v6
	v_cndmask_b32_e32 v4, s8, v7, vcc_lo
	s_delay_alu instid0(VALU_DEP_3)
	v_cndmask_b32_e32 v3, v3, v5, vcc_lo
	s_cbranch_execnz .LBB156_391
.LBB156_390:                            ;   in Loop: Header=BB156_6 Depth=1
	v_cvt_f32_u32_e32 v3, s33
	s_sub_i32 s7, 0, s33
	s_delay_alu instid0(VALU_DEP_1) | instskip(SKIP_2) | instid1(VALU_DEP_1)
	v_rcp_iflag_f32_e32 v3, v3
	s_waitcnt_depctr 0xfff
	v_mul_f32_e32 v3, 0x4f7ffffe, v3
	v_cvt_u32_f32_e32 v3, v3
	s_delay_alu instid0(VALU_DEP_1) | instskip(NEXT) | instid1(VALU_DEP_1)
	v_mul_lo_u32 v4, s7, v3
	v_mul_hi_u32 v4, v3, v4
	s_delay_alu instid0(VALU_DEP_1) | instskip(NEXT) | instid1(VALU_DEP_1)
	v_add_nc_u32_e32 v3, v3, v4
	v_mul_hi_u32 v3, s78, v3
	s_delay_alu instid0(VALU_DEP_1) | instskip(NEXT) | instid1(VALU_DEP_1)
	v_mul_lo_u32 v3, v3, s33
	v_sub_nc_u32_e32 v3, s78, v3
	s_delay_alu instid0(VALU_DEP_1) | instskip(SKIP_1) | instid1(VALU_DEP_2)
	v_subrev_nc_u32_e32 v4, s33, v3
	v_cmp_le_u32_e32 vcc_lo, s33, v3
	v_cndmask_b32_e32 v3, v3, v4, vcc_lo
	s_delay_alu instid0(VALU_DEP_1) | instskip(SKIP_1) | instid1(VALU_DEP_2)
	v_subrev_nc_u32_e32 v4, s33, v3
	v_cmp_le_u32_e32 vcc_lo, s33, v3
	v_cndmask_b32_e32 v18, v3, v4, vcc_lo
	s_delay_alu instid0(VALU_DEP_1)
	v_dual_mov_b32 v3, v18 :: v_dual_mov_b32 v4, v19
.LBB156_391:                            ;   in Loop: Header=BB156_6 Depth=1
	s_delay_alu instid0(VALU_DEP_1) | instskip(NEXT) | instid1(VALU_DEP_2)
	v_sub_co_u32 v10, vcc_lo, s78, v3
	v_sub_co_ci_u32_e32 v11, vcc_lo, s27, v4, vcc_lo
	s_mov_b32 s26, 0
	s_mov_b32 s7, exec_lo
                                        ; implicit-def: $vgpr6_vgpr7
	s_delay_alu instid0(VALU_DEP_1)
	v_cmpx_gt_u64_e64 v[10:11], v[0:1]
	s_cbranch_execz .LBB156_400
; %bb.392:                              ;   in Loop: Header=BB156_6 Depth=1
	v_dual_mov_b32 v12, v16 :: v_dual_mov_b32 v13, v17
	v_dual_mov_b32 v15, v1 :: v_dual_mov_b32 v14, v0
	s_mov_b32 s9, 0
                                        ; implicit-def: $sgpr8
	s_set_inst_prefetch_distance 0x1
	s_branch .LBB156_394
	.p2align	6
.LBB156_393:                            ;   in Loop: Header=BB156_394 Depth=2
	s_or_b32 exec_lo, exec_lo, s18
	s_waitcnt vmcnt(0) lgkmcnt(0)
	s_barrier
	buffer_gl0_inv
	ds_load_b128 v[4:7], v19 offset:3072
	v_add_co_u32 v14, vcc_lo, v14, s33
	v_add_co_ci_u32_e32 v15, vcc_lo, 0, v15, vcc_lo
	s_waitcnt lgkmcnt(0)
	s_barrier
	buffer_gl0_inv
	v_cmp_ge_u64_e32 vcc_lo, v[14:15], v[10:11]
	v_readfirstlane_b32 s19, v5
	v_readfirstlane_b32 s18, v4
	s_delay_alu instid0(VALU_DEP_1) | instskip(SKIP_1) | instid1(SALU_CYCLE_1)
	s_cmp_lg_u64 s[18:19], 0
	s_cselect_b32 s18, -1, 0
	s_or_b32 s19, vcc_lo, s18
	v_add_co_u32 v12, vcc_lo, v12, s34
	s_and_b32 s19, exec_lo, s19
	v_add_co_ci_u32_e32 v13, vcc_lo, s35, v13, vcc_lo
	s_or_b32 s9, s19, s9
	s_and_not1_b32 s8, s8, exec_lo
	s_and_b32 s18, s18, exec_lo
	s_delay_alu instid0(SALU_CYCLE_1)
	s_or_b32 s8, s8, s18
	s_and_not1_b32 exec_lo, exec_lo, s9
	s_cbranch_execz .LBB156_399
.LBB156_394:                            ;   Parent Loop BB156_6 Depth=1
                                        ; =>  This Inner Loop Header: Depth=2
	s_delay_alu instid0(VALU_DEP_1)
	v_cmp_gt_u64_e32 vcc_lo, s[28:29], v[14:15]
	v_mov_b32_e32 v4, 0
	v_mov_b32_e32 v5, 0
	s_and_saveexec_b32 s18, vcc_lo
	s_cbranch_execz .LBB156_396
; %bb.395:                              ;   in Loop: Header=BB156_394 Depth=2
	global_load_b64 v[4:5], v[12:13], off
.LBB156_396:                            ;   in Loop: Header=BB156_394 Depth=2
	s_or_b32 exec_lo, exec_lo, s18
	s_and_saveexec_b32 s18, vcc_lo
	s_cbranch_execz .LBB156_393
; %bb.397:                              ;   in Loop: Header=BB156_394 Depth=2
	s_waitcnt vmcnt(0)
	v_xor_b32_e32 v3, 0x80000000, v5
	v_and_b32_e32 v6, v4, v29
	s_delay_alu instid0(VALU_DEP_2) | instskip(NEXT) | instid1(VALU_DEP_1)
	v_and_b32_e32 v7, v3, v30
	v_cmp_eq_u64_e32 vcc_lo, v[6:7], v[31:32]
	s_and_b32 exec_lo, exec_lo, vcc_lo
	s_cbranch_execz .LBB156_393
; %bb.398:                              ;   in Loop: Header=BB156_394 Depth=2
	v_mov_b32_e32 v3, v19
	ds_store_b128 v19, v[2:5] offset:3072
	s_branch .LBB156_393
.LBB156_399:                            ;   in Loop: Header=BB156_6 Depth=1
	s_set_inst_prefetch_distance 0x2
	s_or_b32 exec_lo, exec_lo, s9
	s_delay_alu instid0(SALU_CYCLE_1)
	s_and_b32 s26, s8, exec_lo
.LBB156_400:                            ;   in Loop: Header=BB156_6 Depth=1
	s_or_b32 exec_lo, exec_lo, s7
	s_mov_b32 s19, 0
	s_mov_b32 s18, -1
	s_mov_b32 s68, 0
.LBB156_401:                            ;   in Loop: Header=BB156_6 Depth=1
	s_or_not1_b32 s7, s26, exec_lo
.LBB156_402:                            ;   in Loop: Header=BB156_6 Depth=1
	s_or_b32 exec_lo, exec_lo, s69
	s_mov_b32 s26, 0
                                        ; implicit-def: $vgpr5
	s_and_saveexec_b32 s69, s7
	s_cbranch_execz .LBB156_467
; %bb.403:                              ;   in Loop: Header=BB156_6 Depth=1
	v_dual_mov_b32 v10, 1 :: v_dual_mov_b32 v5, 1
	v_mov_b32_e32 v11, 0
	s_xor_b32 s8, s70, -1
	s_delay_alu instid0(SALU_CYCLE_1)
	s_and_saveexec_b32 s7, s8
	s_cbranch_execz .LBB156_413
; %bb.404:                              ;   in Loop: Header=BB156_6 Depth=1
	s_mov_b32 s9, exec_lo
                                        ; implicit-def: $sgpr26
                                        ; implicit-def: $sgpr8
	v_cmpx_ge_u64_e64 s[16:17], v[8:9]
	s_xor_b32 s9, exec_lo, s9
	s_cbranch_execz .LBB156_410
; %bb.405:                              ;   in Loop: Header=BB156_6 Depth=1
	ds_load_b64 v[3:4], v19 offset:5120
	s_waitcnt lgkmcnt(0)
	v_cmp_ne_u64_e32 vcc_lo, 0, v[3:4]
	s_cbranch_vccnz .LBB156_409
; %bb.406:                              ;   in Loop: Header=BB156_6 Depth=1
	s_and_saveexec_b32 s8, s5
	s_cbranch_execz .LBB156_408
; %bb.407:                              ;   in Loop: Header=BB156_6 Depth=1
	v_dual_mov_b32 v3, s16 :: v_dual_mov_b32 v4, s17
	ds_store_b64 v19, v[3:4] offset:5128
.LBB156_408:                            ;   in Loop: Header=BB156_6 Depth=1
	s_or_b32 exec_lo, exec_lo, s8
	s_waitcnt lgkmcnt(0)
	s_barrier
	buffer_gl0_inv
.LBB156_409:                            ;   in Loop: Header=BB156_6 Depth=1
	v_and_b32_e32 v3, s15, v32
	v_and_b32_e32 v4, s14, v31
	s_lshl_b64 s[70:71], 1, s24
	v_or_b32_e32 v30, s13, v30
	v_or_b32_e32 v29, s12, v29
	;; [unrolled: 1-line block ×4, first 2 shown]
	s_mov_b32 s8, 0
	s_mov_b32 s26, 5
.LBB156_410:                            ;   in Loop: Header=BB156_6 Depth=1
	s_or_saveexec_b32 s9, s9
	v_mov_b32_e32 v5, s26
	s_xor_b32 exec_lo, exec_lo, s9
; %bb.411:                              ;   in Loop: Header=BB156_6 Depth=1
	v_sub_co_u32 v8, vcc_lo, v8, s16
	v_subrev_co_ci_u32_e32 v9, vcc_lo, s17, v9, vcc_lo
	v_mov_b32_e32 v5, 0
	s_or_b32 s8, s8, exec_lo
; %bb.412:                              ;   in Loop: Header=BB156_6 Depth=1
	s_or_b32 exec_lo, exec_lo, s9
	s_delay_alu instid0(VALU_DEP_2)
	v_dual_mov_b32 v11, v9 :: v_dual_mov_b32 v10, v8
	s_and_b32 s26, s8, exec_lo
.LBB156_413:                            ;   in Loop: Header=BB156_6 Depth=1
	s_or_b32 exec_lo, exec_lo, s7
	s_mov_b32 s16, -1
                                        ; implicit-def: $sgpr7
                                        ; implicit-def: $sgpr8
                                        ; implicit-def: $sgpr9
	s_and_saveexec_b32 s24, s26
	s_cbranch_execz .LBB156_466
; %bb.414:                              ;   in Loop: Header=BB156_6 Depth=1
	v_cmp_eq_u64_e32 vcc_lo, 1, v[10:11]
	s_cmp_eq_u64 s[10:11], 1
	s_mov_b32 s17, -1
	s_cselect_b32 s7, -1, 0
                                        ; implicit-def: $sgpr8
                                        ; implicit-def: $sgpr9
	s_delay_alu instid0(SALU_CYCLE_1) | instskip(NEXT) | instid1(SALU_CYCLE_1)
	s_and_b32 s70, s7, vcc_lo
                                        ; implicit-def: $sgpr7
	s_and_saveexec_b32 s71, s70
	s_cbranch_execz .LBB156_453
; %bb.415:                              ;   in Loop: Header=BB156_6 Depth=1
	ds_load_b64 v[3:4], v19 offset:5120
	s_waitcnt lgkmcnt(0)
	s_barrier
	buffer_gl0_inv
	v_readfirstlane_b32 s8, v3
	v_readfirstlane_b32 s9, v4
	s_and_saveexec_b32 s7, s6
	s_cbranch_execz .LBB156_417
; %bb.416:                              ;   in Loop: Header=BB156_6 Depth=1
	v_mov_b32_e32 v18, v19
	ds_store_b64 v47, v[18:19]
.LBB156_417:                            ;   in Loop: Header=BB156_6 Depth=1
	s_or_b32 exec_lo, exec_lo, s7
	v_and_b32_e32 v32, s15, v32
	v_and_b32_e32 v31, s14, v31
	v_or_b32_e32 v30, s13, v30
	v_or_b32_e32 v29, s12, v29
	s_cmp_eq_u64 s[8:9], 0
	s_waitcnt lgkmcnt(0)
	s_barrier
	buffer_gl0_inv
	s_cbranch_scc1 .LBB156_422
; %bb.418:                              ;   in Loop: Header=BB156_6 Depth=1
	s_add_u32 s26, s76, s8
	s_addc_u32 s17, s77, s9
	s_mov_b32 s16, s55
	s_delay_alu instid0(SALU_CYCLE_1)
	s_cmp_lg_u64 s[16:17], 0
	s_cbranch_scc0 .LBB156_423
; %bb.419:                              ;   in Loop: Header=BB156_6 Depth=1
	v_cvt_f32_u32_e32 v3, s33
	s_sub_u32 s72, 0, s33
	s_subb_u32 s73, 0, 0
	s_delay_alu instid0(VALU_DEP_1) | instskip(NEXT) | instid1(VALU_DEP_1)
	v_fmac_f32_e64 v3, 0, 0x4f800000
	v_rcp_f32_e32 v3, v3
	s_waitcnt_depctr 0xfff
	v_mul_f32_e32 v3, 0x5f7ffffc, v3
	s_delay_alu instid0(VALU_DEP_1) | instskip(NEXT) | instid1(VALU_DEP_1)
	v_mul_f32_e32 v4, 0x2f800000, v3
	v_trunc_f32_e32 v4, v4
	s_delay_alu instid0(VALU_DEP_1) | instskip(SKIP_1) | instid1(VALU_DEP_2)
	v_fmac_f32_e32 v3, 0xcf800000, v4
	v_cvt_u32_f32_e32 v4, v4
	v_cvt_u32_f32_e32 v3, v3
	s_delay_alu instid0(VALU_DEP_2) | instskip(NEXT) | instid1(VALU_DEP_2)
	v_readfirstlane_b32 s7, v4
	v_readfirstlane_b32 s16, v3
	s_delay_alu instid0(VALU_DEP_2) | instskip(NEXT) | instid1(VALU_DEP_1)
	s_mul_i32 s98, s72, s7
	s_mul_hi_u32 s100, s72, s16
	s_mul_i32 s99, s73, s16
	s_add_i32 s98, s100, s98
	s_mul_i32 s101, s72, s16
	s_add_i32 s98, s98, s99
	s_mul_hi_u32 s100, s16, s101
	s_mul_hi_u32 s102, s7, s101
	s_mul_i32 s99, s7, s101
	s_mul_hi_u32 s101, s16, s98
	s_mul_i32 s16, s16, s98
	s_mul_hi_u32 s103, s7, s98
	s_add_u32 s16, s100, s16
	s_addc_u32 s100, 0, s101
	s_add_u32 s16, s16, s99
	s_mul_i32 s98, s7, s98
	s_addc_u32 s16, s100, s102
	s_addc_u32 s99, s103, 0
	s_add_u32 s16, s16, s98
	s_addc_u32 s98, 0, s99
	v_add_co_u32 v3, s16, v3, s16
	s_delay_alu instid0(VALU_DEP_1) | instskip(SKIP_1) | instid1(VALU_DEP_1)
	s_cmp_lg_u32 s16, 0
	s_addc_u32 s7, s7, s98
	v_readfirstlane_b32 s16, v3
	s_mul_i32 s98, s72, s7
	s_delay_alu instid0(VALU_DEP_1)
	s_mul_hi_u32 s99, s72, s16
	s_mul_i32 s73, s73, s16
	s_add_i32 s98, s99, s98
	s_mul_i32 s72, s72, s16
	s_add_i32 s98, s98, s73
	s_mul_hi_u32 s99, s7, s72
	s_mul_i32 s100, s7, s72
	s_mul_hi_u32 s72, s16, s72
	s_mul_hi_u32 s101, s16, s98
	s_mul_i32 s16, s16, s98
	s_mul_hi_u32 s73, s7, s98
	s_add_u32 s16, s72, s16
	s_addc_u32 s72, 0, s101
	s_add_u32 s16, s16, s100
	s_mul_i32 s98, s7, s98
	s_addc_u32 s16, s72, s99
	s_addc_u32 s72, s73, 0
	s_add_u32 s16, s16, s98
	s_addc_u32 s72, 0, s72
	v_add_co_u32 v3, s16, v3, s16
	s_delay_alu instid0(VALU_DEP_1) | instskip(SKIP_1) | instid1(VALU_DEP_1)
	s_cmp_lg_u32 s16, 0
	s_addc_u32 s7, s7, s72
	v_readfirstlane_b32 s16, v3
	s_mul_i32 s73, s26, s7
	s_mul_hi_u32 s72, s26, s7
	s_mul_hi_u32 s98, s17, s7
	s_mul_i32 s7, s17, s7
	s_mul_hi_u32 s99, s26, s16
	s_mul_hi_u32 s100, s17, s16
	s_mul_i32 s16, s17, s16
	s_add_u32 s73, s99, s73
	s_addc_u32 s72, 0, s72
	s_add_u32 s16, s73, s16
	s_addc_u32 s16, s72, s100
	s_addc_u32 s72, s98, 0
	s_add_u32 s7, s16, s7
	s_addc_u32 s16, 0, s72
	s_mul_hi_u32 s72, s33, s7
	s_mul_i32 s7, s33, s7
	s_mul_i32 s16, s33, s16
	v_sub_co_u32 v3, s7, s26, s7
	s_add_i32 s72, s72, s16
	s_cmp_lg_u32 s7, 0
	s_delay_alu instid0(VALU_DEP_1) | instskip(SKIP_2) | instid1(VALU_DEP_1)
	v_sub_co_u32 v4, s7, v3, s33
	s_subb_u32 s16, s17, s72
	s_cmp_lg_u32 s7, 0
	v_cmp_le_u32_e32 vcc_lo, s33, v4
	v_sub_co_u32 v5, s7, v4, s33
	s_subb_u32 s72, s16, 0
	s_cmp_lg_u32 s7, 0
	v_cndmask_b32_e64 v6, 0, -1, vcc_lo
	s_subb_u32 s7, s72, 0
	s_cmp_eq_u32 s72, 0
	v_mov_b32_e32 v8, s7
	s_cselect_b32 vcc_lo, -1, 0
	s_cmp_eq_u32 s16, 0
	v_cndmask_b32_e32 v6, -1, v6, vcc_lo
	v_cmp_le_u32_e32 vcc_lo, s33, v3
	s_cselect_b32 s7, -1, 0
	v_cndmask_b32_e64 v7, 0, -1, vcc_lo
	s_delay_alu instid0(VALU_DEP_3) | instskip(NEXT) | instid1(VALU_DEP_2)
	v_cmp_ne_u32_e32 vcc_lo, 0, v6
	v_cndmask_b32_e64 v6, -1, v7, s7
	v_cndmask_b32_e32 v7, s72, v8, vcc_lo
	v_cndmask_b32_e32 v5, v4, v5, vcc_lo
	s_mov_b32 s7, 0
	s_delay_alu instid0(VALU_DEP_3) | instskip(NEXT) | instid1(VALU_DEP_3)
	v_cmp_ne_u32_e32 vcc_lo, 0, v6
	v_cndmask_b32_e32 v4, s16, v7, vcc_lo
	s_delay_alu instid0(VALU_DEP_3)
	v_cndmask_b32_e32 v3, v3, v5, vcc_lo
	s_branch .LBB156_424
.LBB156_420:                            ;   in Loop: Header=BB156_6 Depth=1
                                        ; implicit-def: $vgpr3_vgpr4
	s_branch .LBB156_374
.LBB156_421:                            ;   in Loop: Header=BB156_6 Depth=1
                                        ; implicit-def: $vgpr3_vgpr4
	s_branch .LBB156_390
.LBB156_422:                            ;   in Loop: Header=BB156_6 Depth=1
	s_mov_b32 s7, -1
	s_mov_b32 s16, 0
                                        ; implicit-def: $sgpr8
                                        ; implicit-def: $vgpr6_vgpr7
	s_branch .LBB156_436
.LBB156_423:                            ;   in Loop: Header=BB156_6 Depth=1
	s_mov_b32 s7, -1
                                        ; implicit-def: $vgpr3_vgpr4
.LBB156_424:                            ;   in Loop: Header=BB156_6 Depth=1
	s_delay_alu instid0(SALU_CYCLE_1)
	s_and_not1_b32 vcc_lo, exec_lo, s7
	s_cbranch_vccnz .LBB156_426
; %bb.425:                              ;   in Loop: Header=BB156_6 Depth=1
	v_cvt_f32_u32_e32 v3, s33
	s_sub_i32 s7, 0, s33
	s_delay_alu instid0(VALU_DEP_1) | instskip(SKIP_2) | instid1(VALU_DEP_1)
	v_rcp_iflag_f32_e32 v3, v3
	s_waitcnt_depctr 0xfff
	v_mul_f32_e32 v3, 0x4f7ffffe, v3
	v_cvt_u32_f32_e32 v3, v3
	s_delay_alu instid0(VALU_DEP_1) | instskip(NEXT) | instid1(VALU_DEP_1)
	v_mul_lo_u32 v4, s7, v3
	v_mul_hi_u32 v4, v3, v4
	s_delay_alu instid0(VALU_DEP_1) | instskip(NEXT) | instid1(VALU_DEP_1)
	v_add_nc_u32_e32 v3, v3, v4
	v_mul_hi_u32 v3, s26, v3
	s_delay_alu instid0(VALU_DEP_1) | instskip(NEXT) | instid1(VALU_DEP_1)
	v_mul_lo_u32 v3, v3, s33
	v_sub_nc_u32_e32 v3, s26, v3
	s_delay_alu instid0(VALU_DEP_1) | instskip(SKIP_1) | instid1(VALU_DEP_2)
	v_subrev_nc_u32_e32 v4, s33, v3
	v_cmp_le_u32_e32 vcc_lo, s33, v3
	v_cndmask_b32_e32 v3, v3, v4, vcc_lo
	s_delay_alu instid0(VALU_DEP_1) | instskip(SKIP_1) | instid1(VALU_DEP_2)
	v_subrev_nc_u32_e32 v4, s33, v3
	v_cmp_le_u32_e32 vcc_lo, s33, v3
	v_cndmask_b32_e32 v18, v3, v4, vcc_lo
	s_delay_alu instid0(VALU_DEP_1)
	v_dual_mov_b32 v3, v18 :: v_dual_mov_b32 v4, v19
.LBB156_426:                            ;   in Loop: Header=BB156_6 Depth=1
	s_delay_alu instid0(VALU_DEP_1) | instskip(NEXT) | instid1(VALU_DEP_2)
	v_sub_co_u32 v8, vcc_lo, s26, v3
	v_sub_co_ci_u32_e32 v9, vcc_lo, s17, v4, vcc_lo
	s_mov_b32 s16, 0
	s_mov_b32 s7, exec_lo
                                        ; implicit-def: $vgpr6_vgpr7
	s_delay_alu instid0(VALU_DEP_1)
	v_cmpx_gt_u64_e64 v[8:9], v[0:1]
	s_cbranch_execz .LBB156_435
; %bb.427:                              ;   in Loop: Header=BB156_6 Depth=1
	v_mov_b32_e32 v14, v45
	v_dual_mov_b32 v13, v1 :: v_dual_mov_b32 v12, v0
	s_mov_b32 s17, 0
                                        ; implicit-def: $sgpr16
	s_set_inst_prefetch_distance 0x1
	s_branch .LBB156_429
	.p2align	6
.LBB156_428:                            ;   in Loop: Header=BB156_429 Depth=2
	s_or_b32 exec_lo, exec_lo, s26
	s_waitcnt lgkmcnt(0)
	s_barrier
	buffer_gl0_inv
	ds_load_b128 v[4:7], v19 offset:3072
	v_add_co_u32 v12, vcc_lo, v12, s33
	v_add_co_ci_u32_e32 v13, vcc_lo, 0, v13, vcc_lo
	v_add_nc_u32_e32 v14, s84, v14
	s_waitcnt lgkmcnt(0)
	s_barrier
	s_delay_alu instid0(VALU_DEP_2) | instskip(SKIP_3) | instid1(VALU_DEP_1)
	v_cmp_ge_u64_e32 vcc_lo, v[12:13], v[8:9]
	buffer_gl0_inv
	v_readfirstlane_b32 s73, v5
	v_readfirstlane_b32 s72, v4
	s_cmp_lg_u64 s[72:73], 0
	s_cselect_b32 s26, -1, 0
	s_delay_alu instid0(SALU_CYCLE_1) | instskip(NEXT) | instid1(SALU_CYCLE_1)
	s_or_b32 s72, vcc_lo, s26
	s_and_b32 s72, exec_lo, s72
	s_delay_alu instid0(SALU_CYCLE_1) | instskip(SKIP_2) | instid1(SALU_CYCLE_1)
	s_or_b32 s17, s72, s17
	s_and_not1_b32 s16, s16, exec_lo
	s_and_b32 s26, s26, exec_lo
	s_or_b32 s16, s16, s26
	s_and_not1_b32 exec_lo, exec_lo, s17
	s_cbranch_execz .LBB156_434
.LBB156_429:                            ;   Parent Loop BB156_6 Depth=1
                                        ; =>  This Inner Loop Header: Depth=2
	s_delay_alu instid0(VALU_DEP_1)
	v_cmp_gt_u64_e32 vcc_lo, s[8:9], v[12:13]
	v_mov_b32_e32 v4, 0
	v_mov_b32_e32 v5, 0
	s_and_saveexec_b32 s26, vcc_lo
	s_cbranch_execz .LBB156_431
; %bb.430:                              ;   in Loop: Header=BB156_429 Depth=2
	ds_load_b64 v[4:5], v14
.LBB156_431:                            ;   in Loop: Header=BB156_429 Depth=2
	s_or_b32 exec_lo, exec_lo, s26
	s_and_saveexec_b32 s26, vcc_lo
	s_cbranch_execz .LBB156_428
; %bb.432:                              ;   in Loop: Header=BB156_429 Depth=2
	s_waitcnt lgkmcnt(0)
	v_xor_b32_e32 v3, 0x80000000, v5
	v_and_b32_e32 v6, v4, v29
	s_delay_alu instid0(VALU_DEP_2) | instskip(NEXT) | instid1(VALU_DEP_1)
	v_and_b32_e32 v7, v3, v30
	v_cmp_eq_u64_e32 vcc_lo, v[6:7], v[31:32]
	s_and_b32 exec_lo, exec_lo, vcc_lo
	s_cbranch_execz .LBB156_428
; %bb.433:                              ;   in Loop: Header=BB156_429 Depth=2
	v_mov_b32_e32 v3, v19
	ds_store_b128 v19, v[2:5] offset:3072
	s_branch .LBB156_428
.LBB156_434:                            ;   in Loop: Header=BB156_6 Depth=1
	s_set_inst_prefetch_distance 0x2
	s_or_b32 exec_lo, exec_lo, s17
	s_delay_alu instid0(SALU_CYCLE_1)
	s_and_b32 s16, s16, exec_lo
.LBB156_435:                            ;   in Loop: Header=BB156_6 Depth=1
	s_or_b32 exec_lo, exec_lo, s7
	s_mov_b32 s7, 0
	s_mov_b32 s8, -1
.LBB156_436:                            ;   in Loop: Header=BB156_6 Depth=1
	s_and_b32 vcc_lo, exec_lo, s7
	s_mov_b32 s9, s7
	s_cbranch_vccz .LBB156_452
; %bb.437:                              ;   in Loop: Header=BB156_6 Depth=1
	s_mov_b32 s26, s55
	s_delay_alu instid0(SALU_CYCLE_1)
	s_cmp_lg_u64 s[26:27], 0
	s_cbranch_scc0 .LBB156_439
; %bb.438:                              ;   in Loop: Header=BB156_6 Depth=1
	v_cvt_f32_u32_e32 v3, s33
	s_sub_u32 s9, 0, s33
	s_subb_u32 s16, 0, 0
	s_delay_alu instid0(VALU_DEP_1) | instskip(NEXT) | instid1(VALU_DEP_1)
	v_fmac_f32_e64 v3, 0, 0x4f800000
	v_rcp_f32_e32 v3, v3
	s_waitcnt_depctr 0xfff
	v_mul_f32_e32 v3, 0x5f7ffffc, v3
	s_delay_alu instid0(VALU_DEP_1) | instskip(NEXT) | instid1(VALU_DEP_1)
	v_mul_f32_e32 v4, 0x2f800000, v3
	v_trunc_f32_e32 v4, v4
	s_delay_alu instid0(VALU_DEP_1) | instskip(SKIP_1) | instid1(VALU_DEP_2)
	v_fmac_f32_e32 v3, 0xcf800000, v4
	v_cvt_u32_f32_e32 v4, v4
	v_cvt_u32_f32_e32 v3, v3
	s_delay_alu instid0(VALU_DEP_2) | instskip(NEXT) | instid1(VALU_DEP_2)
	v_readfirstlane_b32 s7, v4
	v_readfirstlane_b32 s8, v3
	s_delay_alu instid0(VALU_DEP_2) | instskip(NEXT) | instid1(VALU_DEP_1)
	s_mul_i32 s17, s9, s7
	s_mul_hi_u32 s72, s9, s8
	s_mul_i32 s26, s16, s8
	s_add_i32 s17, s72, s17
	s_mul_i32 s73, s9, s8
	s_add_i32 s17, s17, s26
	s_mul_hi_u32 s72, s8, s73
	s_mul_hi_u32 s98, s7, s73
	s_mul_i32 s26, s7, s73
	s_mul_hi_u32 s73, s8, s17
	s_mul_i32 s8, s8, s17
	s_mul_hi_u32 s99, s7, s17
	s_add_u32 s8, s72, s8
	s_addc_u32 s72, 0, s73
	s_add_u32 s8, s8, s26
	s_mul_i32 s17, s7, s17
	s_addc_u32 s8, s72, s98
	s_addc_u32 s26, s99, 0
	s_add_u32 s8, s8, s17
	s_addc_u32 s17, 0, s26
	v_add_co_u32 v3, s8, v3, s8
	s_delay_alu instid0(VALU_DEP_1) | instskip(SKIP_1) | instid1(VALU_DEP_1)
	s_cmp_lg_u32 s8, 0
	s_addc_u32 s7, s7, s17
	v_readfirstlane_b32 s8, v3
	s_mul_i32 s17, s9, s7
	s_delay_alu instid0(VALU_DEP_1)
	s_mul_hi_u32 s26, s9, s8
	s_mul_i32 s16, s16, s8
	s_add_i32 s17, s26, s17
	s_mul_i32 s9, s9, s8
	s_add_i32 s17, s17, s16
	s_mul_hi_u32 s26, s7, s9
	s_mul_i32 s72, s7, s9
	s_mul_hi_u32 s9, s8, s9
	s_mul_hi_u32 s73, s8, s17
	s_mul_i32 s8, s8, s17
	s_mul_hi_u32 s16, s7, s17
	s_add_u32 s8, s9, s8
	s_addc_u32 s9, 0, s73
	s_add_u32 s8, s8, s72
	s_mul_i32 s17, s7, s17
	s_addc_u32 s8, s9, s26
	s_addc_u32 s9, s16, 0
	s_add_u32 s8, s8, s17
	s_addc_u32 s9, 0, s9
	v_add_co_u32 v3, s8, v3, s8
	s_delay_alu instid0(VALU_DEP_1) | instskip(SKIP_1) | instid1(VALU_DEP_1)
	s_cmp_lg_u32 s8, 0
	s_addc_u32 s7, s7, s9
	v_readfirstlane_b32 s8, v3
	s_mul_i32 s16, s78, s7
	s_mul_hi_u32 s9, s78, s7
	s_mul_hi_u32 s17, s27, s7
	s_mul_i32 s7, s27, s7
	s_mul_hi_u32 s26, s78, s8
	s_mul_hi_u32 s72, s27, s8
	s_mul_i32 s8, s27, s8
	s_add_u32 s16, s26, s16
	s_addc_u32 s9, 0, s9
	s_add_u32 s8, s16, s8
	s_addc_u32 s8, s9, s72
	s_addc_u32 s9, s17, 0
	s_add_u32 s7, s8, s7
	s_addc_u32 s8, 0, s9
	s_mul_hi_u32 s9, s33, s7
	s_mul_i32 s7, s33, s7
	s_mul_i32 s8, s33, s8
	v_sub_co_u32 v3, s7, s78, s7
	s_add_i32 s9, s9, s8
	s_cmp_lg_u32 s7, 0
	s_delay_alu instid0(VALU_DEP_1) | instskip(SKIP_2) | instid1(VALU_DEP_1)
	v_sub_co_u32 v4, s7, v3, s33
	s_subb_u32 s8, s27, s9
	s_cmp_lg_u32 s7, 0
	v_cmp_le_u32_e32 vcc_lo, s33, v4
	v_sub_co_u32 v5, s7, v4, s33
	s_subb_u32 s9, s8, 0
	s_cmp_lg_u32 s7, 0
	v_cndmask_b32_e64 v6, 0, -1, vcc_lo
	s_subb_u32 s7, s9, 0
	s_cmp_eq_u32 s9, 0
	v_mov_b32_e32 v8, s7
	s_cselect_b32 vcc_lo, -1, 0
	s_cmp_eq_u32 s8, 0
	v_cndmask_b32_e32 v6, -1, v6, vcc_lo
	v_cmp_le_u32_e32 vcc_lo, s33, v3
	s_cselect_b32 s7, -1, 0
	v_cndmask_b32_e64 v7, 0, -1, vcc_lo
	s_delay_alu instid0(VALU_DEP_3) | instskip(NEXT) | instid1(VALU_DEP_2)
	v_cmp_ne_u32_e32 vcc_lo, 0, v6
	v_cndmask_b32_e64 v6, -1, v7, s7
	v_cndmask_b32_e32 v7, s9, v8, vcc_lo
	v_cndmask_b32_e32 v5, v4, v5, vcc_lo
	s_mov_b32 s7, 0
	s_delay_alu instid0(VALU_DEP_3) | instskip(NEXT) | instid1(VALU_DEP_3)
	v_cmp_ne_u32_e32 vcc_lo, 0, v6
	v_cndmask_b32_e32 v4, s8, v7, vcc_lo
	s_delay_alu instid0(VALU_DEP_3)
	v_cndmask_b32_e32 v3, v3, v5, vcc_lo
	s_branch .LBB156_440
.LBB156_439:                            ;   in Loop: Header=BB156_6 Depth=1
	s_mov_b32 s7, -1
                                        ; implicit-def: $vgpr3_vgpr4
.LBB156_440:                            ;   in Loop: Header=BB156_6 Depth=1
	s_delay_alu instid0(SALU_CYCLE_1)
	s_and_not1_b32 vcc_lo, exec_lo, s7
	s_cbranch_vccnz .LBB156_442
; %bb.441:                              ;   in Loop: Header=BB156_6 Depth=1
	v_cvt_f32_u32_e32 v3, s33
	s_sub_i32 s7, 0, s33
	s_delay_alu instid0(VALU_DEP_1) | instskip(SKIP_2) | instid1(VALU_DEP_1)
	v_rcp_iflag_f32_e32 v3, v3
	s_waitcnt_depctr 0xfff
	v_mul_f32_e32 v3, 0x4f7ffffe, v3
	v_cvt_u32_f32_e32 v3, v3
	s_delay_alu instid0(VALU_DEP_1) | instskip(NEXT) | instid1(VALU_DEP_1)
	v_mul_lo_u32 v4, s7, v3
	v_mul_hi_u32 v4, v3, v4
	s_delay_alu instid0(VALU_DEP_1) | instskip(NEXT) | instid1(VALU_DEP_1)
	v_add_nc_u32_e32 v3, v3, v4
	v_mul_hi_u32 v3, s78, v3
	s_delay_alu instid0(VALU_DEP_1) | instskip(NEXT) | instid1(VALU_DEP_1)
	v_mul_lo_u32 v3, v3, s33
	v_sub_nc_u32_e32 v3, s78, v3
	s_delay_alu instid0(VALU_DEP_1) | instskip(SKIP_1) | instid1(VALU_DEP_2)
	v_subrev_nc_u32_e32 v4, s33, v3
	v_cmp_le_u32_e32 vcc_lo, s33, v3
	v_cndmask_b32_e32 v3, v3, v4, vcc_lo
	s_delay_alu instid0(VALU_DEP_1) | instskip(SKIP_1) | instid1(VALU_DEP_2)
	v_subrev_nc_u32_e32 v4, s33, v3
	v_cmp_le_u32_e32 vcc_lo, s33, v3
	v_cndmask_b32_e32 v18, v3, v4, vcc_lo
	s_delay_alu instid0(VALU_DEP_1)
	v_dual_mov_b32 v3, v18 :: v_dual_mov_b32 v4, v19
.LBB156_442:                            ;   in Loop: Header=BB156_6 Depth=1
	s_delay_alu instid0(VALU_DEP_1) | instskip(NEXT) | instid1(VALU_DEP_2)
	v_sub_co_u32 v8, vcc_lo, s78, v3
	v_sub_co_ci_u32_e32 v9, vcc_lo, s27, v4, vcc_lo
	s_mov_b32 s16, 0
	s_mov_b32 s7, exec_lo
                                        ; implicit-def: $vgpr6_vgpr7
	s_delay_alu instid0(VALU_DEP_1)
	v_cmpx_gt_u64_e64 v[8:9], v[0:1]
	s_cbranch_execz .LBB156_451
; %bb.443:                              ;   in Loop: Header=BB156_6 Depth=1
	v_dual_mov_b32 v12, v16 :: v_dual_mov_b32 v13, v17
	v_dual_mov_b32 v15, v1 :: v_dual_mov_b32 v14, v0
	s_mov_b32 s9, 0
                                        ; implicit-def: $sgpr8
	s_set_inst_prefetch_distance 0x1
	s_branch .LBB156_445
	.p2align	6
.LBB156_444:                            ;   in Loop: Header=BB156_445 Depth=2
	s_or_b32 exec_lo, exec_lo, s16
	s_waitcnt vmcnt(0) lgkmcnt(0)
	s_barrier
	buffer_gl0_inv
	ds_load_b128 v[4:7], v19 offset:3072
	v_add_co_u32 v14, vcc_lo, v14, s33
	v_add_co_ci_u32_e32 v15, vcc_lo, 0, v15, vcc_lo
	s_waitcnt lgkmcnt(0)
	s_barrier
	buffer_gl0_inv
	v_cmp_ge_u64_e32 vcc_lo, v[14:15], v[8:9]
	v_readfirstlane_b32 s17, v5
	v_readfirstlane_b32 s16, v4
	s_delay_alu instid0(VALU_DEP_1) | instskip(SKIP_1) | instid1(SALU_CYCLE_1)
	s_cmp_lg_u64 s[16:17], 0
	s_cselect_b32 s16, -1, 0
	s_or_b32 s17, vcc_lo, s16
	v_add_co_u32 v12, vcc_lo, v12, s34
	s_and_b32 s17, exec_lo, s17
	v_add_co_ci_u32_e32 v13, vcc_lo, s35, v13, vcc_lo
	s_or_b32 s9, s17, s9
	s_and_not1_b32 s8, s8, exec_lo
	s_and_b32 s16, s16, exec_lo
	s_delay_alu instid0(SALU_CYCLE_1)
	s_or_b32 s8, s8, s16
	s_and_not1_b32 exec_lo, exec_lo, s9
	s_cbranch_execz .LBB156_450
.LBB156_445:                            ;   Parent Loop BB156_6 Depth=1
                                        ; =>  This Inner Loop Header: Depth=2
	s_delay_alu instid0(VALU_DEP_1)
	v_cmp_gt_u64_e32 vcc_lo, s[28:29], v[14:15]
	v_mov_b32_e32 v4, 0
	v_mov_b32_e32 v5, 0
	s_and_saveexec_b32 s16, vcc_lo
	s_cbranch_execz .LBB156_447
; %bb.446:                              ;   in Loop: Header=BB156_445 Depth=2
	global_load_b64 v[4:5], v[12:13], off
.LBB156_447:                            ;   in Loop: Header=BB156_445 Depth=2
	s_or_b32 exec_lo, exec_lo, s16
	s_and_saveexec_b32 s16, vcc_lo
	s_cbranch_execz .LBB156_444
; %bb.448:                              ;   in Loop: Header=BB156_445 Depth=2
	s_waitcnt vmcnt(0)
	v_xor_b32_e32 v3, 0x80000000, v5
	v_and_b32_e32 v6, v4, v29
	s_delay_alu instid0(VALU_DEP_2) | instskip(NEXT) | instid1(VALU_DEP_1)
	v_and_b32_e32 v7, v3, v30
	v_cmp_eq_u64_e32 vcc_lo, v[6:7], v[31:32]
	s_and_b32 exec_lo, exec_lo, vcc_lo
	s_cbranch_execz .LBB156_444
; %bb.449:                              ;   in Loop: Header=BB156_445 Depth=2
	v_mov_b32_e32 v3, v19
	ds_store_b128 v19, v[2:5] offset:3072
	s_branch .LBB156_444
.LBB156_450:                            ;   in Loop: Header=BB156_6 Depth=1
	s_set_inst_prefetch_distance 0x2
	s_or_b32 exec_lo, exec_lo, s9
	s_delay_alu instid0(SALU_CYCLE_1)
	s_and_b32 s16, s8, exec_lo
.LBB156_451:                            ;   in Loop: Header=BB156_6 Depth=1
	s_or_b32 exec_lo, exec_lo, s7
	s_mov_b32 s8, 0
	s_mov_b32 s7, -1
	s_mov_b32 s9, 0
.LBB156_452:                            ;   in Loop: Header=BB156_6 Depth=1
	s_or_not1_b32 s17, s16, exec_lo
.LBB156_453:                            ;   in Loop: Header=BB156_6 Depth=1
	s_or_b32 exec_lo, exec_lo, s71
	s_mov_b32 s26, 0
                                        ; implicit-def: $vgpr5
                                        ; implicit-def: $vgpr3_vgpr4
	s_and_saveexec_b32 s16, s17
	s_cbranch_execz .LBB156_465
; %bb.454:                              ;   in Loop: Header=BB156_6 Depth=1
	v_mov_b32_e32 v3, 1
	v_dual_mov_b32 v4, 0 :: v_dual_mov_b32 v5, 1
	s_xor_b32 s26, s70, -1
	s_delay_alu instid0(SALU_CYCLE_1)
	s_and_saveexec_b32 s17, s26
	s_cbranch_execz .LBB156_464
; %bb.455:                              ;   in Loop: Header=BB156_6 Depth=1
	s_mov_b32 s26, exec_lo
                                        ; implicit-def: $sgpr70
	v_cmpx_ge_u64_e64 s[10:11], v[10:11]
	s_xor_b32 s26, exec_lo, s26
	s_cbranch_execz .LBB156_461
; %bb.456:                              ;   in Loop: Header=BB156_6 Depth=1
	ds_load_b64 v[3:4], v19 offset:5120
	s_waitcnt lgkmcnt(0)
	v_cmp_ne_u64_e32 vcc_lo, 0, v[3:4]
	s_cbranch_vccnz .LBB156_460
; %bb.457:                              ;   in Loop: Header=BB156_6 Depth=1
	s_and_saveexec_b32 s70, s5
	s_cbranch_execz .LBB156_459
; %bb.458:                              ;   in Loop: Header=BB156_6 Depth=1
	v_dual_mov_b32 v3, s10 :: v_dual_mov_b32 v4, s11
	ds_store_b64 v19, v[3:4] offset:5128
.LBB156_459:                            ;   in Loop: Header=BB156_6 Depth=1
	s_or_b32 exec_lo, exec_lo, s70
	s_waitcnt lgkmcnt(0)
	s_barrier
	buffer_gl0_inv
.LBB156_460:                            ;   in Loop: Header=BB156_6 Depth=1
	v_and_b32_e32 v32, s15, v32
	v_and_b32_e32 v31, s14, v31
	v_or_b32_e32 v30, s13, v30
	v_or_b32_e32 v29, s12, v29
	s_mov_b32 s70, 5
.LBB156_461:                            ;   in Loop: Header=BB156_6 Depth=1
	s_or_saveexec_b32 s12, s26
	v_mov_b32_e32 v5, s70
	s_xor_b32 exec_lo, exec_lo, s12
; %bb.462:                              ;   in Loop: Header=BB156_6 Depth=1
	v_sub_co_u32 v10, vcc_lo, v10, s10
	v_subrev_co_ci_u32_e32 v11, vcc_lo, s11, v11, vcc_lo
	v_mov_b32_e32 v5, 5
; %bb.463:                              ;   in Loop: Header=BB156_6 Depth=1
	s_or_b32 exec_lo, exec_lo, s12
	s_delay_alu instid0(VALU_DEP_2)
	v_dual_mov_b32 v3, v10 :: v_dual_mov_b32 v4, v11
.LBB156_464:                            ;   in Loop: Header=BB156_6 Depth=1
	s_or_b32 exec_lo, exec_lo, s17
	s_delay_alu instid0(SALU_CYCLE_1)
	s_mov_b32 s26, exec_lo
.LBB156_465:                            ;   in Loop: Header=BB156_6 Depth=1
	s_or_b32 exec_lo, exec_lo, s16
	s_delay_alu instid0(VALU_DEP_1)
	v_dual_mov_b32 v11, v4 :: v_dual_mov_b32 v10, v3
	s_or_not1_b32 s16, s26, exec_lo
.LBB156_466:                            ;   in Loop: Header=BB156_6 Depth=1
	s_or_b32 exec_lo, exec_lo, s24
	s_delay_alu instid0(SALU_CYCLE_1)
	s_and_not1_b32 s10, s18, exec_lo
	s_and_b32 s7, s7, exec_lo
	s_and_b32 s8, s8, exec_lo
	s_or_b32 s18, s10, s7
	s_and_not1_b32 s7, s19, exec_lo
	s_and_not1_b32 s10, s68, exec_lo
	s_and_b32 s9, s9, exec_lo
	v_dual_mov_b32 v8, v10 :: v_dual_mov_b32 v9, v11
	s_or_b32 s19, s7, s8
	s_or_b32 s68, s10, s9
	s_and_b32 s26, s16, exec_lo
.LBB156_467:                            ;   in Loop: Header=BB156_6 Depth=1
	s_or_b32 exec_lo, exec_lo, s69
	s_delay_alu instid0(SALU_CYCLE_1)
	s_and_b32 s18, s18, exec_lo
	s_and_b32 s9, s19, exec_lo
	;; [unrolled: 1-line block ×3, first 2 shown]
	s_or_not1_b32 s7, s26, exec_lo
.LBB156_468:                            ;   in Loop: Header=BB156_6 Depth=1
	s_or_b32 exec_lo, exec_lo, s67
	s_delay_alu instid0(SALU_CYCLE_1)
	s_and_not1_b32 s10, s20, exec_lo
	s_and_b32 s11, s18, exec_lo
	s_and_b32 s9, s9, exec_lo
	s_or_b32 s20, s10, s11
	s_and_not1_b32 s10, s21, exec_lo
	s_and_not1_b32 s11, s65, exec_lo
	s_and_b32 s8, s8, exec_lo
	v_dual_mov_b32 v36, v9 :: v_dual_mov_b32 v35, v8
	s_or_b32 s21, s10, s9
	s_or_b32 s65, s11, s8
	s_and_b32 s26, s7, exec_lo
.LBB156_469:                            ;   in Loop: Header=BB156_6 Depth=1
	s_or_b32 exec_lo, exec_lo, s66
	s_delay_alu instid0(SALU_CYCLE_1)
	s_and_b32 s20, s20, exec_lo
	s_and_b32 s9, s21, exec_lo
	;; [unrolled: 1-line block ×3, first 2 shown]
	s_or_not1_b32 s21, s26, exec_lo
.LBB156_470:                            ;   in Loop: Header=BB156_6 Depth=1
	s_or_b32 exec_lo, exec_lo, s64
	s_mov_b32 s7, s62
	s_mov_b32 s10, s54
	s_and_saveexec_b32 s11, s21
; %bb.471:                              ;   in Loop: Header=BB156_6 Depth=1
	v_cmp_eq_u32_e32 vcc_lo, 5, v5
	v_cmp_ne_u32_e64 s7, 5, v5
	s_and_not1_b32 s10, s54, exec_lo
	s_and_not1_b32 s12, s62, exec_lo
	;; [unrolled: 1-line block ×3, first 2 shown]
	s_and_b32 s13, vcc_lo, exec_lo
	s_and_b32 s7, s7, exec_lo
	s_and_not1_b32 s9, s9, exec_lo
	s_and_not1_b32 s8, s8, exec_lo
	s_or_b32 s10, s10, s7
	s_or_b32 s7, s12, s13
; %bb.472:                              ;   in Loop: Header=BB156_6 Depth=1
	s_or_b32 exec_lo, exec_lo, s11
	s_delay_alu instid0(SALU_CYCLE_1)
	s_and_not1_b32 s11, s22, exec_lo
	s_and_b32 s12, s20, exec_lo
	s_and_b32 s9, s9, exec_lo
	s_or_b32 s22, s11, s12
	s_and_not1_b32 s11, s23, exec_lo
	s_and_not1_b32 s12, s25, exec_lo
	s_and_b32 s8, s8, exec_lo
	v_dual_mov_b32 v12, v31 :: v_dual_mov_b32 v13, v32
	v_dual_mov_b32 v14, v29 :: v_dual_mov_b32 v15, v30
	v_dual_mov_b32 v11, v7 :: v_dual_mov_b32 v10, v6
	s_or_b32 s23, s11, s9
	s_or_b32 s25, s12, s8
	s_and_not1_b32 s8, s54, exec_lo
	s_and_b32 s9, s10, exec_lo
	s_and_not1_b32 s10, s62, exec_lo
	s_and_b32 s7, s7, exec_lo
	s_or_b32 s54, s8, s9
	s_or_b32 s62, s10, s7
.LBB156_473:                            ;   in Loop: Header=BB156_6 Depth=1
	s_or_b32 exec_lo, exec_lo, s63
	s_mov_b32 s64, s25
	s_mov_b32 s63, s25
	s_and_saveexec_b32 s7, s62
.LBB156_474:                            ;   in Loop: Header=BB156_6 Depth=1
	v_mov_b32_e32 v5, 0
	s_and_not1_b32 s25, s25, exec_lo
	s_and_not1_b32 s22, s22, exec_lo
	;; [unrolled: 1-line block ×5, first 2 shown]
	s_or_b32 s54, s54, exec_lo
.LBB156_475:                            ;   in Loop: Header=BB156_6 Depth=1
	s_or_b32 exec_lo, exec_lo, s7
	s_delay_alu instid0(SALU_CYCLE_1)
	s_and_not1_b32 s7, s97, exec_lo
	s_and_b32 s9, s25, exec_lo
	s_and_not1_b32 s10, s94, exec_lo
	s_or_b32 s97, s7, s9
	s_and_not1_b32 s7, s96, exec_lo
	s_and_b32 s9, s22, exec_lo
	s_and_b32 s11, s23, exec_lo
	s_or_b32 s96, s7, s9
	s_or_b32 s94, s10, s11
	s_and_not1_b32 s7, s95, exec_lo
	s_and_b32 s9, s64, exec_lo
	s_and_not1_b32 s10, s93, exec_lo
	s_and_b32 s11, s63, exec_lo
	s_mov_b32 s8, -1
	s_or_b32 s95, s7, s9
	s_or_b32 s93, s10, s11
                                        ; implicit-def: $vgpr29_vgpr30
                                        ; implicit-def: $vgpr31_vgpr32
                                        ; implicit-def: $vgpr33_vgpr34
                                        ; implicit-def: $vgpr6_vgpr7
	s_and_saveexec_b32 s7, s54
	s_delay_alu instid0(SALU_CYCLE_1)
	s_xor_b32 s7, exec_lo, s7
	s_cbranch_execz .LBB156_5
; %bb.476:                              ;   in Loop: Header=BB156_6 Depth=1
	s_mov_b32 s9, -1
	s_mov_b32 s10, exec_lo
	v_cmpx_eq_u32_e32 0, v5
	s_cbranch_execz .LBB156_4
; %bb.477:                              ;   in Loop: Header=BB156_6 Depth=1
	s_xor_b32 s87, s87, 1
	s_add_i32 s11, s91, -2
	s_cmp_eq_u32 s91, 0
	s_mov_b32 s91, s11
	s_cselect_b32 s8, -1, 0
	s_xor_b32 s9, exec_lo, -1
	s_or_not1_b32 s8, s8, exec_lo
	s_branch .LBB156_4
.LBB156_478:
	s_or_b32 exec_lo, exec_lo, s85
	s_xor_b32 s7, s92, -1
	s_xor_b32 s9, s89, -1
	;; [unrolled: 1-line block ×5, first 2 shown]
	s_mov_b32 s8, 0
	s_and_saveexec_b32 s12, s11
	s_delay_alu instid0(SALU_CYCLE_1)
	s_xor_b32 s12, exec_lo, s12
	s_cbranch_execz .LBB156_535
; %bb.479:
	s_and_saveexec_b32 s11, s10
	s_delay_alu instid0(SALU_CYCLE_1)
	s_xor_b32 s13, exec_lo, s11
	s_cbranch_execz .LBB156_533
; %bb.480:
	;; [unrolled: 5-line block ×4, first 2 shown]
	s_and_saveexec_b32 s7, s6
	s_delay_alu instid0(SALU_CYCLE_1)
	s_xor_b32 s6, exec_lo, s7
; %bb.483:
	v_xor_b32_e32 v13, 0x80000000, v13
	s_delay_alu instid0(VALU_DEP_1)
	v_dual_mov_b32 v10, v12 :: v_dual_mov_b32 v11, v13
; %bb.484:
	s_or_b32 exec_lo, exec_lo, s6
	s_and_saveexec_b32 s6, s5
	s_cbranch_execz .LBB156_486
; %bb.485:
	v_mov_b32_e32 v2, 0
	s_delay_alu instid0(VALU_DEP_1)
	v_mov_b32_e32 v3, v2
	ds_store_b64 v2, v[2:3] offset:5136
.LBB156_486:
	s_or_b32 exec_lo, exec_lo, s6
	v_mov_b32_e32 v2, 0
	v_mov_b32_e32 v3, 0
	s_waitcnt lgkmcnt(0)
	s_barrier
	buffer_gl0_inv
	s_and_saveexec_b32 s5, s3
	s_cbranch_execz .LBB156_488
; %bb.487:
	global_load_b64 v[2:3], v[16:17], off
.LBB156_488:
	s_or_b32 exec_lo, exec_lo, s5
	s_clause 0x1
	s_load_b64 s[8:9], s[0:1], 0x368
	s_load_b64 s[10:11], s[0:1], 0x510
	s_add_u32 s5, s28, 31
	s_addc_u32 s7, s29, 0
	s_and_b32 s6, s5, 0xffffffe0
	s_mul_i32 s5, s51, s42
	s_mul_hi_u32 s16, s50, s42
	v_readlane_b32 s20, v59, 2
	s_add_i32 s1, s16, s5
	s_mul_i32 s0, s50, s42
	v_readlane_b32 s21, v59, 3
	s_mul_i32 s5, s47, s42
	s_mul_hi_u32 s16, s46, s42
	s_lshl_b64 s[18:19], s[0:1], 3
	s_add_i32 s17, s16, s5
	s_add_u32 s1, s20, s18
	s_addc_u32 s5, s21, s19
	v_readlane_b32 s18, v59, 0
	s_mul_i32 s16, s46, s42
	v_readlane_b32 s19, v59, 1
	s_lshl_b64 s[16:17], s[16:17], 3
	v_add_nc_u32_e32 v24, s33, v0
	s_add_u32 s16, s18, s16
	s_mov_b32 s0, -1
	s_addc_u32 s17, s19, s17
	s_mov_b32 s19, 0
	s_mov_b32 s18, 0
	s_mov_b32 s20, exec_lo
	v_cmpx_gt_u64_e64 s[6:7], v[0:1]
	s_cbranch_execz .LBB156_504
; %bb.489:
	v_mad_u64_u32 v[6:7], null, s38, v24, 0
	s_add_u32 s0, s36, s40
	s_addc_u32 s18, s37, s41
                                        ; implicit-def: $sgpr21
                                        ; implicit-def: $vgpr18_vgpr19
	v_dual_mov_b32 v21, v1 :: v_dual_mov_b32 v20, v0
	s_delay_alu instid0(VALU_DEP_2) | instskip(NEXT) | instid1(VALU_DEP_1)
	v_mov_b32_e32 v4, v7
	v_mad_u64_u32 v[7:8], null, s39, v24, v[4:5]
	v_mov_b32_e32 v4, v10
	v_xor_b32_e32 v5, 0x80000000, v11
	s_delay_alu instid0(VALU_DEP_3) | instskip(SKIP_1) | instid1(VALU_DEP_2)
	v_lshlrev_b64 v[8:9], 3, v[6:7]
	v_mov_b32_e32 v7, 0
	v_add_co_u32 v8, vcc_lo, s0, v8
	s_delay_alu instid0(VALU_DEP_3)
	v_add_co_ci_u32_e32 v9, vcc_lo, s18, v9, vcc_lo
	s_mov_b32 s18, 0
	s_branch .LBB156_491
.LBB156_490:                            ;   in Loop: Header=BB156_491 Depth=1
	s_or_b32 exec_lo, exec_lo, s22
	s_xor_b32 s22, s24, -1
	s_and_b32 s0, exec_lo, s0
	v_dual_mov_b32 v2, v14 :: v_dual_mov_b32 v3, v15
	s_or_b32 s18, s0, s18
	v_dual_mov_b32 v21, v13 :: v_dual_mov_b32 v20, v12
	s_and_not1_b32 s0, s21, exec_lo
	s_and_b32 s21, s22, exec_lo
	s_delay_alu instid0(SALU_CYCLE_1)
	s_or_b32 s21, s0, s21
	s_and_not1_b32 exec_lo, exec_lo, s18
	s_cbranch_execz .LBB156_503
.LBB156_491:                            ; =>This Inner Loop Header: Depth=1
	v_add_co_u32 v12, vcc_lo, v20, s33
	v_mov_b32_e32 v14, 0
	v_add_co_ci_u32_e32 v13, vcc_lo, 0, v21, vcc_lo
	v_mov_b32_e32 v15, 0
	s_mov_b32 s0, exec_lo
	s_delay_alu instid0(VALU_DEP_2)
	v_cmpx_gt_u64_e64 s[28:29], v[12:13]
	s_cbranch_execz .LBB156_493
; %bb.492:                              ;   in Loop: Header=BB156_491 Depth=1
	global_load_b64 v[14:15], v[8:9], off
.LBB156_493:                            ;   in Loop: Header=BB156_491 Depth=1
	s_or_b32 exec_lo, exec_lo, s0
	s_waitcnt vmcnt(0)
	v_xor_b32_e32 v23, 0x80000000, v3
	v_mov_b32_e32 v22, v2
	s_delay_alu instid0(VALU_DEP_1) | instskip(SKIP_4) | instid1(VALU_DEP_2)
	v_cmp_gt_u64_e32 vcc_lo, v[22:23], v[4:5]
	v_cndmask_b32_e64 v6, 0, 1, vcc_lo
	v_cmp_lt_u64_e32 vcc_lo, v[22:23], v[4:5]
	v_cndmask_b32_e64 v22, 0, 1, vcc_lo
	v_cmp_gt_u64_e32 vcc_lo, s[28:29], v[20:21]
	v_cndmask_b32_e64 v6, v22, v6, s4
	s_delay_alu instid0(VALU_DEP_1) | instskip(NEXT) | instid1(VALU_DEP_1)
	v_and_b32_e32 v6, 1, v6
	v_cmp_eq_u32_e64 s0, 1, v6
	s_delay_alu instid0(VALU_DEP_1) | instskip(NEXT) | instid1(SALU_CYCLE_1)
	s_and_b32 s23, vcc_lo, s0
	v_cndmask_b32_e64 v6, 0, 1, s23
	s_delay_alu instid0(VALU_DEP_1) | instskip(SKIP_2) | instid1(SALU_CYCLE_1)
	v_cmp_ne_u32_e32 vcc_lo, 0, v6
	s_cmp_lg_u32 vcc_lo, 0
	s_cselect_b32 s0, -1, 0
	s_and_b32 s0, s2, s0
	s_delay_alu instid0(SALU_CYCLE_1)
	s_and_saveexec_b32 s22, s0
	s_cbranch_execz .LBB156_497
; %bb.494:                              ;   in Loop: Header=BB156_491 Depth=1
	s_mov_b32 s26, exec_lo
	s_bcnt1_i32_b32 s24, vcc_lo
	v_mbcnt_lo_u32_b32 v22, s26, 0
	s_mov_b32 s25, exec_lo
                                        ; implicit-def: $vgpr18_vgpr19
	s_delay_alu instid0(VALU_DEP_1)
	v_cmpx_eq_u32_e32 0, v22
	s_cbranch_execz .LBB156_496
; %bb.495:                              ;   in Loop: Header=BB156_491 Depth=1
	s_bcnt1_i32_b32 s0, s26
	s_delay_alu instid0(SALU_CYCLE_1) | instskip(NEXT) | instid1(SALU_CYCLE_1)
	s_mul_i32 s0, s24, s0
	v_mov_b32_e32 v6, s0
	s_waitcnt lgkmcnt(0)
	ds_add_rtn_u64 v[18:19], v7, v[6:7] offset:5136
.LBB156_496:                            ;   in Loop: Header=BB156_491 Depth=1
	s_or_b32 exec_lo, exec_lo, s25
	s_waitcnt lgkmcnt(0)
	v_readfirstlane_b32 s27, v19
	v_readfirstlane_b32 s26, v18
	s_delay_alu instid0(VALU_DEP_1)
	v_mad_u64_u32 v[18:19], null, s24, v22, s[26:27]
.LBB156_497:                            ;   in Loop: Header=BB156_491 Depth=1
	s_or_b32 exec_lo, exec_lo, s22
	s_waitcnt lgkmcnt(0)
	ds_bpermute_b32 v18, v7, v18
	ds_bpermute_b32 v19, v7, v19
	s_mov_b32 s0, -1
	s_mov_b32 s25, -1
                                        ; implicit-def: $sgpr24
	s_and_saveexec_b32 s22, s23
	s_cbranch_execz .LBB156_501
; %bb.498:                              ;   in Loop: Header=BB156_491 Depth=1
	v_and_b32_e32 v6, vcc_lo, v43
	s_mov_b32 s23, 0
	s_mov_b32 s24, exec_lo
	s_delay_alu instid0(VALU_DEP_1) | instskip(SKIP_1) | instid1(VALU_DEP_1)
	v_bcnt_u32_b32 v6, v6, 0
	s_waitcnt lgkmcnt(0)
	v_add_co_u32 v22, vcc_lo, v18, v6
	v_add_co_ci_u32_e32 v23, vcc_lo, 0, v19, vcc_lo
	s_delay_alu instid0(VALU_DEP_1)
	v_cmpx_gt_u64_e64 s[30:31], v[22:23]
	s_cbranch_execz .LBB156_500
; %bb.499:                              ;   in Loop: Header=BB156_491 Depth=1
	v_mul_lo_u32 v6, v23, s8
	v_mul_lo_u32 v29, v22, s9
	v_mad_u64_u32 v[25:26], null, v22, s8, 0
	v_mul_lo_u32 v23, v23, s10
	v_mul_lo_u32 v30, v22, s11
	v_mad_u64_u32 v[27:28], null, v22, s10, 0
	s_mov_b32 s23, exec_lo
	s_delay_alu instid0(VALU_DEP_4) | instskip(NEXT) | instid1(VALU_DEP_2)
	v_add3_u32 v26, v26, v29, v6
	v_add3_u32 v28, v28, v30, v23
	s_delay_alu instid0(VALU_DEP_2) | instskip(NEXT) | instid1(VALU_DEP_2)
	v_lshlrev_b64 v[22:23], 3, v[25:26]
	v_lshlrev_b64 v[25:26], 3, v[27:28]
	s_delay_alu instid0(VALU_DEP_2) | instskip(NEXT) | instid1(VALU_DEP_3)
	v_add_co_u32 v22, vcc_lo, s1, v22
	v_add_co_ci_u32_e32 v23, vcc_lo, s5, v23, vcc_lo
	s_delay_alu instid0(VALU_DEP_3) | instskip(NEXT) | instid1(VALU_DEP_4)
	v_add_co_u32 v25, vcc_lo, s16, v25
	v_add_co_ci_u32_e32 v26, vcc_lo, s17, v26, vcc_lo
	global_store_b64 v[22:23], v[2:3], off
	global_store_b64 v[25:26], v[20:21], off
.LBB156_500:                            ;   in Loop: Header=BB156_491 Depth=1
	s_or_b32 exec_lo, exec_lo, s24
	s_mov_b32 s24, -1
	s_or_not1_b32 s25, s23, exec_lo
.LBB156_501:                            ;   in Loop: Header=BB156_491 Depth=1
	s_or_b32 exec_lo, exec_lo, s22
	s_and_saveexec_b32 s22, s25
	s_cbranch_execz .LBB156_490
; %bb.502:                              ;   in Loop: Header=BB156_491 Depth=1
	v_cmp_le_u64_e32 vcc_lo, s[6:7], v[12:13]
	v_add_co_u32 v8, s0, v8, s34
	s_delay_alu instid0(VALU_DEP_1)
	v_add_co_ci_u32_e64 v9, s0, s35, v9, s0
	s_and_not1_b32 s24, s24, exec_lo
	s_or_not1_b32 s0, vcc_lo, exec_lo
	s_branch .LBB156_490
.LBB156_503:
	s_or_b32 exec_lo, exec_lo, s18
	s_delay_alu instid0(SALU_CYCLE_1)
	s_mov_b32 s18, exec_lo
	s_or_not1_b32 s0, s21, exec_lo
.LBB156_504:
	s_or_b32 exec_lo, exec_lo, s20
	s_and_saveexec_b32 s4, s0
	s_cbranch_execz .LBB156_527
; %bb.505:
	v_mov_b32_e32 v8, 0
	v_mov_b32_e32 v9, 0
	s_waitcnt vmcnt(0) lgkmcnt(0)
	s_waitcnt_vscnt null, 0x0
	s_barrier
	buffer_gl0_inv
	s_and_saveexec_b32 s0, s3
	s_cbranch_execz .LBB156_507
; %bb.506:
	global_load_b64 v[8:9], v[16:17], off
.LBB156_507:
	s_or_b32 exec_lo, exec_lo, s0
	v_mad_u64_u32 v[2:3], null, s38, v24, 0
	s_add_u32 s0, s36, s40
	s_addc_u32 s3, s37, s41
	s_mov_b32 s19, 0
                                        ; implicit-def: $sgpr20
                                        ; implicit-def: $sgpr21
                                        ; implicit-def: $vgpr6_vgpr7
	s_delay_alu instid0(VALU_DEP_1) | instskip(SKIP_1) | instid1(VALU_DEP_2)
	v_mad_u64_u32 v[4:5], null, s39, v24, v[3:4]
	v_mov_b32_e32 v5, 0
	v_mov_b32_e32 v3, v4
	s_delay_alu instid0(VALU_DEP_1) | instskip(NEXT) | instid1(VALU_DEP_1)
	v_lshlrev_b64 v[2:3], 3, v[2:3]
	v_add_co_u32 v2, vcc_lo, s0, v2
	s_delay_alu instid0(VALU_DEP_2)
	v_add_co_ci_u32_e32 v3, vcc_lo, s3, v3, vcc_lo
                                        ; implicit-def: $sgpr3
	s_branch .LBB156_510
.LBB156_508:                            ;   in Loop: Header=BB156_510 Depth=1
	s_or_b32 exec_lo, exec_lo, s24
	v_dual_mov_b32 v0, v12 :: v_dual_mov_b32 v1, v13
	s_and_not1_b32 s21, s21, exec_lo
	s_and_b32 s23, s26, exec_lo
	s_and_not1_b32 s20, s20, exec_lo
	s_and_b32 s0, s0, exec_lo
	s_or_b32 s21, s21, s23
	s_or_b32 s20, s20, s0
.LBB156_509:                            ;   in Loop: Header=BB156_510 Depth=1
	s_or_b32 exec_lo, exec_lo, s22
	s_xor_b32 s0, s21, -1
	s_and_b32 s22, exec_lo, s20
	s_delay_alu instid0(SALU_CYCLE_1) | instskip(SKIP_2) | instid1(SALU_CYCLE_1)
	s_or_b32 s19, s22, s19
	s_and_not1_b32 s3, s3, exec_lo
	s_and_b32 s0, s0, exec_lo
	s_or_b32 s3, s3, s0
	s_and_not1_b32 exec_lo, exec_lo, s19
	s_cbranch_execz .LBB156_525
.LBB156_510:                            ; =>This Inner Loop Header: Depth=1
	s_or_b32 s21, s21, exec_lo
	s_or_b32 s20, s20, exec_lo
	s_mov_b32 s22, exec_lo
	v_cmpx_gt_u64_e64 s[6:7], v[0:1]
	s_cbranch_execz .LBB156_509
; %bb.511:                              ;   in Loop: Header=BB156_510 Depth=1
	v_add_co_u32 v12, vcc_lo, v0, s33
	v_mov_b32_e32 v14, 0
	v_add_co_ci_u32_e32 v13, vcc_lo, 0, v1, vcc_lo
	v_mov_b32_e32 v15, 0
	s_mov_b32 s0, exec_lo
	s_delay_alu instid0(VALU_DEP_2)
	v_cmpx_gt_u64_e64 s[28:29], v[12:13]
	s_cbranch_execz .LBB156_513
; %bb.512:                              ;   in Loop: Header=BB156_510 Depth=1
	global_load_b64 v[14:15], v[2:3], off
.LBB156_513:                            ;   in Loop: Header=BB156_510 Depth=1
	s_or_b32 exec_lo, exec_lo, s0
	v_cmp_gt_u64_e32 vcc_lo, s[28:29], v[0:1]
	s_waitcnt vmcnt(0)
	v_cmp_eq_u64_e64 s0, v[8:9], v[10:11]
	s_delay_alu instid0(VALU_DEP_1) | instskip(NEXT) | instid1(SALU_CYCLE_1)
	s_and_b32 s24, vcc_lo, s0
	v_cndmask_b32_e64 v4, 0, 1, s24
	s_delay_alu instid0(VALU_DEP_1) | instskip(SKIP_2) | instid1(SALU_CYCLE_1)
	v_cmp_ne_u32_e32 vcc_lo, 0, v4
	s_cmp_lg_u32 vcc_lo, 0
	s_cselect_b32 s0, -1, 0
	s_and_b32 s0, s2, s0
	s_delay_alu instid0(SALU_CYCLE_1)
	s_and_saveexec_b32 s23, s0
	s_cbranch_execz .LBB156_517
; %bb.514:                              ;   in Loop: Header=BB156_510 Depth=1
	s_mov_b32 s27, exec_lo
	s_bcnt1_i32_b32 s25, vcc_lo
	v_mbcnt_lo_u32_b32 v16, s27, 0
	s_mov_b32 s26, exec_lo
                                        ; implicit-def: $vgpr6_vgpr7
	s_delay_alu instid0(VALU_DEP_1)
	v_cmpx_eq_u32_e32 0, v16
	s_cbranch_execz .LBB156_516
; %bb.515:                              ;   in Loop: Header=BB156_510 Depth=1
	s_bcnt1_i32_b32 s0, s27
	s_delay_alu instid0(SALU_CYCLE_1) | instskip(NEXT) | instid1(SALU_CYCLE_1)
	s_mul_i32 s0, s25, s0
	v_mov_b32_e32 v4, s0
	ds_add_rtn_u64 v[6:7], v5, v[4:5] offset:5136
.LBB156_516:                            ;   in Loop: Header=BB156_510 Depth=1
	s_or_b32 exec_lo, exec_lo, s26
	s_waitcnt lgkmcnt(0)
	v_readfirstlane_b32 s27, v7
	v_readfirstlane_b32 s26, v6
	s_delay_alu instid0(VALU_DEP_1)
	v_mad_u64_u32 v[6:7], null, s25, v16, s[26:27]
.LBB156_517:                            ;   in Loop: Header=BB156_510 Depth=1
	s_or_b32 exec_lo, exec_lo, s23
	ds_bpermute_b32 v6, v5, v6
	ds_bpermute_b32 v7, v5, v7
	s_cmp_eq_u32 vcc_lo, 0
	s_mov_b32 s25, -1
	s_cselect_b32 s23, -1, 0
	s_mov_b32 s26, -1
	s_waitcnt lgkmcnt(0)
	v_cmp_gt_u64_e64 s0, s[30:31], v[6:7]
	s_delay_alu instid0(VALU_DEP_1) | instskip(SKIP_4) | instid1(SALU_CYCLE_1)
	s_or_b32 s23, s23, s0
	s_mov_b32 s0, -1
	v_cndmask_b32_e64 v9, v9, v15, s23
	v_cndmask_b32_e64 v8, v8, v14, s23
	s_and_b32 s27, s24, s23
	s_and_saveexec_b32 s24, s27
	s_cbranch_execz .LBB156_523
; %bb.518:                              ;   in Loop: Header=BB156_510 Depth=1
	v_and_b32_e32 v4, vcc_lo, v43
	v_sub_co_u32 v8, vcc_lo, s30, v6
	v_sub_co_ci_u32_e32 v9, vcc_lo, s31, v7, vcc_lo
	s_delay_alu instid0(VALU_DEP_3) | instskip(SKIP_2) | instid1(VALU_DEP_1)
	v_bcnt_u32_b32 v4, v4, 0
	s_mov_b32 s27, -1
	s_mov_b32 s26, exec_lo
	v_cmp_le_u64_e64 s25, v[8:9], v[4:5]
	v_cmpx_gt_u64_e64 v[8:9], v[4:5]
	s_cbranch_execz .LBB156_522
; %bb.519:                              ;   in Loop: Header=BB156_510 Depth=1
	v_add_co_u32 v8, vcc_lo, v6, v4
	v_add_co_ci_u32_e32 v9, vcc_lo, 0, v7, vcc_lo
	s_delay_alu instid0(VALU_DEP_4) | instskip(SKIP_1) | instid1(VALU_DEP_1)
	s_mov_b32 s36, s25
	s_mov_b32 s27, exec_lo
	v_cmpx_gt_u64_e64 s[30:31], v[8:9]
	s_cbranch_execz .LBB156_521
; %bb.520:                              ;   in Loop: Header=BB156_510 Depth=1
	v_mul_lo_u32 v4, v9, s8
	v_mul_lo_u32 v20, v8, s9
	v_mad_u64_u32 v[16:17], null, v8, s8, 0
	v_mul_lo_u32 v9, v9, s10
	v_mul_lo_u32 v21, v8, s11
	v_mad_u64_u32 v[18:19], null, v8, s10, 0
	s_or_b32 s36, s25, exec_lo
	s_delay_alu instid0(VALU_DEP_4) | instskip(NEXT) | instid1(VALU_DEP_2)
	v_add3_u32 v17, v17, v20, v4
	v_add3_u32 v19, v19, v21, v9
	s_delay_alu instid0(VALU_DEP_2) | instskip(NEXT) | instid1(VALU_DEP_2)
	v_lshlrev_b64 v[8:9], 3, v[16:17]
	v_lshlrev_b64 v[16:17], 3, v[18:19]
	s_delay_alu instid0(VALU_DEP_2) | instskip(NEXT) | instid1(VALU_DEP_3)
	v_add_co_u32 v8, vcc_lo, s1, v8
	v_add_co_ci_u32_e32 v9, vcc_lo, s5, v9, vcc_lo
	s_delay_alu instid0(VALU_DEP_3) | instskip(NEXT) | instid1(VALU_DEP_4)
	v_add_co_u32 v16, vcc_lo, s16, v16
	v_add_co_ci_u32_e32 v17, vcc_lo, s17, v17, vcc_lo
	global_store_b64 v[8:9], v[10:11], off
	global_store_b64 v[16:17], v[0:1], off
.LBB156_521:                            ;   in Loop: Header=BB156_510 Depth=1
	s_or_b32 exec_lo, exec_lo, s27
	s_delay_alu instid0(SALU_CYCLE_1)
	s_and_not1_b32 s25, s25, exec_lo
	s_and_b32 s36, s36, exec_lo
	s_xor_b32 s27, exec_lo, -1
	s_or_b32 s25, s25, s36
.LBB156_522:                            ;   in Loop: Header=BB156_510 Depth=1
	s_or_b32 exec_lo, exec_lo, s26
	v_dual_mov_b32 v8, v14 :: v_dual_mov_b32 v9, v15
	s_or_not1_b32 s26, s27, exec_lo
	s_or_b32 s23, s23, exec_lo
	s_or_not1_b32 s25, s25, exec_lo
.LBB156_523:                            ;   in Loop: Header=BB156_510 Depth=1
	s_or_b32 exec_lo, exec_lo, s24
	s_and_saveexec_b32 s24, s25
	s_cbranch_execz .LBB156_508
; %bb.524:                              ;   in Loop: Header=BB156_510 Depth=1
	v_add_co_u32 v2, vcc_lo, v2, s34
	v_add_co_ci_u32_e32 v3, vcc_lo, s35, v3, vcc_lo
	s_xor_b32 s0, s23, -1
	s_or_b32 s26, s26, exec_lo
	s_or_not1_b32 s0, s0, exec_lo
	s_branch .LBB156_508
.LBB156_525:
	s_or_b32 exec_lo, exec_lo, s19
	s_mov_b32 s0, 0
	s_and_saveexec_b32 s1, s3
	s_delay_alu instid0(SALU_CYCLE_1)
	s_xor_b32 s1, exec_lo, s1
	s_cbranch_execnz .LBB156_557
.LBB156_526:
	s_or_b32 exec_lo, exec_lo, s1
	s_delay_alu instid0(SALU_CYCLE_1)
	s_and_b32 s19, s0, exec_lo
	s_and_not1_b32 s18, s18, exec_lo
.LBB156_527:
	s_or_b32 exec_lo, exec_lo, s4
	s_and_saveexec_b32 s0, s18
	s_delay_alu instid0(SALU_CYCLE_1)
	s_xor_b32 s0, exec_lo, s0
	s_cbranch_execnz .LBB156_553
.LBB156_528:
	s_or_b32 exec_lo, exec_lo, s0
	s_waitcnt lgkmcnt(0)
	s_and_b32 s8, s19, exec_lo
.LBB156_529:
	s_and_not1_saveexec_b32 s0, s15
	s_cbranch_execnz .LBB156_549
.LBB156_530:
	s_or_b32 exec_lo, exec_lo, s0
	s_delay_alu instid0(SALU_CYCLE_1)
	s_and_b32 s8, s8, exec_lo
.LBB156_531:
	s_and_not1_saveexec_b32 s0, s14
	s_cbranch_execnz .LBB156_545
.LBB156_532:
	s_or_b32 exec_lo, exec_lo, s0
	s_delay_alu instid0(SALU_CYCLE_1)
	s_and_b32 s8, s8, exec_lo
.LBB156_533:
	s_and_not1_saveexec_b32 s0, s13
	s_cbranch_execnz .LBB156_541
.LBB156_534:
	s_or_b32 exec_lo, exec_lo, s0
	s_delay_alu instid0(SALU_CYCLE_1)
	s_and_b32 s8, s8, exec_lo
.LBB156_535:
	s_and_not1_saveexec_b32 s0, s12
	s_cbranch_execnz .LBB156_539
; %bb.536:
	s_or_b32 exec_lo, exec_lo, s0
	s_and_saveexec_b32 s0, s8
.LBB156_537:
	; divergent unreachable
.LBB156_538:
	s_nop 0
	s_sendmsg sendmsg(MSG_DEALLOC_VGPRS)
	s_endpgm
.LBB156_539:
	s_cbranch_execnz .LBB156_543
; %bb.540:
	s_or_b32 s8, s8, exec_lo
	s_or_b32 exec_lo, exec_lo, s0
	s_and_saveexec_b32 s0, s8
	s_cbranch_execnz .LBB156_537
	s_branch .LBB156_538
.LBB156_541:
	s_cbranch_execnz .LBB156_547
; %bb.542:
	s_or_b32 s8, s8, exec_lo
	s_branch .LBB156_534
.LBB156_543:
	s_trap 2
	s_sendmsg_rtn_b32 s0, sendmsg(MSG_RTN_GET_DOORBELL)
	s_mov_b32 ttmp2, m0
	s_waitcnt lgkmcnt(0)
	s_and_b32 s0, s0, 0x3ff
	s_delay_alu instid0(SALU_CYCLE_1) | instskip(NEXT) | instid1(SALU_CYCLE_1)
	s_bitset1_b32 s0, 10
	s_mov_b32 m0, s0
	s_sendmsg sendmsg(MSG_INTERRUPT)
	s_mov_b32 m0, ttmp2
.LBB156_544:                            ; =>This Inner Loop Header: Depth=1
	s_sethalt 5
	s_branch .LBB156_544
.LBB156_545:
	s_cbranch_execnz .LBB156_551
; %bb.546:
	s_or_b32 s8, s8, exec_lo
	s_branch .LBB156_532
.LBB156_547:
	s_trap 2
	s_sendmsg_rtn_b32 s0, sendmsg(MSG_RTN_GET_DOORBELL)
	s_mov_b32 ttmp2, m0
	s_waitcnt lgkmcnt(0)
	s_and_b32 s0, s0, 0x3ff
	s_delay_alu instid0(SALU_CYCLE_1) | instskip(NEXT) | instid1(SALU_CYCLE_1)
	s_bitset1_b32 s0, 10
	s_mov_b32 m0, s0
	s_sendmsg sendmsg(MSG_INTERRUPT)
	s_mov_b32 m0, ttmp2
.LBB156_548:                            ; =>This Inner Loop Header: Depth=1
	s_sethalt 5
	s_branch .LBB156_548
.LBB156_549:
	s_cbranch_execnz .LBB156_555
; %bb.550:
	s_or_b32 s8, s8, exec_lo
	s_branch .LBB156_530
.LBB156_551:
	s_trap 2
	s_sendmsg_rtn_b32 s0, sendmsg(MSG_RTN_GET_DOORBELL)
	s_mov_b32 ttmp2, m0
	s_waitcnt lgkmcnt(0)
	s_and_b32 s0, s0, 0x3ff
	s_delay_alu instid0(SALU_CYCLE_1) | instskip(NEXT) | instid1(SALU_CYCLE_1)
	s_bitset1_b32 s0, 10
	s_mov_b32 m0, s0
	s_sendmsg sendmsg(MSG_INTERRUPT)
	s_mov_b32 m0, ttmp2
.LBB156_552:                            ; =>This Inner Loop Header: Depth=1
	s_sethalt 5
	s_branch .LBB156_552
.LBB156_553:
	s_cbranch_execnz .LBB156_559
; %bb.554:
	s_or_b32 s19, s19, exec_lo
	s_branch .LBB156_528
.LBB156_555:
	s_trap 2
	s_sendmsg_rtn_b32 s0, sendmsg(MSG_RTN_GET_DOORBELL)
	s_mov_b32 ttmp2, m0
	s_waitcnt lgkmcnt(0)
	s_and_b32 s0, s0, 0x3ff
	s_delay_alu instid0(SALU_CYCLE_1) | instskip(NEXT) | instid1(SALU_CYCLE_1)
	s_bitset1_b32 s0, 10
	s_mov_b32 m0, s0
	s_sendmsg sendmsg(MSG_INTERRUPT)
	s_mov_b32 m0, ttmp2
.LBB156_556:                            ; =>This Inner Loop Header: Depth=1
	s_sethalt 5
	s_branch .LBB156_556
.LBB156_557:
	s_cbranch_execnz .LBB156_561
; %bb.558:
	s_mov_b32 s0, exec_lo
	s_branch .LBB156_526
.LBB156_559:
	s_trap 2
	s_sendmsg_rtn_b32 s0, sendmsg(MSG_RTN_GET_DOORBELL)
	s_mov_b32 ttmp2, m0
	s_waitcnt lgkmcnt(0)
	s_and_b32 s0, s0, 0x3ff
	s_delay_alu instid0(SALU_CYCLE_1) | instskip(NEXT) | instid1(SALU_CYCLE_1)
	s_bitset1_b32 s0, 10
	s_mov_b32 m0, s0
	s_sendmsg sendmsg(MSG_INTERRUPT)
	s_mov_b32 m0, ttmp2
.LBB156_560:                            ; =>This Inner Loop Header: Depth=1
	s_sethalt 5
	s_branch .LBB156_560
.LBB156_561:
	s_trap 2
	s_sendmsg_rtn_b32 s0, sendmsg(MSG_RTN_GET_DOORBELL)
	s_mov_b32 ttmp2, m0
	s_waitcnt lgkmcnt(0)
	s_and_b32 s0, s0, 0x3ff
	s_delay_alu instid0(SALU_CYCLE_1) | instskip(NEXT) | instid1(SALU_CYCLE_1)
	s_bitset1_b32 s0, 10
	s_mov_b32 m0, s0
	s_sendmsg sendmsg(MSG_INTERRUPT)
	s_mov_b32 m0, ttmp2
.LBB156_562:                            ; =>This Inner Loop Header: Depth=1
	s_sethalt 5
	s_branch .LBB156_562
	.section	.rodata,"a",@progbits
	.p2align	6, 0x0
	.amdhsa_kernel _ZN2at6native6sbtopk10gatherTopKIlmLi1ELb0EEEvNS_4cuda6detail10TensorInfoIKT_T0_EES8_S8_bS8_S8_NS5_IS6_S8_EES8_NS5_IlS8_EES8_PS6_
		.amdhsa_group_segment_fixed_size 5152
		.amdhsa_private_segment_fixed_size 0
		.amdhsa_kernarg_size 1568
		.amdhsa_user_sgpr_count 13
		.amdhsa_user_sgpr_dispatch_ptr 0
		.amdhsa_user_sgpr_queue_ptr 0
		.amdhsa_user_sgpr_kernarg_segment_ptr 1
		.amdhsa_user_sgpr_dispatch_id 0
		.amdhsa_user_sgpr_private_segment_size 0
		.amdhsa_wavefront_size32 1
		.amdhsa_uses_dynamic_stack 0
		.amdhsa_enable_private_segment 0
		.amdhsa_system_sgpr_workgroup_id_x 1
		.amdhsa_system_sgpr_workgroup_id_y 1
		.amdhsa_system_sgpr_workgroup_id_z 1
		.amdhsa_system_sgpr_workgroup_info 0
		.amdhsa_system_vgpr_workitem_id 0
		.amdhsa_next_free_vgpr 60
		.amdhsa_next_free_sgpr 105
		.amdhsa_reserve_vcc 1
		.amdhsa_float_round_mode_32 0
		.amdhsa_float_round_mode_16_64 0
		.amdhsa_float_denorm_mode_32 3
		.amdhsa_float_denorm_mode_16_64 3
		.amdhsa_dx10_clamp 1
		.amdhsa_ieee_mode 1
		.amdhsa_fp16_overflow 0
		.amdhsa_workgroup_processor_mode 1
		.amdhsa_memory_ordered 1
		.amdhsa_forward_progress 0
		.amdhsa_shared_vgpr_count 0
		.amdhsa_exception_fp_ieee_invalid_op 0
		.amdhsa_exception_fp_denorm_src 0
		.amdhsa_exception_fp_ieee_div_zero 0
		.amdhsa_exception_fp_ieee_overflow 0
		.amdhsa_exception_fp_ieee_underflow 0
		.amdhsa_exception_fp_ieee_inexact 0
		.amdhsa_exception_int_div_zero 0
	.end_amdhsa_kernel
	.section	.text._ZN2at6native6sbtopk10gatherTopKIlmLi1ELb0EEEvNS_4cuda6detail10TensorInfoIKT_T0_EES8_S8_bS8_S8_NS5_IS6_S8_EES8_NS5_IlS8_EES8_PS6_,"axG",@progbits,_ZN2at6native6sbtopk10gatherTopKIlmLi1ELb0EEEvNS_4cuda6detail10TensorInfoIKT_T0_EES8_S8_bS8_S8_NS5_IS6_S8_EES8_NS5_IlS8_EES8_PS6_,comdat
.Lfunc_end156:
	.size	_ZN2at6native6sbtopk10gatherTopKIlmLi1ELb0EEEvNS_4cuda6detail10TensorInfoIKT_T0_EES8_S8_bS8_S8_NS5_IS6_S8_EES8_NS5_IlS8_EES8_PS6_, .Lfunc_end156-_ZN2at6native6sbtopk10gatherTopKIlmLi1ELb0EEEvNS_4cuda6detail10TensorInfoIKT_T0_EES8_S8_bS8_S8_NS5_IS6_S8_EES8_NS5_IlS8_EES8_PS6_
                                        ; -- End function
	.section	.AMDGPU.csdata,"",@progbits
; Kernel info:
; codeLenInByte = 28848
; NumSgprs: 107
; NumVgprs: 60
; ScratchSize: 0
; MemoryBound: 0
; FloatMode: 240
; IeeeMode: 1
; LDSByteSize: 5152 bytes/workgroup (compile time only)
; SGPRBlocks: 13
; VGPRBlocks: 7
; NumSGPRsForWavesPerEU: 107
; NumVGPRsForWavesPerEU: 60
; Occupancy: 16
; WaveLimiterHint : 1
; COMPUTE_PGM_RSRC2:SCRATCH_EN: 0
; COMPUTE_PGM_RSRC2:USER_SGPR: 13
; COMPUTE_PGM_RSRC2:TRAP_HANDLER: 0
; COMPUTE_PGM_RSRC2:TGID_X_EN: 1
; COMPUTE_PGM_RSRC2:TGID_Y_EN: 1
; COMPUTE_PGM_RSRC2:TGID_Z_EN: 1
; COMPUTE_PGM_RSRC2:TIDIG_COMP_CNT: 0
	.section	.text._ZN2at6native6mbtopk23computeBlockDigitCountsIlmmLi2EEEvNS_4cuda6detail10TensorInfoIKT_T0_EEjPjjS8_iijT1_PSB_Ps,"axG",@progbits,_ZN2at6native6mbtopk23computeBlockDigitCountsIlmmLi2EEEvNS_4cuda6detail10TensorInfoIKT_T0_EEjPjjS8_iijT1_PSB_Ps,comdat
	.protected	_ZN2at6native6mbtopk23computeBlockDigitCountsIlmmLi2EEEvNS_4cuda6detail10TensorInfoIKT_T0_EEjPjjS8_iijT1_PSB_Ps ; -- Begin function _ZN2at6native6mbtopk23computeBlockDigitCountsIlmmLi2EEEvNS_4cuda6detail10TensorInfoIKT_T0_EEjPjjS8_iijT1_PSB_Ps
	.globl	_ZN2at6native6mbtopk23computeBlockDigitCountsIlmmLi2EEEvNS_4cuda6detail10TensorInfoIKT_T0_EEjPjjS8_iijT1_PSB_Ps
	.p2align	8
	.type	_ZN2at6native6mbtopk23computeBlockDigitCountsIlmmLi2EEEvNS_4cuda6detail10TensorInfoIKT_T0_EEjPjjS8_iijT1_PSB_Ps,@function
_ZN2at6native6mbtopk23computeBlockDigitCountsIlmmLi2EEEvNS_4cuda6detail10TensorInfoIKT_T0_EEjPjjS8_iijT1_PSB_Ps: ; @_ZN2at6native6mbtopk23computeBlockDigitCountsIlmmLi2EEEvNS_4cuda6detail10TensorInfoIKT_T0_EEjPjjS8_iijT1_PSB_Ps
; %bb.0:
	s_clause 0x2
	s_load_b128 s[8:11], s[0:1], 0x1c0
	s_load_b32 s5, s[0:1], 0x1b0
	s_load_b64 s[2:3], s[0:1], 0x1e8
	s_waitcnt lgkmcnt(0)
	v_cvt_f32_u32_e32 v1, s10
	s_sub_i32 s6, 0, s10
	s_mul_i32 s3, s3, s15
	s_delay_alu instid0(SALU_CYCLE_1) | instskip(NEXT) | instid1(VALU_DEP_1)
	s_add_i32 s3, s3, s14
	v_rcp_iflag_f32_e32 v1, v1
	s_mul_i32 s18, s3, s2
	s_delay_alu instid0(SALU_CYCLE_1) | instskip(SKIP_3) | instid1(VALU_DEP_1)
	s_add_i32 s18, s18, s13
	s_mov_b32 s13, 0
	s_waitcnt_depctr 0xfff
	v_mul_f32_e32 v1, 0x4f7ffffe, v1
	v_cvt_u32_f32_e32 v1, v1
	s_delay_alu instid0(VALU_DEP_1) | instskip(NEXT) | instid1(VALU_DEP_1)
	v_readfirstlane_b32 s4, v1
	s_mul_i32 s6, s6, s4
	s_delay_alu instid0(SALU_CYCLE_1) | instskip(NEXT) | instid1(SALU_CYCLE_1)
	s_mul_hi_u32 s2, s4, s6
	s_add_i32 s4, s4, s2
	s_delay_alu instid0(SALU_CYCLE_1) | instskip(NEXT) | instid1(SALU_CYCLE_1)
	s_mul_hi_u32 s2, s18, s4
	s_mul_i32 s3, s2, s10
	s_add_i32 s4, s2, 1
	s_sub_i32 s3, s18, s3
	s_delay_alu instid0(SALU_CYCLE_1)
	s_sub_i32 s6, s3, s10
	s_cmp_ge_u32 s3, s10
	s_cselect_b32 s2, s4, s2
	s_cselect_b32 s3, s6, s3
	s_add_i32 s4, s2, 1
	s_cmp_ge_u32 s3, s10
	s_cselect_b32 s12, s4, s2
	s_delay_alu instid0(SALU_CYCLE_1)
	s_cmp_ge_u32 s12, s5
	s_cbranch_scc1 .LBB157_25
; %bb.1:
	s_clause 0x2
	s_load_b64 s[14:15], s[0:1], 0x10
	s_load_b128 s[4:7], s[0:1], 0x1d0
	s_load_b64 s[2:3], s[0:1], 0x1e0
	s_lshl_b64 s[16:17], s[12:13], 3
	s_waitcnt lgkmcnt(0)
	v_cmp_lt_u64_e64 s11, s[12:13], s[14:15]
	s_add_u32 s6, s6, s16
	s_addc_u32 s7, s7, s17
	s_mov_b64 s[16:17], 0
	s_delay_alu instid0(VALU_DEP_1)
	s_and_b32 vcc_lo, exec_lo, s11
	s_cbranch_vccnz .LBB157_3
; %bb.2:
	v_cvt_f32_u32_e32 v1, s14
	s_sub_i32 s13, 0, s14
	s_delay_alu instid0(VALU_DEP_1) | instskip(SKIP_2) | instid1(VALU_DEP_1)
	v_rcp_iflag_f32_e32 v1, v1
	s_waitcnt_depctr 0xfff
	v_mul_f32_e32 v1, 0x4f7ffffe, v1
	v_cvt_u32_f32_e32 v1, v1
	s_delay_alu instid0(VALU_DEP_1) | instskip(NEXT) | instid1(VALU_DEP_1)
	v_readfirstlane_b32 s11, v1
	s_mul_i32 s13, s13, s11
	s_delay_alu instid0(SALU_CYCLE_1) | instskip(NEXT) | instid1(SALU_CYCLE_1)
	s_mul_hi_u32 s13, s11, s13
	s_add_i32 s11, s11, s13
	s_delay_alu instid0(SALU_CYCLE_1) | instskip(NEXT) | instid1(SALU_CYCLE_1)
	s_mul_hi_u32 s11, s12, s11
	s_mul_i32 s13, s11, s14
	s_add_i32 s16, s11, 1
	s_sub_i32 s13, s12, s13
	s_delay_alu instid0(SALU_CYCLE_1)
	s_sub_i32 s17, s13, s14
	s_cmp_ge_u32 s13, s14
	s_cselect_b32 s11, s16, s11
	s_cselect_b32 s13, s17, s13
	s_add_i32 s16, s11, 1
	s_cmp_ge_u32 s13, s14
	s_cselect_b32 s16, s16, s11
.LBB157_3:
	v_cmp_gt_u32_e32 vcc_lo, 0x100, v0
	v_lshlrev_b32_e32 v3, 2, v0
	s_and_saveexec_b32 s11, vcc_lo
	s_cbranch_execz .LBB157_5
; %bb.4:
	v_mov_b32_e32 v1, 0
	ds_store_b32 v3, v1
.LBB157_5:
	s_or_b32 exec_lo, exec_lo, s11
	s_load_b32 s13, s[0:1], 0x1a0
	s_mul_i32 s11, s12, s10
	s_waitcnt lgkmcnt(0)
	s_sub_i32 s11, s18, s11
	s_barrier
	s_mul_i32 s17, s9, s11
	s_add_i32 s11, s11, 1
	s_lshl_b32 s19, s17, 8
	buffer_gl0_inv
	s_sub_i32 s17, s13, s19
	s_delay_alu instid0(SALU_CYCLE_1) | instskip(SKIP_3) | instid1(VALU_DEP_1)
	s_add_u32 s17, s17, 0xff
	s_addc_u32 s20, 0, 0
	s_cmp_lt_u32 s11, s10
	v_alignbit_b32 v1, s20, s17, 8
	v_readfirstlane_b32 s17, v1
	s_delay_alu instid0(VALU_DEP_1)
	s_cselect_b32 s9, s9, s17
	s_mov_b32 s17, 0
	s_cmp_lt_i32 s9, 1
	s_cbranch_scc1 .LBB157_21
; %bb.6:
	s_clause 0x1
	s_load_b128 s[20:23], s[0:1], 0xd0
	s_load_b64 s[24:25], s[0:1], 0x0
	s_load_b64 s[6:7], s[6:7], 0x0
	;; [unrolled: 1-line block ×3, first 2 shown]
	s_mul_i32 s15, s16, s15
	s_mul_hi_u32 s26, s16, s14
	s_mul_i32 s14, s16, s14
	s_add_i32 s26, s26, s15
	s_sub_u32 s0, s12, s14
	s_subb_u32 s1, 0, s26
	v_add_nc_u32_e32 v4, s19, v0
	s_waitcnt lgkmcnt(0)
	s_mul_i32 s15, s16, s21
	s_mul_hi_u32 s21, s16, s20
	s_mul_i32 s12, s0, s23
	s_mul_hi_u32 s23, s0, s22
	s_mul_i32 s14, s16, s20
	s_add_i32 s15, s21, s15
	s_mul_i32 s1, s1, s22
	s_add_i32 s12, s23, s12
	s_lshl_b64 s[14:15], s[14:15], 3
	s_mul_i32 s0, s0, s22
	s_add_i32 s1, s12, s1
	s_add_u32 s12, s24, s14
	s_addc_u32 s14, s25, s15
	s_lshl_b64 s[0:1], s[0:1], 3
	s_delay_alu instid0(SALU_CYCLE_1)
	s_add_u32 s12, s12, s0
	s_addc_u32 s14, s14, s1
	s_and_b32 s1, s8, 0xff
	s_cmp_eq_u32 s9, 1
	s_cbranch_scc1 .LBB157_16
; %bb.7:
	v_dual_mov_b32 v5, 1 :: v_dual_mov_b32 v6, v4
	s_and_b32 s8, s9, 0x7ffffffe
	s_mov_b32 s15, 0
	s_branch .LBB157_9
.LBB157_8:                              ;   in Loop: Header=BB157_9 Depth=1
	s_or_b32 exec_lo, exec_lo, s16
	v_add_nc_u32_e32 v6, 0x200, v6
	s_add_i32 s15, s15, 2
	s_delay_alu instid0(SALU_CYCLE_1)
	s_cmp_eq_u32 s8, s15
	s_cbranch_scc1 .LBB157_15
.LBB157_9:                              ; =>This Inner Loop Header: Depth=1
	s_mov_b32 s16, exec_lo
	v_cmpx_gt_u32_e64 s13, v6
	s_cbranch_execz .LBB157_12
; %bb.10:                               ;   in Loop: Header=BB157_9 Depth=1
	v_mad_u64_u32 v[1:2], null, v6, s10, 0
	s_delay_alu instid0(VALU_DEP_1) | instskip(NEXT) | instid1(VALU_DEP_1)
	v_mad_u64_u32 v[7:8], null, v6, s11, v[2:3]
	v_mov_b32_e32 v2, v7
	s_delay_alu instid0(VALU_DEP_1) | instskip(NEXT) | instid1(VALU_DEP_1)
	v_lshlrev_b64 v[1:2], 3, v[1:2]
	v_add_co_u32 v1, s0, s12, v1
	s_delay_alu instid0(VALU_DEP_1) | instskip(SKIP_4) | instid1(VALU_DEP_2)
	v_add_co_ci_u32_e64 v2, s0, s14, v2, s0
	global_load_b64 v[1:2], v[1:2], off
	s_waitcnt vmcnt(0)
	v_xor_b32_e32 v2, 0x80000000, v2
	v_xor_b32_e32 v9, s6, v1
	;; [unrolled: 1-line block ×3, first 2 shown]
	s_delay_alu instid0(VALU_DEP_1) | instskip(NEXT) | instid1(VALU_DEP_3)
	v_and_b32_e32 v8, s5, v7
	v_and_b32_e32 v7, s4, v9
	s_delay_alu instid0(VALU_DEP_1) | instskip(NEXT) | instid1(VALU_DEP_1)
	v_cmp_eq_u64_e64 s0, 0, v[7:8]
	s_and_b32 exec_lo, exec_lo, s0
	s_cbranch_execz .LBB157_12
; %bb.11:                               ;   in Loop: Header=BB157_9 Depth=1
	v_lshrrev_b64 v[1:2], s1, v[1:2]
	s_delay_alu instid0(VALU_DEP_1) | instskip(NEXT) | instid1(VALU_DEP_1)
	v_and_b32_e32 v1, 0xff, v1
	v_lshlrev_b32_e32 v1, 2, v1
	ds_add_u32 v1, v5
.LBB157_12:                             ;   in Loop: Header=BB157_9 Depth=1
	s_or_b32 exec_lo, exec_lo, s16
	v_add_nc_u32_e32 v1, 0x100, v6
	s_mov_b32 s16, exec_lo
	s_delay_alu instid0(VALU_DEP_1)
	v_cmpx_gt_u32_e64 s13, v1
	s_cbranch_execz .LBB157_8
; %bb.13:                               ;   in Loop: Header=BB157_9 Depth=1
	v_mad_u64_u32 v[7:8], null, v1, s10, 0
	s_delay_alu instid0(VALU_DEP_1) | instskip(NEXT) | instid1(VALU_DEP_1)
	v_mov_b32_e32 v2, v8
	v_mad_u64_u32 v[8:9], null, v1, s11, v[2:3]
	s_delay_alu instid0(VALU_DEP_1) | instskip(NEXT) | instid1(VALU_DEP_1)
	v_lshlrev_b64 v[1:2], 3, v[7:8]
	v_add_co_u32 v1, s0, s12, v1
	s_delay_alu instid0(VALU_DEP_1) | instskip(SKIP_4) | instid1(VALU_DEP_2)
	v_add_co_ci_u32_e64 v2, s0, s14, v2, s0
	global_load_b64 v[1:2], v[1:2], off
	s_waitcnt vmcnt(0)
	v_xor_b32_e32 v2, 0x80000000, v2
	v_xor_b32_e32 v9, s6, v1
	;; [unrolled: 1-line block ×3, first 2 shown]
	s_delay_alu instid0(VALU_DEP_1) | instskip(NEXT) | instid1(VALU_DEP_3)
	v_and_b32_e32 v8, s5, v7
	v_and_b32_e32 v7, s4, v9
	s_delay_alu instid0(VALU_DEP_1) | instskip(NEXT) | instid1(VALU_DEP_1)
	v_cmp_eq_u64_e64 s0, 0, v[7:8]
	s_and_b32 exec_lo, exec_lo, s0
	s_cbranch_execz .LBB157_8
; %bb.14:                               ;   in Loop: Header=BB157_9 Depth=1
	v_lshrrev_b64 v[1:2], s1, v[1:2]
	s_delay_alu instid0(VALU_DEP_1) | instskip(NEXT) | instid1(VALU_DEP_1)
	v_and_b32_e32 v1, 0xff, v1
	v_lshlrev_b32_e32 v1, 2, v1
	ds_add_u32 v1, v5
	s_branch .LBB157_8
.LBB157_15:
	s_lshl_b32 s17, s8, 8
.LBB157_16:
	s_bitcmp0_b32 s9, 0
	s_cbranch_scc1 .LBB157_21
; %bb.17:
	v_add_nc_u32_e32 v1, s17, v4
	s_mov_b32 s8, exec_lo
	s_delay_alu instid0(VALU_DEP_1)
	v_cmpx_gt_u32_e64 s13, v1
	s_cbranch_execz .LBB157_20
; %bb.18:
	v_mad_u64_u32 v[4:5], null, v1, s10, 0
	s_delay_alu instid0(VALU_DEP_1) | instskip(NEXT) | instid1(VALU_DEP_1)
	v_mov_b32_e32 v2, v5
	v_mad_u64_u32 v[5:6], null, v1, s11, v[2:3]
	s_delay_alu instid0(VALU_DEP_1) | instskip(NEXT) | instid1(VALU_DEP_1)
	v_lshlrev_b64 v[1:2], 3, v[4:5]
	v_add_co_u32 v1, s0, s12, v1
	s_delay_alu instid0(VALU_DEP_1) | instskip(SKIP_4) | instid1(VALU_DEP_2)
	v_add_co_ci_u32_e64 v2, s0, s14, v2, s0
	global_load_b64 v[1:2], v[1:2], off
	s_waitcnt vmcnt(0)
	v_xor_b32_e32 v2, 0x80000000, v2
	v_xor_b32_e32 v6, s6, v1
	;; [unrolled: 1-line block ×3, first 2 shown]
	s_delay_alu instid0(VALU_DEP_1) | instskip(NEXT) | instid1(VALU_DEP_3)
	v_and_b32_e32 v5, s5, v4
	v_and_b32_e32 v4, s4, v6
	s_delay_alu instid0(VALU_DEP_1) | instskip(NEXT) | instid1(VALU_DEP_1)
	v_cmp_eq_u64_e64 s0, 0, v[4:5]
	s_and_b32 exec_lo, exec_lo, s0
	s_cbranch_execz .LBB157_20
; %bb.19:
	v_lshrrev_b64 v[1:2], s1, v[1:2]
	s_delay_alu instid0(VALU_DEP_1) | instskip(NEXT) | instid1(VALU_DEP_1)
	v_dual_mov_b32 v2, 1 :: v_dual_and_b32 v1, 0xff, v1
	v_lshlrev_b32_e32 v1, 2, v1
	ds_add_u32 v1, v2
.LBB157_20:
	s_or_b32 exec_lo, exec_lo, s8
.LBB157_21:
	v_mov_b32_e32 v1, 0
	s_waitcnt lgkmcnt(0)
	s_barrier
	buffer_gl0_inv
	s_and_saveexec_b32 s0, vcc_lo
	s_cbranch_execz .LBB157_23
; %bb.22:
	ds_load_b32 v1, v3
.LBB157_23:
	s_or_b32 exec_lo, exec_lo, s0
	s_and_saveexec_b32 s0, vcc_lo
	s_cbranch_execz .LBB157_25
; %bb.24:
	v_lshl_or_b32 v2, s18, 8, v0
	v_mov_b32_e32 v3, 0
	s_delay_alu instid0(VALU_DEP_1) | instskip(NEXT) | instid1(VALU_DEP_1)
	v_lshlrev_b64 v[2:3], 1, v[2:3]
	v_add_co_u32 v2, vcc_lo, s2, v2
	s_delay_alu instid0(VALU_DEP_2)
	v_add_co_ci_u32_e32 v3, vcc_lo, s3, v3, vcc_lo
	s_waitcnt lgkmcnt(0)
	global_store_b16 v[2:3], v1, off
.LBB157_25:
	s_nop 0
	s_sendmsg sendmsg(MSG_DEALLOC_VGPRS)
	s_endpgm
	.section	.rodata,"a",@progbits
	.p2align	6, 0x0
	.amdhsa_kernel _ZN2at6native6mbtopk23computeBlockDigitCountsIlmmLi2EEEvNS_4cuda6detail10TensorInfoIKT_T0_EEjPjjS8_iijT1_PSB_Ps
		.amdhsa_group_segment_fixed_size 1024
		.amdhsa_private_segment_fixed_size 0
		.amdhsa_kernarg_size 744
		.amdhsa_user_sgpr_count 13
		.amdhsa_user_sgpr_dispatch_ptr 0
		.amdhsa_user_sgpr_queue_ptr 0
		.amdhsa_user_sgpr_kernarg_segment_ptr 1
		.amdhsa_user_sgpr_dispatch_id 0
		.amdhsa_user_sgpr_private_segment_size 0
		.amdhsa_wavefront_size32 1
		.amdhsa_uses_dynamic_stack 0
		.amdhsa_enable_private_segment 0
		.amdhsa_system_sgpr_workgroup_id_x 1
		.amdhsa_system_sgpr_workgroup_id_y 1
		.amdhsa_system_sgpr_workgroup_id_z 1
		.amdhsa_system_sgpr_workgroup_info 0
		.amdhsa_system_vgpr_workitem_id 0
		.amdhsa_next_free_vgpr 10
		.amdhsa_next_free_sgpr 27
		.amdhsa_reserve_vcc 1
		.amdhsa_float_round_mode_32 0
		.amdhsa_float_round_mode_16_64 0
		.amdhsa_float_denorm_mode_32 3
		.amdhsa_float_denorm_mode_16_64 3
		.amdhsa_dx10_clamp 1
		.amdhsa_ieee_mode 1
		.amdhsa_fp16_overflow 0
		.amdhsa_workgroup_processor_mode 1
		.amdhsa_memory_ordered 1
		.amdhsa_forward_progress 0
		.amdhsa_shared_vgpr_count 0
		.amdhsa_exception_fp_ieee_invalid_op 0
		.amdhsa_exception_fp_denorm_src 0
		.amdhsa_exception_fp_ieee_div_zero 0
		.amdhsa_exception_fp_ieee_overflow 0
		.amdhsa_exception_fp_ieee_underflow 0
		.amdhsa_exception_fp_ieee_inexact 0
		.amdhsa_exception_int_div_zero 0
	.end_amdhsa_kernel
	.section	.text._ZN2at6native6mbtopk23computeBlockDigitCountsIlmmLi2EEEvNS_4cuda6detail10TensorInfoIKT_T0_EEjPjjS8_iijT1_PSB_Ps,"axG",@progbits,_ZN2at6native6mbtopk23computeBlockDigitCountsIlmmLi2EEEvNS_4cuda6detail10TensorInfoIKT_T0_EEjPjjS8_iijT1_PSB_Ps,comdat
.Lfunc_end157:
	.size	_ZN2at6native6mbtopk23computeBlockDigitCountsIlmmLi2EEEvNS_4cuda6detail10TensorInfoIKT_T0_EEjPjjS8_iijT1_PSB_Ps, .Lfunc_end157-_ZN2at6native6mbtopk23computeBlockDigitCountsIlmmLi2EEEvNS_4cuda6detail10TensorInfoIKT_T0_EEjPjjS8_iijT1_PSB_Ps
                                        ; -- End function
	.section	.AMDGPU.csdata,"",@progbits
; Kernel info:
; codeLenInByte = 1344
; NumSgprs: 29
; NumVgprs: 10
; ScratchSize: 0
; MemoryBound: 0
; FloatMode: 240
; IeeeMode: 1
; LDSByteSize: 1024 bytes/workgroup (compile time only)
; SGPRBlocks: 3
; VGPRBlocks: 1
; NumSGPRsForWavesPerEU: 29
; NumVGPRsForWavesPerEU: 10
; Occupancy: 16
; WaveLimiterHint : 1
; COMPUTE_PGM_RSRC2:SCRATCH_EN: 0
; COMPUTE_PGM_RSRC2:USER_SGPR: 13
; COMPUTE_PGM_RSRC2:TRAP_HANDLER: 0
; COMPUTE_PGM_RSRC2:TGID_X_EN: 1
; COMPUTE_PGM_RSRC2:TGID_Y_EN: 1
; COMPUTE_PGM_RSRC2:TGID_Z_EN: 1
; COMPUTE_PGM_RSRC2:TIDIG_COMP_CNT: 0
	.section	.text._ZN2at6native6mbtopk10gatherTopKIlmLi2EEEvNS_4cuda6detail10TensorInfoIKT_T0_EES8_S8_bjS8_NS5_IS6_S8_EES8_NS5_IlS8_EES8_jjPS6_PjSD_j,"axG",@progbits,_ZN2at6native6mbtopk10gatherTopKIlmLi2EEEvNS_4cuda6detail10TensorInfoIKT_T0_EES8_S8_bjS8_NS5_IS6_S8_EES8_NS5_IlS8_EES8_jjPS6_PjSD_j,comdat
	.protected	_ZN2at6native6mbtopk10gatherTopKIlmLi2EEEvNS_4cuda6detail10TensorInfoIKT_T0_EES8_S8_bjS8_NS5_IS6_S8_EES8_NS5_IlS8_EES8_jjPS6_PjSD_j ; -- Begin function _ZN2at6native6mbtopk10gatherTopKIlmLi2EEEvNS_4cuda6detail10TensorInfoIKT_T0_EES8_S8_bjS8_NS5_IS6_S8_EES8_NS5_IlS8_EES8_jjPS6_PjSD_j
	.globl	_ZN2at6native6mbtopk10gatherTopKIlmLi2EEEvNS_4cuda6detail10TensorInfoIKT_T0_EES8_S8_bjS8_NS5_IS6_S8_EES8_NS5_IlS8_EES8_jjPS6_PjSD_j
	.p2align	8
	.type	_ZN2at6native6mbtopk10gatherTopKIlmLi2EEEvNS_4cuda6detail10TensorInfoIKT_T0_EES8_S8_bjS8_NS5_IS6_S8_EES8_NS5_IlS8_EES8_jjPS6_PjSD_j,@function
_ZN2at6native6mbtopk10gatherTopKIlmLi2EEEvNS_4cuda6detail10TensorInfoIKT_T0_EES8_S8_bjS8_NS5_IS6_S8_EES8_NS5_IlS8_EES8_jjPS6_PjSD_j: ; @_ZN2at6native6mbtopk10gatherTopKIlmLi2EEEvNS_4cuda6detail10TensorInfoIKT_T0_EES8_S8_bjS8_NS5_IS6_S8_EES8_NS5_IlS8_EES8_jjPS6_PjSD_j
; %bb.0:
	s_clause 0x1
	s_load_b64 s[2:3], s[0:1], 0x538
	s_load_b32 s4, s[0:1], 0x530
	s_waitcnt lgkmcnt(0)
	s_mul_i32 s3, s3, s15
	s_delay_alu instid0(SALU_CYCLE_1) | instskip(NEXT) | instid1(SALU_CYCLE_1)
	s_add_i32 s3, s3, s14
	s_mul_i32 s2, s3, s2
	s_delay_alu instid0(SALU_CYCLE_1) | instskip(NEXT) | instid1(SALU_CYCLE_1)
	s_add_i32 s2, s2, s13
	s_cmp_ge_u32 s2, s4
	s_cbranch_scc1 .LBB158_48
; %bb.1:
	s_clause 0x1
	s_load_b64 s[28:29], s[0:1], 0x510
	s_load_b64 s[40:41], s[0:1], 0x1d0
	s_mov_b32 s37, 0
	s_waitcnt lgkmcnt(0)
	v_cvt_f32_u32_e32 v1, s29
	s_sub_i32 s4, 0, s29
	s_lshl_b32 s33, s28, 8
	s_delay_alu instid0(VALU_DEP_1) | instskip(SKIP_2) | instid1(VALU_DEP_1)
	v_rcp_iflag_f32_e32 v1, v1
	s_waitcnt_depctr 0xfff
	v_mul_f32_e32 v1, 0x4f7ffffe, v1
	v_cvt_u32_f32_e32 v1, v1
	s_delay_alu instid0(VALU_DEP_1) | instskip(NEXT) | instid1(VALU_DEP_1)
	v_readfirstlane_b32 s3, v1
	s_mul_i32 s4, s4, s3
	s_delay_alu instid0(SALU_CYCLE_1) | instskip(NEXT) | instid1(SALU_CYCLE_1)
	s_mul_hi_u32 s4, s3, s4
	s_add_i32 s3, s3, s4
	s_clause 0x1
	s_load_b128 s[4:7], s[0:1], 0x1a0
	s_load_b64 s[38:39], s[0:1], 0x10
	s_mul_hi_u32 s3, s2, s3
	s_delay_alu instid0(SALU_CYCLE_1) | instskip(SKIP_2) | instid1(SALU_CYCLE_1)
	s_mul_i32 s8, s3, s29
	s_add_i32 s9, s3, 1
	s_sub_i32 s8, s2, s8
	s_sub_i32 s10, s8, s29
	s_cmp_ge_u32 s8, s29
	s_cselect_b32 s3, s9, s3
	s_cselect_b32 s8, s10, s8
	s_add_i32 s9, s3, 1
	s_cmp_ge_u32 s8, s29
	s_cselect_b32 s36, s9, s3
	s_delay_alu instid0(SALU_CYCLE_1) | instskip(NEXT) | instid1(SALU_CYCLE_1)
	s_mul_i32 s16, s36, s29
	s_sub_i32 s50, s2, s16
	s_delay_alu instid0(SALU_CYCLE_1) | instskip(NEXT) | instid1(SALU_CYCLE_1)
	s_add_i32 s2, s50, 1
	s_cmp_lt_u32 s2, s29
	s_cbranch_scc1 .LBB158_3
; %bb.2:
	s_mul_i32 s2, s50, s33
	s_waitcnt lgkmcnt(0)
	s_sub_u32 s2, s4, s2
	s_subb_u32 s3, s5, 0
	s_add_u32 s2, s2, 0xff
	s_addc_u32 s3, s3, 0
	s_delay_alu instid0(SALU_CYCLE_1) | instskip(NEXT) | instid1(SALU_CYCLE_1)
	s_ashr_i32 s8, s3, 31
	s_lshr_b32 s8, s8, 24
	s_delay_alu instid0(SALU_CYCLE_1) | instskip(SKIP_1) | instid1(SALU_CYCLE_1)
	s_add_u32 s2, s2, s8
	s_addc_u32 s3, s3, 0
	v_alignbit_b32 v1, s3, s2, 8
	s_delay_alu instid0(VALU_DEP_1)
	v_readfirstlane_b32 s28, v1
.LBB158_3:
	s_load_b64 s[42:43], s[0:1], 0x378
	s_waitcnt lgkmcnt(0)
	v_cmp_lt_u64_e64 s2, s[36:37], s[38:39]
	s_mov_b64 s[34:35], 0
	s_mov_b64 s[44:45], 0
	s_delay_alu instid0(VALU_DEP_1)
	s_and_b32 vcc_lo, exec_lo, s2
	s_cbranch_vccz .LBB158_20
; %bb.4:
	v_cmp_lt_u64_e64 s2, s[36:37], s[40:41]
	s_delay_alu instid0(VALU_DEP_1)
	s_and_b32 vcc_lo, exec_lo, s2
	s_cbranch_vccz .LBB158_21
.LBB158_5:
	v_cmp_lt_u64_e64 s2, s[36:37], s[42:43]
	s_mov_b64 s[46:47], 0
	s_delay_alu instid0(VALU_DEP_1)
	s_and_b32 vcc_lo, exec_lo, s2
	s_cbranch_vccnz .LBB158_7
.LBB158_6:
	v_cvt_f32_u32_e32 v1, s42
	s_sub_i32 s3, 0, s42
	s_waitcnt_depctr 0xfff
	v_rcp_iflag_f32_e32 v1, v1
	s_waitcnt_depctr 0xfff
	v_mul_f32_e32 v1, 0x4f7ffffe, v1
	s_delay_alu instid0(VALU_DEP_1) | instskip(NEXT) | instid1(VALU_DEP_1)
	v_cvt_u32_f32_e32 v1, v1
	v_readfirstlane_b32 s2, v1
	s_delay_alu instid0(VALU_DEP_1) | instskip(NEXT) | instid1(SALU_CYCLE_1)
	s_mul_i32 s3, s3, s2
	s_mul_hi_u32 s3, s2, s3
	s_delay_alu instid0(SALU_CYCLE_1) | instskip(NEXT) | instid1(SALU_CYCLE_1)
	s_add_i32 s2, s2, s3
	s_mul_hi_u32 s2, s36, s2
	s_delay_alu instid0(SALU_CYCLE_1) | instskip(SKIP_2) | instid1(SALU_CYCLE_1)
	s_mul_i32 s3, s2, s42
	s_add_i32 s8, s2, 1
	s_sub_i32 s3, s36, s3
	s_sub_i32 s9, s3, s42
	s_cmp_ge_u32 s3, s42
	s_cselect_b32 s2, s8, s2
	s_cselect_b32 s3, s9, s3
	s_add_i32 s8, s2, 1
	s_cmp_ge_u32 s3, s42
	s_cselect_b32 s46, s8, s2
.LBB158_7:
	s_load_b128 s[8:11], s[0:1], 0x518
	s_lshl_b64 s[2:3], s[36:37], 3
	s_mov_b32 s17, 0
	s_waitcnt lgkmcnt(0)
	s_add_u32 s2, s8, s2
	s_addc_u32 s3, s9, s3
	s_load_b64 s[48:49], s[0:1], 0x0
	s_load_b64 s[30:31], s[2:3], 0x0
	v_cmp_ne_u32_e64 s2, 0, v0
	v_cmp_eq_u32_e64 s3, 0, v0
	s_delay_alu instid0(VALU_DEP_1)
	s_and_saveexec_b32 s22, s3
	s_cbranch_execz .LBB158_25
; %bb.8:
	s_load_b64 s[8:9], s[0:1], 0x528
	s_lshl_b64 s[18:19], s[16:17], 2
	s_mov_b32 s16, 0
	s_add_u32 s12, s10, s18
	s_addc_u32 s13, s11, s19
	s_mov_b32 s23, 0
	s_waitcnt lgkmcnt(0)
	s_add_u32 s14, s8, s18
	s_addc_u32 s15, s9, s19
	s_cmp_lt_u32 s29, 4
	s_cbranch_scc1 .LBB158_22
; %bb.9:
	s_mov_b32 s24, 0
.LBB158_10:                             ; =>This Inner Loop Header: Depth=1
	s_add_u32 s12, s10, s18
	s_addc_u32 s13, s11, s19
	s_add_u32 s20, s8, s18
	s_load_b128 s[12:15], s[12:13], 0x0
	s_addc_u32 s21, s9, s19
	s_cmp_ge_u32 s24, s50
	s_cbranch_scc0 .LBB158_17
; %bb.11:                               ;   in Loop: Header=BB158_10 Depth=1
	s_add_i32 s25, s24, 1
	s_delay_alu instid0(SALU_CYCLE_1)
	s_cmp_ge_u32 s25, s50
	s_cbranch_scc0 .LBB158_18
.LBB158_12:                             ;   in Loop: Header=BB158_10 Depth=1
	s_add_i32 s25, s25, 1
	s_delay_alu instid0(SALU_CYCLE_1)
	s_cmp_ge_u32 s25, s50
	s_cbranch_scc0 .LBB158_19
.LBB158_13:                             ;   in Loop: Header=BB158_10 Depth=1
	s_add_i32 s25, s25, 1
	s_delay_alu instid0(SALU_CYCLE_1)
	s_cmp_ge_u32 s25, s50
	s_cbranch_scc1 .LBB158_15
.LBB158_14:                             ;   in Loop: Header=BB158_10 Depth=1
	s_load_b32 s20, s[20:21], 0xc
	s_waitcnt lgkmcnt(0)
	s_add_i32 s17, s17, s15
	s_add_i32 s16, s20, s16
.LBB158_15:                             ;   in Loop: Header=BB158_10 Depth=1
	s_waitcnt lgkmcnt(0)
	s_add_i32 s12, s12, s23
	s_delay_alu instid0(SALU_CYCLE_1) | instskip(NEXT) | instid1(SALU_CYCLE_1)
	s_add_i32 s12, s12, s13
	s_add_i32 s12, s12, s14
	s_delay_alu instid0(SALU_CYCLE_1)
	s_add_i32 s23, s12, s15
	s_add_u32 s10, s10, 16
	s_addc_u32 s11, s11, 0
	s_add_u32 s8, s8, 16
	s_addc_u32 s9, s9, 0
	s_add_i32 s21, s25, 4
	s_add_u32 s14, s8, s18
	s_addc_u32 s15, s9, s19
	s_add_u32 s12, s10, s18
	s_addc_u32 s13, s11, s19
	s_add_i32 s20, s25, 1
	s_cmp_ge_u32 s21, s29
	s_cbranch_scc1 .LBB158_23
; %bb.16:                               ;   in Loop: Header=BB158_10 Depth=1
	s_mov_b32 s24, s20
	s_branch .LBB158_10
.LBB158_17:                             ;   in Loop: Header=BB158_10 Depth=1
	s_load_b32 s25, s[20:21], 0x0
	s_waitcnt lgkmcnt(0)
	s_add_i32 s17, s12, s17
	s_add_i32 s16, s25, s16
	;; [unrolled: 1-line block ×3, first 2 shown]
	s_delay_alu instid0(SALU_CYCLE_1)
	s_cmp_ge_u32 s25, s50
	s_cbranch_scc1 .LBB158_12
.LBB158_18:                             ;   in Loop: Header=BB158_10 Depth=1
	s_load_b32 s26, s[20:21], 0x4
	s_waitcnt lgkmcnt(0)
	s_add_i32 s17, s17, s13
	s_add_i32 s16, s26, s16
	;; [unrolled: 1-line block ×3, first 2 shown]
	s_delay_alu instid0(SALU_CYCLE_1)
	s_cmp_ge_u32 s25, s50
	s_cbranch_scc1 .LBB158_13
.LBB158_19:                             ;   in Loop: Header=BB158_10 Depth=1
	s_load_b32 s26, s[20:21], 0x8
	s_waitcnt lgkmcnt(0)
	s_add_i32 s17, s17, s14
	s_add_i32 s16, s26, s16
	;; [unrolled: 1-line block ×3, first 2 shown]
	s_delay_alu instid0(SALU_CYCLE_1)
	s_cmp_ge_u32 s25, s50
	s_cbranch_scc0 .LBB158_14
	s_branch .LBB158_15
.LBB158_20:
	v_cvt_f32_u32_e32 v1, s38
	s_sub_i32 s3, 0, s38
	s_delay_alu instid0(VALU_DEP_1) | instskip(SKIP_2) | instid1(VALU_DEP_1)
	v_rcp_iflag_f32_e32 v1, v1
	s_waitcnt_depctr 0xfff
	v_mul_f32_e32 v1, 0x4f7ffffe, v1
	v_cvt_u32_f32_e32 v1, v1
	s_delay_alu instid0(VALU_DEP_1) | instskip(NEXT) | instid1(VALU_DEP_1)
	v_readfirstlane_b32 s2, v1
	s_mul_i32 s3, s3, s2
	s_delay_alu instid0(SALU_CYCLE_1) | instskip(NEXT) | instid1(SALU_CYCLE_1)
	s_mul_hi_u32 s3, s2, s3
	s_add_i32 s2, s2, s3
	s_delay_alu instid0(SALU_CYCLE_1) | instskip(NEXT) | instid1(SALU_CYCLE_1)
	s_mul_hi_u32 s2, s36, s2
	s_mul_i32 s3, s2, s38
	s_add_i32 s8, s2, 1
	s_sub_i32 s3, s36, s3
	s_delay_alu instid0(SALU_CYCLE_1)
	s_sub_i32 s9, s3, s38
	s_cmp_ge_u32 s3, s38
	s_cselect_b32 s2, s8, s2
	s_cselect_b32 s3, s9, s3
	s_add_i32 s8, s2, 1
	s_cmp_ge_u32 s3, s38
	s_cselect_b32 s44, s8, s2
	v_cmp_lt_u64_e64 s2, s[36:37], s[40:41]
	s_delay_alu instid0(VALU_DEP_1)
	s_and_b32 vcc_lo, exec_lo, s2
	s_cbranch_vccnz .LBB158_5
.LBB158_21:
	v_cvt_f32_u32_e32 v1, s40
	s_sub_i32 s3, 0, s40
	s_delay_alu instid0(VALU_DEP_1) | instskip(SKIP_2) | instid1(VALU_DEP_1)
	v_rcp_iflag_f32_e32 v1, v1
	s_waitcnt_depctr 0xfff
	v_mul_f32_e32 v1, 0x4f7ffffe, v1
	v_cvt_u32_f32_e32 v1, v1
	s_delay_alu instid0(VALU_DEP_1) | instskip(NEXT) | instid1(VALU_DEP_1)
	v_readfirstlane_b32 s2, v1
	s_mul_i32 s3, s3, s2
	s_delay_alu instid0(SALU_CYCLE_1) | instskip(NEXT) | instid1(SALU_CYCLE_1)
	s_mul_hi_u32 s3, s2, s3
	s_add_i32 s2, s2, s3
	s_delay_alu instid0(SALU_CYCLE_1) | instskip(NEXT) | instid1(SALU_CYCLE_1)
	s_mul_hi_u32 s2, s36, s2
	s_mul_i32 s3, s2, s40
	s_add_i32 s8, s2, 1
	s_sub_i32 s3, s36, s3
	s_delay_alu instid0(SALU_CYCLE_1)
	s_sub_i32 s9, s3, s40
	s_cmp_ge_u32 s3, s40
	s_cselect_b32 s2, s8, s2
	s_cselect_b32 s3, s9, s3
	s_add_i32 s8, s2, 1
	s_cmp_ge_u32 s3, s40
	s_cselect_b32 s34, s8, s2
	v_cmp_lt_u64_e64 s2, s[36:37], s[42:43]
	s_mov_b64 s[46:47], 0
	s_delay_alu instid0(VALU_DEP_1)
	s_and_b32 vcc_lo, exec_lo, s2
	s_cbranch_vccz .LBB158_6
	s_branch .LBB158_7
.LBB158_22:
	s_mov_b32 s8, 0
	s_delay_alu instid0(SALU_CYCLE_1)
	s_cmp_ge_u32 s8, s29
	s_cbranch_scc0 .LBB158_46
	s_branch .LBB158_24
.LBB158_23:
	s_add_i32 s8, s24, 4
	s_delay_alu instid0(SALU_CYCLE_1)
	s_cmp_ge_u32 s8, s29
	s_cbranch_scc0 .LBB158_46
.LBB158_24:
	v_dual_mov_b32 v1, s16 :: v_dual_mov_b32 v2, s23
	v_dual_mov_b32 v3, s17 :: v_dual_mov_b32 v4, 0
	ds_store_b96 v4, v[1:3] offset:1056
.LBB158_25:
	s_or_b32 exec_lo, exec_lo, s22
	s_clause 0x4
	s_load_b128 s[8:11], s[0:1], 0x1b8
	s_load_b128 s[24:27], s[0:1], 0xd0
	;; [unrolled: 1-line block ×5, first 2 shown]
	s_cmp_eq_u32 s28, 0
	s_waitcnt lgkmcnt(0)
	s_barrier
	buffer_gl0_inv
	s_cbranch_scc1 .LBB158_48
; %bb.26:
	s_mul_i32 s29, s34, s41
	s_mul_hi_u32 s35, s34, s40
	s_mul_i32 s37, s34, s40
	s_add_i32 s35, s35, s29
	s_sub_u32 s29, s36, s37
	s_subb_u32 s35, 0, s35
	s_mul_i32 s23, s29, s23
	s_mul_hi_u32 s37, s29, s22
	s_mul_i32 s35, s35, s22
	s_add_i32 s23, s37, s23
	s_mul_i32 s37, s34, s21
	s_mul_hi_u32 s40, s34, s20
	s_add_i32 s21, s23, s35
	s_add_i32 s35, s40, s37
	s_mul_i32 s23, s44, s39
	s_mul_hi_u32 s37, s44, s38
	s_mul_i32 s38, s44, s38
	s_add_i32 s37, s37, s23
	s_sub_u32 s23, s36, s38
	s_subb_u32 s37, 0, s37
	s_mul_i32 s27, s23, s27
	s_mul_hi_u32 s38, s23, s26
	s_mul_i32 s37, s37, s26
	s_add_i32 s27, s38, s27
	s_mul_i32 s25, s44, s25
	s_mul_hi_u32 s38, s44, s24
	s_add_i32 s27, s27, s37
	s_add_i32 s25, s38, s25
	s_mul_i32 s37, s46, s43
	s_mul_hi_u32 s38, s46, s42
	s_mul_i32 s39, s46, s42
	s_add_i32 s38, s38, s37
	s_sub_u32 s39, s36, s39
	s_mul_i32 s26, s23, s26
	s_mul_i32 s19, s39, s19
	s_mul_hi_u32 s23, s39, s18
	s_subb_u32 s36, 0, s38
	s_add_i32 s19, s23, s19
	s_mul_i32 s36, s36, s18
	s_mul_i32 s24, s44, s24
	v_dual_mov_b32 v5, 0 :: v_dual_add_nc_u32 v4, -1, v0
	s_add_i32 s23, s19, s36
	s_mul_i32 s17, s46, s17
	s_mul_hi_u32 s19, s46, s16
	s_lshl_b64 s[24:25], s[24:25], 3
	s_add_i32 s37, s19, s17
	s_add_u32 s17, s48, s24
	s_addc_u32 s19, s49, s25
	s_lshl_b64 s[24:25], s[26:27], 3
	ds_load_b96 v[1:3], v5 offset:1056
	s_mul_i32 s34, s34, s20
	s_add_u32 s17, s17, s24
	s_addc_u32 s19, s19, s25
	s_lshl_b64 s[24:25], s[34:35], 3
	s_mul_i32 s20, s29, s22
	s_add_u32 s22, s10, s24
	s_addc_u32 s24, s11, s25
	s_lshl_b64 s[10:11], s[20:21], 3
	;; [unrolled: 4-line block ×4, first 2 shown]
	v_lshlrev_b32_e32 v8, 3, v0
	s_add_u32 s18, s14, s10
	s_load_b32 s10, s[0:1], 0x1b0
	s_addc_u32 s21, s15, s11
	s_load_b64 s[14:15], s[0:1], 0x508
	s_waitcnt lgkmcnt(0)
	v_add_nc_u32_e32 v1, v1, v2
	v_lshrrev_b32_e32 v2, 5, v0
	v_lshrrev_b32_e32 v9, 2, v0
	;; [unrolled: 1-line block ×3, first 2 shown]
	v_mbcnt_lo_u32_b32 v10, -1, 0
	v_mad_u64_u32 v[6:7], null, s50, s33, v[0:1]
	s_xor_b32 s11, s31, 0x80000000
	v_add_lshl_u32 v11, v2, v0, 2
	v_cmp_gt_u32_e64 s0, 32, v0
	v_add_lshl_u32 v0, v9, v8, 2
	v_add_lshl_u32 v12, v12, v4, 2
	v_dual_mov_b32 v4, v6 :: v_dual_and_b32 v13, 15, v10
	v_bfe_i32 v14, v10, 4, 1
	v_add_nc_u32_e32 v15, -1, v10
                                        ; implicit-def: $vgpr6_vgpr7
	s_bitcmp1_b32 s10, 0
	s_mov_b32 s10, s30
	s_cselect_b32 s1, -1, 0
	s_branch .LBB158_29
.LBB158_27:                             ;   in Loop: Header=BB158_29 Depth=1
	s_or_b32 exec_lo, exec_lo, s22
	v_add_nc_u32_e32 v1, v2, v1
.LBB158_28:                             ;   in Loop: Header=BB158_29 Depth=1
	v_add_nc_u32_e32 v3, v16, v3
	v_add_nc_u32_e32 v4, 0x100, v4
	s_add_i32 s28, s28, -1
	s_delay_alu instid0(SALU_CYCLE_1)
	s_cmp_lg_u32 s28, 0
	s_cbranch_scc0 .LBB158_48
.LBB158_29:                             ; =>This Inner Loop Header: Depth=1
	v_mov_b32_e32 v2, v5
	v_mov_b32_e32 v8, v5
	s_mov_b32 s22, exec_lo
	v_cmpx_gt_u64_e64 s[4:5], v[4:5]
	s_cbranch_execz .LBB158_31
; %bb.30:                               ;   in Loop: Header=BB158_29 Depth=1
	v_mad_u64_u32 v[6:7], null, v4, s8, 0
	s_delay_alu instid0(VALU_DEP_1) | instskip(NEXT) | instid1(VALU_DEP_1)
	v_mov_b32_e32 v2, v7
	v_mad_u64_u32 v[7:8], null, v4, s9, v[2:3]
	s_delay_alu instid0(VALU_DEP_1) | instskip(NEXT) | instid1(VALU_DEP_1)
	v_lshlrev_b64 v[6:7], 3, v[6:7]
	v_add_co_u32 v6, vcc_lo, s17, v6
	s_delay_alu instid0(VALU_DEP_2) | instskip(SKIP_4) | instid1(VALU_DEP_1)
	v_add_co_ci_u32_e32 v7, vcc_lo, s19, v7, vcc_lo
	global_load_b64 v[6:7], v[6:7], off
	s_waitcnt vmcnt(0)
	v_xor_b32_e32 v9, 0x80000000, v7
	v_mov_b32_e32 v8, v6
	v_cmp_lt_u64_e32 vcc_lo, s[10:11], v[8:9]
	v_cndmask_b32_e64 v2, 0, 1, vcc_lo
	v_cmp_gt_u64_e32 vcc_lo, s[10:11], v[8:9]
	v_cndmask_b32_e64 v8, 0, 1, vcc_lo
	v_cmp_eq_u64_e32 vcc_lo, s[30:31], v[6:7]
	s_delay_alu instid0(VALU_DEP_2) | instskip(SKIP_1) | instid1(VALU_DEP_2)
	v_cndmask_b32_e64 v2, v8, v2, s1
	v_cndmask_b32_e64 v8, 0, 1, vcc_lo
	v_and_b32_e32 v2, 1, v2
.LBB158_31:                             ;   in Loop: Header=BB158_29 Depth=1
	s_or_b32 exec_lo, exec_lo, s22
	ds_store_b32 v11, v2
	s_waitcnt lgkmcnt(0)
	s_waitcnt_vscnt null, 0x0
	s_barrier
	buffer_gl0_inv
	s_and_saveexec_b32 s22, s0
	s_cbranch_execz .LBB158_33
; %bb.32:                               ;   in Loop: Header=BB158_29 Depth=1
	ds_load_2addr_b32 v[16:17], v0 offset1:1
	ds_load_2addr_b32 v[18:19], v0 offset0:2 offset1:3
	ds_load_2addr_b32 v[20:21], v0 offset0:4 offset1:5
	;; [unrolled: 1-line block ×3, first 2 shown]
	v_cmp_ne_u32_e32 vcc_lo, 0, v13
	; wave barrier
	s_waitcnt lgkmcnt(3)
	v_add_nc_u32_e32 v9, v17, v16
	s_waitcnt lgkmcnt(2)
	s_delay_alu instid0(VALU_DEP_1) | instskip(SKIP_1) | instid1(VALU_DEP_1)
	v_add3_u32 v9, v9, v18, v19
	s_waitcnt lgkmcnt(1)
	v_add3_u32 v9, v9, v20, v21
	s_waitcnt lgkmcnt(0)
	s_delay_alu instid0(VALU_DEP_1) | instskip(NEXT) | instid1(VALU_DEP_1)
	v_add3_u32 v9, v9, v22, v23
	v_mov_b32_dpp v17, v9 row_shr:1 row_mask:0xf bank_mask:0xf
	s_delay_alu instid0(VALU_DEP_1) | instskip(SKIP_1) | instid1(VALU_DEP_2)
	v_cndmask_b32_e32 v17, 0, v17, vcc_lo
	v_cmp_lt_u32_e32 vcc_lo, 1, v13
	v_add_nc_u32_e32 v9, v17, v9
	s_delay_alu instid0(VALU_DEP_1) | instskip(NEXT) | instid1(VALU_DEP_1)
	v_mov_b32_dpp v17, v9 row_shr:2 row_mask:0xf bank_mask:0xf
	v_cndmask_b32_e32 v17, 0, v17, vcc_lo
	v_cmp_lt_u32_e32 vcc_lo, 3, v13
	s_delay_alu instid0(VALU_DEP_2) | instskip(NEXT) | instid1(VALU_DEP_1)
	v_add_nc_u32_e32 v9, v9, v17
	v_mov_b32_dpp v17, v9 row_shr:4 row_mask:0xf bank_mask:0xf
	s_delay_alu instid0(VALU_DEP_1) | instskip(SKIP_1) | instid1(VALU_DEP_2)
	v_cndmask_b32_e32 v17, 0, v17, vcc_lo
	v_cmp_lt_u32_e32 vcc_lo, 7, v13
	v_add_nc_u32_e32 v9, v9, v17
	s_delay_alu instid0(VALU_DEP_1) | instskip(NEXT) | instid1(VALU_DEP_1)
	v_mov_b32_dpp v17, v9 row_shr:8 row_mask:0xf bank_mask:0xf
	v_cndmask_b32_e32 v17, 0, v17, vcc_lo
	v_cmp_gt_i32_e32 vcc_lo, 0, v15
	s_delay_alu instid0(VALU_DEP_2) | instskip(SKIP_4) | instid1(VALU_DEP_1)
	v_dual_cndmask_b32 v18, v15, v10 :: v_dual_add_nc_u32 v9, v9, v17
	ds_swizzle_b32 v17, v9 offset:swizzle(BROADCAST,32,15)
	v_lshlrev_b32_e32 v18, 2, v18
	s_waitcnt lgkmcnt(0)
	v_and_b32_e32 v17, v14, v17
	v_add_nc_u32_e32 v9, v9, v17
	ds_bpermute_b32 v9, v18, v9
	s_waitcnt lgkmcnt(0)
	v_add_nc_u32_e32 v9, v9, v16
	s_delay_alu instid0(VALU_DEP_1)
	v_cndmask_b32_e64 v9, v9, v2, s3
	ds_store_b32 v0, v9
	; wave barrier
	ds_load_2addr_b32 v[16:17], v0 offset0:1 offset1:2
	ds_load_2addr_b32 v[18:19], v0 offset0:3 offset1:4
	;; [unrolled: 1-line block ×3, first 2 shown]
	ds_load_b32 v22, v0 offset:28
	s_waitcnt lgkmcnt(3)
	v_add_nc_u32_e32 v9, v16, v9
	s_delay_alu instid0(VALU_DEP_1) | instskip(SKIP_1) | instid1(VALU_DEP_1)
	v_add_nc_u32_e32 v16, v17, v9
	s_waitcnt lgkmcnt(2)
	v_add_nc_u32_e32 v17, v18, v16
	s_delay_alu instid0(VALU_DEP_1) | instskip(SKIP_1) | instid1(VALU_DEP_1)
	v_add_nc_u32_e32 v18, v19, v17
	;; [unrolled: 4-line block ×3, first 2 shown]
	s_waitcnt lgkmcnt(0)
	v_add_nc_u32_e32 v21, v22, v20
	ds_store_2addr_b32 v0, v9, v16 offset0:1 offset1:2
	ds_store_2addr_b32 v0, v17, v18 offset0:3 offset1:4
	;; [unrolled: 1-line block ×3, first 2 shown]
	ds_store_b32 v0, v21 offset:28
.LBB158_33:                             ;   in Loop: Header=BB158_29 Depth=1
	s_or_b32 exec_lo, exec_lo, s22
	v_mov_b32_e32 v9, 0
	s_waitcnt lgkmcnt(0)
	s_barrier
	buffer_gl0_inv
	s_and_saveexec_b32 s22, s2
	s_cbranch_execz .LBB158_35
; %bb.34:                               ;   in Loop: Header=BB158_29 Depth=1
	ds_load_b32 v9, v12
.LBB158_35:                             ;   in Loop: Header=BB158_29 Depth=1
	s_or_b32 exec_lo, exec_lo, s22
	ds_load_b32 v16, v5 offset:1048
	s_mov_b32 s22, exec_lo
	s_waitcnt lgkmcnt(0)
	s_barrier
	buffer_gl0_inv
	v_cmpx_ne_u32_e32 0, v2
	s_cbranch_execz .LBB158_37
; %bb.36:                               ;   in Loop: Header=BB158_29 Depth=1
	v_add_nc_u32_e32 v23, v9, v3
	s_delay_alu instid0(VALU_DEP_1) | instskip(NEXT) | instid1(VALU_DEP_1)
	v_mad_u64_u32 v[17:18], null, v23, s12, 0
	v_mov_b32_e32 v2, v18
	v_mad_u64_u32 v[19:20], null, v23, s14, 0
	s_delay_alu instid0(VALU_DEP_1) | instskip(NEXT) | instid1(VALU_DEP_3)
	v_mov_b32_e32 v9, v20
	v_mad_u64_u32 v[20:21], null, v23, s13, v[2:3]
	s_delay_alu instid0(VALU_DEP_2) | instskip(NEXT) | instid1(VALU_DEP_2)
	v_mad_u64_u32 v[21:22], null, v23, s15, v[9:10]
	v_mov_b32_e32 v18, v20
	s_delay_alu instid0(VALU_DEP_2) | instskip(NEXT) | instid1(VALU_DEP_2)
	v_mov_b32_e32 v20, v21
	v_lshlrev_b64 v[17:18], 3, v[17:18]
	s_delay_alu instid0(VALU_DEP_2) | instskip(NEXT) | instid1(VALU_DEP_2)
	v_lshlrev_b64 v[19:20], 3, v[19:20]
	v_add_co_u32 v17, vcc_lo, s16, v17
	s_delay_alu instid0(VALU_DEP_3) | instskip(NEXT) | instid1(VALU_DEP_3)
	v_add_co_ci_u32_e32 v18, vcc_lo, s20, v18, vcc_lo
	v_add_co_u32 v19, vcc_lo, s18, v19
	s_delay_alu instid0(VALU_DEP_4)
	v_add_co_ci_u32_e32 v20, vcc_lo, s21, v20, vcc_lo
	global_store_b64 v[17:18], v[6:7], off
	global_store_b64 v[19:20], v[4:5], off
.LBB158_37:                             ;   in Loop: Header=BB158_29 Depth=1
	s_or_b32 exec_lo, exec_lo, s22
	v_mov_b32_e32 v2, v5
	s_delay_alu instid0(VALU_DEP_1)
	v_cmp_le_u64_e32 vcc_lo, s[6:7], v[1:2]
	s_cbranch_vccnz .LBB158_28
; %bb.38:                               ;   in Loop: Header=BB158_29 Depth=1
	ds_store_b32 v11, v8
	s_waitcnt lgkmcnt(0)
	s_waitcnt_vscnt null, 0x0
	s_barrier
	buffer_gl0_inv
	s_and_saveexec_b32 s22, s0
	s_cbranch_execz .LBB158_40
; %bb.39:                               ;   in Loop: Header=BB158_29 Depth=1
	ds_load_2addr_b32 v[17:18], v0 offset1:1
	ds_load_2addr_b32 v[19:20], v0 offset0:2 offset1:3
	ds_load_2addr_b32 v[21:22], v0 offset0:4 offset1:5
	ds_load_2addr_b32 v[23:24], v0 offset0:6 offset1:7
	v_cmp_ne_u32_e32 vcc_lo, 0, v13
	; wave barrier
	s_waitcnt lgkmcnt(3)
	v_add_nc_u32_e32 v2, v18, v17
	s_waitcnt lgkmcnt(2)
	s_delay_alu instid0(VALU_DEP_1) | instskip(SKIP_1) | instid1(VALU_DEP_1)
	v_add3_u32 v2, v2, v19, v20
	s_waitcnt lgkmcnt(1)
	v_add3_u32 v2, v2, v21, v22
	s_waitcnt lgkmcnt(0)
	s_delay_alu instid0(VALU_DEP_1) | instskip(NEXT) | instid1(VALU_DEP_1)
	v_add3_u32 v2, v2, v23, v24
	v_mov_b32_dpp v9, v2 row_shr:1 row_mask:0xf bank_mask:0xf
	s_delay_alu instid0(VALU_DEP_1) | instskip(SKIP_1) | instid1(VALU_DEP_2)
	v_cndmask_b32_e32 v9, 0, v9, vcc_lo
	v_cmp_lt_u32_e32 vcc_lo, 1, v13
	v_add_nc_u32_e32 v2, v9, v2
	s_delay_alu instid0(VALU_DEP_1) | instskip(NEXT) | instid1(VALU_DEP_1)
	v_mov_b32_dpp v9, v2 row_shr:2 row_mask:0xf bank_mask:0xf
	v_cndmask_b32_e32 v9, 0, v9, vcc_lo
	v_cmp_lt_u32_e32 vcc_lo, 3, v13
	s_delay_alu instid0(VALU_DEP_2) | instskip(NEXT) | instid1(VALU_DEP_1)
	v_add_nc_u32_e32 v2, v2, v9
	v_mov_b32_dpp v9, v2 row_shr:4 row_mask:0xf bank_mask:0xf
	s_delay_alu instid0(VALU_DEP_1) | instskip(SKIP_1) | instid1(VALU_DEP_2)
	v_cndmask_b32_e32 v9, 0, v9, vcc_lo
	v_cmp_lt_u32_e32 vcc_lo, 7, v13
	v_add_nc_u32_e32 v2, v2, v9
	s_delay_alu instid0(VALU_DEP_1) | instskip(NEXT) | instid1(VALU_DEP_1)
	v_mov_b32_dpp v9, v2 row_shr:8 row_mask:0xf bank_mask:0xf
	v_cndmask_b32_e32 v9, 0, v9, vcc_lo
	v_cmp_gt_i32_e32 vcc_lo, 0, v15
	s_delay_alu instid0(VALU_DEP_2)
	v_add_nc_u32_e32 v2, v2, v9
	v_cndmask_b32_e32 v18, v15, v10, vcc_lo
	ds_swizzle_b32 v9, v2 offset:swizzle(BROADCAST,32,15)
	v_lshlrev_b32_e32 v18, 2, v18
	s_waitcnt lgkmcnt(0)
	v_and_b32_e32 v9, v14, v9
	s_delay_alu instid0(VALU_DEP_1) | instskip(SKIP_3) | instid1(VALU_DEP_1)
	v_add_nc_u32_e32 v2, v2, v9
	ds_bpermute_b32 v2, v18, v2
	s_waitcnt lgkmcnt(0)
	v_add_nc_u32_e32 v2, v2, v17
	v_cndmask_b32_e64 v2, v2, v8, s3
	ds_store_b32 v0, v2
	; wave barrier
	ds_load_2addr_b32 v[17:18], v0 offset0:1 offset1:2
	ds_load_2addr_b32 v[19:20], v0 offset0:3 offset1:4
	;; [unrolled: 1-line block ×3, first 2 shown]
	ds_load_b32 v9, v0 offset:28
	s_waitcnt lgkmcnt(3)
	v_add_nc_u32_e32 v2, v17, v2
	s_delay_alu instid0(VALU_DEP_1) | instskip(SKIP_1) | instid1(VALU_DEP_1)
	v_add_nc_u32_e32 v17, v18, v2
	s_waitcnt lgkmcnt(2)
	v_add_nc_u32_e32 v18, v19, v17
	s_delay_alu instid0(VALU_DEP_1) | instskip(SKIP_1) | instid1(VALU_DEP_1)
	v_add_nc_u32_e32 v19, v20, v18
	;; [unrolled: 4-line block ×3, first 2 shown]
	s_waitcnt lgkmcnt(0)
	v_add_nc_u32_e32 v9, v9, v21
	ds_store_2addr_b32 v0, v2, v17 offset0:1 offset1:2
	ds_store_2addr_b32 v0, v18, v19 offset0:3 offset1:4
	;; [unrolled: 1-line block ×3, first 2 shown]
	ds_store_b32 v0, v9 offset:28
.LBB158_40:                             ;   in Loop: Header=BB158_29 Depth=1
	s_or_b32 exec_lo, exec_lo, s22
	v_mov_b32_e32 v9, 0
	s_waitcnt lgkmcnt(0)
	s_barrier
	buffer_gl0_inv
	s_and_saveexec_b32 s22, s2
	s_cbranch_execz .LBB158_42
; %bb.41:                               ;   in Loop: Header=BB158_29 Depth=1
	ds_load_b32 v9, v12
.LBB158_42:                             ;   in Loop: Header=BB158_29 Depth=1
	s_or_b32 exec_lo, exec_lo, s22
	ds_load_b32 v2, v5 offset:1048
	s_mov_b32 s22, exec_lo
	s_waitcnt lgkmcnt(0)
	s_barrier
	buffer_gl0_inv
	v_cmpx_ne_u32_e32 0, v8
	s_cbranch_execz .LBB158_27
; %bb.43:                               ;   in Loop: Header=BB158_29 Depth=1
	v_add_nc_u32_e32 v8, v9, v1
	v_mov_b32_e32 v9, v5
	s_delay_alu instid0(VALU_DEP_1)
	v_cmp_gt_u64_e32 vcc_lo, s[6:7], v[8:9]
	s_and_b32 exec_lo, exec_lo, vcc_lo
	s_cbranch_execz .LBB158_27
; %bb.44:                               ;   in Loop: Header=BB158_29 Depth=1
	v_mad_u64_u32 v[17:18], null, v8, s12, 0
	v_mad_u64_u32 v[19:20], null, v8, s14, 0
	s_delay_alu instid0(VALU_DEP_1) | instskip(NEXT) | instid1(VALU_DEP_1)
	v_dual_mov_b32 v9, v18 :: v_dual_mov_b32 v18, v20
	v_mad_u64_u32 v[20:21], null, v8, s13, v[9:10]
	s_delay_alu instid0(VALU_DEP_2) | instskip(NEXT) | instid1(VALU_DEP_2)
	v_mad_u64_u32 v[21:22], null, v8, s15, v[18:19]
	v_mov_b32_e32 v18, v20
	s_delay_alu instid0(VALU_DEP_2) | instskip(NEXT) | instid1(VALU_DEP_2)
	v_mov_b32_e32 v20, v21
	v_lshlrev_b64 v[8:9], 3, v[17:18]
	s_delay_alu instid0(VALU_DEP_2) | instskip(NEXT) | instid1(VALU_DEP_2)
	v_lshlrev_b64 v[17:18], 3, v[19:20]
	v_add_co_u32 v8, vcc_lo, s16, v8
	s_delay_alu instid0(VALU_DEP_3) | instskip(NEXT) | instid1(VALU_DEP_3)
	v_add_co_ci_u32_e32 v9, vcc_lo, s20, v9, vcc_lo
	v_add_co_u32 v17, vcc_lo, s18, v17
	s_delay_alu instid0(VALU_DEP_4)
	v_add_co_ci_u32_e32 v18, vcc_lo, s21, v18, vcc_lo
	global_store_b64 v[8:9], v[6:7], off
	global_store_b64 v[17:18], v[4:5], off
	s_branch .LBB158_27
	.p2align	6
.LBB158_45:                             ;   in Loop: Header=BB158_46 Depth=1
	s_add_u32 s12, s12, 4
	s_addc_u32 s13, s13, 0
	s_waitcnt lgkmcnt(0)
	s_add_i32 s23, s9, s23
	s_add_u32 s14, s14, 4
	s_addc_u32 s15, s15, 0
	s_add_i32 s8, s8, 1
	s_delay_alu instid0(SALU_CYCLE_1)
	s_cmp_lt_u32 s8, s29
	s_cbranch_scc0 .LBB158_24
.LBB158_46:                             ; =>This Inner Loop Header: Depth=1
	s_load_b32 s9, s[12:13], 0x0
	s_cmp_ge_u32 s8, s50
	s_cbranch_scc1 .LBB158_45
; %bb.47:                               ;   in Loop: Header=BB158_46 Depth=1
	s_load_b32 s10, s[14:15], 0x0
	s_waitcnt lgkmcnt(0)
	s_add_i32 s17, s9, s17
	s_add_i32 s16, s10, s16
	s_branch .LBB158_45
.LBB158_48:
	s_nop 0
	s_sendmsg sendmsg(MSG_DEALLOC_VGPRS)
	s_endpgm
	.section	.rodata,"a",@progbits
	.p2align	6, 0x0
	.amdhsa_kernel _ZN2at6native6mbtopk10gatherTopKIlmLi2EEEvNS_4cuda6detail10TensorInfoIKT_T0_EES8_S8_bjS8_NS5_IS6_S8_EES8_NS5_IlS8_EES8_jjPS6_PjSD_j
		.amdhsa_group_segment_fixed_size 1068
		.amdhsa_private_segment_fixed_size 0
		.amdhsa_kernarg_size 1592
		.amdhsa_user_sgpr_count 13
		.amdhsa_user_sgpr_dispatch_ptr 0
		.amdhsa_user_sgpr_queue_ptr 0
		.amdhsa_user_sgpr_kernarg_segment_ptr 1
		.amdhsa_user_sgpr_dispatch_id 0
		.amdhsa_user_sgpr_private_segment_size 0
		.amdhsa_wavefront_size32 1
		.amdhsa_uses_dynamic_stack 0
		.amdhsa_enable_private_segment 0
		.amdhsa_system_sgpr_workgroup_id_x 1
		.amdhsa_system_sgpr_workgroup_id_y 1
		.amdhsa_system_sgpr_workgroup_id_z 1
		.amdhsa_system_sgpr_workgroup_info 0
		.amdhsa_system_vgpr_workitem_id 0
		.amdhsa_next_free_vgpr 25
		.amdhsa_next_free_sgpr 51
		.amdhsa_reserve_vcc 1
		.amdhsa_float_round_mode_32 0
		.amdhsa_float_round_mode_16_64 0
		.amdhsa_float_denorm_mode_32 3
		.amdhsa_float_denorm_mode_16_64 3
		.amdhsa_dx10_clamp 1
		.amdhsa_ieee_mode 1
		.amdhsa_fp16_overflow 0
		.amdhsa_workgroup_processor_mode 1
		.amdhsa_memory_ordered 1
		.amdhsa_forward_progress 0
		.amdhsa_shared_vgpr_count 0
		.amdhsa_exception_fp_ieee_invalid_op 0
		.amdhsa_exception_fp_denorm_src 0
		.amdhsa_exception_fp_ieee_div_zero 0
		.amdhsa_exception_fp_ieee_overflow 0
		.amdhsa_exception_fp_ieee_underflow 0
		.amdhsa_exception_fp_ieee_inexact 0
		.amdhsa_exception_int_div_zero 0
	.end_amdhsa_kernel
	.section	.text._ZN2at6native6mbtopk10gatherTopKIlmLi2EEEvNS_4cuda6detail10TensorInfoIKT_T0_EES8_S8_bjS8_NS5_IS6_S8_EES8_NS5_IlS8_EES8_jjPS6_PjSD_j,"axG",@progbits,_ZN2at6native6mbtopk10gatherTopKIlmLi2EEEvNS_4cuda6detail10TensorInfoIKT_T0_EES8_S8_bjS8_NS5_IS6_S8_EES8_NS5_IlS8_EES8_jjPS6_PjSD_j,comdat
.Lfunc_end158:
	.size	_ZN2at6native6mbtopk10gatherTopKIlmLi2EEEvNS_4cuda6detail10TensorInfoIKT_T0_EES8_S8_bjS8_NS5_IS6_S8_EES8_NS5_IlS8_EES8_jjPS6_PjSD_j, .Lfunc_end158-_ZN2at6native6mbtopk10gatherTopKIlmLi2EEEvNS_4cuda6detail10TensorInfoIKT_T0_EES8_S8_bjS8_NS5_IS6_S8_EES8_NS5_IlS8_EES8_jjPS6_PjSD_j
                                        ; -- End function
	.section	.AMDGPU.csdata,"",@progbits
; Kernel info:
; codeLenInByte = 3308
; NumSgprs: 53
; NumVgprs: 25
; ScratchSize: 0
; MemoryBound: 0
; FloatMode: 240
; IeeeMode: 1
; LDSByteSize: 1068 bytes/workgroup (compile time only)
; SGPRBlocks: 6
; VGPRBlocks: 3
; NumSGPRsForWavesPerEU: 53
; NumVGPRsForWavesPerEU: 25
; Occupancy: 16
; WaveLimiterHint : 1
; COMPUTE_PGM_RSRC2:SCRATCH_EN: 0
; COMPUTE_PGM_RSRC2:USER_SGPR: 13
; COMPUTE_PGM_RSRC2:TRAP_HANDLER: 0
; COMPUTE_PGM_RSRC2:TGID_X_EN: 1
; COMPUTE_PGM_RSRC2:TGID_Y_EN: 1
; COMPUTE_PGM_RSRC2:TGID_Z_EN: 1
; COMPUTE_PGM_RSRC2:TIDIG_COMP_CNT: 0
	.section	.text._ZN2at6native6sbtopk10gatherTopKIlmLi2ELb0EEEvNS_4cuda6detail10TensorInfoIKT_T0_EES8_S8_bS8_S8_NS5_IS6_S8_EES8_NS5_IlS8_EES8_PS6_,"axG",@progbits,_ZN2at6native6sbtopk10gatherTopKIlmLi2ELb0EEEvNS_4cuda6detail10TensorInfoIKT_T0_EES8_S8_bS8_S8_NS5_IS6_S8_EES8_NS5_IlS8_EES8_PS6_,comdat
	.protected	_ZN2at6native6sbtopk10gatherTopKIlmLi2ELb0EEEvNS_4cuda6detail10TensorInfoIKT_T0_EES8_S8_bS8_S8_NS5_IS6_S8_EES8_NS5_IlS8_EES8_PS6_ ; -- Begin function _ZN2at6native6sbtopk10gatherTopKIlmLi2ELb0EEEvNS_4cuda6detail10TensorInfoIKT_T0_EES8_S8_bS8_S8_NS5_IS6_S8_EES8_NS5_IlS8_EES8_PS6_
	.globl	_ZN2at6native6sbtopk10gatherTopKIlmLi2ELb0EEEvNS_4cuda6detail10TensorInfoIKT_T0_EES8_S8_bS8_S8_NS5_IS6_S8_EES8_NS5_IlS8_EES8_PS6_
	.p2align	8
	.type	_ZN2at6native6sbtopk10gatherTopKIlmLi2ELb0EEEvNS_4cuda6detail10TensorInfoIKT_T0_EES8_S8_bS8_S8_NS5_IS6_S8_EES8_NS5_IlS8_EES8_PS6_,@function
_ZN2at6native6sbtopk10gatherTopKIlmLi2ELb0EEEvNS_4cuda6detail10TensorInfoIKT_T0_EES8_S8_bS8_S8_NS5_IS6_S8_EES8_NS5_IlS8_EES8_PS6_: ; @_ZN2at6native6sbtopk10gatherTopKIlmLi2ELb0EEEvNS_4cuda6detail10TensorInfoIKT_T0_EES8_S8_bS8_S8_NS5_IS6_S8_EES8_NS5_IlS8_EES8_PS6_
; %bb.0:
	s_clause 0x1
	s_load_b64 s[18:19], s[0:1], 0x520
	s_load_b128 s[28:31], s[0:1], 0x1b8
	s_add_u32 s16, s0, 0x520
	s_addc_u32 s17, s1, 0
	s_mov_b32 s35, 0
	s_waitcnt lgkmcnt(0)
	s_mul_i32 s2, s19, s15
	s_delay_alu instid0(SALU_CYCLE_1) | instskip(NEXT) | instid1(SALU_CYCLE_1)
	s_add_i32 s2, s2, s14
	s_mul_i32 s2, s2, s18
	s_delay_alu instid0(SALU_CYCLE_1) | instskip(NEXT) | instid1(SALU_CYCLE_1)
	s_add_i32 s34, s2, s13
	v_cmp_ge_u64_e64 s2, s[34:35], s[28:29]
	s_delay_alu instid0(VALU_DEP_1)
	s_and_b32 vcc_lo, exec_lo, s2
	s_cbranch_vccnz .LBB159_544
; %bb.1:
	s_clause 0x2
	s_load_b64 s[6:7], s[0:1], 0x10
	s_load_b64 s[28:29], s[0:1], 0x380
	;; [unrolled: 1-line block ×3, first 2 shown]
	s_mov_b64 s[48:49], 0
	s_waitcnt lgkmcnt(0)
	v_cmp_lt_u64_e64 s2, s[34:35], s[6:7]
	s_delay_alu instid0(VALU_DEP_1)
	s_and_b32 vcc_lo, exec_lo, s2
	s_mov_b64 s[2:3], 0
	s_cbranch_vccnz .LBB159_3
; %bb.2:
	v_cvt_f32_u32_e32 v1, s6
	s_sub_i32 s3, 0, s6
	s_delay_alu instid0(VALU_DEP_1) | instskip(SKIP_2) | instid1(VALU_DEP_1)
	v_rcp_iflag_f32_e32 v1, v1
	s_waitcnt_depctr 0xfff
	v_mul_f32_e32 v1, 0x4f7ffffe, v1
	v_cvt_u32_f32_e32 v1, v1
	s_delay_alu instid0(VALU_DEP_1) | instskip(NEXT) | instid1(VALU_DEP_1)
	v_readfirstlane_b32 s2, v1
	s_mul_i32 s3, s3, s2
	s_delay_alu instid0(SALU_CYCLE_1) | instskip(NEXT) | instid1(SALU_CYCLE_1)
	s_mul_hi_u32 s3, s2, s3
	s_add_i32 s2, s2, s3
	s_delay_alu instid0(SALU_CYCLE_1) | instskip(NEXT) | instid1(SALU_CYCLE_1)
	s_mul_hi_u32 s2, s34, s2
	s_mul_i32 s3, s2, s6
	s_add_i32 s4, s2, 1
	s_sub_i32 s3, s34, s3
	s_delay_alu instid0(SALU_CYCLE_1)
	s_sub_i32 s5, s3, s6
	s_cmp_ge_u32 s3, s6
	s_cselect_b32 s2, s4, s2
	s_cselect_b32 s3, s5, s3
	s_add_i32 s4, s2, 1
	s_cmp_ge_u32 s3, s6
	s_cselect_b32 s2, s4, s2
.LBB159_3:
	v_cmp_lt_u64_e64 s3, s[34:35], s[50:51]
	s_delay_alu instid0(VALU_DEP_1)
	s_and_b32 vcc_lo, exec_lo, s3
	s_cbranch_vccnz .LBB159_5
; %bb.4:
	v_cvt_f32_u32_e32 v1, s50
	s_sub_i32 s4, 0, s50
	s_delay_alu instid0(VALU_DEP_1) | instskip(SKIP_2) | instid1(VALU_DEP_1)
	v_rcp_iflag_f32_e32 v1, v1
	s_waitcnt_depctr 0xfff
	v_mul_f32_e32 v1, 0x4f7ffffe, v1
	v_cvt_u32_f32_e32 v1, v1
	s_delay_alu instid0(VALU_DEP_1) | instskip(NEXT) | instid1(VALU_DEP_1)
	v_readfirstlane_b32 s3, v1
	s_mul_i32 s4, s4, s3
	s_delay_alu instid0(SALU_CYCLE_1) | instskip(NEXT) | instid1(SALU_CYCLE_1)
	s_mul_hi_u32 s4, s3, s4
	s_add_i32 s3, s3, s4
	s_delay_alu instid0(SALU_CYCLE_1) | instskip(NEXT) | instid1(SALU_CYCLE_1)
	s_mul_hi_u32 s3, s34, s3
	s_mul_i32 s4, s3, s50
	s_add_i32 s5, s3, 1
	s_sub_i32 s4, s34, s4
	s_delay_alu instid0(SALU_CYCLE_1)
	s_sub_i32 s8, s4, s50
	s_cmp_ge_u32 s4, s50
	s_cselect_b32 s3, s5, s3
	s_cselect_b32 s4, s8, s4
	s_add_i32 s5, s3, 1
	s_cmp_ge_u32 s4, s50
	s_cselect_b32 s48, s5, s3
.LBB159_5:
	s_load_b64 s[14:15], s[0:1], 0x0
	v_cmp_lt_u64_e64 s3, s[34:35], s[28:29]
	s_mov_b64 s[52:53], 0
	s_delay_alu instid0(VALU_DEP_1)
	s_and_b32 vcc_lo, exec_lo, s3
	s_cbranch_vccnz .LBB159_7
; %bb.6:
	v_cvt_f32_u32_e32 v1, s28
	s_sub_i32 s4, 0, s28
	s_delay_alu instid0(VALU_DEP_1) | instskip(SKIP_2) | instid1(VALU_DEP_1)
	v_rcp_iflag_f32_e32 v1, v1
	s_waitcnt_depctr 0xfff
	v_mul_f32_e32 v1, 0x4f7ffffe, v1
	v_cvt_u32_f32_e32 v1, v1
	s_delay_alu instid0(VALU_DEP_1) | instskip(NEXT) | instid1(VALU_DEP_1)
	v_readfirstlane_b32 s3, v1
	s_mul_i32 s4, s4, s3
	s_delay_alu instid0(SALU_CYCLE_1) | instskip(NEXT) | instid1(SALU_CYCLE_1)
	s_mul_hi_u32 s4, s3, s4
	s_add_i32 s3, s3, s4
	s_delay_alu instid0(SALU_CYCLE_1) | instskip(NEXT) | instid1(SALU_CYCLE_1)
	s_mul_hi_u32 s3, s34, s3
	s_mul_i32 s4, s3, s28
	s_add_i32 s5, s3, 1
	s_sub_i32 s4, s34, s4
	s_delay_alu instid0(SALU_CYCLE_1)
	s_sub_i32 s8, s4, s28
	s_cmp_ge_u32 s4, s28
	s_cselect_b32 s3, s5, s3
	s_cselect_b32 s4, s8, s4
	s_add_i32 s5, s3, 1
	s_cmp_ge_u32 s4, s28
	s_cselect_b32 s52, s5, s3
.LBB159_7:
	s_clause 0x2
	s_load_b64 s[4:5], s[0:1], 0x370
	; meta instruction
	s_load_b128 s[8:11], s[0:1], 0xd0
	s_load_b128 s[36:39], s[0:1], 0x1a0
	s_mov_b32 s59, 0
	s_waitcnt lgkmcnt(0)
	v_writelane_b32 v51, s4, 0
	v_writelane_b32 v51, s5, 1
	s_load_b64 s[4:5], s[0:1], 0x1c8
	s_waitcnt lgkmcnt(0)
	v_writelane_b32 v51, s4, 2
	v_writelane_b32 v51, s5, 3
	v_cmp_eq_u32_e64 s5, 0, v0
	s_delay_alu instid0(VALU_DEP_1)
	s_and_saveexec_b32 s3, s5
	s_cbranch_execz .LBB159_9
; %bb.8:
	v_dual_mov_b32 v1, 0 :: v_dual_mov_b32 v4, s37
	s_delay_alu instid0(VALU_DEP_1)
	v_dual_mov_b32 v3, s36 :: v_dual_mov_b32 v2, v1
	ds_store_b32 v1, v1 offset:5144
	ds_store_b128 v1, v[1:4] offset:5120
.LBB159_9:
	s_or_b32 exec_lo, exec_lo, s3
	s_mul_i32 s3, s2, s7
	s_mul_hi_u32 s4, s2, s6
	s_mul_i32 s6, s2, s6
	s_add_i32 s4, s4, s3
	s_sub_u32 s6, s34, s6
	s_subb_u32 s4, 0, s4
	s_mul_i32 s3, s6, s11
	s_mul_hi_u32 s7, s6, s10
	s_mul_i32 s4, s4, s10
	s_add_i32 s7, s7, s3
	s_mul_i32 s3, s2, s9
	s_mul_hi_u32 s9, s2, s8
	s_mul_i32 s2, s2, s8
	s_add_i32 s3, s9, s3
	s_clause 0x1
	s_load_b32 s11, s[0:1], 0x1b0
	s_load_b128 s[44:47], s[0:1], 0x298
	s_lshl_b64 s[2:3], s[2:3], 3
	s_add_i32 s7, s7, s4
	s_mul_i32 s6, s6, s10
	v_mad_u64_u32 v[2:3], null, v0, s30, 0
	s_add_u32 s4, s14, s2
	s_addc_u32 s8, s15, s3
	s_lshl_b64 s[2:3], s[6:7], 3
	s_waitcnt lgkmcnt(0)
	s_barrier
	buffer_gl0_inv
	s_load_b32 s7, s[16:17], 0xc
	v_dual_mov_b32 v1, v3 :: v_dual_lshlrev_b32 v20, 2, v0
	v_mbcnt_lo_u32_b32 v35, -1, 0
	s_add_u32 s33, s4, s2
	s_addc_u32 s35, s8, s3
	s_delay_alu instid0(VALU_DEP_2)
	v_mad_u64_u32 v[3:4], null, v0, s31, v[1:2]
	v_cmp_gt_u32_e32 vcc_lo, 32, v0
	v_cmp_gt_i32_e64 s4, 4, v35
	s_bitcmp1_b32 s11, 0
	s_load_b128 s[40:43], s[0:1], 0x440
	s_cselect_b32 s3, -1, 0
	v_lshrrev_b32_e32 v4, 3, v0
	s_delay_alu instid0(VALU_DEP_4) | instskip(SKIP_2) | instid1(VALU_DEP_2)
	v_lshlrev_b64 v[2:3], 3, v[2:3]
	s_xor_b32 s53, s3, -1
	s_and_b32 s72, vcc_lo, s4
	v_dual_mov_b32 v19, 0 :: v_dual_and_b32 v36, 0x7c, v4
	v_mov_b32_e32 v6, 0
	s_waitcnt lgkmcnt(0)
	s_and_b32 s49, s7, 0xffff
	s_bfe_u32 s8, s7, 0xb0005
	s_add_u32 s74, s49, -1
	s_addc_u32 s75, 0, -1
	s_add_u32 s76, s74, s36
	s_addc_u32 s27, s75, s37
	v_add_co_u32 v16, vcc_lo, s33, v2
	s_cmp_lt_u32 s13, s18
	v_add_co_ci_u32_e32 v17, vcc_lo, s35, v3, vcc_lo
	v_mov_b32_e32 v21, v19
	s_cselect_b32 s9, 12, 18
	v_lshlrev_b64 v[2:3], v35, -1
	v_dual_mov_b32 v26, s38 :: v_dual_lshlrev_b32 v37, 3, v0
	v_mov_b32_e32 v1, v19
	v_mov_b32_e32 v7, 0
	s_add_u32 s60, s16, s9
	s_addc_u32 s61, s17, 0
	s_add_i32 s9, s8, -1
	s_bfe_u32 s77, s49, 0x30005
	s_cmp_gt_u32 s9, 6
	v_cmp_lt_u64_e64 s73, 0x180, s[36:37]
	v_add_nc_u32_e32 v38, 0xc00, v37
	v_cmp_gt_u64_e64 s4, s[36:37], v[0:1]
	v_not_b32_e32 v34, v2
	v_dual_mov_b32 v2, 1 :: v_dual_mov_b32 v25, v7
	v_mov_b32_e32 v23, v7
	v_cmp_eq_u32_e64 s2, 0, v35
	v_cmp_gt_u32_e64 s6, 2, v0
	s_cselect_b32 s78, -1, 0
	s_and_b32 s79, s8, 0x7f8
	v_cmp_gt_u16_e64 s80, s7, 31
	v_dual_mov_b32 v24, v6 :: v_dual_lshlrev_b32 v39, 5, v0
	v_lshl_or_b32 v40, v35, 3, 0xc00
	v_dual_mov_b32 v27, s39 :: v_dual_mov_b32 v22, v6
	s_cmp_lg_u32 s77, 0
	s_mov_b32 s89, 62
	s_cselect_b32 s81, -1, 0
	s_lshl_b32 s82, s49, 3
	s_mov_b32 s83, 0
	s_mov_b32 s85, 0
                                        ; implicit-def: $sgpr84
                                        ; implicit-def: $sgpr88
                                        ; implicit-def: $sgpr87
                                        ; implicit-def: $sgpr90
                                        ; implicit-def: $sgpr86
                                        ; implicit-def: $sgpr91
                                        ; implicit-def: $sgpr93
                                        ; implicit-def: $sgpr92
                                        ; implicit-def: $sgpr94
                                        ; implicit-def: $sgpr95
	s_branch .LBB159_12
.LBB159_10:                             ;   in Loop: Header=BB159_12 Depth=1
	s_or_b32 exec_lo, exec_lo, s10
	v_dual_mov_b32 v23, v15 :: v_dual_mov_b32 v22, v14
	v_dual_mov_b32 v25, v13 :: v_dual_mov_b32 v24, v12
	;; [unrolled: 1-line block ×4, first 2 shown]
	s_and_not1_b32 s10, s95, exec_lo
	s_and_b32 s9, s9, exec_lo
	s_and_not1_b32 s94, s94, exec_lo
	s_or_b32 s95, s10, s9
	s_and_not1_b32 s92, s92, exec_lo
	s_and_not1_b32 s93, s93, exec_lo
	;; [unrolled: 1-line block ×3, first 2 shown]
	s_or_not1_b32 s8, s8, exec_lo
.LBB159_11:                             ;   in Loop: Header=BB159_12 Depth=1
	s_or_b32 exec_lo, exec_lo, s7
	s_delay_alu instid0(SALU_CYCLE_1) | instskip(NEXT) | instid1(SALU_CYCLE_1)
	s_and_b32 s7, exec_lo, s8
	s_or_b32 s83, s7, s83
	s_and_not1_b32 s7, s86, exec_lo
	s_and_b32 s8, s95, exec_lo
	s_and_not1_b32 s9, s90, exec_lo
	s_or_b32 s86, s7, s8
	s_and_b32 s7, s94, exec_lo
	s_and_not1_b32 s8, s87, exec_lo
	s_and_b32 s10, s92, exec_lo
	s_or_b32 s90, s9, s7
	s_or_b32 s87, s8, s10
	s_and_not1_b32 s7, s88, exec_lo
	s_and_b32 s8, s93, exec_lo
	s_and_not1_b32 s9, s84, exec_lo
	s_and_b32 s10, s91, exec_lo
	s_or_b32 s88, s7, s8
	s_or_b32 s84, s9, s10
	s_and_not1_b32 exec_lo, exec_lo, s83
	s_cbranch_execz .LBB159_484
.LBB159_12:                             ; =>This Loop Header: Depth=1
                                        ;     Child Loop BB159_20 Depth 2
                                        ;     Child Loop BB159_38 Depth 2
	;; [unrolled: 1-line block ×24, first 2 shown]
	ds_load_b128 v[8:11], v19 offset:5120
	s_waitcnt lgkmcnt(0)
	v_readfirstlane_b32 s63, v9
	v_readfirstlane_b32 s62, v8
	s_delay_alu instid0(VALU_DEP_1)
	s_cmp_lg_u64 s[62:63], 0
	s_cbranch_scc1 .LBB159_45
; %bb.13:                               ;   in Loop: Header=BB159_12 Depth=1
	s_and_b32 vcc_lo, exec_lo, s73
	s_cbranch_vccz .LBB159_28
; %bb.14:                               ;   in Loop: Header=BB159_12 Depth=1
	v_cmp_gt_u64_e32 vcc_lo, 0x181, v[10:11]
	s_mov_b32 s9, 0
	s_mov_b32 s7, 0
	s_cbranch_vccz .LBB159_29
; %bb.15:                               ;   in Loop: Header=BB159_12 Depth=1
	v_mov_b32_e32 v3, 0
	v_mov_b32_e32 v4, 0
	s_and_saveexec_b32 s7, s4
	s_cbranch_execz .LBB159_17
; %bb.16:                               ;   in Loop: Header=BB159_12 Depth=1
	global_load_b64 v[3:4], v[16:17], off
.LBB159_17:                             ;   in Loop: Header=BB159_12 Depth=1
	s_or_b32 exec_lo, exec_lo, s7
	s_and_saveexec_b32 s10, s4
	s_cbranch_execz .LBB159_30
; %bb.18:                               ;   in Loop: Header=BB159_12 Depth=1
	global_load_u16 v5, v19, s[60:61]
	v_mov_b32_e32 v9, v1
	s_mov_b32 s11, 0
	s_waitcnt vmcnt(0)
	v_dual_mov_b32 v8, v0 :: v_dual_and_b32 v5, 0xffff, v5
	s_branch .LBB159_20
.LBB159_19:                             ;   in Loop: Header=BB159_20 Depth=2
	s_or_b32 exec_lo, exec_lo, s8
	s_waitcnt vmcnt(0)
	v_dual_mov_b32 v3, v10 :: v_dual_mov_b32 v4, v11
	s_and_not1_b32 exec_lo, exec_lo, s11
	s_cbranch_execz .LBB159_30
.LBB159_20:                             ;   Parent Loop BB159_12 Depth=1
                                        ; =>  This Inner Loop Header: Depth=2
	s_delay_alu instid0(VALU_DEP_1) | instskip(SKIP_4) | instid1(VALU_DEP_3)
	v_add_co_u32 v8, vcc_lo, v8, v5
	v_add_co_ci_u32_e32 v9, vcc_lo, 0, v9, vcc_lo
	v_mov_b32_e32 v10, 0
	v_mov_b32_e32 v11, 0
	s_mov_b32 s8, exec_lo
	v_cmp_le_u64_e32 vcc_lo, s[36:37], v[8:9]
	v_cmpx_gt_u64_e64 s[36:37], v[8:9]
	s_cbranch_execz .LBB159_22
; %bb.21:                               ;   in Loop: Header=BB159_20 Depth=2
	s_waitcnt lgkmcnt(0)
	v_mul_lo_u32 v12, v9, s30
	v_mul_lo_u32 v13, v8, s31
	v_mad_u64_u32 v[10:11], null, v8, s30, 0
	s_delay_alu instid0(VALU_DEP_1) | instskip(NEXT) | instid1(VALU_DEP_1)
	v_add3_u32 v11, v11, v13, v12
	v_lshlrev_b64 v[10:11], 3, v[10:11]
	s_delay_alu instid0(VALU_DEP_1) | instskip(NEXT) | instid1(VALU_DEP_1)
	v_add_co_u32 v10, s7, s33, v10
	v_add_co_ci_u32_e64 v11, s7, s35, v11, s7
	global_load_b64 v[10:11], v[10:11], off
.LBB159_22:                             ;   in Loop: Header=BB159_20 Depth=2
	s_or_b32 exec_lo, exec_lo, s8
	s_waitcnt lgkmcnt(0)
	v_xor_b32_e32 v12, 0x80000000, v4
	s_delay_alu instid0(VALU_DEP_1) | instskip(SKIP_1) | instid1(VALU_DEP_1)
	v_and_b32_e32 v13, v12, v23
	v_and_b32_e32 v12, v3, v22
	v_cmp_eq_u64_e64 s7, v[12:13], v[24:25]
	v_mov_b32_e32 v12, 0
	s_delay_alu instid0(VALU_DEP_2) | instskip(SKIP_1) | instid1(SALU_CYCLE_1)
	s_cmp_lg_u32 s7, 0
	s_cselect_b32 s8, -1, 0
	s_and_b32 s8, s2, s8
	s_delay_alu instid0(SALU_CYCLE_1)
	s_and_saveexec_b32 s12, s8
	s_cbranch_execz .LBB159_26
; %bb.23:                               ;   in Loop: Header=BB159_20 Depth=2
	s_mov_b32 s15, exec_lo
	s_bcnt1_i32_b32 s13, s7
	v_mbcnt_lo_u32_b32 v12, s15, 0
	s_mov_b32 s14, exec_lo
                                        ; implicit-def: $vgpr13
	s_delay_alu instid0(VALU_DEP_1)
	v_cmpx_eq_u32_e32 0, v12
	s_cbranch_execz .LBB159_25
; %bb.24:                               ;   in Loop: Header=BB159_20 Depth=2
	s_bcnt1_i32_b32 s8, s15
	s_delay_alu instid0(SALU_CYCLE_1) | instskip(NEXT) | instid1(SALU_CYCLE_1)
	s_mul_i32 s8, s13, s8
	v_mov_b32_e32 v13, s8
	ds_add_rtn_u32 v13, v19, v13 offset:5144
.LBB159_25:                             ;   in Loop: Header=BB159_20 Depth=2
	s_or_b32 exec_lo, exec_lo, s14
	s_waitcnt lgkmcnt(0)
	v_readfirstlane_b32 s8, v13
	s_delay_alu instid0(VALU_DEP_1)
	v_mad_u32_u24 v12, s13, v12, s8
.LBB159_26:                             ;   in Loop: Header=BB159_20 Depth=2
	s_or_b32 exec_lo, exec_lo, s12
	ds_bpermute_b32 v12, v19, v12
	s_and_b32 s8, exec_lo, vcc_lo
	s_delay_alu instid0(SALU_CYCLE_1)
	s_or_b32 s11, s8, s11
	s_and_saveexec_b32 s8, s7
	s_cbranch_execz .LBB159_19
; %bb.27:                               ;   in Loop: Header=BB159_20 Depth=2
	v_and_b32_e32 v13, s7, v34
	s_delay_alu instid0(VALU_DEP_1) | instskip(NEXT) | instid1(VALU_DEP_1)
	v_bcnt_u32_b32 v13, v13, 0
	v_lshlrev_b32_e32 v13, 3, v13
	s_waitcnt lgkmcnt(0)
	s_delay_alu instid0(VALU_DEP_1)
	v_lshl_add_u32 v12, v12, 3, v13
	ds_store_b64 v12, v[3:4]
	s_branch .LBB159_19
.LBB159_28:                             ;   in Loop: Header=BB159_12 Depth=1
	s_mov_b32 s7, 0
                                        ; implicit-def: $sgpr62_sgpr63
	s_cbranch_execnz .LBB159_33
	s_branch .LBB159_43
.LBB159_29:                             ;   in Loop: Header=BB159_12 Depth=1
	s_mov_b64 s[62:63], 0
	s_and_b32 vcc_lo, exec_lo, s9
	s_cbranch_vccnz .LBB159_33
	s_branch .LBB159_43
.LBB159_30:                             ;   in Loop: Header=BB159_12 Depth=1
	s_or_b32 exec_lo, exec_lo, s10
	s_waitcnt vmcnt(0) lgkmcnt(0)
	s_barrier
	buffer_gl0_inv
	s_and_saveexec_b32 s7, s5
	s_cbranch_execz .LBB159_32
; %bb.31:                               ;   in Loop: Header=BB159_12 Depth=1
	ds_load_b32 v3, v19 offset:5144
	s_waitcnt lgkmcnt(0)
	v_ashrrev_i32_e32 v4, 31, v3
	ds_store_b64 v19, v[3:4] offset:5120
.LBB159_32:                             ;   in Loop: Header=BB159_12 Depth=1
	s_or_b32 exec_lo, exec_lo, s7
	s_waitcnt lgkmcnt(0)
	s_mov_b32 s7, -1
	s_barrier
	s_mov_b64 s[62:63], 0
	s_and_b32 vcc_lo, exec_lo, s9
	s_cbranch_vccz .LBB159_43
.LBB159_33:                             ;   in Loop: Header=BB159_12 Depth=1
	v_mov_b32_e32 v3, 0
	v_mov_b32_e32 v4, 0
	s_and_saveexec_b32 s7, s4
	s_cbranch_execz .LBB159_35
; %bb.34:                               ;   in Loop: Header=BB159_12 Depth=1
	global_load_b64 v[3:4], v[16:17], off
.LBB159_35:                             ;   in Loop: Header=BB159_12 Depth=1
	s_or_b32 exec_lo, exec_lo, s7
	s_and_saveexec_b32 s8, s4
	s_cbranch_execz .LBB159_40
; %bb.36:                               ;   in Loop: Header=BB159_12 Depth=1
	global_load_u16 v5, v19, s[60:61]
	v_mov_b32_e32 v9, v1
	s_mov_b32 s9, 0
	v_mov_b32_e32 v12, v37
	s_waitcnt vmcnt(0)
	v_dual_mov_b32 v8, v0 :: v_dual_and_b32 v5, 0xffff, v5
	s_delay_alu instid0(VALU_DEP_1)
	v_lshlrev_b32_e32 v13, 3, v5
	s_set_inst_prefetch_distance 0x1
	s_branch .LBB159_38
	.p2align	6
.LBB159_37:                             ;   in Loop: Header=BB159_38 Depth=2
	s_or_b32 exec_lo, exec_lo, s10
	ds_store_b64 v12, v[3:4]
	s_waitcnt vmcnt(0)
	v_dual_mov_b32 v3, v10 :: v_dual_add_nc_u32 v12, v12, v13
	v_mov_b32_e32 v4, v11
	s_and_b32 s7, exec_lo, vcc_lo
	s_delay_alu instid0(SALU_CYCLE_1) | instskip(NEXT) | instid1(SALU_CYCLE_1)
	s_or_b32 s9, s7, s9
	s_and_not1_b32 exec_lo, exec_lo, s9
	s_cbranch_execz .LBB159_40
.LBB159_38:                             ;   Parent Loop BB159_12 Depth=1
                                        ; =>  This Inner Loop Header: Depth=2
	s_delay_alu instid0(VALU_DEP_2) | instskip(SKIP_4) | instid1(VALU_DEP_3)
	v_add_co_u32 v8, vcc_lo, v8, v5
	v_add_co_ci_u32_e32 v9, vcc_lo, 0, v9, vcc_lo
	v_mov_b32_e32 v10, 0
	v_mov_b32_e32 v11, 0
	s_mov_b32 s10, exec_lo
	v_cmp_le_u64_e32 vcc_lo, s[36:37], v[8:9]
	v_cmpx_gt_u64_e64 s[36:37], v[8:9]
	s_cbranch_execz .LBB159_37
; %bb.39:                               ;   in Loop: Header=BB159_38 Depth=2
	v_mul_lo_u32 v14, v9, s30
	v_mul_lo_u32 v15, v8, s31
	v_mad_u64_u32 v[10:11], null, v8, s30, 0
	s_delay_alu instid0(VALU_DEP_1) | instskip(NEXT) | instid1(VALU_DEP_1)
	v_add3_u32 v11, v11, v15, v14
	v_lshlrev_b64 v[10:11], 3, v[10:11]
	s_delay_alu instid0(VALU_DEP_1) | instskip(NEXT) | instid1(VALU_DEP_1)
	v_add_co_u32 v10, s7, s33, v10
	v_add_co_ci_u32_e64 v11, s7, s35, v11, s7
	global_load_b64 v[10:11], v[10:11], off
	s_branch .LBB159_37
.LBB159_40:                             ;   in Loop: Header=BB159_12 Depth=1
	s_set_inst_prefetch_distance 0x2
	s_or_b32 exec_lo, exec_lo, s8
	s_waitcnt vmcnt(0) lgkmcnt(0)
	s_barrier
	buffer_gl0_inv
	s_and_saveexec_b32 s7, s5
	s_cbranch_execz .LBB159_42
; %bb.41:                               ;   in Loop: Header=BB159_12 Depth=1
	v_dual_mov_b32 v3, s36 :: v_dual_mov_b32 v4, s37
	ds_store_b64 v19, v[3:4] offset:5120
.LBB159_42:                             ;   in Loop: Header=BB159_12 Depth=1
	s_or_b32 exec_lo, exec_lo, s7
	s_mov_b32 s7, -1
	s_waitcnt lgkmcnt(0)
	s_barrier
                                        ; implicit-def: $sgpr62_sgpr63
.LBB159_43:                             ;   in Loop: Header=BB159_12 Depth=1
	s_and_b32 vcc_lo, exec_lo, s7
	s_cbranch_vccz .LBB159_45
; %bb.44:                               ;   in Loop: Header=BB159_12 Depth=1
	buffer_gl0_inv
	ds_load_b64 v[3:4], v19 offset:5120
	s_waitcnt lgkmcnt(0)
	v_readfirstlane_b32 s62, v3
.LBB159_45:                             ;   in Loop: Header=BB159_12 Depth=1
	s_delay_alu instid0(VALU_DEP_1)
	s_cmp_lt_i32 s62, 1
	s_cbranch_scc0 .LBB159_60
; %bb.46:                               ;   in Loop: Header=BB159_12 Depth=1
	global_load_u16 v5, v19, s[60:61]
	s_mov_b32 s8, s59
	s_mov_b32 s9, s37
	s_waitcnt vmcnt(0)
	v_readfirstlane_b32 s7, v5
	s_delay_alu instid0(VALU_DEP_1) | instskip(NEXT) | instid1(SALU_CYCLE_1)
	s_and_b32 s7, 0xffff, s7
	s_lshl_b32 s58, s7, 2
	s_cmp_lg_u64 s[8:9], 0
	s_cbranch_scc0 .LBB159_80
; %bb.47:                               ;   in Loop: Header=BB159_12 Depth=1
	v_cvt_f32_u32_e32 v3, s58
	s_sub_u32 s9, 0, s58
	s_subb_u32 s10, 0, 0
	s_delay_alu instid0(VALU_DEP_1) | instskip(NEXT) | instid1(VALU_DEP_1)
	v_fmac_f32_e64 v3, 0, 0x4f800000
	v_rcp_f32_e32 v3, v3
	s_waitcnt_depctr 0xfff
	v_mul_f32_e32 v3, 0x5f7ffffc, v3
	s_delay_alu instid0(VALU_DEP_1) | instskip(NEXT) | instid1(VALU_DEP_1)
	v_mul_f32_e32 v4, 0x2f800000, v3
	v_trunc_f32_e32 v4, v4
	s_delay_alu instid0(VALU_DEP_1) | instskip(SKIP_1) | instid1(VALU_DEP_2)
	v_fmac_f32_e32 v3, 0xcf800000, v4
	v_cvt_u32_f32_e32 v4, v4
	v_cvt_u32_f32_e32 v3, v3
	s_delay_alu instid0(VALU_DEP_2) | instskip(NEXT) | instid1(VALU_DEP_2)
	v_readfirstlane_b32 s7, v4
	v_readfirstlane_b32 s8, v3
	s_delay_alu instid0(VALU_DEP_2) | instskip(NEXT) | instid1(VALU_DEP_1)
	s_mul_i32 s11, s9, s7
	s_mul_hi_u32 s13, s9, s8
	s_mul_i32 s12, s10, s8
	s_add_i32 s11, s13, s11
	s_mul_i32 s14, s9, s8
	s_add_i32 s11, s11, s12
	s_mul_hi_u32 s13, s8, s14
	s_mul_hi_u32 s15, s7, s14
	s_mul_i32 s12, s7, s14
	s_mul_hi_u32 s14, s8, s11
	s_mul_i32 s8, s8, s11
	s_mul_hi_u32 s16, s7, s11
	s_add_u32 s8, s13, s8
	s_addc_u32 s13, 0, s14
	s_add_u32 s8, s8, s12
	s_mul_i32 s11, s7, s11
	s_addc_u32 s8, s13, s15
	s_addc_u32 s12, s16, 0
	s_add_u32 s8, s8, s11
	s_addc_u32 s11, 0, s12
	v_add_co_u32 v3, s8, v3, s8
	s_delay_alu instid0(VALU_DEP_1) | instskip(SKIP_1) | instid1(VALU_DEP_1)
	s_cmp_lg_u32 s8, 0
	s_addc_u32 s7, s7, s11
	v_readfirstlane_b32 s8, v3
	s_mul_i32 s11, s9, s7
	s_delay_alu instid0(VALU_DEP_1)
	s_mul_hi_u32 s12, s9, s8
	s_mul_i32 s10, s10, s8
	s_add_i32 s11, s12, s11
	s_mul_i32 s9, s9, s8
	s_add_i32 s11, s11, s10
	s_mul_hi_u32 s12, s7, s9
	s_mul_i32 s13, s7, s9
	s_mul_hi_u32 s9, s8, s9
	s_mul_hi_u32 s14, s8, s11
	s_mul_i32 s8, s8, s11
	s_mul_hi_u32 s10, s7, s11
	s_add_u32 s8, s9, s8
	s_addc_u32 s9, 0, s14
	s_add_u32 s8, s8, s13
	s_mul_i32 s11, s7, s11
	s_addc_u32 s8, s9, s12
	s_addc_u32 s9, s10, 0
	s_add_u32 s8, s8, s11
	s_addc_u32 s9, 0, s9
	v_add_co_u32 v3, s8, v3, s8
	s_delay_alu instid0(VALU_DEP_1) | instskip(SKIP_1) | instid1(VALU_DEP_1)
	s_cmp_lg_u32 s8, 0
	s_addc_u32 s7, s7, s9
	v_readfirstlane_b32 s8, v3
	s_mul_i32 s10, s36, s7
	s_mul_hi_u32 s9, s36, s7
	s_mul_hi_u32 s11, s37, s7
	s_mul_i32 s7, s37, s7
	s_mul_hi_u32 s12, s36, s8
	s_mul_hi_u32 s13, s37, s8
	s_mul_i32 s8, s37, s8
	s_add_u32 s10, s12, s10
	s_addc_u32 s9, 0, s9
	s_add_u32 s8, s10, s8
	s_addc_u32 s8, s9, s13
	s_addc_u32 s9, s11, 0
	s_add_u32 s7, s8, s7
	s_addc_u32 s8, 0, s9
	s_mul_hi_u32 s9, s58, s7
	s_mul_i32 s7, s58, s7
	s_mul_i32 s8, s58, s8
	v_sub_co_u32 v3, s7, s36, s7
	s_add_i32 s9, s9, s8
	s_cmp_lg_u32 s7, 0
	s_delay_alu instid0(VALU_DEP_1) | instskip(SKIP_2) | instid1(VALU_DEP_1)
	v_sub_co_u32 v4, s7, v3, s58
	s_subb_u32 s8, s37, s9
	s_cmp_lg_u32 s7, 0
	v_cmp_le_u32_e32 vcc_lo, s58, v4
	v_sub_co_u32 v8, s7, v4, s58
	s_subb_u32 s9, s8, 0
	s_cmp_lg_u32 s7, 0
	v_cndmask_b32_e64 v9, 0, -1, vcc_lo
	s_subb_u32 s7, s9, 0
	s_cmp_eq_u32 s9, 0
	v_mov_b32_e32 v11, s7
	s_cselect_b32 vcc_lo, -1, 0
	s_cmp_eq_u32 s8, 0
	v_cndmask_b32_e32 v9, -1, v9, vcc_lo
	v_cmp_le_u32_e32 vcc_lo, s58, v3
	s_cselect_b32 s7, -1, 0
	v_cndmask_b32_e64 v10, 0, -1, vcc_lo
	s_delay_alu instid0(VALU_DEP_3) | instskip(NEXT) | instid1(VALU_DEP_2)
	v_cmp_ne_u32_e32 vcc_lo, 0, v9
	v_cndmask_b32_e64 v9, -1, v10, s7
	v_cndmask_b32_e32 v10, s9, v11, vcc_lo
	v_cndmask_b32_e32 v8, v4, v8, vcc_lo
	s_delay_alu instid0(VALU_DEP_3) | instskip(NEXT) | instid1(VALU_DEP_3)
	v_cmp_ne_u32_e32 vcc_lo, 0, v9
	v_cndmask_b32_e32 v4, s8, v10, vcc_lo
	s_delay_alu instid0(VALU_DEP_3)
	v_cndmask_b32_e32 v3, v3, v8, vcc_lo
	s_cbranch_execnz .LBB159_49
.LBB159_48:                             ;   in Loop: Header=BB159_12 Depth=1
	v_cvt_f32_u32_e32 v3, s58
	s_sub_i32 s7, 0, s58
	s_delay_alu instid0(VALU_DEP_1) | instskip(SKIP_2) | instid1(VALU_DEP_1)
	v_rcp_iflag_f32_e32 v3, v3
	s_waitcnt_depctr 0xfff
	v_mul_f32_e32 v3, 0x4f7ffffe, v3
	v_cvt_u32_f32_e32 v3, v3
	s_delay_alu instid0(VALU_DEP_1) | instskip(NEXT) | instid1(VALU_DEP_1)
	v_mul_lo_u32 v4, s7, v3
	v_mul_hi_u32 v4, v3, v4
	s_delay_alu instid0(VALU_DEP_1) | instskip(NEXT) | instid1(VALU_DEP_1)
	v_add_nc_u32_e32 v3, v3, v4
	v_mul_hi_u32 v3, s36, v3
	s_delay_alu instid0(VALU_DEP_1) | instskip(NEXT) | instid1(VALU_DEP_1)
	v_mul_lo_u32 v3, v3, s58
	v_sub_nc_u32_e32 v3, s36, v3
	s_delay_alu instid0(VALU_DEP_1) | instskip(SKIP_1) | instid1(VALU_DEP_2)
	v_subrev_nc_u32_e32 v4, s58, v3
	v_cmp_le_u32_e32 vcc_lo, s58, v3
	v_cndmask_b32_e32 v3, v3, v4, vcc_lo
	s_delay_alu instid0(VALU_DEP_1) | instskip(SKIP_1) | instid1(VALU_DEP_2)
	v_subrev_nc_u32_e32 v4, s58, v3
	v_cmp_le_u32_e32 vcc_lo, s58, v3
	v_cndmask_b32_e32 v18, v3, v4, vcc_lo
	s_delay_alu instid0(VALU_DEP_1)
	v_dual_mov_b32 v3, v18 :: v_dual_mov_b32 v4, v19
.LBB159_49:                             ;   in Loop: Header=BB159_12 Depth=1
	v_mov_b32_e32 v8, 0
	v_mov_b32_e32 v9, 0
	s_delay_alu instid0(VALU_DEP_3) | instskip(NEXT) | instid1(VALU_DEP_4)
	v_sub_co_u32 v3, vcc_lo, s36, v3
	v_sub_co_ci_u32_e32 v4, vcc_lo, s37, v4, vcc_lo
	s_delay_alu instid0(VALU_DEP_3)
	v_dual_mov_b32 v11, v9 :: v_dual_mov_b32 v10, v8
	v_dual_mov_b32 v13, v9 :: v_dual_mov_b32 v12, v8
	;; [unrolled: 1-line block ×3, first 2 shown]
	s_mov_b64 s[64:65], 0
	s_mov_b32 s63, exec_lo
	v_cmpx_gt_u64_e64 v[3:4], v[20:21]
	s_cbranch_execz .LBB159_53
; %bb.50:                               ;   in Loop: Header=BB159_12 Depth=1
	v_dual_mov_b32 v29, v21 :: v_dual_mov_b32 v28, v20
	s_and_b32 s96, s89, 0xfe
	s_mov_b32 s97, 0
	s_mov_b64 s[66:67], 0
	s_mov_b64 s[68:69], 0
	;; [unrolled: 1-line block ×3, first 2 shown]
.LBB159_51:                             ;   Parent Loop BB159_12 Depth=1
                                        ; =>  This Inner Loop Header: Depth=2
	v_mul_lo_u32 v10, v29, s30
	v_mul_lo_u32 v11, v28, s31
	v_mad_u64_u32 v[8:9], null, v28, s30, 0
	s_lshl_b64 s[8:9], s[30:31], 3
	s_delay_alu instid0(VALU_DEP_1) | instskip(NEXT) | instid1(VALU_DEP_1)
	v_add3_u32 v9, v9, v11, v10
	v_lshlrev_b64 v[8:9], 3, v[8:9]
	s_delay_alu instid0(VALU_DEP_1) | instskip(NEXT) | instid1(VALU_DEP_2)
	v_add_co_u32 v8, vcc_lo, s33, v8
	v_add_co_ci_u32_e32 v9, vcc_lo, s35, v9, vcc_lo
	s_delay_alu instid0(VALU_DEP_2) | instskip(NEXT) | instid1(VALU_DEP_2)
	v_add_co_u32 v10, vcc_lo, v8, s8
	v_add_co_ci_u32_e32 v11, vcc_lo, s9, v9, vcc_lo
	global_load_b64 v[8:9], v[8:9], off
	v_add_co_u32 v12, vcc_lo, v10, s8
	v_add_co_ci_u32_e32 v13, vcc_lo, s9, v11, vcc_lo
	s_clause 0x1
	global_load_b64 v[10:11], v[10:11], off
	global_load_b64 v[14:15], v[12:13], off
	v_add_co_u32 v12, vcc_lo, v12, s8
	v_add_co_ci_u32_e32 v13, vcc_lo, s9, v13, vcc_lo
	v_mov_b32_e32 v42, v19
	v_add_co_u32 v28, vcc_lo, v28, s58
	global_load_b64 v[12:13], v[12:13], off
	v_add_co_ci_u32_e32 v29, vcc_lo, 0, v29, vcc_lo
	s_delay_alu instid0(VALU_DEP_1) | instskip(SKIP_3) | instid1(VALU_DEP_1)
	v_cmp_ge_u64_e32 vcc_lo, v[28:29], v[3:4]
	s_waitcnt vmcnt(3)
	v_and_b32_e32 v43, v8, v22
	v_xor_b32_e32 v9, 0x80000000, v9
	v_dual_mov_b32 v31, v19 :: v_dual_and_b32 v44, v9, v23
	s_waitcnt vmcnt(2)
	v_xor_b32_e32 v11, 0x80000000, v11
	s_waitcnt vmcnt(1)
	v_xor_b32_e32 v15, 0x80000000, v15
	v_lshrrev_b64 v[8:9], s96, v[8:9]
	v_and_b32_e32 v45, v10, v22
	v_cmp_eq_u64_e64 s7, v[43:44], v[24:25]
	v_lshrrev_b64 v[43:44], s96, v[10:11]
	v_and_b32_e32 v9, v14, v22
	v_and_b32_e32 v10, v15, v23
	s_waitcnt vmcnt(0)
	v_xor_b32_e32 v13, 0x80000000, v13
	v_dual_mov_b32 v33, v19 :: v_dual_and_b32 v18, 3, v8
	v_and_b32_e32 v46, v11, v23
	v_lshrrev_b64 v[14:15], s96, v[14:15]
	v_and_b32_e32 v30, 3, v43
	v_cmp_eq_u64_e64 s13, v[9:10], v[24:25]
	v_lshrrev_b64 v[10:11], s96, v[12:13]
	v_cmp_eq_u64_e64 s8, v[45:46], v[24:25]
	v_cmp_eq_u64_e64 s9, 0, v[18:19]
	;; [unrolled: 1-line block ×3, first 2 shown]
	v_and_b32_e32 v32, 3, v14
	v_and_b32_e32 v8, v12, v22
	;; [unrolled: 1-line block ×4, first 2 shown]
	s_and_b32 s9, s7, s9
	v_cmp_eq_u64_e64 s18, 0, v[32:33]
	s_and_b32 s14, s8, s14
	v_cndmask_b32_e64 v11, 0, 1, s9
	v_cmp_eq_u64_e64 s9, v[8:9], v[24:25]
	v_cndmask_b32_e64 v8, 0, 1, s14
	v_cmp_eq_u64_e64 s14, 0, v[41:42]
	s_and_b32 s18, s13, s18
	v_cmp_ne_u32_e64 s22, 0, v11
	v_cmp_eq_u64_e64 s10, 1, v[18:19]
	v_cmp_ne_u32_e64 s26, 0, v8
	v_cndmask_b32_e64 v8, 0, 1, s18
	s_and_b32 s14, s9, s14
	s_bcnt1_i32_b32 s18, s22
	v_cndmask_b32_e64 v9, 0, 1, s14
	s_bcnt1_i32_b32 s22, s26
	v_cmp_ne_u32_e64 s14, 0, v8
	s_add_i32 s22, s22, s18
	v_cmp_eq_u64_e64 s15, 1, v[30:31]
	v_cmp_ne_u32_e64 s18, 0, v9
	v_cmp_eq_u64_e64 s19, 1, v[32:33]
	s_bcnt1_i32_b32 s14, s14
	v_cmp_eq_u64_e64 s23, 1, v[41:42]
	s_add_i32 s14, s22, s14
	s_bcnt1_i32_b32 s18, s18
	v_cmp_eq_u64_e64 s11, 2, v[18:19]
	s_add_i32 s14, s14, s18
	v_cmp_eq_u64_e64 s16, 2, v[30:31]
	s_add_u32 s70, s70, s14
	s_addc_u32 s71, s71, 0
	s_and_b32 s10, s7, s10
	v_cmp_eq_u64_e64 s20, 2, v[32:33]
	v_cndmask_b32_e64 v8, 0, 1, s10
	s_and_b32 s10, s8, s15
	v_cmp_eq_u64_e64 s24, 2, v[41:42]
	v_cndmask_b32_e64 v9, 0, 1, s10
	;; [unrolled: 3-line block ×3, first 2 shown]
	s_and_b32 s10, s9, s23
	v_cmp_ne_u32_e64 s14, 0, v9
	v_cndmask_b32_e64 v11, 0, 1, s10
	v_cmp_ne_u32_e64 s10, 0, v8
	v_cmp_ne_u32_e64 s15, 0, v10
	v_cmp_eq_u64_e64 s17, 3, v[30:31]
	s_bcnt1_i32_b32 s14, s14
	v_cmp_ne_u32_e64 s18, 0, v11
	s_bcnt1_i32_b32 s10, s10
	s_bcnt1_i32_b32 s15, s15
	s_add_i32 s10, s14, s10
	v_cmp_eq_u64_e64 s21, 3, v[32:33]
	s_bcnt1_i32_b32 s18, s18
	s_add_i32 s10, s10, s15
	v_cmp_eq_u64_e64 s25, 3, v[41:42]
	s_add_i32 s10, s10, s18
	s_delay_alu instid0(SALU_CYCLE_1) | instskip(SKIP_2) | instid1(SALU_CYCLE_1)
	s_add_u32 s68, s68, s10
	s_addc_u32 s69, s69, 0
	s_and_b32 s10, s7, s11
	v_cndmask_b32_e64 v8, 0, 1, s10
	s_and_b32 s10, s8, s16
	s_delay_alu instid0(SALU_CYCLE_1) | instskip(SKIP_1) | instid1(SALU_CYCLE_1)
	v_cndmask_b32_e64 v9, 0, 1, s10
	s_and_b32 s10, s13, s20
	v_cndmask_b32_e64 v10, 0, 1, s10
	s_and_b32 s10, s9, s24
	s_delay_alu instid0(VALU_DEP_2) | instskip(SKIP_3) | instid1(VALU_DEP_4)
	v_cmp_ne_u32_e64 s11, 0, v9
	v_cndmask_b32_e64 v11, 0, 1, s10
	v_cmp_ne_u32_e64 s10, 0, v8
	v_cmp_ne_u32_e64 s14, 0, v10
	s_bcnt1_i32_b32 s11, s11
	s_delay_alu instid0(VALU_DEP_3) | instskip(NEXT) | instid1(VALU_DEP_3)
	v_cmp_ne_u32_e64 s15, 0, v11
	s_bcnt1_i32_b32 s10, s10
	s_delay_alu instid0(VALU_DEP_2) | instskip(SKIP_1) | instid1(VALU_DEP_1)
	s_bcnt1_i32_b32 s14, s14
	s_add_i32 s10, s11, s10
	s_bcnt1_i32_b32 s15, s15
	s_add_i32 s10, s10, s14
	s_delay_alu instid0(SALU_CYCLE_1) | instskip(NEXT) | instid1(SALU_CYCLE_1)
	s_add_i32 s10, s10, s15
	s_add_u32 s66, s66, s10
	s_addc_u32 s67, s67, 0
	s_and_b32 s7, s7, s12
	v_mov_b32_e32 v12, s66
	v_cndmask_b32_e64 v8, 0, 1, s7
	s_and_b32 s7, s8, s17
	v_mov_b32_e32 v13, s67
	v_cndmask_b32_e64 v9, 0, 1, s7
	s_and_b32 s7, s13, s21
	s_delay_alu instid0(SALU_CYCLE_1) | instskip(SKIP_1) | instid1(VALU_DEP_2)
	v_cndmask_b32_e64 v10, 0, 1, s7
	s_and_b32 s7, s9, s25
	v_cmp_ne_u32_e64 s8, 0, v9
	v_cndmask_b32_e64 v11, 0, 1, s7
	v_cmp_ne_u32_e64 s7, 0, v8
	v_cmp_ne_u32_e64 s9, 0, v10
	v_mov_b32_e32 v8, s70
	s_bcnt1_i32_b32 s8, s8
	v_cmp_ne_u32_e64 s10, 0, v11
	s_bcnt1_i32_b32 s7, s7
	s_bcnt1_i32_b32 s9, s9
	s_add_i32 s7, s8, s7
	v_mov_b32_e32 v10, s68
	s_bcnt1_i32_b32 s8, s10
	s_add_i32 s7, s7, s9
	v_mov_b32_e32 v9, s71
	s_add_i32 s7, s7, s8
	v_mov_b32_e32 v11, s69
	s_add_u32 s64, s64, s7
	s_addc_u32 s65, s65, 0
	s_delay_alu instid0(SALU_CYCLE_1) | instskip(SKIP_1) | instid1(SALU_CYCLE_1)
	v_dual_mov_b32 v14, s64 :: v_dual_mov_b32 v15, s65
	s_or_b32 s97, vcc_lo, s97
	s_and_not1_b32 exec_lo, exec_lo, s97
	s_cbranch_execnz .LBB159_51
; %bb.52:                               ;   in Loop: Header=BB159_12 Depth=1
	s_or_b32 exec_lo, exec_lo, s97
.LBB159_53:                             ;   in Loop: Header=BB159_12 Depth=1
	s_delay_alu instid0(SALU_CYCLE_1) | instskip(SKIP_4) | instid1(VALU_DEP_3)
	s_or_b32 exec_lo, exec_lo, s63
	v_add_co_u32 v3, vcc_lo, v3, v0
	v_add_co_ci_u32_e32 v4, vcc_lo, 0, v4, vcc_lo
	v_dual_mov_b32 v30, 0 :: v_dual_and_b32 v5, 0xffff, v5
	v_mov_b32_e32 v31, 0
	v_cmp_gt_u64_e32 vcc_lo, s[36:37], v[3:4]
	s_and_saveexec_b32 s8, vcc_lo
	s_cbranch_execz .LBB159_55
; %bb.54:                               ;   in Loop: Header=BB159_12 Depth=1
	v_mul_lo_u32 v18, v4, s30
	v_mul_lo_u32 v30, v3, s31
	v_mad_u64_u32 v[28:29], null, v3, s30, 0
	s_delay_alu instid0(VALU_DEP_1) | instskip(NEXT) | instid1(VALU_DEP_1)
	v_add3_u32 v29, v29, v30, v18
	v_lshlrev_b64 v[28:29], 3, v[28:29]
	s_delay_alu instid0(VALU_DEP_1) | instskip(NEXT) | instid1(VALU_DEP_1)
	v_add_co_u32 v28, s7, s33, v28
	v_add_co_ci_u32_e64 v29, s7, s35, v29, s7
	global_load_b64 v[30:31], v[28:29], off
.LBB159_55:                             ;   in Loop: Header=BB159_12 Depth=1
	s_or_b32 exec_lo, exec_lo, s8
	s_and_saveexec_b32 s11, vcc_lo
	s_cbranch_execz .LBB159_62
; %bb.56:                               ;   in Loop: Header=BB159_12 Depth=1
	s_and_b32 s12, s89, 0xfe
	s_mov_b32 s13, 0
	s_branch .LBB159_58
.LBB159_57:                             ;   in Loop: Header=BB159_58 Depth=2
	s_or_b32 exec_lo, exec_lo, s8
	s_waitcnt vmcnt(0)
	v_xor_b32_e32 v31, 0x80000000, v31
	s_and_b32 s9, exec_lo, vcc_lo
	s_delay_alu instid0(SALU_CYCLE_1) | instskip(NEXT) | instid1(VALU_DEP_1)
	s_or_b32 s13, s9, s13
	v_lshrrev_b64 v[32:33], s12, v[30:31]
	v_and_b32_e32 v30, v30, v22
	v_and_b32_e32 v31, v31, v23
	s_delay_alu instid0(VALU_DEP_3) | instskip(NEXT) | instid1(VALU_DEP_2)
	v_and_b32_e32 v18, 3, v32
	v_cmp_eq_u64_e64 s7, v[30:31], v[24:25]
	s_delay_alu instid0(VALU_DEP_2) | instskip(SKIP_3) | instid1(VALU_DEP_4)
	v_cmp_eq_u64_e64 s8, 0, v[18:19]
	v_cmp_eq_u64_e32 vcc_lo, 1, v[18:19]
	v_cmp_eq_u64_e64 s9, 2, v[18:19]
	v_cmp_eq_u64_e64 s10, 3, v[18:19]
	s_and_b32 s8, s7, s8
	s_delay_alu instid0(SALU_CYCLE_1) | instskip(SKIP_1) | instid1(SALU_CYCLE_1)
	v_cndmask_b32_e64 v18, 0, 1, s8
	s_and_b32 s8, s7, vcc_lo
	v_cndmask_b32_e64 v30, 0, 1, s8
	s_and_b32 s8, s7, s9
	s_delay_alu instid0(VALU_DEP_2) | instskip(SKIP_2) | instid1(SALU_CYCLE_1)
	v_cmp_ne_u32_e32 vcc_lo, 0, v18
	v_cndmask_b32_e64 v31, 0, 1, s8
	s_and_b32 s7, s7, s10
	v_cndmask_b32_e64 v32, 0, 1, s7
	v_cmp_ne_u32_e64 s7, 0, v30
	s_bcnt1_i32_b32 s10, vcc_lo
	v_cmp_ne_u32_e64 s8, 0, v31
	v_mov_b32_e32 v31, v29
	v_add_co_u32 v8, vcc_lo, v8, s10
	s_bcnt1_i32_b32 s7, s7
	v_cmp_ne_u32_e64 s9, 0, v32
	v_add_co_ci_u32_e32 v9, vcc_lo, 0, v9, vcc_lo
	v_add_co_u32 v10, vcc_lo, v10, s7
	s_bcnt1_i32_b32 s8, s8
	v_add_co_ci_u32_e32 v11, vcc_lo, 0, v11, vcc_lo
	v_add_co_u32 v12, vcc_lo, v12, s8
	s_bcnt1_i32_b32 s7, s9
	v_add_co_ci_u32_e32 v13, vcc_lo, 0, v13, vcc_lo
	v_add_co_u32 v14, vcc_lo, v14, s7
	v_add_co_ci_u32_e32 v15, vcc_lo, 0, v15, vcc_lo
	v_mov_b32_e32 v30, v28
	s_and_not1_b32 exec_lo, exec_lo, s13
	s_cbranch_execz .LBB159_61
.LBB159_58:                             ;   Parent Loop BB159_12 Depth=1
                                        ; =>  This Inner Loop Header: Depth=2
	v_add_co_u32 v3, vcc_lo, v3, v5
	v_add_co_ci_u32_e32 v4, vcc_lo, 0, v4, vcc_lo
	v_mov_b32_e32 v28, 0
	v_mov_b32_e32 v29, 0
	s_mov_b32 s8, exec_lo
	s_delay_alu instid0(VALU_DEP_3)
	v_cmp_le_u64_e32 vcc_lo, s[36:37], v[3:4]
	v_cmpx_gt_u64_e64 s[36:37], v[3:4]
	s_cbranch_execz .LBB159_57
; %bb.59:                               ;   in Loop: Header=BB159_58 Depth=2
	v_mul_lo_u32 v18, v4, s30
	v_mul_lo_u32 v32, v3, s31
	v_mad_u64_u32 v[28:29], null, v3, s30, 0
	s_delay_alu instid0(VALU_DEP_1) | instskip(NEXT) | instid1(VALU_DEP_1)
	v_add3_u32 v29, v29, v32, v18
	v_lshlrev_b64 v[28:29], 3, v[28:29]
	s_delay_alu instid0(VALU_DEP_1) | instskip(NEXT) | instid1(VALU_DEP_1)
	v_add_co_u32 v28, s7, s33, v28
	v_add_co_ci_u32_e64 v29, s7, s35, v29, s7
	global_load_b64 v[28:29], v[28:29], off
	s_branch .LBB159_57
.LBB159_60:                             ;   in Loop: Header=BB159_12 Depth=1
                                        ; implicit-def: $vgpr14_vgpr15
                                        ; implicit-def: $vgpr10_vgpr11
	s_cbranch_execnz .LBB159_63
	s_branch .LBB159_72
.LBB159_61:                             ;   in Loop: Header=BB159_12 Depth=1
	s_or_b32 exec_lo, exec_lo, s13
.LBB159_62:                             ;   in Loop: Header=BB159_12 Depth=1
	s_delay_alu instid0(SALU_CYCLE_1)
	s_or_b32 exec_lo, exec_lo, s11
	s_branch .LBB159_72
.LBB159_63:                             ;   in Loop: Header=BB159_12 Depth=1
	global_load_u16 v3, v19, s[60:61]
	v_mov_b32_e32 v8, 0
	s_mov_b64 s[64:65], 0
	s_mov_b32 s96, exec_lo
	v_mov_b32_e32 v9, 0
	s_delay_alu instid0(VALU_DEP_1)
	v_dual_mov_b32 v11, v9 :: v_dual_mov_b32 v10, v8
	v_dual_mov_b32 v13, v9 :: v_dual_mov_b32 v12, v8
	;; [unrolled: 1-line block ×3, first 2 shown]
	s_waitcnt vmcnt(0)
	v_readfirstlane_b32 s7, v3
	v_and_b32_e32 v5, 0xffff, v3
	s_delay_alu instid0(VALU_DEP_2) | instskip(NEXT) | instid1(SALU_CYCLE_1)
	s_and_b32 s7, 0xffff, s7
	s_lshl_b32 s63, s7, 2
	s_delay_alu instid0(SALU_CYCLE_1) | instskip(SKIP_1) | instid1(VALU_DEP_1)
	v_cvt_f32_u32_e32 v4, s63
	s_sub_i32 s8, 0, s63
	v_rcp_iflag_f32_e32 v4, v4
	s_waitcnt_depctr 0xfff
	v_mul_f32_e32 v4, 0x4f7ffffe, v4
	s_delay_alu instid0(VALU_DEP_1) | instskip(NEXT) | instid1(VALU_DEP_1)
	v_cvt_u32_f32_e32 v4, v4
	v_readfirstlane_b32 s7, v4
	s_delay_alu instid0(VALU_DEP_1) | instskip(NEXT) | instid1(SALU_CYCLE_1)
	s_mul_i32 s8, s8, s7
	s_mul_hi_u32 s8, s7, s8
	s_delay_alu instid0(SALU_CYCLE_1) | instskip(NEXT) | instid1(SALU_CYCLE_1)
	s_add_i32 s7, s7, s8
	s_mul_hi_u32 s7, s62, s7
	s_delay_alu instid0(SALU_CYCLE_1) | instskip(NEXT) | instid1(SALU_CYCLE_1)
	s_mul_i32 s7, s7, s63
	s_sub_i32 s7, s62, s7
	s_delay_alu instid0(SALU_CYCLE_1) | instskip(SKIP_2) | instid1(SALU_CYCLE_1)
	s_sub_i32 s8, s7, s63
	s_cmp_ge_u32 s7, s63
	s_cselect_b32 s7, s8, s7
	s_sub_i32 s8, s7, s63
	s_cmp_ge_u32 s7, s63
	s_cselect_b32 s7, s8, s7
	s_delay_alu instid0(SALU_CYCLE_1) | instskip(NEXT) | instid1(SALU_CYCLE_1)
	s_sub_i32 s58, s62, s7
	v_cmpx_gt_u32_e64 s58, v20
	s_cbranch_execz .LBB159_67
; %bb.64:                               ;   in Loop: Header=BB159_12 Depth=1
	v_dual_mov_b32 v29, v39 :: v_dual_lshlrev_b32 v28, 5, v5
	v_dual_mov_b32 v3, v20 :: v_dual_mov_b32 v4, v21
	s_and_b32 s97, s89, 0xfe
	s_mov_b32 s98, 0
	s_mov_b64 s[66:67], 0
	s_mov_b64 s[68:69], 0
	;; [unrolled: 1-line block ×3, first 2 shown]
.LBB159_65:                             ;   Parent Loop BB159_12 Depth=1
                                        ; =>  This Inner Loop Header: Depth=2
	ds_load_b128 v[8:11], v29
	ds_load_b128 v[12:15], v29 offset:16
	v_dual_mov_b32 v42, v19 :: v_dual_add_nc_u32 v29, v29, v28
	v_add_co_u32 v3, vcc_lo, v3, s63
	v_add_co_ci_u32_e32 v4, vcc_lo, 0, v4, vcc_lo
	s_delay_alu instid0(VALU_DEP_1)
	v_cmp_le_u64_e32 vcc_lo, s[58:59], v[3:4]
	s_waitcnt lgkmcnt(1)
	v_xor_b32_e32 v9, 0x80000000, v9
	v_xor_b32_e32 v11, 0x80000000, v11
	s_waitcnt lgkmcnt(0)
	v_xor_b32_e32 v13, 0x80000000, v13
	v_mov_b32_e32 v31, v19
	v_and_b32_e32 v43, v8, v22
	v_and_b32_e32 v44, v9, v23
	v_lshrrev_b64 v[8:9], s97, v[8:9]
	v_xor_b32_e32 v15, 0x80000000, v15
	v_and_b32_e32 v45, v10, v22
	v_lshrrev_b64 v[9:10], s97, v[10:11]
	v_and_b32_e32 v46, v11, v23
	v_lshrrev_b64 v[10:11], s97, v[12:13]
	;; [unrolled: 2-line block ×3, first 2 shown]
	v_and_b32_e32 v18, 3, v8
	v_dual_mov_b32 v33, v19 :: v_dual_and_b32 v30, 3, v9
	v_and_b32_e32 v48, v13, v23
	v_and_b32_e32 v32, 3, v10
	v_cmp_eq_u64_e64 s7, v[43:44], v[24:25]
	v_cmp_eq_u64_e64 s11, 0, v[18:19]
	v_and_b32_e32 v49, v14, v22
	v_and_b32_e32 v50, v15, v23
	;; [unrolled: 1-line block ×3, first 2 shown]
	v_cmp_eq_u64_e64 s8, v[45:46], v[24:25]
	v_cmp_eq_u64_e64 s12, 0, v[30:31]
	;; [unrolled: 1-line block ×6, first 2 shown]
	s_and_b32 s11, s7, s11
	v_cmp_eq_u64_e64 s15, 1, v[18:19]
	v_cndmask_b32_e64 v8, 0, 1, s11
	s_and_b32 s11, s8, s12
	v_cmp_eq_u64_e64 s16, 1, v[30:31]
	v_cndmask_b32_e64 v9, 0, 1, s11
	;; [unrolled: 3-line block ×3, first 2 shown]
	s_and_b32 s11, s10, s14
	v_cmp_ne_u32_e64 s12, 0, v9
	v_cndmask_b32_e64 v11, 0, 1, s11
	v_cmp_ne_u32_e64 s11, 0, v8
	v_cmp_ne_u32_e64 s13, 0, v10
	v_cmp_eq_u64_e64 s18, 1, v[41:42]
	s_bcnt1_i32_b32 s12, s12
	v_cmp_ne_u32_e64 s14, 0, v11
	s_bcnt1_i32_b32 s11, s11
	s_bcnt1_i32_b32 s13, s13
	s_add_i32 s11, s12, s11
	v_cmp_eq_u64_e64 s19, 2, v[18:19]
	s_bcnt1_i32_b32 s14, s14
	s_add_i32 s11, s11, s13
	v_cmp_eq_u64_e64 s20, 2, v[30:31]
	s_add_i32 s11, s11, s14
	v_cmp_eq_u64_e64 s21, 2, v[32:33]
	s_add_u32 s70, s70, s11
	s_addc_u32 s71, s71, 0
	s_and_b32 s11, s7, s15
	v_cmp_eq_u64_e64 s22, 2, v[41:42]
	v_cndmask_b32_e64 v8, 0, 1, s11
	s_and_b32 s11, s8, s16
	v_cmp_eq_u64_e64 s24, 3, v[30:31]
	v_cndmask_b32_e64 v9, 0, 1, s11
	;; [unrolled: 3-line block ×3, first 2 shown]
	s_and_b32 s11, s10, s18
	v_cmp_ne_u32_e64 s12, 0, v9
	v_cndmask_b32_e64 v11, 0, 1, s11
	v_cmp_ne_u32_e64 s11, 0, v8
	v_cmp_ne_u32_e64 s13, 0, v10
	v_cmp_eq_u64_e64 s26, 3, v[41:42]
	s_bcnt1_i32_b32 s12, s12
	v_cmp_ne_u32_e64 s14, 0, v11
	s_bcnt1_i32_b32 s11, s11
	s_bcnt1_i32_b32 s13, s13
	s_add_i32 s11, s12, s11
	s_delay_alu instid0(VALU_DEP_1) | instskip(SKIP_1) | instid1(SALU_CYCLE_1)
	s_bcnt1_i32_b32 s14, s14
	s_add_i32 s11, s11, s13
	s_add_i32 s11, s11, s14
	s_delay_alu instid0(SALU_CYCLE_1) | instskip(SKIP_2) | instid1(SALU_CYCLE_1)
	s_add_u32 s68, s68, s11
	s_addc_u32 s69, s69, 0
	s_and_b32 s11, s7, s19
	v_cndmask_b32_e64 v8, 0, 1, s11
	s_and_b32 s11, s8, s20
	s_delay_alu instid0(SALU_CYCLE_1) | instskip(SKIP_1) | instid1(SALU_CYCLE_1)
	v_cndmask_b32_e64 v9, 0, 1, s11
	s_and_b32 s11, s9, s21
	v_cndmask_b32_e64 v10, 0, 1, s11
	s_and_b32 s11, s10, s22
	s_delay_alu instid0(VALU_DEP_2) | instskip(SKIP_3) | instid1(VALU_DEP_4)
	v_cmp_ne_u32_e64 s12, 0, v9
	v_cndmask_b32_e64 v11, 0, 1, s11
	v_cmp_ne_u32_e64 s11, 0, v8
	v_cmp_ne_u32_e64 s13, 0, v10
	s_bcnt1_i32_b32 s12, s12
	s_delay_alu instid0(VALU_DEP_3) | instskip(NEXT) | instid1(VALU_DEP_3)
	v_cmp_ne_u32_e64 s14, 0, v11
	s_bcnt1_i32_b32 s11, s11
	s_delay_alu instid0(VALU_DEP_2) | instskip(SKIP_1) | instid1(VALU_DEP_1)
	s_bcnt1_i32_b32 s13, s13
	s_add_i32 s11, s12, s11
	s_bcnt1_i32_b32 s14, s14
	s_add_i32 s11, s11, s13
	s_delay_alu instid0(SALU_CYCLE_1) | instskip(NEXT) | instid1(SALU_CYCLE_1)
	s_add_i32 s11, s11, s14
	s_add_u32 s66, s66, s11
	s_addc_u32 s67, s67, 0
	s_delay_alu instid0(SALU_CYCLE_1) | instskip(SKIP_1) | instid1(VALU_DEP_1)
	v_dual_mov_b32 v12, s66 :: v_dual_mov_b32 v13, s67
	v_cmp_eq_u64_e64 s23, 3, v[18:19]
	s_and_b32 s7, s7, s23
	s_delay_alu instid0(SALU_CYCLE_1) | instskip(SKIP_1) | instid1(SALU_CYCLE_1)
	v_cndmask_b32_e64 v8, 0, 1, s7
	s_and_b32 s7, s8, s24
	v_cndmask_b32_e64 v9, 0, 1, s7
	s_and_b32 s7, s9, s25
	s_delay_alu instid0(SALU_CYCLE_1) | instskip(SKIP_1) | instid1(VALU_DEP_2)
	v_cndmask_b32_e64 v10, 0, 1, s7
	s_and_b32 s7, s10, s26
	v_cmp_ne_u32_e64 s8, 0, v9
	v_cndmask_b32_e64 v11, 0, 1, s7
	v_cmp_ne_u32_e64 s7, 0, v8
	v_cmp_ne_u32_e64 s9, 0, v10
	v_mov_b32_e32 v8, s70
	s_bcnt1_i32_b32 s8, s8
	v_cmp_ne_u32_e64 s10, 0, v11
	s_bcnt1_i32_b32 s7, s7
	s_bcnt1_i32_b32 s9, s9
	s_add_i32 s7, s8, s7
	v_dual_mov_b32 v10, s68 :: v_dual_mov_b32 v11, s69
	s_bcnt1_i32_b32 s8, s10
	s_add_i32 s7, s7, s9
	v_mov_b32_e32 v9, s71
	s_add_i32 s7, s7, s8
	s_delay_alu instid0(SALU_CYCLE_1) | instskip(SKIP_1) | instid1(SALU_CYCLE_1)
	s_add_u32 s64, s64, s7
	s_addc_u32 s65, s65, 0
	v_dual_mov_b32 v14, s64 :: v_dual_mov_b32 v15, s65
	s_or_b32 s98, vcc_lo, s98
	s_delay_alu instid0(SALU_CYCLE_1)
	s_and_not1_b32 exec_lo, exec_lo, s98
	s_cbranch_execnz .LBB159_65
; %bb.66:                               ;   in Loop: Header=BB159_12 Depth=1
	s_or_b32 exec_lo, exec_lo, s98
.LBB159_67:                             ;   in Loop: Header=BB159_12 Depth=1
	s_delay_alu instid0(SALU_CYCLE_1) | instskip(SKIP_2) | instid1(VALU_DEP_1)
	s_or_b32 exec_lo, exec_lo, s96
	v_add_nc_u32_e32 v18, s58, v0
	s_mov_b32 s14, exec_lo
	v_cmpx_gt_u32_e64 s62, v18
	s_cbranch_execz .LBB159_71
; %bb.68:                               ;   in Loop: Header=BB159_12 Depth=1
	v_dual_mov_b32 v3, v18 :: v_dual_lshlrev_b32 v28, 3, v18
	v_dual_mov_b32 v4, v19 :: v_dual_lshlrev_b32 v29, 3, v5
	s_mov_b32 s13, 0
	s_and_b32 s12, s62, 0x7fffffff
	s_and_b32 s16, s89, 0xfe
	s_mov_b32 s15, s13
.LBB159_69:                             ;   Parent Loop BB159_12 Depth=1
                                        ; =>  This Inner Loop Header: Depth=2
	ds_load_b64 v[30:31], v28
	v_add_co_u32 v3, vcc_lo, v3, v5
	v_add_co_ci_u32_e32 v4, vcc_lo, 0, v4, vcc_lo
	v_add_nc_u32_e32 v28, v28, v29
	s_delay_alu instid0(VALU_DEP_2) | instskip(SKIP_3) | instid1(VALU_DEP_2)
	v_cmp_le_u64_e32 vcc_lo, s[12:13], v[3:4]
	s_waitcnt lgkmcnt(0)
	v_xor_b32_e32 v31, 0x80000000, v31
	v_and_b32_e32 v32, v30, v22
	v_and_b32_e32 v33, v31, v23
	v_lshrrev_b64 v[30:31], s16, v[30:31]
	s_delay_alu instid0(VALU_DEP_2) | instskip(NEXT) | instid1(VALU_DEP_2)
	v_cmp_eq_u64_e64 s7, v[32:33], v[24:25]
	v_and_b32_e32 v18, 3, v30
	s_delay_alu instid0(VALU_DEP_1) | instskip(SKIP_3) | instid1(VALU_DEP_4)
	v_cmp_eq_u64_e64 s8, 0, v[18:19]
	v_cmp_eq_u64_e64 s9, 1, v[18:19]
	;; [unrolled: 1-line block ×4, first 2 shown]
	s_and_b32 s8, s7, s8
	s_delay_alu instid0(SALU_CYCLE_1) | instskip(NEXT) | instid1(VALU_DEP_4)
	v_cndmask_b32_e64 v18, 0, 1, s8
	s_and_b32 s8, s7, s9
	s_delay_alu instid0(SALU_CYCLE_1)
	v_cndmask_b32_e64 v30, 0, 1, s8
	s_and_b32 s8, s7, s10
	s_and_b32 s7, s7, s11
	v_cndmask_b32_e64 v31, 0, 1, s8
	v_cndmask_b32_e64 v32, 0, 1, s7
	v_cmp_ne_u32_e64 s7, 0, v18
	v_cmp_ne_u32_e64 s8, 0, v30
	s_delay_alu instid0(VALU_DEP_4) | instskip(NEXT) | instid1(VALU_DEP_4)
	v_cmp_ne_u32_e64 s9, 0, v31
	v_cmp_ne_u32_e64 s10, 0, v32
	s_delay_alu instid0(VALU_DEP_4) | instskip(NEXT) | instid1(VALU_DEP_3)
	s_bcnt1_i32_b32 s7, s7
	s_bcnt1_i32_b32 s8, s8
	v_add_co_u32 v8, s7, v8, s7
	s_delay_alu instid0(VALU_DEP_1)
	v_add_co_ci_u32_e64 v9, s7, 0, v9, s7
	v_add_co_u32 v10, s7, v10, s8
	s_bcnt1_i32_b32 s9, s9
	v_add_co_ci_u32_e64 v11, s7, 0, v11, s7
	v_add_co_u32 v12, s7, v12, s9
	s_bcnt1_i32_b32 s10, s10
	v_add_co_ci_u32_e64 v13, s7, 0, v13, s7
	v_add_co_u32 v14, s7, v14, s10
	s_delay_alu instid0(VALU_DEP_1) | instskip(SKIP_1) | instid1(SALU_CYCLE_1)
	v_add_co_ci_u32_e64 v15, s7, 0, v15, s7
	s_or_b32 s15, vcc_lo, s15
	s_and_not1_b32 exec_lo, exec_lo, s15
	s_cbranch_execnz .LBB159_69
; %bb.70:                               ;   in Loop: Header=BB159_12 Depth=1
	s_or_b32 exec_lo, exec_lo, s15
.LBB159_71:                             ;   in Loop: Header=BB159_12 Depth=1
	s_delay_alu instid0(SALU_CYCLE_1)
	s_or_b32 exec_lo, exec_lo, s14
.LBB159_72:                             ;   in Loop: Header=BB159_12 Depth=1
	s_lshl_b32 s7, s85, 7
	s_and_saveexec_b32 s8, s2
	s_cbranch_execz .LBB159_74
; %bb.73:                               ;   in Loop: Header=BB159_12 Depth=1
	v_or_b32_e32 v3, s7, v36
	s_delay_alu instid0(VALU_DEP_1)
	v_lshlrev_b32_e32 v3, 3, v3
	ds_store_b128 v3, v[8:11] offset:3072
	ds_store_b128 v3, v[12:15] offset:3088
.LBB159_74:                             ;   in Loop: Header=BB159_12 Depth=1
	s_or_b32 exec_lo, exec_lo, s8
	s_waitcnt vmcnt(0) lgkmcnt(0)
	s_barrier
	buffer_gl0_inv
	s_and_saveexec_b32 s8, s72
	s_cbranch_execz .LBB159_85
; %bb.75:                               ;   in Loop: Header=BB159_12 Depth=1
	v_mov_b32_e32 v3, 0
	v_mov_b32_e32 v4, 0
	s_and_not1_b32 vcc_lo, exec_lo, s80
	s_cbranch_vccnz .LBB159_84
; %bb.76:                               ;   in Loop: Header=BB159_12 Depth=1
	v_mov_b32_e32 v3, 0
	v_mov_b32_e32 v4, 0
	s_and_not1_b32 vcc_lo, exec_lo, s78
	s_cbranch_vccnz .LBB159_81
; %bb.77:                               ;   in Loop: Header=BB159_12 Depth=1
	v_lshl_add_u32 v5, s85, 10, v40
	s_mov_b32 s9, 0
	s_set_inst_prefetch_distance 0x1
	.p2align	6
.LBB159_78:                             ;   Parent Loop BB159_12 Depth=1
                                        ; =>  This Inner Loop Header: Depth=2
	ds_load_2addr_b64 v[8:11], v5 offset1:4
	ds_load_2addr_b64 v[12:15], v5 offset0:8 offset1:12
	ds_load_2addr_b64 v[28:31], v5 offset0:16 offset1:20
	s_add_i32 s9, s9, 8
	s_delay_alu instid0(SALU_CYCLE_1) | instskip(SKIP_3) | instid1(VALU_DEP_2)
	s_cmp_eq_u32 s79, s9
	s_waitcnt lgkmcnt(2)
	v_add_co_u32 v3, vcc_lo, v8, v3
	v_add_co_ci_u32_e32 v4, vcc_lo, v9, v4, vcc_lo
	v_add_co_u32 v3, vcc_lo, v10, v3
	s_delay_alu instid0(VALU_DEP_2)
	v_add_co_ci_u32_e32 v4, vcc_lo, v11, v4, vcc_lo
	ds_load_2addr_b64 v[8:11], v5 offset0:24 offset1:28
	s_waitcnt lgkmcnt(2)
	v_add_co_u32 v3, vcc_lo, v12, v3
	v_add_co_ci_u32_e32 v4, vcc_lo, v13, v4, vcc_lo
	v_add_nc_u32_e32 v5, 0x100, v5
	s_delay_alu instid0(VALU_DEP_3) | instskip(NEXT) | instid1(VALU_DEP_3)
	v_add_co_u32 v3, vcc_lo, v14, v3
	v_add_co_ci_u32_e32 v4, vcc_lo, v15, v4, vcc_lo
	s_waitcnt lgkmcnt(1)
	s_delay_alu instid0(VALU_DEP_2) | instskip(NEXT) | instid1(VALU_DEP_2)
	v_add_co_u32 v3, vcc_lo, v28, v3
	v_add_co_ci_u32_e32 v4, vcc_lo, v29, v4, vcc_lo
	s_delay_alu instid0(VALU_DEP_2) | instskip(NEXT) | instid1(VALU_DEP_2)
	v_add_co_u32 v3, vcc_lo, v30, v3
	v_add_co_ci_u32_e32 v4, vcc_lo, v31, v4, vcc_lo
	s_waitcnt lgkmcnt(0)
	s_delay_alu instid0(VALU_DEP_2) | instskip(NEXT) | instid1(VALU_DEP_2)
	v_add_co_u32 v3, vcc_lo, v8, v3
	v_add_co_ci_u32_e32 v4, vcc_lo, v9, v4, vcc_lo
	s_delay_alu instid0(VALU_DEP_2) | instskip(NEXT) | instid1(VALU_DEP_2)
	v_add_co_u32 v3, vcc_lo, v10, v3
	v_add_co_ci_u32_e32 v4, vcc_lo, v11, v4, vcc_lo
	s_cbranch_scc0 .LBB159_78
; %bb.79:                               ;   in Loop: Header=BB159_12 Depth=1
	s_set_inst_prefetch_distance 0x2
	s_mov_b32 s9, s79
	s_and_not1_b32 vcc_lo, exec_lo, s81
	s_cbranch_vccz .LBB159_82
	s_branch .LBB159_84
.LBB159_80:                             ;   in Loop: Header=BB159_12 Depth=1
                                        ; implicit-def: $vgpr3_vgpr4
	s_branch .LBB159_48
.LBB159_81:                             ;   in Loop: Header=BB159_12 Depth=1
	s_mov_b32 s9, 0
	s_and_not1_b32 vcc_lo, exec_lo, s81
	s_cbranch_vccnz .LBB159_84
.LBB159_82:                             ;   in Loop: Header=BB159_12 Depth=1
	s_lshl_b32 s10, s85, 10
	s_lshl_b32 s9, s9, 5
	s_delay_alu instid0(SALU_CYCLE_1)
	v_add3_u32 v5, s10, s9, v40
	s_mov_b32 s9, s77
.LBB159_83:                             ;   Parent Loop BB159_12 Depth=1
                                        ; =>  This Inner Loop Header: Depth=2
	ds_load_b64 v[8:9], v5
	v_add_nc_u32_e32 v5, 32, v5
	s_add_i32 s9, s9, -1
	s_delay_alu instid0(SALU_CYCLE_1)
	s_cmp_lg_u32 s9, 0
	s_waitcnt lgkmcnt(0)
	v_add_co_u32 v3, vcc_lo, v8, v3
	v_add_co_ci_u32_e32 v4, vcc_lo, v9, v4, vcc_lo
	s_cbranch_scc1 .LBB159_83
.LBB159_84:                             ;   in Loop: Header=BB159_12 Depth=1
	v_add_lshl_u32 v5, s7, v35, 3
	ds_store_b64 v5, v[3:4] offset:3072
.LBB159_85:                             ;   in Loop: Header=BB159_12 Depth=1
	s_or_b32 exec_lo, exec_lo, s8
	s_lshl_b32 s7, s7, 3
	s_waitcnt lgkmcnt(0)
	v_mov_b32_e32 v3, s7
	s_barrier
	buffer_gl0_inv
	s_and_b32 s24, s89, 0xfe
	v_cmp_eq_u64_e64 s7, 1, v[26:27]
	ds_load_b128 v[8:11], v3 offset:3072
	ds_load_b128 v[12:15], v3 offset:3088
	s_lshl_b64 s[12:13], 3, s24
	s_mov_b32 s62, 0
	s_and_not1_b32 vcc_lo, exec_lo, s53
	s_not_b64 s[14:15], s[12:13]
	s_waitcnt lgkmcnt(1)
	v_readfirstlane_b32 s11, v9
	v_readfirstlane_b32 s10, v8
	v_readfirstlane_b32 s17, v11
	v_readfirstlane_b32 s16, v10
	s_waitcnt lgkmcnt(0)
	v_readfirstlane_b32 s19, v13
	v_readfirstlane_b32 s18, v12
	;; [unrolled: 1-line block ×4, first 2 shown]
	s_cbranch_vccnz .LBB159_101
; %bb.86:                               ;   in Loop: Header=BB159_12 Depth=1
	s_cmp_eq_u64 s[10:11], 1
	v_dual_mov_b32 v12, v24 :: v_dual_mov_b32 v13, v25
	v_dual_mov_b32 v14, v22 :: v_dual_mov_b32 v15, v23
	;; [unrolled: 1-line block ×3, first 2 shown]
	s_cselect_b32 s8, -1, 0
                                        ; implicit-def: $sgpr25
                                        ; implicit-def: $sgpr64
                                        ; implicit-def: $sgpr63
	s_delay_alu instid0(SALU_CYCLE_1)
	s_and_b32 s67, s8, s7
	s_mov_b32 s8, -1
	s_and_saveexec_b32 s58, s67
	s_cbranch_execz .LBB159_120
; %bb.87:                               ;   in Loop: Header=BB159_12 Depth=1
	ds_load_b64 v[3:4], v19 offset:5120
	s_waitcnt lgkmcnt(0)
	s_barrier
	buffer_gl0_inv
	v_readfirstlane_b32 s22, v3
	v_readfirstlane_b32 s23, v4
	s_and_saveexec_b32 s8, s6
	s_cbranch_execz .LBB159_89
; %bb.88:                               ;   in Loop: Header=BB159_12 Depth=1
	v_mov_b32_e32 v18, v19
	ds_store_b64 v38, v[18:19]
.LBB159_89:                             ;   in Loop: Header=BB159_12 Depth=1
	s_or_b32 exec_lo, exec_lo, s8
	v_and_b32_e32 v13, s15, v25
	v_and_b32_e32 v12, s14, v24
	v_or_b32_e32 v15, s13, v23
	v_or_b32_e32 v14, s12, v22
	s_cmp_eq_u64 s[22:23], 0
	s_waitcnt lgkmcnt(0)
	s_barrier
	buffer_gl0_inv
	s_cbranch_scc1 .LBB159_103
; %bb.90:                               ;   in Loop: Header=BB159_12 Depth=1
	s_add_u32 s25, s74, s22
	s_addc_u32 s9, s75, s23
	s_mov_b32 s8, s59
	s_delay_alu instid0(SALU_CYCLE_1)
	s_cmp_lg_u64 s[8:9], 0
	s_cbranch_scc0 .LBB159_147
; %bb.91:                               ;   in Loop: Header=BB159_12 Depth=1
	v_cvt_f32_u32_e32 v3, s49
	s_sub_u32 s54, 0, s49
	s_subb_u32 s55, 0, 0
	s_delay_alu instid0(VALU_DEP_1) | instskip(NEXT) | instid1(VALU_DEP_1)
	v_fmac_f32_e64 v3, 0, 0x4f800000
	v_rcp_f32_e32 v3, v3
	s_waitcnt_depctr 0xfff
	v_mul_f32_e32 v3, 0x5f7ffffc, v3
	s_delay_alu instid0(VALU_DEP_1) | instskip(NEXT) | instid1(VALU_DEP_1)
	v_mul_f32_e32 v4, 0x2f800000, v3
	v_trunc_f32_e32 v4, v4
	s_delay_alu instid0(VALU_DEP_1) | instskip(SKIP_1) | instid1(VALU_DEP_2)
	v_fmac_f32_e32 v3, 0xcf800000, v4
	v_cvt_u32_f32_e32 v4, v4
	v_cvt_u32_f32_e32 v3, v3
	s_delay_alu instid0(VALU_DEP_2) | instskip(NEXT) | instid1(VALU_DEP_2)
	v_readfirstlane_b32 s8, v4
	v_readfirstlane_b32 s26, v3
	s_delay_alu instid0(VALU_DEP_2) | instskip(NEXT) | instid1(VALU_DEP_1)
	s_mul_i32 s56, s54, s8
	s_mul_hi_u32 s62, s54, s26
	s_mul_i32 s57, s55, s26
	s_add_i32 s56, s62, s56
	s_mul_i32 s63, s54, s26
	s_add_i32 s56, s56, s57
	s_mul_hi_u32 s62, s26, s63
	s_mul_hi_u32 s64, s8, s63
	s_mul_i32 s57, s8, s63
	s_mul_hi_u32 s63, s26, s56
	s_mul_i32 s26, s26, s56
	s_mul_hi_u32 s65, s8, s56
	s_add_u32 s26, s62, s26
	s_addc_u32 s62, 0, s63
	s_add_u32 s26, s26, s57
	s_mul_i32 s56, s8, s56
	s_addc_u32 s26, s62, s64
	s_addc_u32 s57, s65, 0
	s_add_u32 s26, s26, s56
	s_addc_u32 s56, 0, s57
	v_add_co_u32 v3, s26, v3, s26
	s_delay_alu instid0(VALU_DEP_1) | instskip(SKIP_1) | instid1(VALU_DEP_1)
	s_cmp_lg_u32 s26, 0
	s_addc_u32 s8, s8, s56
	v_readfirstlane_b32 s26, v3
	s_mul_i32 s56, s54, s8
	s_delay_alu instid0(VALU_DEP_1)
	s_mul_hi_u32 s57, s54, s26
	s_mul_i32 s55, s55, s26
	s_add_i32 s56, s57, s56
	s_mul_i32 s54, s54, s26
	s_add_i32 s56, s56, s55
	s_mul_hi_u32 s57, s8, s54
	s_mul_i32 s62, s8, s54
	s_mul_hi_u32 s54, s26, s54
	s_mul_hi_u32 s63, s26, s56
	s_mul_i32 s26, s26, s56
	s_mul_hi_u32 s55, s8, s56
	s_add_u32 s26, s54, s26
	s_addc_u32 s54, 0, s63
	s_add_u32 s26, s26, s62
	s_mul_i32 s56, s8, s56
	s_addc_u32 s26, s54, s57
	s_addc_u32 s54, s55, 0
	s_add_u32 s26, s26, s56
	s_addc_u32 s54, 0, s54
	v_add_co_u32 v3, s26, v3, s26
	s_delay_alu instid0(VALU_DEP_1) | instskip(SKIP_1) | instid1(VALU_DEP_1)
	s_cmp_lg_u32 s26, 0
	s_addc_u32 s8, s8, s54
	v_readfirstlane_b32 s26, v3
	s_mul_i32 s55, s25, s8
	s_mul_hi_u32 s54, s25, s8
	s_mul_hi_u32 s56, s9, s8
	s_mul_i32 s8, s9, s8
	s_mul_hi_u32 s57, s25, s26
	s_mul_hi_u32 s62, s9, s26
	s_mul_i32 s26, s9, s26
	s_add_u32 s55, s57, s55
	s_addc_u32 s54, 0, s54
	s_add_u32 s26, s55, s26
	s_addc_u32 s26, s54, s62
	s_addc_u32 s54, s56, 0
	s_add_u32 s8, s26, s8
	s_addc_u32 s26, 0, s54
	s_mul_hi_u32 s54, s49, s8
	s_mul_i32 s8, s49, s8
	s_mul_i32 s26, s49, s26
	v_sub_co_u32 v3, s8, s25, s8
	s_add_i32 s54, s54, s26
	s_cmp_lg_u32 s8, 0
	s_delay_alu instid0(VALU_DEP_1) | instskip(SKIP_2) | instid1(VALU_DEP_1)
	v_sub_co_u32 v4, s8, v3, s49
	s_subb_u32 s26, s9, s54
	s_cmp_lg_u32 s8, 0
	v_cmp_le_u32_e32 vcc_lo, s49, v4
	v_sub_co_u32 v5, s8, v4, s49
	s_subb_u32 s54, s26, 0
	s_cmp_lg_u32 s8, 0
	v_cndmask_b32_e64 v8, 0, -1, vcc_lo
	s_subb_u32 s8, s54, 0
	s_cmp_eq_u32 s54, 0
	v_mov_b32_e32 v10, s8
	s_cselect_b32 vcc_lo, -1, 0
	s_cmp_eq_u32 s26, 0
	v_cndmask_b32_e32 v8, -1, v8, vcc_lo
	v_cmp_le_u32_e32 vcc_lo, s49, v3
	s_cselect_b32 s8, -1, 0
	v_cndmask_b32_e64 v9, 0, -1, vcc_lo
	s_delay_alu instid0(VALU_DEP_3) | instskip(NEXT) | instid1(VALU_DEP_2)
	v_cmp_ne_u32_e32 vcc_lo, 0, v8
	v_cndmask_b32_e64 v8, -1, v9, s8
	v_cndmask_b32_e32 v9, s54, v10, vcc_lo
	v_cndmask_b32_e32 v5, v4, v5, vcc_lo
	s_delay_alu instid0(VALU_DEP_3) | instskip(NEXT) | instid1(VALU_DEP_3)
	v_cmp_ne_u32_e32 vcc_lo, 0, v8
	v_cndmask_b32_e32 v4, s26, v9, vcc_lo
	s_delay_alu instid0(VALU_DEP_3)
	v_cndmask_b32_e32 v3, v3, v5, vcc_lo
	s_cbranch_execnz .LBB159_93
.LBB159_92:                             ;   in Loop: Header=BB159_12 Depth=1
	v_cvt_f32_u32_e32 v3, s49
	s_sub_i32 s8, 0, s49
	s_delay_alu instid0(VALU_DEP_1) | instskip(SKIP_2) | instid1(VALU_DEP_1)
	v_rcp_iflag_f32_e32 v3, v3
	s_waitcnt_depctr 0xfff
	v_mul_f32_e32 v3, 0x4f7ffffe, v3
	v_cvt_u32_f32_e32 v3, v3
	s_delay_alu instid0(VALU_DEP_1) | instskip(NEXT) | instid1(VALU_DEP_1)
	v_mul_lo_u32 v4, s8, v3
	v_mul_hi_u32 v4, v3, v4
	s_delay_alu instid0(VALU_DEP_1) | instskip(NEXT) | instid1(VALU_DEP_1)
	v_add_nc_u32_e32 v3, v3, v4
	v_mul_hi_u32 v3, s25, v3
	s_delay_alu instid0(VALU_DEP_1) | instskip(NEXT) | instid1(VALU_DEP_1)
	v_mul_lo_u32 v3, v3, s49
	v_sub_nc_u32_e32 v3, s25, v3
	s_delay_alu instid0(VALU_DEP_1) | instskip(SKIP_1) | instid1(VALU_DEP_2)
	v_subrev_nc_u32_e32 v4, s49, v3
	v_cmp_le_u32_e32 vcc_lo, s49, v3
	v_cndmask_b32_e32 v3, v3, v4, vcc_lo
	s_delay_alu instid0(VALU_DEP_1) | instskip(SKIP_1) | instid1(VALU_DEP_2)
	v_subrev_nc_u32_e32 v4, s49, v3
	v_cmp_le_u32_e32 vcc_lo, s49, v3
	v_cndmask_b32_e32 v18, v3, v4, vcc_lo
	s_delay_alu instid0(VALU_DEP_1)
	v_dual_mov_b32 v3, v18 :: v_dual_mov_b32 v4, v19
.LBB159_93:                             ;   in Loop: Header=BB159_12 Depth=1
	s_delay_alu instid0(VALU_DEP_1) | instskip(NEXT) | instid1(VALU_DEP_2)
	v_sub_co_u32 v28, vcc_lo, s25, v3
	v_sub_co_ci_u32_e32 v29, vcc_lo, s9, v4, vcc_lo
	s_mov_b32 s26, 0
	s_mov_b32 s8, exec_lo
                                        ; implicit-def: $vgpr10_vgpr11
	s_delay_alu instid0(VALU_DEP_1)
	v_cmpx_gt_u64_e64 v[28:29], v[0:1]
	s_cbranch_execz .LBB159_105
; %bb.94:                               ;   in Loop: Header=BB159_12 Depth=1
	v_mov_b32_e32 v18, v37
	v_dual_mov_b32 v31, v1 :: v_dual_mov_b32 v30, v0
	s_mov_b32 s25, 0
                                        ; implicit-def: $sgpr9
	s_set_inst_prefetch_distance 0x1
	s_branch .LBB159_96
	.p2align	6
.LBB159_95:                             ;   in Loop: Header=BB159_96 Depth=2
	s_or_b32 exec_lo, exec_lo, s26
	s_waitcnt lgkmcnt(0)
	s_barrier
	buffer_gl0_inv
	ds_load_b128 v[8:11], v19 offset:3072
	v_add_co_u32 v30, vcc_lo, v30, s49
	v_add_co_ci_u32_e32 v31, vcc_lo, 0, v31, vcc_lo
	v_add_nc_u32_e32 v18, s82, v18
	s_waitcnt lgkmcnt(0)
	s_barrier
	s_delay_alu instid0(VALU_DEP_2) | instskip(SKIP_3) | instid1(VALU_DEP_1)
	v_cmp_ge_u64_e32 vcc_lo, v[30:31], v[28:29]
	buffer_gl0_inv
	v_readfirstlane_b32 s63, v9
	v_readfirstlane_b32 s62, v8
	s_cmp_lg_u64 s[62:63], 0
	s_cselect_b32 s26, -1, 0
	s_delay_alu instid0(SALU_CYCLE_1) | instskip(NEXT) | instid1(SALU_CYCLE_1)
	s_or_b32 s54, vcc_lo, s26
	s_and_b32 s54, exec_lo, s54
	s_delay_alu instid0(SALU_CYCLE_1) | instskip(SKIP_2) | instid1(SALU_CYCLE_1)
	s_or_b32 s25, s54, s25
	s_and_not1_b32 s9, s9, exec_lo
	s_and_b32 s26, s26, exec_lo
	s_or_b32 s9, s9, s26
	s_and_not1_b32 exec_lo, exec_lo, s25
	s_cbranch_execz .LBB159_104
.LBB159_96:                             ;   Parent Loop BB159_12 Depth=1
                                        ; =>  This Inner Loop Header: Depth=2
	s_delay_alu instid0(VALU_DEP_1)
	v_cmp_gt_u64_e32 vcc_lo, s[22:23], v[30:31]
	v_mov_b32_e32 v4, 0
	v_mov_b32_e32 v5, 0
	s_and_saveexec_b32 s26, vcc_lo
	s_cbranch_execz .LBB159_98
; %bb.97:                               ;   in Loop: Header=BB159_96 Depth=2
	ds_load_b64 v[4:5], v18
.LBB159_98:                             ;   in Loop: Header=BB159_96 Depth=2
	s_or_b32 exec_lo, exec_lo, s26
	s_and_saveexec_b32 s26, vcc_lo
	s_cbranch_execz .LBB159_95
; %bb.99:                               ;   in Loop: Header=BB159_96 Depth=2
	s_waitcnt lgkmcnt(0)
	v_xor_b32_e32 v3, 0x80000000, v5
	v_and_b32_e32 v8, v4, v14
	s_delay_alu instid0(VALU_DEP_2) | instskip(NEXT) | instid1(VALU_DEP_1)
	v_and_b32_e32 v9, v3, v15
	v_cmp_eq_u64_e32 vcc_lo, v[8:9], v[12:13]
	s_and_b32 exec_lo, exec_lo, vcc_lo
	s_cbranch_execz .LBB159_95
; %bb.100:                              ;   in Loop: Header=BB159_96 Depth=2
	v_mov_b32_e32 v3, v19
	ds_store_b128 v19, v[2:5] offset:3072
	s_branch .LBB159_95
.LBB159_101:                            ;   in Loop: Header=BB159_12 Depth=1
	s_mov_b32 s58, 0
                                        ; implicit-def: $sgpr63
                                        ; implicit-def: $sgpr64
                                        ; implicit-def: $sgpr25
                                        ; implicit-def: $vgpr5
                                        ; implicit-def: $vgpr28_vgpr29
                                        ; implicit-def: $vgpr12_vgpr13
                                        ; implicit-def: $vgpr14_vgpr15
                                        ; implicit-def: $vgpr10_vgpr11
	s_cbranch_execnz .LBB159_284
.LBB159_102:                            ;   in Loop: Header=BB159_12 Depth=1
	s_mov_b32 s22, s25
	s_mov_b32 s23, s25
	s_and_saveexec_b32 s7, s62
	s_cbranch_execnz .LBB159_480
	s_branch .LBB159_481
.LBB159_103:                            ;   in Loop: Header=BB159_12 Depth=1
	s_mov_b32 s25, -1
	s_mov_b32 s26, 0
                                        ; implicit-def: $sgpr63
                                        ; implicit-def: $vgpr10_vgpr11
	s_mov_b32 s64, s25
	s_cbranch_execnz .LBB159_106
	s_branch .LBB159_119
.LBB159_104:                            ;   in Loop: Header=BB159_12 Depth=1
	s_set_inst_prefetch_distance 0x2
	s_or_b32 exec_lo, exec_lo, s25
	s_delay_alu instid0(SALU_CYCLE_1)
	s_and_b32 s26, s9, exec_lo
.LBB159_105:                            ;   in Loop: Header=BB159_12 Depth=1
	s_or_b32 exec_lo, exec_lo, s8
	s_mov_b32 s63, -1
	s_mov_b32 s25, 0
	s_delay_alu instid0(SALU_CYCLE_1)
	s_mov_b32 s64, s25
	s_branch .LBB159_119
.LBB159_106:                            ;   in Loop: Header=BB159_12 Depth=1
	s_mov_b32 s26, s59
	s_delay_alu instid0(SALU_CYCLE_1)
	s_cmp_lg_u64 s[26:27], 0
	s_cbranch_scc0 .LBB159_148
; %bb.107:                              ;   in Loop: Header=BB159_12 Depth=1
	v_cvt_f32_u32_e32 v3, s49
	s_sub_u32 s22, 0, s49
	s_subb_u32 s23, 0, 0
	s_delay_alu instid0(VALU_DEP_1) | instskip(NEXT) | instid1(VALU_DEP_1)
	v_fmac_f32_e64 v3, 0, 0x4f800000
	v_rcp_f32_e32 v3, v3
	s_waitcnt_depctr 0xfff
	v_mul_f32_e32 v3, 0x5f7ffffc, v3
	s_delay_alu instid0(VALU_DEP_1) | instskip(NEXT) | instid1(VALU_DEP_1)
	v_mul_f32_e32 v4, 0x2f800000, v3
	v_trunc_f32_e32 v4, v4
	s_delay_alu instid0(VALU_DEP_1) | instskip(SKIP_1) | instid1(VALU_DEP_2)
	v_fmac_f32_e32 v3, 0xcf800000, v4
	v_cvt_u32_f32_e32 v4, v4
	v_cvt_u32_f32_e32 v3, v3
	s_delay_alu instid0(VALU_DEP_2) | instskip(NEXT) | instid1(VALU_DEP_2)
	v_readfirstlane_b32 s8, v4
	v_readfirstlane_b32 s9, v3
	s_delay_alu instid0(VALU_DEP_2) | instskip(NEXT) | instid1(VALU_DEP_1)
	s_mul_i32 s25, s22, s8
	s_mul_hi_u32 s54, s22, s9
	s_mul_i32 s26, s23, s9
	s_add_i32 s25, s54, s25
	s_mul_i32 s55, s22, s9
	s_add_i32 s25, s25, s26
	s_mul_hi_u32 s54, s9, s55
	s_mul_hi_u32 s56, s8, s55
	s_mul_i32 s26, s8, s55
	s_mul_hi_u32 s55, s9, s25
	s_mul_i32 s9, s9, s25
	s_mul_hi_u32 s57, s8, s25
	s_add_u32 s9, s54, s9
	s_addc_u32 s54, 0, s55
	s_add_u32 s9, s9, s26
	s_mul_i32 s25, s8, s25
	s_addc_u32 s9, s54, s56
	s_addc_u32 s26, s57, 0
	s_add_u32 s9, s9, s25
	s_addc_u32 s25, 0, s26
	v_add_co_u32 v3, s9, v3, s9
	s_delay_alu instid0(VALU_DEP_1) | instskip(SKIP_1) | instid1(VALU_DEP_1)
	s_cmp_lg_u32 s9, 0
	s_addc_u32 s8, s8, s25
	v_readfirstlane_b32 s9, v3
	s_mul_i32 s25, s22, s8
	s_delay_alu instid0(VALU_DEP_1)
	s_mul_hi_u32 s26, s22, s9
	s_mul_i32 s23, s23, s9
	s_add_i32 s25, s26, s25
	s_mul_i32 s22, s22, s9
	s_add_i32 s25, s25, s23
	s_mul_hi_u32 s26, s8, s22
	s_mul_i32 s54, s8, s22
	s_mul_hi_u32 s22, s9, s22
	s_mul_hi_u32 s55, s9, s25
	s_mul_i32 s9, s9, s25
	s_mul_hi_u32 s23, s8, s25
	s_add_u32 s9, s22, s9
	s_addc_u32 s22, 0, s55
	s_add_u32 s9, s9, s54
	s_mul_i32 s25, s8, s25
	s_addc_u32 s9, s22, s26
	s_addc_u32 s22, s23, 0
	s_add_u32 s9, s9, s25
	s_addc_u32 s22, 0, s22
	v_add_co_u32 v3, s9, v3, s9
	s_delay_alu instid0(VALU_DEP_1) | instskip(SKIP_1) | instid1(VALU_DEP_1)
	s_cmp_lg_u32 s9, 0
	s_addc_u32 s8, s8, s22
	v_readfirstlane_b32 s9, v3
	s_mul_i32 s23, s76, s8
	s_mul_hi_u32 s22, s76, s8
	s_mul_hi_u32 s25, s27, s8
	s_mul_i32 s8, s27, s8
	s_mul_hi_u32 s26, s76, s9
	s_mul_hi_u32 s54, s27, s9
	s_mul_i32 s9, s27, s9
	s_add_u32 s23, s26, s23
	s_addc_u32 s22, 0, s22
	s_add_u32 s9, s23, s9
	s_addc_u32 s9, s22, s54
	s_addc_u32 s22, s25, 0
	s_add_u32 s8, s9, s8
	s_addc_u32 s9, 0, s22
	s_mul_hi_u32 s22, s49, s8
	s_mul_i32 s8, s49, s8
	s_mul_i32 s9, s49, s9
	v_sub_co_u32 v3, s8, s76, s8
	s_add_i32 s22, s22, s9
	s_cmp_lg_u32 s8, 0
	s_delay_alu instid0(VALU_DEP_1) | instskip(SKIP_2) | instid1(VALU_DEP_1)
	v_sub_co_u32 v4, s8, v3, s49
	s_subb_u32 s9, s27, s22
	s_cmp_lg_u32 s8, 0
	v_cmp_le_u32_e32 vcc_lo, s49, v4
	v_sub_co_u32 v5, s8, v4, s49
	s_subb_u32 s22, s9, 0
	s_cmp_lg_u32 s8, 0
	v_cndmask_b32_e64 v8, 0, -1, vcc_lo
	s_subb_u32 s8, s22, 0
	s_cmp_eq_u32 s22, 0
	v_mov_b32_e32 v10, s8
	s_cselect_b32 vcc_lo, -1, 0
	s_cmp_eq_u32 s9, 0
	v_cndmask_b32_e32 v8, -1, v8, vcc_lo
	v_cmp_le_u32_e32 vcc_lo, s49, v3
	s_cselect_b32 s8, -1, 0
	v_cndmask_b32_e64 v9, 0, -1, vcc_lo
	s_delay_alu instid0(VALU_DEP_3) | instskip(NEXT) | instid1(VALU_DEP_2)
	v_cmp_ne_u32_e32 vcc_lo, 0, v8
	v_cndmask_b32_e64 v8, -1, v9, s8
	v_cndmask_b32_e32 v9, s22, v10, vcc_lo
	v_cndmask_b32_e32 v5, v4, v5, vcc_lo
	s_delay_alu instid0(VALU_DEP_3) | instskip(NEXT) | instid1(VALU_DEP_3)
	v_cmp_ne_u32_e32 vcc_lo, 0, v8
	v_cndmask_b32_e32 v4, s9, v9, vcc_lo
	s_delay_alu instid0(VALU_DEP_3)
	v_cndmask_b32_e32 v3, v3, v5, vcc_lo
	s_cbranch_execnz .LBB159_109
.LBB159_108:                            ;   in Loop: Header=BB159_12 Depth=1
	v_cvt_f32_u32_e32 v3, s49
	s_sub_i32 s8, 0, s49
	s_delay_alu instid0(VALU_DEP_1) | instskip(SKIP_2) | instid1(VALU_DEP_1)
	v_rcp_iflag_f32_e32 v3, v3
	s_waitcnt_depctr 0xfff
	v_mul_f32_e32 v3, 0x4f7ffffe, v3
	v_cvt_u32_f32_e32 v3, v3
	s_delay_alu instid0(VALU_DEP_1) | instskip(NEXT) | instid1(VALU_DEP_1)
	v_mul_lo_u32 v4, s8, v3
	v_mul_hi_u32 v4, v3, v4
	s_delay_alu instid0(VALU_DEP_1) | instskip(NEXT) | instid1(VALU_DEP_1)
	v_add_nc_u32_e32 v3, v3, v4
	v_mul_hi_u32 v3, s76, v3
	s_delay_alu instid0(VALU_DEP_1) | instskip(NEXT) | instid1(VALU_DEP_1)
	v_mul_lo_u32 v3, v3, s49
	v_sub_nc_u32_e32 v3, s76, v3
	s_delay_alu instid0(VALU_DEP_1) | instskip(SKIP_1) | instid1(VALU_DEP_2)
	v_subrev_nc_u32_e32 v4, s49, v3
	v_cmp_le_u32_e32 vcc_lo, s49, v3
	v_cndmask_b32_e32 v3, v3, v4, vcc_lo
	s_delay_alu instid0(VALU_DEP_1) | instskip(SKIP_1) | instid1(VALU_DEP_2)
	v_subrev_nc_u32_e32 v4, s49, v3
	v_cmp_le_u32_e32 vcc_lo, s49, v3
	v_cndmask_b32_e32 v18, v3, v4, vcc_lo
	s_delay_alu instid0(VALU_DEP_1)
	v_dual_mov_b32 v3, v18 :: v_dual_mov_b32 v4, v19
.LBB159_109:                            ;   in Loop: Header=BB159_12 Depth=1
	s_delay_alu instid0(VALU_DEP_1) | instskip(NEXT) | instid1(VALU_DEP_2)
	v_sub_co_u32 v28, vcc_lo, s76, v3
	v_sub_co_ci_u32_e32 v29, vcc_lo, s27, v4, vcc_lo
	s_mov_b32 s26, 0
	s_mov_b32 s9, exec_lo
                                        ; implicit-def: $vgpr10_vgpr11
	s_delay_alu instid0(VALU_DEP_1)
	v_cmpx_gt_u64_e64 v[28:29], v[0:1]
	s_cbranch_execz .LBB159_118
; %bb.110:                              ;   in Loop: Header=BB159_12 Depth=1
	v_dual_mov_b32 v31, v1 :: v_dual_mov_b32 v30, v0
	s_mov_b32 s23, 0
                                        ; implicit-def: $sgpr22
	s_branch .LBB159_112
.LBB159_111:                            ;   in Loop: Header=BB159_112 Depth=2
	s_or_b32 exec_lo, exec_lo, s8
	s_waitcnt vmcnt(0) lgkmcnt(0)
	s_barrier
	buffer_gl0_inv
	ds_load_b128 v[8:11], v19 offset:3072
	v_add_co_u32 v30, vcc_lo, v30, s49
	v_add_co_ci_u32_e32 v31, vcc_lo, 0, v31, vcc_lo
	s_waitcnt lgkmcnt(0)
	s_barrier
	buffer_gl0_inv
	v_cmp_ge_u64_e32 vcc_lo, v[30:31], v[28:29]
	v_readfirstlane_b32 s63, v9
	v_readfirstlane_b32 s62, v8
	s_delay_alu instid0(VALU_DEP_1) | instskip(SKIP_1) | instid1(SALU_CYCLE_1)
	s_cmp_lg_u64 s[62:63], 0
	s_cselect_b32 s8, -1, 0
	s_or_b32 s25, vcc_lo, s8
	s_delay_alu instid0(SALU_CYCLE_1) | instskip(NEXT) | instid1(SALU_CYCLE_1)
	s_and_b32 s25, exec_lo, s25
	s_or_b32 s23, s25, s23
	s_and_not1_b32 s22, s22, exec_lo
	s_and_b32 s8, s8, exec_lo
	s_delay_alu instid0(SALU_CYCLE_1)
	s_or_b32 s22, s22, s8
	s_and_not1_b32 exec_lo, exec_lo, s23
	s_cbranch_execz .LBB159_117
.LBB159_112:                            ;   Parent Loop BB159_12 Depth=1
                                        ; =>  This Inner Loop Header: Depth=2
	s_delay_alu instid0(VALU_DEP_1)
	v_cmp_gt_u64_e32 vcc_lo, s[36:37], v[30:31]
	v_mov_b32_e32 v4, 0
	v_mov_b32_e32 v5, 0
	s_and_saveexec_b32 s25, vcc_lo
	s_cbranch_execz .LBB159_114
; %bb.113:                              ;   in Loop: Header=BB159_112 Depth=2
	v_mul_lo_u32 v5, v31, s30
	v_mul_lo_u32 v8, v30, s31
	v_mad_u64_u32 v[3:4], null, v30, s30, 0
	s_delay_alu instid0(VALU_DEP_1) | instskip(NEXT) | instid1(VALU_DEP_1)
	v_add3_u32 v4, v4, v8, v5
	v_lshlrev_b64 v[3:4], 3, v[3:4]
	s_delay_alu instid0(VALU_DEP_1) | instskip(NEXT) | instid1(VALU_DEP_1)
	v_add_co_u32 v3, s8, s33, v3
	v_add_co_ci_u32_e64 v4, s8, s35, v4, s8
	global_load_b64 v[4:5], v[3:4], off
.LBB159_114:                            ;   in Loop: Header=BB159_112 Depth=2
	s_or_b32 exec_lo, exec_lo, s25
	s_and_saveexec_b32 s8, vcc_lo
	s_cbranch_execz .LBB159_111
; %bb.115:                              ;   in Loop: Header=BB159_112 Depth=2
	s_waitcnt vmcnt(0)
	v_xor_b32_e32 v3, 0x80000000, v5
	v_and_b32_e32 v8, v4, v14
	s_delay_alu instid0(VALU_DEP_2) | instskip(NEXT) | instid1(VALU_DEP_1)
	v_and_b32_e32 v9, v3, v15
	v_cmp_eq_u64_e32 vcc_lo, v[8:9], v[12:13]
	s_and_b32 exec_lo, exec_lo, vcc_lo
	s_cbranch_execz .LBB159_111
; %bb.116:                              ;   in Loop: Header=BB159_112 Depth=2
	v_mov_b32_e32 v3, v19
	ds_store_b128 v19, v[2:5] offset:3072
	s_branch .LBB159_111
.LBB159_117:                            ;   in Loop: Header=BB159_12 Depth=1
	s_or_b32 exec_lo, exec_lo, s23
	s_delay_alu instid0(SALU_CYCLE_1)
	s_and_b32 s26, s22, exec_lo
.LBB159_118:                            ;   in Loop: Header=BB159_12 Depth=1
	s_or_b32 exec_lo, exec_lo, s9
	s_mov_b32 s64, -1
	s_mov_b32 s25, 0
	s_mov_b32 s63, 0
.LBB159_119:                            ;   in Loop: Header=BB159_12 Depth=1
	s_or_not1_b32 s8, s26, exec_lo
.LBB159_120:                            ;   in Loop: Header=BB159_12 Depth=1
	s_or_b32 exec_lo, exec_lo, s58
	s_mov_b32 s65, 0
	s_mov_b32 s62, 0
	;; [unrolled: 1-line block ×3, first 2 shown]
                                        ; implicit-def: $vgpr5
                                        ; implicit-def: $vgpr28_vgpr29
	s_and_saveexec_b32 s66, s8
	s_cbranch_execz .LBB159_283
; %bb.121:                              ;   in Loop: Header=BB159_12 Depth=1
	v_dual_mov_b32 v28, 1 :: v_dual_mov_b32 v5, 1
	v_mov_b32_e32 v29, 0
	s_xor_b32 s9, s67, -1
	s_mov_b32 s26, 0
	s_and_saveexec_b32 s8, s9
	s_cbranch_execz .LBB159_131
; %bb.122:                              ;   in Loop: Header=BB159_12 Depth=1
	s_mov_b32 s22, exec_lo
                                        ; implicit-def: $sgpr23
                                        ; implicit-def: $sgpr9
	v_cmpx_ge_u64_e64 s[10:11], v[26:27]
	s_xor_b32 s22, exec_lo, s22
	s_cbranch_execz .LBB159_128
; %bb.123:                              ;   in Loop: Header=BB159_12 Depth=1
	ds_load_b64 v[3:4], v19 offset:5120
	s_waitcnt lgkmcnt(0)
	v_cmp_ne_u64_e32 vcc_lo, 0, v[3:4]
	s_cbranch_vccnz .LBB159_127
; %bb.124:                              ;   in Loop: Header=BB159_12 Depth=1
	s_and_saveexec_b32 s9, s5
	s_cbranch_execz .LBB159_126
; %bb.125:                              ;   in Loop: Header=BB159_12 Depth=1
	v_dual_mov_b32 v3, s10 :: v_dual_mov_b32 v4, s11
	ds_store_b64 v19, v[3:4] offset:5128
.LBB159_126:                            ;   in Loop: Header=BB159_12 Depth=1
	s_or_b32 exec_lo, exec_lo, s9
	s_waitcnt lgkmcnt(0)
	s_barrier
	buffer_gl0_inv
.LBB159_127:                            ;   in Loop: Header=BB159_12 Depth=1
	v_and_b32_e32 v13, s15, v13
	v_and_b32_e32 v12, s14, v12
	v_or_b32_e32 v15, s13, v15
	v_or_b32_e32 v14, s12, v14
	s_mov_b32 s9, 0
	s_mov_b32 s23, 8
.LBB159_128:                            ;   in Loop: Header=BB159_12 Depth=1
	s_or_saveexec_b32 s22, s22
	v_mov_b32_e32 v29, v27
	v_dual_mov_b32 v5, s23 :: v_dual_mov_b32 v28, v26
	s_xor_b32 exec_lo, exec_lo, s22
; %bb.129:                              ;   in Loop: Header=BB159_12 Depth=1
	v_sub_co_u32 v28, vcc_lo, v26, s10
	v_subrev_co_ci_u32_e32 v29, vcc_lo, s11, v27, vcc_lo
	v_mov_b32_e32 v5, 0
	s_or_b32 s9, s9, exec_lo
; %bb.130:                              ;   in Loop: Header=BB159_12 Depth=1
	s_or_b32 exec_lo, exec_lo, s22
	s_delay_alu instid0(SALU_CYCLE_1)
	s_and_b32 s26, s9, exec_lo
.LBB159_131:                            ;   in Loop: Header=BB159_12 Depth=1
	s_or_b32 exec_lo, exec_lo, s8
	s_mov_b32 s62, -1
                                        ; implicit-def: $sgpr9
                                        ; implicit-def: $sgpr22
                                        ; implicit-def: $sgpr23
	s_and_saveexec_b32 s8, s26
	s_delay_alu instid0(SALU_CYCLE_1)
	s_xor_b32 s58, exec_lo, s8
	s_cbranch_execz .LBB159_280
; %bb.132:                              ;   in Loop: Header=BB159_12 Depth=1
	v_cmp_eq_u64_e32 vcc_lo, 1, v[28:29]
	s_cmp_eq_u64 s[16:17], 1
                                        ; implicit-def: $sgpr62
                                        ; implicit-def: $sgpr68
                                        ; implicit-def: $sgpr67
	s_cselect_b32 s8, -1, 0
	s_delay_alu instid0(SALU_CYCLE_1)
	s_and_b32 s70, s8, vcc_lo
	s_mov_b32 s8, -1
	s_and_saveexec_b32 s69, s70
	s_cbranch_execz .LBB159_166
; %bb.133:                              ;   in Loop: Header=BB159_12 Depth=1
	ds_load_b64 v[3:4], v19 offset:5120
	s_waitcnt lgkmcnt(0)
	s_barrier
	buffer_gl0_inv
	v_readfirstlane_b32 s22, v3
	v_readfirstlane_b32 s23, v4
	s_and_saveexec_b32 s8, s6
	s_cbranch_execz .LBB159_135
; %bb.134:                              ;   in Loop: Header=BB159_12 Depth=1
	v_mov_b32_e32 v18, v19
	ds_store_b64 v38, v[18:19]
.LBB159_135:                            ;   in Loop: Header=BB159_12 Depth=1
	s_or_b32 exec_lo, exec_lo, s8
	v_and_b32_e32 v3, s15, v13
	v_and_b32_e32 v4, s14, v12
	s_lshl_b64 s[8:9], 1, s24
	v_or_b32_e32 v15, s13, v15
	v_or_b32_e32 v14, s12, v14
	;; [unrolled: 1-line block ×4, first 2 shown]
	s_cmp_eq_u64 s[22:23], 0
	s_waitcnt lgkmcnt(0)
	s_barrier
	buffer_gl0_inv
	s_cbranch_scc1 .LBB159_149
; %bb.136:                              ;   in Loop: Header=BB159_12 Depth=1
	s_add_u32 s26, s74, s22
	s_addc_u32 s9, s75, s23
	s_mov_b32 s8, s59
	s_delay_alu instid0(SALU_CYCLE_1)
	s_cmp_lg_u64 s[8:9], 0
	s_cbranch_scc0 .LBB159_193
; %bb.137:                              ;   in Loop: Header=BB159_12 Depth=1
	v_cvt_f32_u32_e32 v3, s49
	s_sub_u32 s67, 0, s49
	s_subb_u32 s68, 0, 0
	s_delay_alu instid0(VALU_DEP_1) | instskip(NEXT) | instid1(VALU_DEP_1)
	v_fmac_f32_e64 v3, 0, 0x4f800000
	v_rcp_f32_e32 v3, v3
	s_waitcnt_depctr 0xfff
	v_mul_f32_e32 v3, 0x5f7ffffc, v3
	s_delay_alu instid0(VALU_DEP_1) | instskip(NEXT) | instid1(VALU_DEP_1)
	v_mul_f32_e32 v4, 0x2f800000, v3
	v_trunc_f32_e32 v4, v4
	s_delay_alu instid0(VALU_DEP_1) | instskip(SKIP_1) | instid1(VALU_DEP_2)
	v_fmac_f32_e32 v3, 0xcf800000, v4
	v_cvt_u32_f32_e32 v4, v4
	v_cvt_u32_f32_e32 v3, v3
	s_delay_alu instid0(VALU_DEP_2) | instskip(NEXT) | instid1(VALU_DEP_2)
	v_readfirstlane_b32 s8, v4
	v_readfirstlane_b32 s62, v3
	s_delay_alu instid0(VALU_DEP_2) | instskip(NEXT) | instid1(VALU_DEP_1)
	s_mul_i32 s71, s67, s8
	s_mul_hi_u32 s97, s67, s62
	s_mul_i32 s96, s68, s62
	s_add_i32 s71, s97, s71
	s_mul_i32 s98, s67, s62
	s_add_i32 s71, s71, s96
	s_mul_hi_u32 s97, s62, s98
	s_mul_hi_u32 s99, s8, s98
	s_mul_i32 s96, s8, s98
	s_mul_hi_u32 s98, s62, s71
	s_mul_i32 s62, s62, s71
	s_mul_hi_u32 s100, s8, s71
	s_add_u32 s62, s97, s62
	s_addc_u32 s97, 0, s98
	s_add_u32 s62, s62, s96
	s_mul_i32 s71, s8, s71
	s_addc_u32 s62, s97, s99
	s_addc_u32 s96, s100, 0
	s_add_u32 s62, s62, s71
	s_addc_u32 s71, 0, s96
	v_add_co_u32 v3, s62, v3, s62
	s_delay_alu instid0(VALU_DEP_1) | instskip(SKIP_1) | instid1(VALU_DEP_1)
	s_cmp_lg_u32 s62, 0
	s_addc_u32 s8, s8, s71
	v_readfirstlane_b32 s62, v3
	s_mul_i32 s71, s67, s8
	s_delay_alu instid0(VALU_DEP_1)
	s_mul_hi_u32 s96, s67, s62
	s_mul_i32 s68, s68, s62
	s_add_i32 s71, s96, s71
	s_mul_i32 s67, s67, s62
	s_add_i32 s71, s71, s68
	s_mul_hi_u32 s96, s8, s67
	s_mul_i32 s97, s8, s67
	s_mul_hi_u32 s67, s62, s67
	s_mul_hi_u32 s98, s62, s71
	s_mul_i32 s62, s62, s71
	s_mul_hi_u32 s68, s8, s71
	s_add_u32 s62, s67, s62
	s_addc_u32 s67, 0, s98
	s_add_u32 s62, s62, s97
	s_mul_i32 s71, s8, s71
	s_addc_u32 s62, s67, s96
	s_addc_u32 s67, s68, 0
	s_add_u32 s62, s62, s71
	s_addc_u32 s67, 0, s67
	v_add_co_u32 v3, s62, v3, s62
	s_delay_alu instid0(VALU_DEP_1) | instskip(SKIP_1) | instid1(VALU_DEP_1)
	s_cmp_lg_u32 s62, 0
	s_addc_u32 s8, s8, s67
	v_readfirstlane_b32 s62, v3
	s_mul_i32 s68, s26, s8
	s_mul_hi_u32 s67, s26, s8
	s_mul_hi_u32 s71, s9, s8
	s_mul_i32 s8, s9, s8
	s_mul_hi_u32 s96, s26, s62
	s_mul_hi_u32 s97, s9, s62
	s_mul_i32 s62, s9, s62
	s_add_u32 s68, s96, s68
	s_addc_u32 s67, 0, s67
	s_add_u32 s62, s68, s62
	s_addc_u32 s62, s67, s97
	s_addc_u32 s67, s71, 0
	s_add_u32 s8, s62, s8
	s_addc_u32 s62, 0, s67
	s_mul_hi_u32 s67, s49, s8
	s_mul_i32 s8, s49, s8
	s_mul_i32 s62, s49, s62
	v_sub_co_u32 v3, s8, s26, s8
	s_add_i32 s67, s67, s62
	s_cmp_lg_u32 s8, 0
	s_delay_alu instid0(VALU_DEP_1) | instskip(SKIP_2) | instid1(VALU_DEP_1)
	v_sub_co_u32 v4, s8, v3, s49
	s_subb_u32 s62, s9, s67
	s_cmp_lg_u32 s8, 0
	v_cmp_le_u32_e32 vcc_lo, s49, v4
	v_sub_co_u32 v5, s8, v4, s49
	s_subb_u32 s67, s62, 0
	s_cmp_lg_u32 s8, 0
	v_cndmask_b32_e64 v8, 0, -1, vcc_lo
	s_subb_u32 s8, s67, 0
	s_cmp_eq_u32 s67, 0
	v_mov_b32_e32 v10, s8
	s_cselect_b32 vcc_lo, -1, 0
	s_cmp_eq_u32 s62, 0
	v_cndmask_b32_e32 v8, -1, v8, vcc_lo
	v_cmp_le_u32_e32 vcc_lo, s49, v3
	s_cselect_b32 s8, -1, 0
	v_cndmask_b32_e64 v9, 0, -1, vcc_lo
	s_delay_alu instid0(VALU_DEP_3) | instskip(NEXT) | instid1(VALU_DEP_2)
	v_cmp_ne_u32_e32 vcc_lo, 0, v8
	v_cndmask_b32_e64 v8, -1, v9, s8
	v_cndmask_b32_e32 v9, s67, v10, vcc_lo
	v_cndmask_b32_e32 v5, v4, v5, vcc_lo
	s_delay_alu instid0(VALU_DEP_3) | instskip(NEXT) | instid1(VALU_DEP_3)
	v_cmp_ne_u32_e32 vcc_lo, 0, v8
	v_cndmask_b32_e32 v4, s62, v9, vcc_lo
	s_delay_alu instid0(VALU_DEP_3)
	v_cndmask_b32_e32 v3, v3, v5, vcc_lo
	s_cbranch_execnz .LBB159_139
.LBB159_138:                            ;   in Loop: Header=BB159_12 Depth=1
	v_cvt_f32_u32_e32 v3, s49
	s_sub_i32 s8, 0, s49
	s_delay_alu instid0(VALU_DEP_1) | instskip(SKIP_2) | instid1(VALU_DEP_1)
	v_rcp_iflag_f32_e32 v3, v3
	s_waitcnt_depctr 0xfff
	v_mul_f32_e32 v3, 0x4f7ffffe, v3
	v_cvt_u32_f32_e32 v3, v3
	s_delay_alu instid0(VALU_DEP_1) | instskip(NEXT) | instid1(VALU_DEP_1)
	v_mul_lo_u32 v4, s8, v3
	v_mul_hi_u32 v4, v3, v4
	s_delay_alu instid0(VALU_DEP_1) | instskip(NEXT) | instid1(VALU_DEP_1)
	v_add_nc_u32_e32 v3, v3, v4
	v_mul_hi_u32 v3, s26, v3
	s_delay_alu instid0(VALU_DEP_1) | instskip(NEXT) | instid1(VALU_DEP_1)
	v_mul_lo_u32 v3, v3, s49
	v_sub_nc_u32_e32 v3, s26, v3
	s_delay_alu instid0(VALU_DEP_1) | instskip(SKIP_1) | instid1(VALU_DEP_2)
	v_subrev_nc_u32_e32 v4, s49, v3
	v_cmp_le_u32_e32 vcc_lo, s49, v3
	v_cndmask_b32_e32 v3, v3, v4, vcc_lo
	s_delay_alu instid0(VALU_DEP_1) | instskip(SKIP_1) | instid1(VALU_DEP_2)
	v_subrev_nc_u32_e32 v4, s49, v3
	v_cmp_le_u32_e32 vcc_lo, s49, v3
	v_cndmask_b32_e32 v18, v3, v4, vcc_lo
	s_delay_alu instid0(VALU_DEP_1)
	v_dual_mov_b32 v3, v18 :: v_dual_mov_b32 v4, v19
.LBB159_139:                            ;   in Loop: Header=BB159_12 Depth=1
	s_delay_alu instid0(VALU_DEP_1) | instskip(NEXT) | instid1(VALU_DEP_2)
	v_sub_co_u32 v30, vcc_lo, s26, v3
	v_sub_co_ci_u32_e32 v31, vcc_lo, s9, v4, vcc_lo
	s_mov_b32 s26, 0
	s_mov_b32 s8, exec_lo
                                        ; implicit-def: $vgpr10_vgpr11
	s_delay_alu instid0(VALU_DEP_1)
	v_cmpx_gt_u64_e64 v[30:31], v[0:1]
	s_cbranch_execz .LBB159_151
; %bb.140:                              ;   in Loop: Header=BB159_12 Depth=1
	v_mov_b32_e32 v18, v37
	v_dual_mov_b32 v33, v1 :: v_dual_mov_b32 v32, v0
                                        ; implicit-def: $sgpr9
	s_set_inst_prefetch_distance 0x1
	s_branch .LBB159_142
	.p2align	6
.LBB159_141:                            ;   in Loop: Header=BB159_142 Depth=2
	s_or_b32 exec_lo, exec_lo, s62
	s_waitcnt lgkmcnt(0)
	s_barrier
	buffer_gl0_inv
	ds_load_b128 v[8:11], v19 offset:3072
	v_add_co_u32 v32, vcc_lo, v32, s49
	v_add_co_ci_u32_e32 v33, vcc_lo, 0, v33, vcc_lo
	v_add_nc_u32_e32 v18, s82, v18
	s_waitcnt lgkmcnt(0)
	s_barrier
	s_delay_alu instid0(VALU_DEP_2) | instskip(SKIP_3) | instid1(VALU_DEP_1)
	v_cmp_ge_u64_e32 vcc_lo, v[32:33], v[30:31]
	buffer_gl0_inv
	v_readfirstlane_b32 s97, v9
	v_readfirstlane_b32 s96, v8
	s_cmp_lg_u64 s[96:97], 0
	s_cselect_b32 s62, -1, 0
	s_delay_alu instid0(SALU_CYCLE_1) | instskip(NEXT) | instid1(SALU_CYCLE_1)
	s_or_b32 s67, vcc_lo, s62
	s_and_b32 s67, exec_lo, s67
	s_delay_alu instid0(SALU_CYCLE_1) | instskip(SKIP_2) | instid1(SALU_CYCLE_1)
	s_or_b32 s26, s67, s26
	s_and_not1_b32 s9, s9, exec_lo
	s_and_b32 s62, s62, exec_lo
	s_or_b32 s9, s9, s62
	s_and_not1_b32 exec_lo, exec_lo, s26
	s_cbranch_execz .LBB159_150
.LBB159_142:                            ;   Parent Loop BB159_12 Depth=1
                                        ; =>  This Inner Loop Header: Depth=2
	s_delay_alu instid0(VALU_DEP_1)
	v_cmp_gt_u64_e32 vcc_lo, s[22:23], v[32:33]
	v_mov_b32_e32 v4, 0
	v_mov_b32_e32 v5, 0
	s_and_saveexec_b32 s62, vcc_lo
	s_cbranch_execz .LBB159_144
; %bb.143:                              ;   in Loop: Header=BB159_142 Depth=2
	ds_load_b64 v[4:5], v18
.LBB159_144:                            ;   in Loop: Header=BB159_142 Depth=2
	s_or_b32 exec_lo, exec_lo, s62
	s_and_saveexec_b32 s62, vcc_lo
	s_cbranch_execz .LBB159_141
; %bb.145:                              ;   in Loop: Header=BB159_142 Depth=2
	s_waitcnt lgkmcnt(0)
	v_xor_b32_e32 v3, 0x80000000, v5
	v_and_b32_e32 v8, v4, v14
	s_delay_alu instid0(VALU_DEP_2) | instskip(NEXT) | instid1(VALU_DEP_1)
	v_and_b32_e32 v9, v3, v15
	v_cmp_eq_u64_e32 vcc_lo, v[8:9], v[12:13]
	s_and_b32 exec_lo, exec_lo, vcc_lo
	s_cbranch_execz .LBB159_141
; %bb.146:                              ;   in Loop: Header=BB159_142 Depth=2
	v_mov_b32_e32 v3, v19
	ds_store_b128 v19, v[2:5] offset:3072
	s_branch .LBB159_141
.LBB159_147:                            ;   in Loop: Header=BB159_12 Depth=1
                                        ; implicit-def: $vgpr3_vgpr4
	s_branch .LBB159_92
.LBB159_148:                            ;   in Loop: Header=BB159_12 Depth=1
                                        ; implicit-def: $vgpr3_vgpr4
	s_branch .LBB159_108
.LBB159_149:                            ;   in Loop: Header=BB159_12 Depth=1
	s_mov_b32 s62, -1
	s_mov_b32 s26, 0
                                        ; implicit-def: $sgpr67
                                        ; implicit-def: $vgpr10_vgpr11
	s_mov_b32 s68, s62
	s_cbranch_execnz .LBB159_152
	s_branch .LBB159_165
.LBB159_150:                            ;   in Loop: Header=BB159_12 Depth=1
	s_set_inst_prefetch_distance 0x2
	s_or_b32 exec_lo, exec_lo, s26
	s_delay_alu instid0(SALU_CYCLE_1)
	s_and_b32 s26, s9, exec_lo
.LBB159_151:                            ;   in Loop: Header=BB159_12 Depth=1
	s_or_b32 exec_lo, exec_lo, s8
	s_mov_b32 s67, -1
	s_mov_b32 s62, 0
	s_delay_alu instid0(SALU_CYCLE_1)
	s_mov_b32 s68, s62
	s_branch .LBB159_165
.LBB159_152:                            ;   in Loop: Header=BB159_12 Depth=1
	s_mov_b32 s26, s59
	s_delay_alu instid0(SALU_CYCLE_1)
	s_cmp_lg_u64 s[26:27], 0
	s_cbranch_scc0 .LBB159_194
; %bb.153:                              ;   in Loop: Header=BB159_12 Depth=1
	v_cvt_f32_u32_e32 v3, s49
	s_sub_u32 s22, 0, s49
	s_subb_u32 s23, 0, 0
	s_delay_alu instid0(VALU_DEP_1) | instskip(NEXT) | instid1(VALU_DEP_1)
	v_fmac_f32_e64 v3, 0, 0x4f800000
	v_rcp_f32_e32 v3, v3
	s_waitcnt_depctr 0xfff
	v_mul_f32_e32 v3, 0x5f7ffffc, v3
	s_delay_alu instid0(VALU_DEP_1) | instskip(NEXT) | instid1(VALU_DEP_1)
	v_mul_f32_e32 v4, 0x2f800000, v3
	v_trunc_f32_e32 v4, v4
	s_delay_alu instid0(VALU_DEP_1) | instskip(SKIP_1) | instid1(VALU_DEP_2)
	v_fmac_f32_e32 v3, 0xcf800000, v4
	v_cvt_u32_f32_e32 v4, v4
	v_cvt_u32_f32_e32 v3, v3
	s_delay_alu instid0(VALU_DEP_2) | instskip(NEXT) | instid1(VALU_DEP_2)
	v_readfirstlane_b32 s8, v4
	v_readfirstlane_b32 s9, v3
	s_delay_alu instid0(VALU_DEP_2) | instskip(NEXT) | instid1(VALU_DEP_1)
	s_mul_i32 s26, s22, s8
	s_mul_hi_u32 s67, s22, s9
	s_mul_i32 s62, s23, s9
	s_add_i32 s26, s67, s26
	s_mul_i32 s68, s22, s9
	s_add_i32 s26, s26, s62
	s_mul_hi_u32 s67, s9, s68
	s_mul_hi_u32 s71, s8, s68
	s_mul_i32 s62, s8, s68
	s_mul_hi_u32 s68, s9, s26
	s_mul_i32 s9, s9, s26
	s_mul_hi_u32 s96, s8, s26
	s_add_u32 s9, s67, s9
	s_addc_u32 s67, 0, s68
	s_add_u32 s9, s9, s62
	s_mul_i32 s26, s8, s26
	s_addc_u32 s9, s67, s71
	s_addc_u32 s62, s96, 0
	s_add_u32 s9, s9, s26
	s_addc_u32 s26, 0, s62
	v_add_co_u32 v3, s9, v3, s9
	s_delay_alu instid0(VALU_DEP_1) | instskip(SKIP_1) | instid1(VALU_DEP_1)
	s_cmp_lg_u32 s9, 0
	s_addc_u32 s8, s8, s26
	v_readfirstlane_b32 s9, v3
	s_mul_i32 s26, s22, s8
	s_delay_alu instid0(VALU_DEP_1)
	s_mul_hi_u32 s62, s22, s9
	s_mul_i32 s23, s23, s9
	s_add_i32 s26, s62, s26
	s_mul_i32 s22, s22, s9
	s_add_i32 s26, s26, s23
	s_mul_hi_u32 s62, s8, s22
	s_mul_i32 s67, s8, s22
	s_mul_hi_u32 s22, s9, s22
	s_mul_hi_u32 s68, s9, s26
	s_mul_i32 s9, s9, s26
	s_mul_hi_u32 s23, s8, s26
	s_add_u32 s9, s22, s9
	s_addc_u32 s22, 0, s68
	s_add_u32 s9, s9, s67
	s_mul_i32 s26, s8, s26
	s_addc_u32 s9, s22, s62
	s_addc_u32 s22, s23, 0
	s_add_u32 s9, s9, s26
	s_addc_u32 s22, 0, s22
	v_add_co_u32 v3, s9, v3, s9
	s_delay_alu instid0(VALU_DEP_1) | instskip(SKIP_1) | instid1(VALU_DEP_1)
	s_cmp_lg_u32 s9, 0
	s_addc_u32 s8, s8, s22
	v_readfirstlane_b32 s9, v3
	s_mul_i32 s23, s76, s8
	s_mul_hi_u32 s22, s76, s8
	s_mul_hi_u32 s26, s27, s8
	s_mul_i32 s8, s27, s8
	s_mul_hi_u32 s62, s76, s9
	s_mul_hi_u32 s67, s27, s9
	s_mul_i32 s9, s27, s9
	s_add_u32 s23, s62, s23
	s_addc_u32 s22, 0, s22
	s_add_u32 s9, s23, s9
	s_addc_u32 s9, s22, s67
	s_addc_u32 s22, s26, 0
	s_add_u32 s8, s9, s8
	s_addc_u32 s9, 0, s22
	s_mul_hi_u32 s22, s49, s8
	s_mul_i32 s8, s49, s8
	s_mul_i32 s9, s49, s9
	v_sub_co_u32 v3, s8, s76, s8
	s_add_i32 s22, s22, s9
	s_cmp_lg_u32 s8, 0
	s_delay_alu instid0(VALU_DEP_1) | instskip(SKIP_2) | instid1(VALU_DEP_1)
	v_sub_co_u32 v4, s8, v3, s49
	s_subb_u32 s9, s27, s22
	s_cmp_lg_u32 s8, 0
	v_cmp_le_u32_e32 vcc_lo, s49, v4
	v_sub_co_u32 v5, s8, v4, s49
	s_subb_u32 s22, s9, 0
	s_cmp_lg_u32 s8, 0
	v_cndmask_b32_e64 v8, 0, -1, vcc_lo
	s_subb_u32 s8, s22, 0
	s_cmp_eq_u32 s22, 0
	v_mov_b32_e32 v10, s8
	s_cselect_b32 vcc_lo, -1, 0
	s_cmp_eq_u32 s9, 0
	v_cndmask_b32_e32 v8, -1, v8, vcc_lo
	v_cmp_le_u32_e32 vcc_lo, s49, v3
	s_cselect_b32 s8, -1, 0
	v_cndmask_b32_e64 v9, 0, -1, vcc_lo
	s_delay_alu instid0(VALU_DEP_3) | instskip(NEXT) | instid1(VALU_DEP_2)
	v_cmp_ne_u32_e32 vcc_lo, 0, v8
	v_cndmask_b32_e64 v8, -1, v9, s8
	v_cndmask_b32_e32 v9, s22, v10, vcc_lo
	v_cndmask_b32_e32 v5, v4, v5, vcc_lo
	s_delay_alu instid0(VALU_DEP_3) | instskip(NEXT) | instid1(VALU_DEP_3)
	v_cmp_ne_u32_e32 vcc_lo, 0, v8
	v_cndmask_b32_e32 v4, s9, v9, vcc_lo
	s_delay_alu instid0(VALU_DEP_3)
	v_cndmask_b32_e32 v3, v3, v5, vcc_lo
	s_cbranch_execnz .LBB159_155
.LBB159_154:                            ;   in Loop: Header=BB159_12 Depth=1
	v_cvt_f32_u32_e32 v3, s49
	s_sub_i32 s8, 0, s49
	s_delay_alu instid0(VALU_DEP_1) | instskip(SKIP_2) | instid1(VALU_DEP_1)
	v_rcp_iflag_f32_e32 v3, v3
	s_waitcnt_depctr 0xfff
	v_mul_f32_e32 v3, 0x4f7ffffe, v3
	v_cvt_u32_f32_e32 v3, v3
	s_delay_alu instid0(VALU_DEP_1) | instskip(NEXT) | instid1(VALU_DEP_1)
	v_mul_lo_u32 v4, s8, v3
	v_mul_hi_u32 v4, v3, v4
	s_delay_alu instid0(VALU_DEP_1) | instskip(NEXT) | instid1(VALU_DEP_1)
	v_add_nc_u32_e32 v3, v3, v4
	v_mul_hi_u32 v3, s76, v3
	s_delay_alu instid0(VALU_DEP_1) | instskip(NEXT) | instid1(VALU_DEP_1)
	v_mul_lo_u32 v3, v3, s49
	v_sub_nc_u32_e32 v3, s76, v3
	s_delay_alu instid0(VALU_DEP_1) | instskip(SKIP_1) | instid1(VALU_DEP_2)
	v_subrev_nc_u32_e32 v4, s49, v3
	v_cmp_le_u32_e32 vcc_lo, s49, v3
	v_cndmask_b32_e32 v3, v3, v4, vcc_lo
	s_delay_alu instid0(VALU_DEP_1) | instskip(SKIP_1) | instid1(VALU_DEP_2)
	v_subrev_nc_u32_e32 v4, s49, v3
	v_cmp_le_u32_e32 vcc_lo, s49, v3
	v_cndmask_b32_e32 v18, v3, v4, vcc_lo
	s_delay_alu instid0(VALU_DEP_1)
	v_dual_mov_b32 v3, v18 :: v_dual_mov_b32 v4, v19
.LBB159_155:                            ;   in Loop: Header=BB159_12 Depth=1
	s_delay_alu instid0(VALU_DEP_1) | instskip(NEXT) | instid1(VALU_DEP_2)
	v_sub_co_u32 v30, vcc_lo, s76, v3
	v_sub_co_ci_u32_e32 v31, vcc_lo, s27, v4, vcc_lo
	s_mov_b32 s26, 0
	s_mov_b32 s9, exec_lo
                                        ; implicit-def: $vgpr10_vgpr11
	s_delay_alu instid0(VALU_DEP_1)
	v_cmpx_gt_u64_e64 v[30:31], v[0:1]
	s_cbranch_execz .LBB159_164
; %bb.156:                              ;   in Loop: Header=BB159_12 Depth=1
	v_dual_mov_b32 v33, v1 :: v_dual_mov_b32 v32, v0
	s_mov_b32 s23, 0
                                        ; implicit-def: $sgpr22
	s_branch .LBB159_158
.LBB159_157:                            ;   in Loop: Header=BB159_158 Depth=2
	s_or_b32 exec_lo, exec_lo, s8
	s_waitcnt vmcnt(0) lgkmcnt(0)
	s_barrier
	buffer_gl0_inv
	ds_load_b128 v[8:11], v19 offset:3072
	v_add_co_u32 v32, vcc_lo, v32, s49
	v_add_co_ci_u32_e32 v33, vcc_lo, 0, v33, vcc_lo
	s_waitcnt lgkmcnt(0)
	s_barrier
	buffer_gl0_inv
	v_cmp_ge_u64_e32 vcc_lo, v[32:33], v[30:31]
	v_readfirstlane_b32 s97, v9
	v_readfirstlane_b32 s96, v8
	s_delay_alu instid0(VALU_DEP_1) | instskip(SKIP_1) | instid1(SALU_CYCLE_1)
	s_cmp_lg_u64 s[96:97], 0
	s_cselect_b32 s8, -1, 0
	s_or_b32 s26, vcc_lo, s8
	s_delay_alu instid0(SALU_CYCLE_1) | instskip(NEXT) | instid1(SALU_CYCLE_1)
	s_and_b32 s26, exec_lo, s26
	s_or_b32 s23, s26, s23
	s_and_not1_b32 s22, s22, exec_lo
	s_and_b32 s8, s8, exec_lo
	s_delay_alu instid0(SALU_CYCLE_1)
	s_or_b32 s22, s22, s8
	s_and_not1_b32 exec_lo, exec_lo, s23
	s_cbranch_execz .LBB159_163
.LBB159_158:                            ;   Parent Loop BB159_12 Depth=1
                                        ; =>  This Inner Loop Header: Depth=2
	s_delay_alu instid0(VALU_DEP_1)
	v_cmp_gt_u64_e32 vcc_lo, s[36:37], v[32:33]
	v_mov_b32_e32 v4, 0
	v_mov_b32_e32 v5, 0
	s_and_saveexec_b32 s26, vcc_lo
	s_cbranch_execz .LBB159_160
; %bb.159:                              ;   in Loop: Header=BB159_158 Depth=2
	v_mul_lo_u32 v5, v33, s30
	v_mul_lo_u32 v8, v32, s31
	v_mad_u64_u32 v[3:4], null, v32, s30, 0
	s_delay_alu instid0(VALU_DEP_1) | instskip(NEXT) | instid1(VALU_DEP_1)
	v_add3_u32 v4, v4, v8, v5
	v_lshlrev_b64 v[3:4], 3, v[3:4]
	s_delay_alu instid0(VALU_DEP_1) | instskip(NEXT) | instid1(VALU_DEP_1)
	v_add_co_u32 v3, s8, s33, v3
	v_add_co_ci_u32_e64 v4, s8, s35, v4, s8
	global_load_b64 v[4:5], v[3:4], off
.LBB159_160:                            ;   in Loop: Header=BB159_158 Depth=2
	s_or_b32 exec_lo, exec_lo, s26
	s_and_saveexec_b32 s8, vcc_lo
	s_cbranch_execz .LBB159_157
; %bb.161:                              ;   in Loop: Header=BB159_158 Depth=2
	s_waitcnt vmcnt(0)
	v_xor_b32_e32 v3, 0x80000000, v5
	v_and_b32_e32 v8, v4, v14
	s_delay_alu instid0(VALU_DEP_2) | instskip(NEXT) | instid1(VALU_DEP_1)
	v_and_b32_e32 v9, v3, v15
	v_cmp_eq_u64_e32 vcc_lo, v[8:9], v[12:13]
	s_and_b32 exec_lo, exec_lo, vcc_lo
	s_cbranch_execz .LBB159_157
; %bb.162:                              ;   in Loop: Header=BB159_158 Depth=2
	v_mov_b32_e32 v3, v19
	ds_store_b128 v19, v[2:5] offset:3072
	s_branch .LBB159_157
.LBB159_163:                            ;   in Loop: Header=BB159_12 Depth=1
	s_or_b32 exec_lo, exec_lo, s23
	s_delay_alu instid0(SALU_CYCLE_1)
	s_and_b32 s26, s22, exec_lo
.LBB159_164:                            ;   in Loop: Header=BB159_12 Depth=1
	s_or_b32 exec_lo, exec_lo, s9
	s_mov_b32 s68, -1
	s_mov_b32 s62, 0
	s_mov_b32 s67, 0
.LBB159_165:                            ;   in Loop: Header=BB159_12 Depth=1
	s_or_not1_b32 s8, s26, exec_lo
.LBB159_166:                            ;   in Loop: Header=BB159_12 Depth=1
	s_or_b32 exec_lo, exec_lo, s69
	s_mov_b32 s26, 0
                                        ; implicit-def: $vgpr5
	s_and_saveexec_b32 s69, s8
	s_cbranch_execz .LBB159_279
; %bb.167:                              ;   in Loop: Header=BB159_12 Depth=1
	v_dual_mov_b32 v30, 1 :: v_dual_mov_b32 v5, 1
	v_mov_b32_e32 v31, 0
	s_xor_b32 s9, s70, -1
	s_delay_alu instid0(SALU_CYCLE_1)
	s_and_saveexec_b32 s8, s9
	s_cbranch_execz .LBB159_177
; %bb.168:                              ;   in Loop: Header=BB159_12 Depth=1
	s_mov_b32 s22, exec_lo
                                        ; implicit-def: $sgpr23
                                        ; implicit-def: $sgpr9
	v_cmpx_ge_u64_e64 s[16:17], v[28:29]
	s_xor_b32 s22, exec_lo, s22
	s_cbranch_execz .LBB159_174
; %bb.169:                              ;   in Loop: Header=BB159_12 Depth=1
	ds_load_b64 v[3:4], v19 offset:5120
	s_waitcnt lgkmcnt(0)
	v_cmp_ne_u64_e32 vcc_lo, 0, v[3:4]
	s_cbranch_vccnz .LBB159_173
; %bb.170:                              ;   in Loop: Header=BB159_12 Depth=1
	s_and_saveexec_b32 s9, s5
	s_cbranch_execz .LBB159_172
; %bb.171:                              ;   in Loop: Header=BB159_12 Depth=1
	v_dual_mov_b32 v3, s16 :: v_dual_mov_b32 v4, s17
	ds_store_b64 v19, v[3:4] offset:5128
.LBB159_172:                            ;   in Loop: Header=BB159_12 Depth=1
	s_or_b32 exec_lo, exec_lo, s9
	s_waitcnt lgkmcnt(0)
	s_barrier
	buffer_gl0_inv
.LBB159_173:                            ;   in Loop: Header=BB159_12 Depth=1
	v_and_b32_e32 v3, s15, v13
	v_and_b32_e32 v4, s14, v12
	s_lshl_b64 s[70:71], 1, s24
	v_or_b32_e32 v15, s13, v15
	v_or_b32_e32 v14, s12, v14
	;; [unrolled: 1-line block ×4, first 2 shown]
	s_mov_b32 s9, 0
	s_mov_b32 s23, 8
.LBB159_174:                            ;   in Loop: Header=BB159_12 Depth=1
	s_or_saveexec_b32 s22, s22
	v_mov_b32_e32 v5, s23
	s_xor_b32 exec_lo, exec_lo, s22
; %bb.175:                              ;   in Loop: Header=BB159_12 Depth=1
	v_sub_co_u32 v28, vcc_lo, v28, s16
	v_subrev_co_ci_u32_e32 v29, vcc_lo, s17, v29, vcc_lo
	v_mov_b32_e32 v5, 0
	s_or_b32 s9, s9, exec_lo
; %bb.176:                              ;   in Loop: Header=BB159_12 Depth=1
	s_or_b32 exec_lo, exec_lo, s22
	s_delay_alu instid0(VALU_DEP_2)
	v_dual_mov_b32 v31, v29 :: v_dual_mov_b32 v30, v28
	s_and_b32 s26, s9, exec_lo
.LBB159_177:                            ;   in Loop: Header=BB159_12 Depth=1
	s_or_b32 exec_lo, exec_lo, s8
	s_mov_b32 s8, -1
                                        ; implicit-def: $sgpr9
                                        ; implicit-def: $sgpr22
                                        ; implicit-def: $sgpr23
	s_and_saveexec_b32 s70, s26
	s_cbranch_execz .LBB159_278
; %bb.178:                              ;   in Loop: Header=BB159_12 Depth=1
	v_cmp_eq_u64_e32 vcc_lo, 1, v[30:31]
	s_cmp_eq_u64 s[18:19], 1
                                        ; implicit-def: $sgpr71
                                        ; implicit-def: $sgpr97
                                        ; implicit-def: $sgpr96
	s_cselect_b32 s8, -1, 0
	s_delay_alu instid0(SALU_CYCLE_1)
	s_and_b32 s99, s8, vcc_lo
	s_mov_b32 s8, -1
	s_and_saveexec_b32 s98, s99
	s_cbranch_execz .LBB159_212
; %bb.179:                              ;   in Loop: Header=BB159_12 Depth=1
	ds_load_b64 v[3:4], v19 offset:5120
	s_waitcnt lgkmcnt(0)
	s_barrier
	buffer_gl0_inv
	v_readfirstlane_b32 s22, v3
	v_readfirstlane_b32 s23, v4
	s_and_saveexec_b32 s8, s6
	s_cbranch_execz .LBB159_181
; %bb.180:                              ;   in Loop: Header=BB159_12 Depth=1
	v_mov_b32_e32 v18, v19
	ds_store_b64 v38, v[18:19]
.LBB159_181:                            ;   in Loop: Header=BB159_12 Depth=1
	s_or_b32 exec_lo, exec_lo, s8
	v_and_b32_e32 v3, s15, v13
	v_and_b32_e32 v4, s14, v12
	s_lshl_b64 s[8:9], 2, s24
	v_or_b32_e32 v15, s13, v15
	v_or_b32_e32 v14, s12, v14
	;; [unrolled: 1-line block ×4, first 2 shown]
	s_cmp_eq_u64 s[22:23], 0
	s_waitcnt lgkmcnt(0)
	s_barrier
	buffer_gl0_inv
	s_cbranch_scc1 .LBB159_195
; %bb.182:                              ;   in Loop: Header=BB159_12 Depth=1
	s_add_u32 s26, s74, s22
	s_addc_u32 s9, s75, s23
	s_mov_b32 s8, s59
	s_delay_alu instid0(SALU_CYCLE_1)
	s_cmp_lg_u64 s[8:9], 0
	s_cbranch_scc0 .LBB159_230
; %bb.183:                              ;   in Loop: Header=BB159_12 Depth=1
	v_cvt_f32_u32_e32 v3, s49
	s_sub_u32 s96, 0, s49
	s_subb_u32 s97, 0, 0
	s_delay_alu instid0(VALU_DEP_1) | instskip(NEXT) | instid1(VALU_DEP_1)
	v_fmac_f32_e64 v3, 0, 0x4f800000
	v_rcp_f32_e32 v3, v3
	s_waitcnt_depctr 0xfff
	v_mul_f32_e32 v3, 0x5f7ffffc, v3
	s_delay_alu instid0(VALU_DEP_1) | instskip(NEXT) | instid1(VALU_DEP_1)
	v_mul_f32_e32 v4, 0x2f800000, v3
	v_trunc_f32_e32 v4, v4
	s_delay_alu instid0(VALU_DEP_1) | instskip(SKIP_1) | instid1(VALU_DEP_2)
	v_fmac_f32_e32 v3, 0xcf800000, v4
	v_cvt_u32_f32_e32 v4, v4
	v_cvt_u32_f32_e32 v3, v3
	s_delay_alu instid0(VALU_DEP_2) | instskip(NEXT) | instid1(VALU_DEP_2)
	v_readfirstlane_b32 s8, v4
	v_readfirstlane_b32 s71, v3
	s_delay_alu instid0(VALU_DEP_2) | instskip(NEXT) | instid1(VALU_DEP_1)
	s_mul_i32 s100, s96, s8
	s_mul_hi_u32 s102, s96, s71
	s_mul_i32 s101, s97, s71
	s_add_i32 s100, s102, s100
	s_mul_i32 s103, s96, s71
	s_add_i32 s100, s100, s101
	s_mul_hi_u32 s102, s71, s103
	s_mul_hi_u32 s104, s8, s103
	s_mul_i32 s101, s8, s103
	s_mul_hi_u32 s103, s71, s100
	s_mul_i32 s71, s71, s100
	s_mul_hi_u32 vcc_lo, s8, s100
	s_add_u32 s71, s102, s71
	s_addc_u32 s102, 0, s103
	s_add_u32 s71, s71, s101
	s_mul_i32 s100, s8, s100
	s_addc_u32 s71, s102, s104
	s_addc_u32 s101, vcc_lo, 0
	s_add_u32 s71, s71, s100
	s_addc_u32 s100, 0, s101
	v_add_co_u32 v3, s71, v3, s71
	s_delay_alu instid0(VALU_DEP_1) | instskip(SKIP_1) | instid1(VALU_DEP_1)
	s_cmp_lg_u32 s71, 0
	s_addc_u32 s8, s8, s100
	v_readfirstlane_b32 s71, v3
	s_mul_i32 s100, s96, s8
	s_delay_alu instid0(VALU_DEP_1)
	s_mul_hi_u32 s101, s96, s71
	s_mul_i32 s97, s97, s71
	s_add_i32 s100, s101, s100
	s_mul_i32 s96, s96, s71
	s_add_i32 s100, s100, s97
	s_mul_hi_u32 s101, s8, s96
	s_mul_i32 s102, s8, s96
	s_mul_hi_u32 s96, s71, s96
	s_mul_hi_u32 s103, s71, s100
	s_mul_i32 s71, s71, s100
	s_mul_hi_u32 s97, s8, s100
	s_add_u32 s71, s96, s71
	s_addc_u32 s96, 0, s103
	s_add_u32 s71, s71, s102
	s_mul_i32 s100, s8, s100
	s_addc_u32 s71, s96, s101
	s_addc_u32 s96, s97, 0
	s_add_u32 s71, s71, s100
	s_addc_u32 s96, 0, s96
	v_add_co_u32 v3, s71, v3, s71
	s_delay_alu instid0(VALU_DEP_1) | instskip(SKIP_1) | instid1(VALU_DEP_1)
	s_cmp_lg_u32 s71, 0
	s_addc_u32 s8, s8, s96
	v_readfirstlane_b32 s71, v3
	s_mul_i32 s97, s26, s8
	s_mul_hi_u32 s96, s26, s8
	s_mul_hi_u32 s100, s9, s8
	s_mul_i32 s8, s9, s8
	s_mul_hi_u32 s101, s26, s71
	s_mul_hi_u32 s102, s9, s71
	s_mul_i32 s71, s9, s71
	s_add_u32 s97, s101, s97
	s_addc_u32 s96, 0, s96
	s_add_u32 s71, s97, s71
	s_addc_u32 s71, s96, s102
	s_addc_u32 s96, s100, 0
	s_add_u32 s8, s71, s8
	s_addc_u32 s71, 0, s96
	s_mul_hi_u32 s96, s49, s8
	s_mul_i32 s8, s49, s8
	s_mul_i32 s71, s49, s71
	v_sub_co_u32 v3, s8, s26, s8
	s_add_i32 s96, s96, s71
	s_cmp_lg_u32 s8, 0
	s_delay_alu instid0(VALU_DEP_1) | instskip(SKIP_2) | instid1(VALU_DEP_1)
	v_sub_co_u32 v4, s8, v3, s49
	s_subb_u32 s71, s9, s96
	s_cmp_lg_u32 s8, 0
	v_cmp_le_u32_e32 vcc_lo, s49, v4
	v_sub_co_u32 v5, s8, v4, s49
	s_subb_u32 s96, s71, 0
	s_cmp_lg_u32 s8, 0
	v_cndmask_b32_e64 v8, 0, -1, vcc_lo
	s_subb_u32 s8, s96, 0
	s_cmp_eq_u32 s96, 0
	v_mov_b32_e32 v10, s8
	s_cselect_b32 vcc_lo, -1, 0
	s_cmp_eq_u32 s71, 0
	v_cndmask_b32_e32 v8, -1, v8, vcc_lo
	v_cmp_le_u32_e32 vcc_lo, s49, v3
	s_cselect_b32 s8, -1, 0
	v_cndmask_b32_e64 v9, 0, -1, vcc_lo
	s_delay_alu instid0(VALU_DEP_3) | instskip(NEXT) | instid1(VALU_DEP_2)
	v_cmp_ne_u32_e32 vcc_lo, 0, v8
	v_cndmask_b32_e64 v8, -1, v9, s8
	v_cndmask_b32_e32 v9, s96, v10, vcc_lo
	v_cndmask_b32_e32 v5, v4, v5, vcc_lo
	s_delay_alu instid0(VALU_DEP_3) | instskip(NEXT) | instid1(VALU_DEP_3)
	v_cmp_ne_u32_e32 vcc_lo, 0, v8
	v_cndmask_b32_e32 v4, s71, v9, vcc_lo
	s_delay_alu instid0(VALU_DEP_3)
	v_cndmask_b32_e32 v3, v3, v5, vcc_lo
	s_cbranch_execnz .LBB159_185
.LBB159_184:                            ;   in Loop: Header=BB159_12 Depth=1
	v_cvt_f32_u32_e32 v3, s49
	s_sub_i32 s8, 0, s49
	s_delay_alu instid0(VALU_DEP_1) | instskip(SKIP_2) | instid1(VALU_DEP_1)
	v_rcp_iflag_f32_e32 v3, v3
	s_waitcnt_depctr 0xfff
	v_mul_f32_e32 v3, 0x4f7ffffe, v3
	v_cvt_u32_f32_e32 v3, v3
	s_delay_alu instid0(VALU_DEP_1) | instskip(NEXT) | instid1(VALU_DEP_1)
	v_mul_lo_u32 v4, s8, v3
	v_mul_hi_u32 v4, v3, v4
	s_delay_alu instid0(VALU_DEP_1) | instskip(NEXT) | instid1(VALU_DEP_1)
	v_add_nc_u32_e32 v3, v3, v4
	v_mul_hi_u32 v3, s26, v3
	s_delay_alu instid0(VALU_DEP_1) | instskip(NEXT) | instid1(VALU_DEP_1)
	v_mul_lo_u32 v3, v3, s49
	v_sub_nc_u32_e32 v3, s26, v3
	s_delay_alu instid0(VALU_DEP_1) | instskip(SKIP_1) | instid1(VALU_DEP_2)
	v_subrev_nc_u32_e32 v4, s49, v3
	v_cmp_le_u32_e32 vcc_lo, s49, v3
	v_cndmask_b32_e32 v3, v3, v4, vcc_lo
	s_delay_alu instid0(VALU_DEP_1) | instskip(SKIP_1) | instid1(VALU_DEP_2)
	v_subrev_nc_u32_e32 v4, s49, v3
	v_cmp_le_u32_e32 vcc_lo, s49, v3
	v_cndmask_b32_e32 v18, v3, v4, vcc_lo
	s_delay_alu instid0(VALU_DEP_1)
	v_dual_mov_b32 v3, v18 :: v_dual_mov_b32 v4, v19
.LBB159_185:                            ;   in Loop: Header=BB159_12 Depth=1
	s_delay_alu instid0(VALU_DEP_1) | instskip(NEXT) | instid1(VALU_DEP_2)
	v_sub_co_u32 v28, vcc_lo, s26, v3
	v_sub_co_ci_u32_e32 v29, vcc_lo, s9, v4, vcc_lo
	s_mov_b32 s26, 0
	s_mov_b32 s8, exec_lo
                                        ; implicit-def: $vgpr10_vgpr11
	s_delay_alu instid0(VALU_DEP_1)
	v_cmpx_gt_u64_e64 v[28:29], v[0:1]
	s_cbranch_execz .LBB159_197
; %bb.186:                              ;   in Loop: Header=BB159_12 Depth=1
	v_mov_b32_e32 v18, v37
	v_dual_mov_b32 v33, v1 :: v_dual_mov_b32 v32, v0
                                        ; implicit-def: $sgpr9
	s_set_inst_prefetch_distance 0x1
	s_branch .LBB159_188
	.p2align	6
.LBB159_187:                            ;   in Loop: Header=BB159_188 Depth=2
	s_or_b32 exec_lo, exec_lo, s71
	s_waitcnt lgkmcnt(0)
	s_barrier
	buffer_gl0_inv
	ds_load_b128 v[8:11], v19 offset:3072
	v_add_co_u32 v32, vcc_lo, v32, s49
	v_add_co_ci_u32_e32 v33, vcc_lo, 0, v33, vcc_lo
	v_add_nc_u32_e32 v18, s82, v18
	s_waitcnt lgkmcnt(0)
	s_barrier
	s_delay_alu instid0(VALU_DEP_2) | instskip(SKIP_3) | instid1(VALU_DEP_1)
	v_cmp_ge_u64_e32 vcc_lo, v[32:33], v[28:29]
	buffer_gl0_inv
	v_readfirstlane_b32 s97, v9
	v_readfirstlane_b32 s96, v8
	s_cmp_lg_u64 s[96:97], 0
	s_cselect_b32 s71, -1, 0
	s_delay_alu instid0(SALU_CYCLE_1) | instskip(NEXT) | instid1(SALU_CYCLE_1)
	s_or_b32 s96, vcc_lo, s71
	s_and_b32 s96, exec_lo, s96
	s_delay_alu instid0(SALU_CYCLE_1) | instskip(SKIP_2) | instid1(SALU_CYCLE_1)
	s_or_b32 s26, s96, s26
	s_and_not1_b32 s9, s9, exec_lo
	s_and_b32 s71, s71, exec_lo
	s_or_b32 s9, s9, s71
	s_and_not1_b32 exec_lo, exec_lo, s26
	s_cbranch_execz .LBB159_196
.LBB159_188:                            ;   Parent Loop BB159_12 Depth=1
                                        ; =>  This Inner Loop Header: Depth=2
	s_delay_alu instid0(VALU_DEP_1)
	v_cmp_gt_u64_e32 vcc_lo, s[22:23], v[32:33]
	v_mov_b32_e32 v4, 0
	v_mov_b32_e32 v5, 0
	s_and_saveexec_b32 s71, vcc_lo
	s_cbranch_execz .LBB159_190
; %bb.189:                              ;   in Loop: Header=BB159_188 Depth=2
	ds_load_b64 v[4:5], v18
.LBB159_190:                            ;   in Loop: Header=BB159_188 Depth=2
	s_or_b32 exec_lo, exec_lo, s71
	s_and_saveexec_b32 s71, vcc_lo
	s_cbranch_execz .LBB159_187
; %bb.191:                              ;   in Loop: Header=BB159_188 Depth=2
	s_waitcnt lgkmcnt(0)
	v_xor_b32_e32 v3, 0x80000000, v5
	v_and_b32_e32 v8, v4, v14
	s_delay_alu instid0(VALU_DEP_2) | instskip(NEXT) | instid1(VALU_DEP_1)
	v_and_b32_e32 v9, v3, v15
	v_cmp_eq_u64_e32 vcc_lo, v[8:9], v[12:13]
	s_and_b32 exec_lo, exec_lo, vcc_lo
	s_cbranch_execz .LBB159_187
; %bb.192:                              ;   in Loop: Header=BB159_188 Depth=2
	v_mov_b32_e32 v3, v19
	ds_store_b128 v19, v[2:5] offset:3072
	s_branch .LBB159_187
.LBB159_193:                            ;   in Loop: Header=BB159_12 Depth=1
                                        ; implicit-def: $vgpr3_vgpr4
	s_branch .LBB159_138
.LBB159_194:                            ;   in Loop: Header=BB159_12 Depth=1
                                        ; implicit-def: $vgpr3_vgpr4
	s_branch .LBB159_154
.LBB159_195:                            ;   in Loop: Header=BB159_12 Depth=1
	s_mov_b32 s71, -1
	s_mov_b32 s26, 0
                                        ; implicit-def: $sgpr96
                                        ; implicit-def: $vgpr10_vgpr11
	s_mov_b32 s97, s71
	s_cbranch_execnz .LBB159_198
	s_branch .LBB159_211
.LBB159_196:                            ;   in Loop: Header=BB159_12 Depth=1
	s_set_inst_prefetch_distance 0x2
	s_or_b32 exec_lo, exec_lo, s26
	s_delay_alu instid0(SALU_CYCLE_1)
	s_and_b32 s26, s9, exec_lo
.LBB159_197:                            ;   in Loop: Header=BB159_12 Depth=1
	s_or_b32 exec_lo, exec_lo, s8
	s_mov_b32 s96, -1
	s_mov_b32 s71, 0
	s_delay_alu instid0(SALU_CYCLE_1)
	s_mov_b32 s97, s71
	s_branch .LBB159_211
.LBB159_198:                            ;   in Loop: Header=BB159_12 Depth=1
	s_mov_b32 s26, s59
	s_delay_alu instid0(SALU_CYCLE_1)
	s_cmp_lg_u64 s[26:27], 0
	s_cbranch_scc0 .LBB159_231
; %bb.199:                              ;   in Loop: Header=BB159_12 Depth=1
	v_cvt_f32_u32_e32 v3, s49
	s_sub_u32 s22, 0, s49
	s_subb_u32 s23, 0, 0
	s_delay_alu instid0(VALU_DEP_1) | instskip(NEXT) | instid1(VALU_DEP_1)
	v_fmac_f32_e64 v3, 0, 0x4f800000
	v_rcp_f32_e32 v3, v3
	s_waitcnt_depctr 0xfff
	v_mul_f32_e32 v3, 0x5f7ffffc, v3
	s_delay_alu instid0(VALU_DEP_1) | instskip(NEXT) | instid1(VALU_DEP_1)
	v_mul_f32_e32 v4, 0x2f800000, v3
	v_trunc_f32_e32 v4, v4
	s_delay_alu instid0(VALU_DEP_1) | instskip(SKIP_1) | instid1(VALU_DEP_2)
	v_fmac_f32_e32 v3, 0xcf800000, v4
	v_cvt_u32_f32_e32 v4, v4
	v_cvt_u32_f32_e32 v3, v3
	s_delay_alu instid0(VALU_DEP_2) | instskip(NEXT) | instid1(VALU_DEP_2)
	v_readfirstlane_b32 s8, v4
	v_readfirstlane_b32 s9, v3
	s_delay_alu instid0(VALU_DEP_2) | instskip(NEXT) | instid1(VALU_DEP_1)
	s_mul_i32 s26, s22, s8
	s_mul_hi_u32 s96, s22, s9
	s_mul_i32 s71, s23, s9
	s_add_i32 s26, s96, s26
	s_mul_i32 s97, s22, s9
	s_add_i32 s26, s26, s71
	s_mul_hi_u32 s96, s9, s97
	s_mul_hi_u32 s100, s8, s97
	s_mul_i32 s71, s8, s97
	s_mul_hi_u32 s97, s9, s26
	s_mul_i32 s9, s9, s26
	s_mul_hi_u32 s101, s8, s26
	s_add_u32 s9, s96, s9
	s_addc_u32 s96, 0, s97
	s_add_u32 s9, s9, s71
	s_mul_i32 s26, s8, s26
	s_addc_u32 s9, s96, s100
	s_addc_u32 s71, s101, 0
	s_add_u32 s9, s9, s26
	s_addc_u32 s26, 0, s71
	v_add_co_u32 v3, s9, v3, s9
	s_delay_alu instid0(VALU_DEP_1) | instskip(SKIP_1) | instid1(VALU_DEP_1)
	s_cmp_lg_u32 s9, 0
	s_addc_u32 s8, s8, s26
	v_readfirstlane_b32 s9, v3
	s_mul_i32 s26, s22, s8
	s_delay_alu instid0(VALU_DEP_1)
	s_mul_hi_u32 s71, s22, s9
	s_mul_i32 s23, s23, s9
	s_add_i32 s26, s71, s26
	s_mul_i32 s22, s22, s9
	s_add_i32 s26, s26, s23
	s_mul_hi_u32 s71, s8, s22
	s_mul_i32 s96, s8, s22
	s_mul_hi_u32 s22, s9, s22
	s_mul_hi_u32 s97, s9, s26
	s_mul_i32 s9, s9, s26
	s_mul_hi_u32 s23, s8, s26
	s_add_u32 s9, s22, s9
	s_addc_u32 s22, 0, s97
	s_add_u32 s9, s9, s96
	s_mul_i32 s26, s8, s26
	s_addc_u32 s9, s22, s71
	s_addc_u32 s22, s23, 0
	s_add_u32 s9, s9, s26
	s_addc_u32 s22, 0, s22
	v_add_co_u32 v3, s9, v3, s9
	s_delay_alu instid0(VALU_DEP_1) | instskip(SKIP_1) | instid1(VALU_DEP_1)
	s_cmp_lg_u32 s9, 0
	s_addc_u32 s8, s8, s22
	v_readfirstlane_b32 s9, v3
	s_mul_i32 s23, s76, s8
	s_mul_hi_u32 s22, s76, s8
	s_mul_hi_u32 s26, s27, s8
	s_mul_i32 s8, s27, s8
	s_mul_hi_u32 s71, s76, s9
	s_mul_hi_u32 s96, s27, s9
	s_mul_i32 s9, s27, s9
	s_add_u32 s23, s71, s23
	s_addc_u32 s22, 0, s22
	s_add_u32 s9, s23, s9
	s_addc_u32 s9, s22, s96
	s_addc_u32 s22, s26, 0
	s_add_u32 s8, s9, s8
	s_addc_u32 s9, 0, s22
	s_mul_hi_u32 s22, s49, s8
	s_mul_i32 s8, s49, s8
	s_mul_i32 s9, s49, s9
	v_sub_co_u32 v3, s8, s76, s8
	s_add_i32 s22, s22, s9
	s_cmp_lg_u32 s8, 0
	s_delay_alu instid0(VALU_DEP_1) | instskip(SKIP_2) | instid1(VALU_DEP_1)
	v_sub_co_u32 v4, s8, v3, s49
	s_subb_u32 s9, s27, s22
	s_cmp_lg_u32 s8, 0
	v_cmp_le_u32_e32 vcc_lo, s49, v4
	v_sub_co_u32 v5, s8, v4, s49
	s_subb_u32 s22, s9, 0
	s_cmp_lg_u32 s8, 0
	v_cndmask_b32_e64 v8, 0, -1, vcc_lo
	s_subb_u32 s8, s22, 0
	s_cmp_eq_u32 s22, 0
	v_mov_b32_e32 v10, s8
	s_cselect_b32 vcc_lo, -1, 0
	s_cmp_eq_u32 s9, 0
	v_cndmask_b32_e32 v8, -1, v8, vcc_lo
	v_cmp_le_u32_e32 vcc_lo, s49, v3
	s_cselect_b32 s8, -1, 0
	v_cndmask_b32_e64 v9, 0, -1, vcc_lo
	s_delay_alu instid0(VALU_DEP_3) | instskip(NEXT) | instid1(VALU_DEP_2)
	v_cmp_ne_u32_e32 vcc_lo, 0, v8
	v_cndmask_b32_e64 v8, -1, v9, s8
	v_cndmask_b32_e32 v9, s22, v10, vcc_lo
	v_cndmask_b32_e32 v5, v4, v5, vcc_lo
	s_delay_alu instid0(VALU_DEP_3) | instskip(NEXT) | instid1(VALU_DEP_3)
	v_cmp_ne_u32_e32 vcc_lo, 0, v8
	v_cndmask_b32_e32 v4, s9, v9, vcc_lo
	s_delay_alu instid0(VALU_DEP_3)
	v_cndmask_b32_e32 v3, v3, v5, vcc_lo
	s_cbranch_execnz .LBB159_201
.LBB159_200:                            ;   in Loop: Header=BB159_12 Depth=1
	v_cvt_f32_u32_e32 v3, s49
	s_sub_i32 s8, 0, s49
	s_delay_alu instid0(VALU_DEP_1) | instskip(SKIP_2) | instid1(VALU_DEP_1)
	v_rcp_iflag_f32_e32 v3, v3
	s_waitcnt_depctr 0xfff
	v_mul_f32_e32 v3, 0x4f7ffffe, v3
	v_cvt_u32_f32_e32 v3, v3
	s_delay_alu instid0(VALU_DEP_1) | instskip(NEXT) | instid1(VALU_DEP_1)
	v_mul_lo_u32 v4, s8, v3
	v_mul_hi_u32 v4, v3, v4
	s_delay_alu instid0(VALU_DEP_1) | instskip(NEXT) | instid1(VALU_DEP_1)
	v_add_nc_u32_e32 v3, v3, v4
	v_mul_hi_u32 v3, s76, v3
	s_delay_alu instid0(VALU_DEP_1) | instskip(NEXT) | instid1(VALU_DEP_1)
	v_mul_lo_u32 v3, v3, s49
	v_sub_nc_u32_e32 v3, s76, v3
	s_delay_alu instid0(VALU_DEP_1) | instskip(SKIP_1) | instid1(VALU_DEP_2)
	v_subrev_nc_u32_e32 v4, s49, v3
	v_cmp_le_u32_e32 vcc_lo, s49, v3
	v_cndmask_b32_e32 v3, v3, v4, vcc_lo
	s_delay_alu instid0(VALU_DEP_1) | instskip(SKIP_1) | instid1(VALU_DEP_2)
	v_subrev_nc_u32_e32 v4, s49, v3
	v_cmp_le_u32_e32 vcc_lo, s49, v3
	v_cndmask_b32_e32 v18, v3, v4, vcc_lo
	s_delay_alu instid0(VALU_DEP_1)
	v_dual_mov_b32 v3, v18 :: v_dual_mov_b32 v4, v19
.LBB159_201:                            ;   in Loop: Header=BB159_12 Depth=1
	s_delay_alu instid0(VALU_DEP_1) | instskip(NEXT) | instid1(VALU_DEP_2)
	v_sub_co_u32 v28, vcc_lo, s76, v3
	v_sub_co_ci_u32_e32 v29, vcc_lo, s27, v4, vcc_lo
	s_mov_b32 s26, 0
	s_mov_b32 s9, exec_lo
                                        ; implicit-def: $vgpr10_vgpr11
	s_delay_alu instid0(VALU_DEP_1)
	v_cmpx_gt_u64_e64 v[28:29], v[0:1]
	s_cbranch_execz .LBB159_210
; %bb.202:                              ;   in Loop: Header=BB159_12 Depth=1
	v_dual_mov_b32 v33, v1 :: v_dual_mov_b32 v32, v0
	s_mov_b32 s23, 0
                                        ; implicit-def: $sgpr22
	s_branch .LBB159_204
.LBB159_203:                            ;   in Loop: Header=BB159_204 Depth=2
	s_or_b32 exec_lo, exec_lo, s8
	s_waitcnt vmcnt(0) lgkmcnt(0)
	s_barrier
	buffer_gl0_inv
	ds_load_b128 v[8:11], v19 offset:3072
	v_add_co_u32 v32, vcc_lo, v32, s49
	v_add_co_ci_u32_e32 v33, vcc_lo, 0, v33, vcc_lo
	s_waitcnt lgkmcnt(0)
	s_barrier
	buffer_gl0_inv
	v_cmp_ge_u64_e32 vcc_lo, v[32:33], v[28:29]
	v_readfirstlane_b32 s97, v9
	v_readfirstlane_b32 s96, v8
	s_delay_alu instid0(VALU_DEP_1) | instskip(SKIP_1) | instid1(SALU_CYCLE_1)
	s_cmp_lg_u64 s[96:97], 0
	s_cselect_b32 s8, -1, 0
	s_or_b32 s26, vcc_lo, s8
	s_delay_alu instid0(SALU_CYCLE_1) | instskip(NEXT) | instid1(SALU_CYCLE_1)
	s_and_b32 s26, exec_lo, s26
	s_or_b32 s23, s26, s23
	s_and_not1_b32 s22, s22, exec_lo
	s_and_b32 s8, s8, exec_lo
	s_delay_alu instid0(SALU_CYCLE_1)
	s_or_b32 s22, s22, s8
	s_and_not1_b32 exec_lo, exec_lo, s23
	s_cbranch_execz .LBB159_209
.LBB159_204:                            ;   Parent Loop BB159_12 Depth=1
                                        ; =>  This Inner Loop Header: Depth=2
	s_delay_alu instid0(VALU_DEP_1)
	v_cmp_gt_u64_e32 vcc_lo, s[36:37], v[32:33]
	v_mov_b32_e32 v4, 0
	v_mov_b32_e32 v5, 0
	s_and_saveexec_b32 s26, vcc_lo
	s_cbranch_execz .LBB159_206
; %bb.205:                              ;   in Loop: Header=BB159_204 Depth=2
	v_mul_lo_u32 v5, v33, s30
	v_mul_lo_u32 v8, v32, s31
	v_mad_u64_u32 v[3:4], null, v32, s30, 0
	s_delay_alu instid0(VALU_DEP_1) | instskip(NEXT) | instid1(VALU_DEP_1)
	v_add3_u32 v4, v4, v8, v5
	v_lshlrev_b64 v[3:4], 3, v[3:4]
	s_delay_alu instid0(VALU_DEP_1) | instskip(NEXT) | instid1(VALU_DEP_1)
	v_add_co_u32 v3, s8, s33, v3
	v_add_co_ci_u32_e64 v4, s8, s35, v4, s8
	global_load_b64 v[4:5], v[3:4], off
.LBB159_206:                            ;   in Loop: Header=BB159_204 Depth=2
	s_or_b32 exec_lo, exec_lo, s26
	s_and_saveexec_b32 s8, vcc_lo
	s_cbranch_execz .LBB159_203
; %bb.207:                              ;   in Loop: Header=BB159_204 Depth=2
	s_waitcnt vmcnt(0)
	v_xor_b32_e32 v3, 0x80000000, v5
	v_and_b32_e32 v8, v4, v14
	s_delay_alu instid0(VALU_DEP_2) | instskip(NEXT) | instid1(VALU_DEP_1)
	v_and_b32_e32 v9, v3, v15
	v_cmp_eq_u64_e32 vcc_lo, v[8:9], v[12:13]
	s_and_b32 exec_lo, exec_lo, vcc_lo
	s_cbranch_execz .LBB159_203
; %bb.208:                              ;   in Loop: Header=BB159_204 Depth=2
	v_mov_b32_e32 v3, v19
	ds_store_b128 v19, v[2:5] offset:3072
	s_branch .LBB159_203
.LBB159_209:                            ;   in Loop: Header=BB159_12 Depth=1
	s_or_b32 exec_lo, exec_lo, s23
	s_delay_alu instid0(SALU_CYCLE_1)
	s_and_b32 s26, s22, exec_lo
.LBB159_210:                            ;   in Loop: Header=BB159_12 Depth=1
	s_or_b32 exec_lo, exec_lo, s9
	s_mov_b32 s97, -1
	s_mov_b32 s71, 0
	s_mov_b32 s96, 0
.LBB159_211:                            ;   in Loop: Header=BB159_12 Depth=1
	s_or_not1_b32 s8, s26, exec_lo
.LBB159_212:                            ;   in Loop: Header=BB159_12 Depth=1
	s_or_b32 exec_lo, exec_lo, s98
	s_mov_b32 s26, 0
                                        ; implicit-def: $vgpr5
	s_and_saveexec_b32 s98, s8
	s_cbranch_execz .LBB159_277
; %bb.213:                              ;   in Loop: Header=BB159_12 Depth=1
	v_dual_mov_b32 v28, 1 :: v_dual_mov_b32 v5, 1
	v_mov_b32_e32 v29, 0
	s_xor_b32 s9, s99, -1
	s_delay_alu instid0(SALU_CYCLE_1)
	s_and_saveexec_b32 s8, s9
	s_cbranch_execz .LBB159_223
; %bb.214:                              ;   in Loop: Header=BB159_12 Depth=1
	s_mov_b32 s22, exec_lo
                                        ; implicit-def: $sgpr23
                                        ; implicit-def: $sgpr9
	v_cmpx_ge_u64_e64 s[18:19], v[30:31]
	s_xor_b32 s22, exec_lo, s22
	s_cbranch_execz .LBB159_220
; %bb.215:                              ;   in Loop: Header=BB159_12 Depth=1
	ds_load_b64 v[3:4], v19 offset:5120
	s_waitcnt lgkmcnt(0)
	v_cmp_ne_u64_e32 vcc_lo, 0, v[3:4]
	s_cbranch_vccnz .LBB159_219
; %bb.216:                              ;   in Loop: Header=BB159_12 Depth=1
	s_and_saveexec_b32 s9, s5
	s_cbranch_execz .LBB159_218
; %bb.217:                              ;   in Loop: Header=BB159_12 Depth=1
	v_dual_mov_b32 v3, s18 :: v_dual_mov_b32 v4, s19
	ds_store_b64 v19, v[3:4] offset:5128
.LBB159_218:                            ;   in Loop: Header=BB159_12 Depth=1
	s_or_b32 exec_lo, exec_lo, s9
	s_waitcnt lgkmcnt(0)
	s_barrier
	buffer_gl0_inv
.LBB159_219:                            ;   in Loop: Header=BB159_12 Depth=1
	v_and_b32_e32 v3, s15, v13
	v_and_b32_e32 v4, s14, v12
	s_lshl_b64 s[100:101], 2, s24
	v_or_b32_e32 v15, s13, v15
	v_or_b32_e32 v14, s12, v14
	;; [unrolled: 1-line block ×4, first 2 shown]
	s_mov_b32 s9, 0
	s_mov_b32 s23, 8
.LBB159_220:                            ;   in Loop: Header=BB159_12 Depth=1
	s_or_saveexec_b32 s22, s22
	v_mov_b32_e32 v5, s23
	s_xor_b32 exec_lo, exec_lo, s22
; %bb.221:                              ;   in Loop: Header=BB159_12 Depth=1
	v_sub_co_u32 v30, vcc_lo, v30, s18
	v_subrev_co_ci_u32_e32 v31, vcc_lo, s19, v31, vcc_lo
	v_mov_b32_e32 v5, 0
	s_or_b32 s9, s9, exec_lo
; %bb.222:                              ;   in Loop: Header=BB159_12 Depth=1
	s_or_b32 exec_lo, exec_lo, s22
	s_delay_alu instid0(VALU_DEP_2)
	v_dual_mov_b32 v28, v30 :: v_dual_mov_b32 v29, v31
	s_and_b32 s26, s9, exec_lo
.LBB159_223:                            ;   in Loop: Header=BB159_12 Depth=1
	s_or_b32 exec_lo, exec_lo, s8
	s_mov_b32 s23, -1
                                        ; implicit-def: $sgpr8
                                        ; implicit-def: $sgpr22
                                        ; implicit-def: $sgpr9
	s_and_saveexec_b32 s99, s26
	s_cbranch_execz .LBB159_276
; %bb.224:                              ;   in Loop: Header=BB159_12 Depth=1
	v_cmp_eq_u64_e32 vcc_lo, 1, v[28:29]
	s_cmp_eq_u64 s[20:21], 1
	s_mov_b32 s26, -1
	s_cselect_b32 s8, -1, 0
                                        ; implicit-def: $sgpr22
                                        ; implicit-def: $sgpr9
	s_delay_alu instid0(SALU_CYCLE_1) | instskip(NEXT) | instid1(SALU_CYCLE_1)
	s_and_b32 s100, s8, vcc_lo
                                        ; implicit-def: $sgpr8
	s_and_saveexec_b32 s101, s100
	s_cbranch_execz .LBB159_263
; %bb.225:                              ;   in Loop: Header=BB159_12 Depth=1
	ds_load_b64 v[3:4], v19 offset:5120
	s_waitcnt lgkmcnt(0)
	s_barrier
	buffer_gl0_inv
	v_readfirstlane_b32 s22, v3
	v_readfirstlane_b32 s23, v4
	s_and_saveexec_b32 s8, s6
	s_cbranch_execz .LBB159_227
; %bb.226:                              ;   in Loop: Header=BB159_12 Depth=1
	v_mov_b32_e32 v18, v19
	ds_store_b64 v38, v[18:19]
.LBB159_227:                            ;   in Loop: Header=BB159_12 Depth=1
	s_or_b32 exec_lo, exec_lo, s8
	v_or_b32_e32 v13, s13, v13
	v_or_b32_e32 v12, s12, v12
	;; [unrolled: 1-line block ×4, first 2 shown]
	s_cmp_eq_u64 s[22:23], 0
	s_waitcnt lgkmcnt(0)
	s_barrier
	buffer_gl0_inv
	s_cbranch_scc1 .LBB159_232
; %bb.228:                              ;   in Loop: Header=BB159_12 Depth=1
	s_add_u32 s26, s74, s22
	s_addc_u32 s9, s75, s23
	s_mov_b32 s8, s59
	s_delay_alu instid0(SALU_CYCLE_1)
	s_cmp_lg_u64 s[8:9], 0
	s_cbranch_scc0 .LBB159_233
; %bb.229:                              ;   in Loop: Header=BB159_12 Depth=1
	v_cvt_f32_u32_e32 v3, s49
	s_sub_u32 s103, 0, s49
	s_subb_u32 s104, 0, 0
	s_delay_alu instid0(VALU_DEP_1) | instskip(NEXT) | instid1(VALU_DEP_1)
	v_fmac_f32_e64 v3, 0, 0x4f800000
	v_rcp_f32_e32 v3, v3
	s_waitcnt_depctr 0xfff
	v_mul_f32_e32 v3, 0x5f7ffffc, v3
	s_delay_alu instid0(VALU_DEP_1) | instskip(NEXT) | instid1(VALU_DEP_1)
	v_mul_f32_e32 v4, 0x2f800000, v3
	v_trunc_f32_e32 v4, v4
	s_delay_alu instid0(VALU_DEP_1) | instskip(SKIP_1) | instid1(VALU_DEP_2)
	v_fmac_f32_e32 v3, 0xcf800000, v4
	v_cvt_u32_f32_e32 v4, v4
	v_cvt_u32_f32_e32 v3, v3
	s_delay_alu instid0(VALU_DEP_2) | instskip(NEXT) | instid1(VALU_DEP_2)
	v_readfirstlane_b32 s8, v4
	v_readfirstlane_b32 s102, v3
	s_delay_alu instid0(VALU_DEP_2) | instskip(NEXT) | instid1(VALU_DEP_1)
	s_mul_i32 vcc_lo, s103, s8
	s_mul_hi_u32 s54, s103, s102
	s_mul_i32 vcc_hi, s104, s102
	s_add_i32 s54, s54, vcc_lo
	s_mul_i32 s55, s103, s102
	s_add_i32 s54, s54, vcc_hi
	s_mul_hi_u32 vcc_lo, s102, s55
	s_mul_hi_u32 s57, s102, s54
	s_mul_i32 s102, s102, s54
	s_mul_hi_u32 s56, s8, s55
	s_mul_i32 s55, s8, s55
	s_add_u32 s102, vcc_lo, s102
	s_addc_u32 s57, 0, s57
	s_mul_hi_u32 vcc_hi, s8, s54
	s_add_u32 s55, s102, s55
	s_mul_i32 s54, s8, s54
	s_addc_u32 s55, s57, s56
	s_addc_u32 s56, vcc_hi, 0
	s_add_u32 s54, s55, s54
	s_addc_u32 s55, 0, s56
	v_add_co_u32 v3, s54, v3, s54
	s_delay_alu instid0(VALU_DEP_1) | instskip(SKIP_1) | instid1(VALU_DEP_1)
	s_cmp_lg_u32 s54, 0
	s_addc_u32 s8, s8, s55
	v_readfirstlane_b32 s54, v3
	s_mul_i32 s55, s103, s8
	s_delay_alu instid0(VALU_DEP_1)
	s_mul_hi_u32 s56, s103, s54
	s_mul_i32 s104, s104, s54
	s_add_i32 s55, s56, s55
	s_mul_i32 s103, s103, s54
	s_add_i32 s55, s55, s104
	s_mul_hi_u32 s102, s54, s103
	s_mul_hi_u32 s104, s54, s55
	s_mul_i32 s54, s54, s55
	s_mul_i32 s57, s8, s103
	s_add_u32 s54, s102, s54
	s_mul_hi_u32 s56, s8, s103
	s_addc_u32 s102, 0, s104
	s_mul_hi_u32 s103, s8, s55
	s_add_u32 s54, s54, s57
	s_mul_i32 s55, s8, s55
	s_addc_u32 s54, s102, s56
	s_addc_u32 s56, s103, 0
	s_add_u32 s54, s54, s55
	s_addc_u32 s55, 0, s56
	v_add_co_u32 v3, s54, v3, s54
	s_delay_alu instid0(VALU_DEP_1) | instskip(SKIP_1) | instid1(VALU_DEP_1)
	s_cmp_lg_u32 s54, 0
	s_addc_u32 s8, s8, s55
	v_readfirstlane_b32 s54, v3
	s_mul_i32 s56, s26, s8
	s_mul_hi_u32 s55, s26, s8
	s_mul_hi_u32 s57, s9, s8
	s_mul_i32 s8, s9, s8
	s_mul_hi_u32 s102, s26, s54
	s_mul_hi_u32 s103, s9, s54
	s_mul_i32 s54, s9, s54
	s_add_u32 s56, s102, s56
	s_addc_u32 s55, 0, s55
	s_add_u32 s54, s56, s54
	s_addc_u32 s54, s55, s103
	s_addc_u32 s55, s57, 0
	s_add_u32 s8, s54, s8
	s_addc_u32 s54, 0, s55
	s_mul_hi_u32 s55, s49, s8
	s_mul_i32 s8, s49, s8
	s_mul_i32 s54, s49, s54
	v_sub_co_u32 v3, s8, s26, s8
	s_add_i32 s55, s55, s54
	s_cmp_lg_u32 s8, 0
	s_delay_alu instid0(VALU_DEP_1) | instskip(SKIP_3) | instid1(VALU_DEP_2)
	v_sub_co_u32 v4, s8, v3, s49
	s_subb_u32 s54, s9, s55
	s_cmp_lg_u32 s8, 0
	v_cmp_le_u32_e32 vcc_lo, s49, v3
	v_cmp_le_u32_e64 s8, s49, v4
	v_sub_co_u32 v5, s55, v4, s49
	s_subb_u32 s56, s54, 0
	s_cmp_lg_u32 s55, 0
	s_delay_alu instid0(VALU_DEP_2)
	v_cndmask_b32_e64 v8, 0, -1, s8
	s_subb_u32 s55, s56, 0
	s_cmp_eq_u32 s56, 0
	v_mov_b32_e32 v10, s55
	v_cndmask_b32_e64 v9, 0, -1, vcc_lo
	s_cselect_b32 vcc_lo, -1, 0
	s_cmp_eq_u32 s54, 0
	v_cndmask_b32_e32 v8, -1, v8, vcc_lo
	s_cselect_b32 vcc_lo, -1, 0
	v_cndmask_b32_e32 v9, -1, v9, vcc_lo
	s_delay_alu instid0(VALU_DEP_2) | instskip(NEXT) | instid1(VALU_DEP_2)
	v_cmp_ne_u32_e32 vcc_lo, 0, v8
	v_cmp_ne_u32_e64 s8, 0, v9
	v_cndmask_b32_e32 v8, s56, v10, vcc_lo
	v_cndmask_b32_e32 v5, v4, v5, vcc_lo
	s_delay_alu instid0(VALU_DEP_2) | instskip(NEXT) | instid1(VALU_DEP_2)
	v_cndmask_b32_e64 v4, s54, v8, s8
	v_cndmask_b32_e64 v3, v3, v5, s8
	s_mov_b32 s8, 0
	s_branch .LBB159_234
.LBB159_230:                            ;   in Loop: Header=BB159_12 Depth=1
                                        ; implicit-def: $vgpr3_vgpr4
	s_branch .LBB159_184
.LBB159_231:                            ;   in Loop: Header=BB159_12 Depth=1
                                        ; implicit-def: $vgpr3_vgpr4
	s_branch .LBB159_200
.LBB159_232:                            ;   in Loop: Header=BB159_12 Depth=1
	s_mov_b32 s8, -1
	s_mov_b32 s26, 0
                                        ; implicit-def: $sgpr9
                                        ; implicit-def: $vgpr10_vgpr11
	s_branch .LBB159_246
.LBB159_233:                            ;   in Loop: Header=BB159_12 Depth=1
	s_mov_b32 s8, -1
                                        ; implicit-def: $vgpr3_vgpr4
.LBB159_234:                            ;   in Loop: Header=BB159_12 Depth=1
	s_delay_alu instid0(SALU_CYCLE_1)
	s_and_not1_b32 vcc_lo, exec_lo, s8
	s_cbranch_vccnz .LBB159_236
; %bb.235:                              ;   in Loop: Header=BB159_12 Depth=1
	v_cvt_f32_u32_e32 v3, s49
	s_sub_i32 s8, 0, s49
	s_delay_alu instid0(VALU_DEP_1) | instskip(SKIP_2) | instid1(VALU_DEP_1)
	v_rcp_iflag_f32_e32 v3, v3
	s_waitcnt_depctr 0xfff
	v_mul_f32_e32 v3, 0x4f7ffffe, v3
	v_cvt_u32_f32_e32 v3, v3
	s_delay_alu instid0(VALU_DEP_1) | instskip(NEXT) | instid1(VALU_DEP_1)
	v_mul_lo_u32 v4, s8, v3
	v_mul_hi_u32 v4, v3, v4
	s_delay_alu instid0(VALU_DEP_1) | instskip(NEXT) | instid1(VALU_DEP_1)
	v_add_nc_u32_e32 v3, v3, v4
	v_mul_hi_u32 v3, s26, v3
	s_delay_alu instid0(VALU_DEP_1) | instskip(NEXT) | instid1(VALU_DEP_1)
	v_mul_lo_u32 v3, v3, s49
	v_sub_nc_u32_e32 v3, s26, v3
	s_delay_alu instid0(VALU_DEP_1) | instskip(SKIP_1) | instid1(VALU_DEP_2)
	v_subrev_nc_u32_e32 v4, s49, v3
	v_cmp_le_u32_e32 vcc_lo, s49, v3
	v_cndmask_b32_e32 v3, v3, v4, vcc_lo
	s_delay_alu instid0(VALU_DEP_1) | instskip(SKIP_1) | instid1(VALU_DEP_2)
	v_subrev_nc_u32_e32 v4, s49, v3
	v_cmp_le_u32_e32 vcc_lo, s49, v3
	v_cndmask_b32_e32 v18, v3, v4, vcc_lo
	s_delay_alu instid0(VALU_DEP_1)
	v_dual_mov_b32 v3, v18 :: v_dual_mov_b32 v4, v19
.LBB159_236:                            ;   in Loop: Header=BB159_12 Depth=1
	s_delay_alu instid0(VALU_DEP_1) | instskip(NEXT) | instid1(VALU_DEP_2)
	v_sub_co_u32 v30, vcc_lo, s26, v3
	v_sub_co_ci_u32_e32 v31, vcc_lo, s9, v4, vcc_lo
	s_mov_b32 s26, 0
	s_mov_b32 s8, exec_lo
                                        ; implicit-def: $vgpr10_vgpr11
	s_delay_alu instid0(VALU_DEP_1)
	v_cmpx_gt_u64_e64 v[30:31], v[0:1]
	s_cbranch_execz .LBB159_245
; %bb.237:                              ;   in Loop: Header=BB159_12 Depth=1
	v_mov_b32_e32 v18, v37
	v_dual_mov_b32 v33, v1 :: v_dual_mov_b32 v32, v0
                                        ; implicit-def: $sgpr9
	s_set_inst_prefetch_distance 0x1
	s_branch .LBB159_239
	.p2align	6
.LBB159_238:                            ;   in Loop: Header=BB159_239 Depth=2
	s_or_b32 exec_lo, exec_lo, s102
	s_waitcnt lgkmcnt(0)
	s_barrier
	buffer_gl0_inv
	ds_load_b128 v[8:11], v19 offset:3072
	v_add_co_u32 v32, vcc_lo, v32, s49
	v_add_co_ci_u32_e32 v33, vcc_lo, 0, v33, vcc_lo
	v_add_nc_u32_e32 v18, s82, v18
	s_waitcnt lgkmcnt(0)
	s_barrier
	s_delay_alu instid0(VALU_DEP_2) | instskip(SKIP_3) | instid1(VALU_DEP_1)
	v_cmp_ge_u64_e32 vcc_lo, v[32:33], v[30:31]
	buffer_gl0_inv
	v_readfirstlane_b32 s103, v9
	v_readfirstlane_b32 s102, v8
	s_cmp_lg_u64 s[102:103], 0
	s_cselect_b32 s54, -1, 0
	s_delay_alu instid0(SALU_CYCLE_1) | instskip(NEXT) | instid1(SALU_CYCLE_1)
	s_or_b32 s55, vcc_lo, s54
	s_and_b32 s55, exec_lo, s55
	s_delay_alu instid0(SALU_CYCLE_1) | instskip(SKIP_2) | instid1(SALU_CYCLE_1)
	s_or_b32 s26, s55, s26
	s_and_not1_b32 s9, s9, exec_lo
	s_and_b32 s54, s54, exec_lo
	s_or_b32 s9, s9, s54
	s_and_not1_b32 exec_lo, exec_lo, s26
	s_cbranch_execz .LBB159_244
.LBB159_239:                            ;   Parent Loop BB159_12 Depth=1
                                        ; =>  This Inner Loop Header: Depth=2
	s_delay_alu instid0(VALU_DEP_1)
	v_cmp_gt_u64_e32 vcc_lo, s[22:23], v[32:33]
	v_mov_b32_e32 v4, 0
	v_mov_b32_e32 v5, 0
	s_and_saveexec_b32 s102, vcc_lo
	s_cbranch_execz .LBB159_241
; %bb.240:                              ;   in Loop: Header=BB159_239 Depth=2
	ds_load_b64 v[4:5], v18
.LBB159_241:                            ;   in Loop: Header=BB159_239 Depth=2
	s_or_b32 exec_lo, exec_lo, s102
	s_and_saveexec_b32 s102, vcc_lo
	s_cbranch_execz .LBB159_238
; %bb.242:                              ;   in Loop: Header=BB159_239 Depth=2
	s_waitcnt lgkmcnt(0)
	v_xor_b32_e32 v3, 0x80000000, v5
	v_and_b32_e32 v8, v4, v14
	s_delay_alu instid0(VALU_DEP_2) | instskip(NEXT) | instid1(VALU_DEP_1)
	v_and_b32_e32 v9, v3, v15
	v_cmp_eq_u64_e32 vcc_lo, v[8:9], v[12:13]
	s_and_b32 exec_lo, exec_lo, vcc_lo
	s_cbranch_execz .LBB159_238
; %bb.243:                              ;   in Loop: Header=BB159_239 Depth=2
	v_mov_b32_e32 v3, v19
	ds_store_b128 v19, v[2:5] offset:3072
	s_branch .LBB159_238
.LBB159_244:                            ;   in Loop: Header=BB159_12 Depth=1
	s_set_inst_prefetch_distance 0x2
	s_or_b32 exec_lo, exec_lo, s26
	s_delay_alu instid0(SALU_CYCLE_1)
	s_and_b32 s26, s9, exec_lo
.LBB159_245:                            ;   in Loop: Header=BB159_12 Depth=1
	s_or_b32 exec_lo, exec_lo, s8
	s_mov_b32 s9, -1
	s_mov_b32 s8, 0
.LBB159_246:                            ;   in Loop: Header=BB159_12 Depth=1
	s_delay_alu instid0(SALU_CYCLE_1)
	s_and_b32 vcc_lo, exec_lo, s8
	s_mov_b32 s22, s8
	s_cbranch_vccz .LBB159_262
; %bb.247:                              ;   in Loop: Header=BB159_12 Depth=1
	s_mov_b32 s26, s59
	s_delay_alu instid0(SALU_CYCLE_1)
	s_cmp_lg_u64 s[26:27], 0
	s_cbranch_scc0 .LBB159_249
; %bb.248:                              ;   in Loop: Header=BB159_12 Depth=1
	v_cvt_f32_u32_e32 v3, s49
	s_sub_u32 s22, 0, s49
	s_subb_u32 s23, 0, 0
	s_delay_alu instid0(VALU_DEP_1) | instskip(NEXT) | instid1(VALU_DEP_1)
	v_fmac_f32_e64 v3, 0, 0x4f800000
	v_rcp_f32_e32 v3, v3
	s_waitcnt_depctr 0xfff
	v_mul_f32_e32 v3, 0x5f7ffffc, v3
	s_delay_alu instid0(VALU_DEP_1) | instskip(NEXT) | instid1(VALU_DEP_1)
	v_mul_f32_e32 v4, 0x2f800000, v3
	v_trunc_f32_e32 v4, v4
	s_delay_alu instid0(VALU_DEP_1) | instskip(SKIP_1) | instid1(VALU_DEP_2)
	v_fmac_f32_e32 v3, 0xcf800000, v4
	v_cvt_u32_f32_e32 v4, v4
	v_cvt_u32_f32_e32 v3, v3
	s_delay_alu instid0(VALU_DEP_2) | instskip(NEXT) | instid1(VALU_DEP_2)
	v_readfirstlane_b32 s8, v4
	v_readfirstlane_b32 s9, v3
	s_delay_alu instid0(VALU_DEP_2) | instskip(NEXT) | instid1(VALU_DEP_1)
	s_mul_i32 s26, s22, s8
	s_mul_hi_u32 s55, s22, s9
	s_mul_i32 s54, s23, s9
	s_add_i32 s26, s55, s26
	s_mul_i32 s56, s22, s9
	s_add_i32 s26, s26, s54
	s_mul_hi_u32 s55, s9, s56
	s_mul_hi_u32 s57, s8, s56
	s_mul_i32 s54, s8, s56
	s_mul_hi_u32 s56, s9, s26
	s_mul_i32 s9, s9, s26
	s_mul_hi_u32 s102, s8, s26
	s_add_u32 s9, s55, s9
	s_addc_u32 s55, 0, s56
	s_add_u32 s9, s9, s54
	s_mul_i32 s26, s8, s26
	s_addc_u32 s9, s55, s57
	s_addc_u32 s54, s102, 0
	s_add_u32 s9, s9, s26
	s_addc_u32 s26, 0, s54
	v_add_co_u32 v3, s9, v3, s9
	s_delay_alu instid0(VALU_DEP_1) | instskip(SKIP_1) | instid1(VALU_DEP_1)
	s_cmp_lg_u32 s9, 0
	s_addc_u32 s8, s8, s26
	v_readfirstlane_b32 s9, v3
	s_mul_i32 s26, s22, s8
	s_delay_alu instid0(VALU_DEP_1)
	s_mul_hi_u32 s54, s22, s9
	s_mul_i32 s23, s23, s9
	s_add_i32 s26, s54, s26
	s_mul_i32 s22, s22, s9
	s_add_i32 s26, s26, s23
	s_mul_hi_u32 s54, s8, s22
	s_mul_i32 s55, s8, s22
	s_mul_hi_u32 s22, s9, s22
	s_mul_hi_u32 s56, s9, s26
	s_mul_i32 s9, s9, s26
	s_mul_hi_u32 s23, s8, s26
	s_add_u32 s9, s22, s9
	s_addc_u32 s22, 0, s56
	s_add_u32 s9, s9, s55
	s_mul_i32 s26, s8, s26
	s_addc_u32 s9, s22, s54
	s_addc_u32 s22, s23, 0
	s_add_u32 s9, s9, s26
	s_addc_u32 s22, 0, s22
	v_add_co_u32 v3, s9, v3, s9
	s_delay_alu instid0(VALU_DEP_1) | instskip(SKIP_1) | instid1(VALU_DEP_1)
	s_cmp_lg_u32 s9, 0
	s_addc_u32 s8, s8, s22
	v_readfirstlane_b32 s9, v3
	s_mul_i32 s23, s76, s8
	s_mul_hi_u32 s22, s76, s8
	s_mul_hi_u32 s26, s27, s8
	s_mul_i32 s8, s27, s8
	s_mul_hi_u32 s54, s76, s9
	s_mul_hi_u32 s55, s27, s9
	s_mul_i32 s9, s27, s9
	s_add_u32 s23, s54, s23
	s_addc_u32 s22, 0, s22
	s_add_u32 s9, s23, s9
	s_addc_u32 s9, s22, s55
	s_addc_u32 s22, s26, 0
	s_add_u32 s8, s9, s8
	s_addc_u32 s9, 0, s22
	s_mul_hi_u32 s22, s49, s8
	s_mul_i32 s8, s49, s8
	s_mul_i32 s9, s49, s9
	v_sub_co_u32 v3, s8, s76, s8
	s_add_i32 s22, s22, s9
	s_cmp_lg_u32 s8, 0
	s_delay_alu instid0(VALU_DEP_1) | instskip(SKIP_3) | instid1(VALU_DEP_2)
	v_sub_co_u32 v4, s8, v3, s49
	s_subb_u32 s9, s27, s22
	s_cmp_lg_u32 s8, 0
	v_cmp_le_u32_e32 vcc_lo, s49, v3
	v_cmp_le_u32_e64 s8, s49, v4
	v_sub_co_u32 v5, s22, v4, s49
	s_subb_u32 s23, s9, 0
	s_cmp_lg_u32 s22, 0
	s_delay_alu instid0(VALU_DEP_2)
	v_cndmask_b32_e64 v8, 0, -1, s8
	s_subb_u32 s22, s23, 0
	s_cmp_eq_u32 s23, 0
	v_mov_b32_e32 v10, s22
	v_cndmask_b32_e64 v9, 0, -1, vcc_lo
	s_cselect_b32 vcc_lo, -1, 0
	s_cmp_eq_u32 s9, 0
	v_cndmask_b32_e32 v8, -1, v8, vcc_lo
	s_cselect_b32 vcc_lo, -1, 0
	v_cndmask_b32_e32 v9, -1, v9, vcc_lo
	s_delay_alu instid0(VALU_DEP_2) | instskip(NEXT) | instid1(VALU_DEP_2)
	v_cmp_ne_u32_e32 vcc_lo, 0, v8
	v_cmp_ne_u32_e64 s8, 0, v9
	v_cndmask_b32_e32 v8, s23, v10, vcc_lo
	v_cndmask_b32_e32 v5, v4, v5, vcc_lo
	s_delay_alu instid0(VALU_DEP_2) | instskip(NEXT) | instid1(VALU_DEP_2)
	v_cndmask_b32_e64 v4, s9, v8, s8
	v_cndmask_b32_e64 v3, v3, v5, s8
	s_mov_b32 s8, 0
	s_branch .LBB159_250
.LBB159_249:                            ;   in Loop: Header=BB159_12 Depth=1
	s_mov_b32 s8, -1
                                        ; implicit-def: $vgpr3_vgpr4
.LBB159_250:                            ;   in Loop: Header=BB159_12 Depth=1
	s_delay_alu instid0(SALU_CYCLE_1)
	s_and_not1_b32 vcc_lo, exec_lo, s8
	s_cbranch_vccnz .LBB159_252
; %bb.251:                              ;   in Loop: Header=BB159_12 Depth=1
	v_cvt_f32_u32_e32 v3, s49
	s_sub_i32 s8, 0, s49
	s_delay_alu instid0(VALU_DEP_1) | instskip(SKIP_2) | instid1(VALU_DEP_1)
	v_rcp_iflag_f32_e32 v3, v3
	s_waitcnt_depctr 0xfff
	v_mul_f32_e32 v3, 0x4f7ffffe, v3
	v_cvt_u32_f32_e32 v3, v3
	s_delay_alu instid0(VALU_DEP_1) | instskip(NEXT) | instid1(VALU_DEP_1)
	v_mul_lo_u32 v4, s8, v3
	v_mul_hi_u32 v4, v3, v4
	s_delay_alu instid0(VALU_DEP_1) | instskip(NEXT) | instid1(VALU_DEP_1)
	v_add_nc_u32_e32 v3, v3, v4
	v_mul_hi_u32 v3, s76, v3
	s_delay_alu instid0(VALU_DEP_1) | instskip(NEXT) | instid1(VALU_DEP_1)
	v_mul_lo_u32 v3, v3, s49
	v_sub_nc_u32_e32 v3, s76, v3
	s_delay_alu instid0(VALU_DEP_1) | instskip(SKIP_1) | instid1(VALU_DEP_2)
	v_subrev_nc_u32_e32 v4, s49, v3
	v_cmp_le_u32_e32 vcc_lo, s49, v3
	v_cndmask_b32_e32 v3, v3, v4, vcc_lo
	s_delay_alu instid0(VALU_DEP_1) | instskip(SKIP_1) | instid1(VALU_DEP_2)
	v_subrev_nc_u32_e32 v4, s49, v3
	v_cmp_le_u32_e32 vcc_lo, s49, v3
	v_cndmask_b32_e32 v18, v3, v4, vcc_lo
	s_delay_alu instid0(VALU_DEP_1)
	v_dual_mov_b32 v3, v18 :: v_dual_mov_b32 v4, v19
.LBB159_252:                            ;   in Loop: Header=BB159_12 Depth=1
	s_delay_alu instid0(VALU_DEP_1) | instskip(NEXT) | instid1(VALU_DEP_2)
	v_sub_co_u32 v30, vcc_lo, s76, v3
	v_sub_co_ci_u32_e32 v31, vcc_lo, s27, v4, vcc_lo
	s_mov_b32 s26, 0
	s_mov_b32 s9, exec_lo
                                        ; implicit-def: $vgpr10_vgpr11
	s_delay_alu instid0(VALU_DEP_1)
	v_cmpx_gt_u64_e64 v[30:31], v[0:1]
	s_cbranch_execz .LBB159_261
; %bb.253:                              ;   in Loop: Header=BB159_12 Depth=1
	v_dual_mov_b32 v33, v1 :: v_dual_mov_b32 v32, v0
	s_mov_b32 s23, 0
                                        ; implicit-def: $sgpr22
	s_branch .LBB159_255
.LBB159_254:                            ;   in Loop: Header=BB159_255 Depth=2
	s_or_b32 exec_lo, exec_lo, s8
	s_waitcnt vmcnt(0) lgkmcnt(0)
	s_barrier
	buffer_gl0_inv
	ds_load_b128 v[8:11], v19 offset:3072
	v_add_co_u32 v32, vcc_lo, v32, s49
	v_add_co_ci_u32_e32 v33, vcc_lo, 0, v33, vcc_lo
	s_waitcnt lgkmcnt(0)
	s_barrier
	buffer_gl0_inv
	v_cmp_ge_u64_e32 vcc_lo, v[32:33], v[30:31]
	v_readfirstlane_b32 s103, v9
	v_readfirstlane_b32 s102, v8
	s_delay_alu instid0(VALU_DEP_1) | instskip(SKIP_1) | instid1(SALU_CYCLE_1)
	s_cmp_lg_u64 s[102:103], 0
	s_cselect_b32 s8, -1, 0
	s_or_b32 s26, vcc_lo, s8
	s_delay_alu instid0(SALU_CYCLE_1) | instskip(NEXT) | instid1(SALU_CYCLE_1)
	s_and_b32 s26, exec_lo, s26
	s_or_b32 s23, s26, s23
	s_and_not1_b32 s22, s22, exec_lo
	s_and_b32 s8, s8, exec_lo
	s_delay_alu instid0(SALU_CYCLE_1)
	s_or_b32 s22, s22, s8
	s_and_not1_b32 exec_lo, exec_lo, s23
	s_cbranch_execz .LBB159_260
.LBB159_255:                            ;   Parent Loop BB159_12 Depth=1
                                        ; =>  This Inner Loop Header: Depth=2
	s_delay_alu instid0(VALU_DEP_1)
	v_cmp_gt_u64_e32 vcc_lo, s[36:37], v[32:33]
	v_mov_b32_e32 v4, 0
	v_mov_b32_e32 v5, 0
	s_and_saveexec_b32 s26, vcc_lo
	s_cbranch_execz .LBB159_257
; %bb.256:                              ;   in Loop: Header=BB159_255 Depth=2
	v_mul_lo_u32 v5, v33, s30
	v_mul_lo_u32 v8, v32, s31
	v_mad_u64_u32 v[3:4], null, v32, s30, 0
	s_delay_alu instid0(VALU_DEP_1) | instskip(NEXT) | instid1(VALU_DEP_1)
	v_add3_u32 v4, v4, v8, v5
	v_lshlrev_b64 v[3:4], 3, v[3:4]
	s_delay_alu instid0(VALU_DEP_1) | instskip(NEXT) | instid1(VALU_DEP_1)
	v_add_co_u32 v3, s8, s33, v3
	v_add_co_ci_u32_e64 v4, s8, s35, v4, s8
	global_load_b64 v[4:5], v[3:4], off
.LBB159_257:                            ;   in Loop: Header=BB159_255 Depth=2
	s_or_b32 exec_lo, exec_lo, s26
	s_and_saveexec_b32 s8, vcc_lo
	s_cbranch_execz .LBB159_254
; %bb.258:                              ;   in Loop: Header=BB159_255 Depth=2
	s_waitcnt vmcnt(0)
	v_xor_b32_e32 v3, 0x80000000, v5
	v_and_b32_e32 v8, v4, v14
	s_delay_alu instid0(VALU_DEP_2) | instskip(NEXT) | instid1(VALU_DEP_1)
	v_and_b32_e32 v9, v3, v15
	v_cmp_eq_u64_e32 vcc_lo, v[8:9], v[12:13]
	s_and_b32 exec_lo, exec_lo, vcc_lo
	s_cbranch_execz .LBB159_254
; %bb.259:                              ;   in Loop: Header=BB159_255 Depth=2
	v_mov_b32_e32 v3, v19
	ds_store_b128 v19, v[2:5] offset:3072
	s_branch .LBB159_254
.LBB159_260:                            ;   in Loop: Header=BB159_12 Depth=1
	s_or_b32 exec_lo, exec_lo, s23
	s_delay_alu instid0(SALU_CYCLE_1)
	s_and_b32 s26, s22, exec_lo
.LBB159_261:                            ;   in Loop: Header=BB159_12 Depth=1
	s_or_b32 exec_lo, exec_lo, s9
	s_mov_b32 s22, -1
	s_mov_b32 s8, 0
	s_mov_b32 s9, 0
.LBB159_262:                            ;   in Loop: Header=BB159_12 Depth=1
	s_or_not1_b32 s26, s26, exec_lo
.LBB159_263:                            ;   in Loop: Header=BB159_12 Depth=1
	s_or_b32 exec_lo, exec_lo, s101
	s_mov_b32 s101, 0
                                        ; implicit-def: $vgpr5
                                        ; implicit-def: $vgpr3_vgpr4
	s_and_saveexec_b32 s23, s26
	s_cbranch_execz .LBB159_275
; %bb.264:                              ;   in Loop: Header=BB159_12 Depth=1
	v_mov_b32_e32 v3, 1
	v_dual_mov_b32 v4, 0 :: v_dual_mov_b32 v5, 1
	s_xor_b32 s54, s100, -1
	s_delay_alu instid0(SALU_CYCLE_1)
	s_and_saveexec_b32 s26, s54
	s_cbranch_execz .LBB159_274
; %bb.265:                              ;   in Loop: Header=BB159_12 Depth=1
                                        ; implicit-def: $sgpr101
	s_mov_b32 s54, exec_lo
	v_cmpx_ge_u64_e64 s[20:21], v[28:29]
	s_xor_b32 s100, exec_lo, s54
	s_cbranch_execz .LBB159_271
; %bb.266:                              ;   in Loop: Header=BB159_12 Depth=1
	ds_load_b64 v[3:4], v19 offset:5120
	s_waitcnt lgkmcnt(0)
	v_cmp_ne_u64_e32 vcc_lo, 0, v[3:4]
	s_cbranch_vccnz .LBB159_270
; %bb.267:                              ;   in Loop: Header=BB159_12 Depth=1
	s_and_saveexec_b32 s101, s5
	s_cbranch_execz .LBB159_269
; %bb.268:                              ;   in Loop: Header=BB159_12 Depth=1
	v_dual_mov_b32 v3, s20 :: v_dual_mov_b32 v4, s21
	ds_store_b64 v19, v[3:4] offset:5128
.LBB159_269:                            ;   in Loop: Header=BB159_12 Depth=1
	s_or_b32 exec_lo, exec_lo, s101
	s_waitcnt lgkmcnt(0)
	s_barrier
	buffer_gl0_inv
.LBB159_270:                            ;   in Loop: Header=BB159_12 Depth=1
	v_or_b32_e32 v13, s13, v13
	v_or_b32_e32 v12, s12, v12
	;; [unrolled: 1-line block ×4, first 2 shown]
	s_mov_b32 s101, 8
.LBB159_271:                            ;   in Loop: Header=BB159_12 Depth=1
	s_or_saveexec_b32 s100, s100
	v_mov_b32_e32 v5, s101
	s_xor_b32 exec_lo, exec_lo, s100
; %bb.272:                              ;   in Loop: Header=BB159_12 Depth=1
	v_sub_co_u32 v28, vcc_lo, v28, s20
	v_subrev_co_ci_u32_e32 v29, vcc_lo, s21, v29, vcc_lo
	v_mov_b32_e32 v5, 8
; %bb.273:                              ;   in Loop: Header=BB159_12 Depth=1
	s_or_b32 exec_lo, exec_lo, s100
	s_delay_alu instid0(VALU_DEP_2)
	v_dual_mov_b32 v3, v28 :: v_dual_mov_b32 v4, v29
.LBB159_274:                            ;   in Loop: Header=BB159_12 Depth=1
	s_or_b32 exec_lo, exec_lo, s26
	s_delay_alu instid0(SALU_CYCLE_1)
	s_mov_b32 s101, exec_lo
.LBB159_275:                            ;   in Loop: Header=BB159_12 Depth=1
	s_or_b32 exec_lo, exec_lo, s23
	s_delay_alu instid0(VALU_DEP_1)
	v_dual_mov_b32 v29, v4 :: v_dual_mov_b32 v28, v3
	s_or_not1_b32 s23, s101, exec_lo
.LBB159_276:                            ;   in Loop: Header=BB159_12 Depth=1
	s_or_b32 exec_lo, exec_lo, s99
	s_delay_alu instid0(SALU_CYCLE_1)
	s_and_not1_b32 s26, s71, exec_lo
	s_and_b32 s8, s8, exec_lo
	v_dual_mov_b32 v31, v29 :: v_dual_mov_b32 v30, v28
	s_or_b32 s71, s26, s8
	s_and_not1_b32 s8, s97, exec_lo
	s_and_b32 s22, s22, exec_lo
	s_and_not1_b32 s26, s96, exec_lo
	s_and_b32 s9, s9, exec_lo
	s_or_b32 s97, s8, s22
	s_or_b32 s96, s26, s9
	s_and_b32 s26, s23, exec_lo
.LBB159_277:                            ;   in Loop: Header=BB159_12 Depth=1
	s_or_b32 exec_lo, exec_lo, s98
	s_delay_alu instid0(SALU_CYCLE_1)
	s_and_b32 s23, s71, exec_lo
	s_and_b32 s22, s97, exec_lo
	;; [unrolled: 1-line block ×3, first 2 shown]
	s_or_not1_b32 s8, s26, exec_lo
.LBB159_278:                            ;   in Loop: Header=BB159_12 Depth=1
	s_or_b32 exec_lo, exec_lo, s70
	s_delay_alu instid0(SALU_CYCLE_1)
	s_and_not1_b32 s26, s62, exec_lo
	s_and_b32 s23, s23, exec_lo
	v_dual_mov_b32 v28, v30 :: v_dual_mov_b32 v29, v31
	s_or_b32 s62, s26, s23
	s_and_not1_b32 s23, s68, exec_lo
	s_and_b32 s22, s22, exec_lo
	s_and_not1_b32 s26, s67, exec_lo
	s_and_b32 s9, s9, exec_lo
	s_or_b32 s68, s23, s22
	s_or_b32 s67, s26, s9
	s_and_b32 s26, s8, exec_lo
.LBB159_279:                            ;   in Loop: Header=BB159_12 Depth=1
	s_or_b32 exec_lo, exec_lo, s69
	s_delay_alu instid0(SALU_CYCLE_1)
	s_and_b32 s23, s62, exec_lo
	s_and_b32 s22, s68, exec_lo
	;; [unrolled: 1-line block ×3, first 2 shown]
	s_or_not1_b32 s62, s26, exec_lo
.LBB159_280:                            ;   in Loop: Header=BB159_12 Depth=1
	s_or_b32 exec_lo, exec_lo, s58
	s_mov_b32 s8, 0
	s_mov_b32 s26, 0
	s_and_saveexec_b32 s58, s62
	s_delay_alu instid0(SALU_CYCLE_1)
	s_xor_b32 s58, exec_lo, s58
; %bb.281:                              ;   in Loop: Header=BB159_12 Depth=1
	v_cmp_ne_u32_e32 vcc_lo, 8, v5
	v_cmp_eq_u32_e64 s8, 8, v5
	s_and_not1_b32 s23, s23, exec_lo
	s_and_not1_b32 s22, s22, exec_lo
	;; [unrolled: 1-line block ×3, first 2 shown]
	s_and_b32 s26, vcc_lo, exec_lo
	s_and_b32 s8, s8, exec_lo
; %bb.282:                              ;   in Loop: Header=BB159_12 Depth=1
	s_or_b32 exec_lo, exec_lo, s58
	s_delay_alu instid0(SALU_CYCLE_1)
	s_and_not1_b32 s25, s25, exec_lo
	s_and_b32 s23, s23, exec_lo
	s_and_b32 s22, s22, exec_lo
	s_or_b32 s25, s25, s23
	s_and_not1_b32 s23, s64, exec_lo
	s_and_not1_b32 s58, s63, exec_lo
	s_and_b32 s9, s9, exec_lo
	s_or_b32 s64, s23, s22
	s_or_b32 s63, s58, s9
	s_and_b32 s58, s26, exec_lo
	s_and_b32 s62, s8, exec_lo
.LBB159_283:                            ;   in Loop: Header=BB159_12 Depth=1
	s_or_b32 exec_lo, exec_lo, s66
	s_delay_alu instid0(SALU_CYCLE_1)
	s_and_b32 vcc_lo, exec_lo, s65
	s_cbranch_vccz .LBB159_102
.LBB159_284:                            ;   in Loop: Header=BB159_12 Depth=1
	s_delay_alu instid0(VALU_DEP_1) | instskip(SKIP_1) | instid1(SALU_CYCLE_1)
	s_cmp_eq_u64 s[20:21], 1
                                        ; implicit-def: $sgpr22
                                        ; implicit-def: $sgpr23
                                        ; implicit-def: $sgpr25
	s_cselect_b32 s8, -1, 0
	s_and_b32 s64, s8, s7
	s_mov_b32 s7, -1
	s_and_saveexec_b32 s63, s64
	s_cbranch_execz .LBB159_316
; %bb.285:                              ;   in Loop: Header=BB159_12 Depth=1
	ds_load_b64 v[3:4], v19 offset:5120
	s_waitcnt lgkmcnt(0)
	s_barrier
	buffer_gl0_inv
	v_readfirstlane_b32 s8, v3
	v_readfirstlane_b32 s9, v4
	s_and_saveexec_b32 s7, s6
	s_cbranch_execz .LBB159_287
; %bb.286:                              ;   in Loop: Header=BB159_12 Depth=1
	v_mov_b32_e32 v18, v19
	ds_store_b64 v38, v[18:19]
.LBB159_287:                            ;   in Loop: Header=BB159_12 Depth=1
	s_or_b32 exec_lo, exec_lo, s7
	v_or_b32_e32 v25, s13, v25
	v_or_b32_e32 v24, s12, v24
	;; [unrolled: 1-line block ×4, first 2 shown]
	s_cmp_eq_u64 s[8:9], 0
	s_waitcnt lgkmcnt(0)
	s_barrier
	buffer_gl0_inv
	s_cbranch_scc1 .LBB159_299
; %bb.288:                              ;   in Loop: Header=BB159_12 Depth=1
	s_add_u32 s25, s74, s8
	s_addc_u32 s23, s75, s9
	s_mov_b32 s22, s59
	s_delay_alu instid0(SALU_CYCLE_1)
	s_cmp_lg_u64 s[22:23], 0
	s_cbranch_scc0 .LBB159_343
; %bb.289:                              ;   in Loop: Header=BB159_12 Depth=1
	v_cvt_f32_u32_e32 v3, s49
	s_sub_u32 s26, 0, s49
	s_subb_u32 s65, 0, 0
	s_delay_alu instid0(VALU_DEP_1) | instskip(NEXT) | instid1(VALU_DEP_1)
	v_fmac_f32_e64 v3, 0, 0x4f800000
	v_rcp_f32_e32 v3, v3
	s_waitcnt_depctr 0xfff
	v_mul_f32_e32 v3, 0x5f7ffffc, v3
	s_delay_alu instid0(VALU_DEP_1) | instskip(NEXT) | instid1(VALU_DEP_1)
	v_mul_f32_e32 v4, 0x2f800000, v3
	v_trunc_f32_e32 v4, v4
	s_delay_alu instid0(VALU_DEP_1) | instskip(SKIP_1) | instid1(VALU_DEP_2)
	v_fmac_f32_e32 v3, 0xcf800000, v4
	v_cvt_u32_f32_e32 v4, v4
	v_cvt_u32_f32_e32 v3, v3
	s_delay_alu instid0(VALU_DEP_2) | instskip(NEXT) | instid1(VALU_DEP_2)
	v_readfirstlane_b32 s7, v4
	v_readfirstlane_b32 s22, v3
	s_delay_alu instid0(VALU_DEP_2) | instskip(NEXT) | instid1(VALU_DEP_1)
	s_mul_i32 s66, s26, s7
	s_mul_hi_u32 s68, s26, s22
	s_mul_i32 s67, s65, s22
	s_add_i32 s66, s68, s66
	s_mul_i32 s69, s26, s22
	s_add_i32 s66, s66, s67
	s_mul_hi_u32 s68, s22, s69
	s_mul_hi_u32 s70, s7, s69
	s_mul_i32 s67, s7, s69
	s_mul_hi_u32 s69, s22, s66
	s_mul_i32 s22, s22, s66
	s_mul_hi_u32 s71, s7, s66
	s_add_u32 s22, s68, s22
	s_addc_u32 s68, 0, s69
	s_add_u32 s22, s22, s67
	s_mul_i32 s66, s7, s66
	s_addc_u32 s22, s68, s70
	s_addc_u32 s67, s71, 0
	s_add_u32 s22, s22, s66
	s_addc_u32 s66, 0, s67
	v_add_co_u32 v3, s22, v3, s22
	s_delay_alu instid0(VALU_DEP_1) | instskip(SKIP_1) | instid1(VALU_DEP_1)
	s_cmp_lg_u32 s22, 0
	s_addc_u32 s7, s7, s66
	v_readfirstlane_b32 s22, v3
	s_mul_i32 s66, s26, s7
	s_delay_alu instid0(VALU_DEP_1)
	s_mul_hi_u32 s67, s26, s22
	s_mul_i32 s65, s65, s22
	s_add_i32 s66, s67, s66
	s_mul_i32 s26, s26, s22
	s_add_i32 s66, s66, s65
	s_mul_hi_u32 s67, s7, s26
	s_mul_i32 s68, s7, s26
	s_mul_hi_u32 s26, s22, s26
	s_mul_hi_u32 s69, s22, s66
	s_mul_i32 s22, s22, s66
	s_mul_hi_u32 s65, s7, s66
	s_add_u32 s22, s26, s22
	s_addc_u32 s26, 0, s69
	s_add_u32 s22, s22, s68
	s_mul_i32 s66, s7, s66
	s_addc_u32 s22, s26, s67
	s_addc_u32 s26, s65, 0
	s_add_u32 s22, s22, s66
	s_addc_u32 s26, 0, s26
	v_add_co_u32 v3, s22, v3, s22
	s_delay_alu instid0(VALU_DEP_1) | instskip(SKIP_1) | instid1(VALU_DEP_1)
	s_cmp_lg_u32 s22, 0
	s_addc_u32 s7, s7, s26
	v_readfirstlane_b32 s22, v3
	s_mul_i32 s65, s25, s7
	s_mul_hi_u32 s26, s25, s7
	s_mul_hi_u32 s66, s23, s7
	s_mul_i32 s7, s23, s7
	s_mul_hi_u32 s67, s25, s22
	s_mul_hi_u32 s68, s23, s22
	s_mul_i32 s22, s23, s22
	s_add_u32 s65, s67, s65
	s_addc_u32 s26, 0, s26
	s_add_u32 s22, s65, s22
	s_addc_u32 s22, s26, s68
	s_addc_u32 s26, s66, 0
	s_add_u32 s7, s22, s7
	s_addc_u32 s22, 0, s26
	s_mul_hi_u32 s26, s49, s7
	s_mul_i32 s7, s49, s7
	s_mul_i32 s22, s49, s22
	v_sub_co_u32 v3, s7, s25, s7
	s_add_i32 s26, s26, s22
	s_cmp_lg_u32 s7, 0
	s_delay_alu instid0(VALU_DEP_1) | instskip(SKIP_2) | instid1(VALU_DEP_1)
	v_sub_co_u32 v4, s7, v3, s49
	s_subb_u32 s22, s23, s26
	s_cmp_lg_u32 s7, 0
	v_cmp_le_u32_e32 vcc_lo, s49, v4
	v_sub_co_u32 v5, s7, v4, s49
	s_subb_u32 s26, s22, 0
	s_cmp_lg_u32 s7, 0
	v_cndmask_b32_e64 v6, 0, -1, vcc_lo
	s_subb_u32 s7, s26, 0
	s_cmp_eq_u32 s26, 0
	v_mov_b32_e32 v8, s7
	s_cselect_b32 vcc_lo, -1, 0
	s_cmp_eq_u32 s22, 0
	v_cndmask_b32_e32 v6, -1, v6, vcc_lo
	v_cmp_le_u32_e32 vcc_lo, s49, v3
	s_cselect_b32 s7, -1, 0
	v_cndmask_b32_e64 v7, 0, -1, vcc_lo
	s_delay_alu instid0(VALU_DEP_3) | instskip(NEXT) | instid1(VALU_DEP_2)
	v_cmp_ne_u32_e32 vcc_lo, 0, v6
	v_cndmask_b32_e64 v6, -1, v7, s7
	v_cndmask_b32_e32 v7, s26, v8, vcc_lo
	v_cndmask_b32_e32 v5, v4, v5, vcc_lo
	s_delay_alu instid0(VALU_DEP_3) | instskip(NEXT) | instid1(VALU_DEP_3)
	v_cmp_ne_u32_e32 vcc_lo, 0, v6
	v_cndmask_b32_e32 v4, s22, v7, vcc_lo
	s_delay_alu instid0(VALU_DEP_3)
	v_cndmask_b32_e32 v3, v3, v5, vcc_lo
	s_cbranch_execnz .LBB159_291
.LBB159_290:                            ;   in Loop: Header=BB159_12 Depth=1
	v_cvt_f32_u32_e32 v3, s49
	s_sub_i32 s7, 0, s49
	s_delay_alu instid0(VALU_DEP_1) | instskip(SKIP_2) | instid1(VALU_DEP_1)
	v_rcp_iflag_f32_e32 v3, v3
	s_waitcnt_depctr 0xfff
	v_mul_f32_e32 v3, 0x4f7ffffe, v3
	v_cvt_u32_f32_e32 v3, v3
	s_delay_alu instid0(VALU_DEP_1) | instskip(NEXT) | instid1(VALU_DEP_1)
	v_mul_lo_u32 v4, s7, v3
	v_mul_hi_u32 v4, v3, v4
	s_delay_alu instid0(VALU_DEP_1) | instskip(NEXT) | instid1(VALU_DEP_1)
	v_add_nc_u32_e32 v3, v3, v4
	v_mul_hi_u32 v3, s25, v3
	s_delay_alu instid0(VALU_DEP_1) | instskip(NEXT) | instid1(VALU_DEP_1)
	v_mul_lo_u32 v3, v3, s49
	v_sub_nc_u32_e32 v3, s25, v3
	s_delay_alu instid0(VALU_DEP_1) | instskip(SKIP_1) | instid1(VALU_DEP_2)
	v_subrev_nc_u32_e32 v4, s49, v3
	v_cmp_le_u32_e32 vcc_lo, s49, v3
	v_cndmask_b32_e32 v3, v3, v4, vcc_lo
	s_delay_alu instid0(VALU_DEP_1) | instskip(SKIP_1) | instid1(VALU_DEP_2)
	v_subrev_nc_u32_e32 v4, s49, v3
	v_cmp_le_u32_e32 vcc_lo, s49, v3
	v_cndmask_b32_e32 v18, v3, v4, vcc_lo
	s_delay_alu instid0(VALU_DEP_1)
	v_dual_mov_b32 v3, v18 :: v_dual_mov_b32 v4, v19
.LBB159_291:                            ;   in Loop: Header=BB159_12 Depth=1
	s_delay_alu instid0(VALU_DEP_1) | instskip(NEXT) | instid1(VALU_DEP_2)
	v_sub_co_u32 v8, vcc_lo, s25, v3
	v_sub_co_ci_u32_e32 v9, vcc_lo, s23, v4, vcc_lo
	s_mov_b32 s26, 0
	s_mov_b32 s7, exec_lo
                                        ; implicit-def: $vgpr6_vgpr7
	s_delay_alu instid0(VALU_DEP_1)
	v_cmpx_gt_u64_e64 v[8:9], v[0:1]
	s_cbranch_execz .LBB159_301
; %bb.292:                              ;   in Loop: Header=BB159_12 Depth=1
	v_mov_b32_e32 v12, v37
	v_dual_mov_b32 v11, v1 :: v_dual_mov_b32 v10, v0
	s_mov_b32 s23, 0
                                        ; implicit-def: $sgpr22
	s_set_inst_prefetch_distance 0x1
	s_branch .LBB159_294
	.p2align	6
.LBB159_293:                            ;   in Loop: Header=BB159_294 Depth=2
	s_or_b32 exec_lo, exec_lo, s25
	s_waitcnt lgkmcnt(0)
	s_barrier
	buffer_gl0_inv
	ds_load_b128 v[4:7], v19 offset:3072
	v_add_co_u32 v10, vcc_lo, v10, s49
	v_add_co_ci_u32_e32 v11, vcc_lo, 0, v11, vcc_lo
	v_add_nc_u32_e32 v12, s82, v12
	s_waitcnt lgkmcnt(0)
	s_barrier
	s_delay_alu instid0(VALU_DEP_2) | instskip(SKIP_3) | instid1(VALU_DEP_1)
	v_cmp_ge_u64_e32 vcc_lo, v[10:11], v[8:9]
	buffer_gl0_inv
	v_readfirstlane_b32 s67, v5
	v_readfirstlane_b32 s66, v4
	s_cmp_lg_u64 s[66:67], 0
	s_cselect_b32 s25, -1, 0
	s_delay_alu instid0(SALU_CYCLE_1) | instskip(NEXT) | instid1(SALU_CYCLE_1)
	s_or_b32 s26, vcc_lo, s25
	s_and_b32 s26, exec_lo, s26
	s_delay_alu instid0(SALU_CYCLE_1) | instskip(SKIP_2) | instid1(SALU_CYCLE_1)
	s_or_b32 s23, s26, s23
	s_and_not1_b32 s22, s22, exec_lo
	s_and_b32 s25, s25, exec_lo
	s_or_b32 s22, s22, s25
	s_and_not1_b32 exec_lo, exec_lo, s23
	s_cbranch_execz .LBB159_300
.LBB159_294:                            ;   Parent Loop BB159_12 Depth=1
                                        ; =>  This Inner Loop Header: Depth=2
	s_delay_alu instid0(VALU_DEP_1)
	v_cmp_gt_u64_e32 vcc_lo, s[8:9], v[10:11]
	v_mov_b32_e32 v4, 0
	v_mov_b32_e32 v5, 0
	s_and_saveexec_b32 s25, vcc_lo
	s_cbranch_execz .LBB159_296
; %bb.295:                              ;   in Loop: Header=BB159_294 Depth=2
	ds_load_b64 v[4:5], v12
.LBB159_296:                            ;   in Loop: Header=BB159_294 Depth=2
	s_or_b32 exec_lo, exec_lo, s25
	s_and_saveexec_b32 s25, vcc_lo
	s_cbranch_execz .LBB159_293
; %bb.297:                              ;   in Loop: Header=BB159_294 Depth=2
	s_waitcnt lgkmcnt(0)
	v_xor_b32_e32 v3, 0x80000000, v5
	v_and_b32_e32 v6, v4, v22
	s_delay_alu instid0(VALU_DEP_2) | instskip(NEXT) | instid1(VALU_DEP_1)
	v_and_b32_e32 v7, v3, v23
	v_cmp_eq_u64_e32 vcc_lo, v[6:7], v[24:25]
	s_and_b32 exec_lo, exec_lo, vcc_lo
	s_cbranch_execz .LBB159_293
; %bb.298:                              ;   in Loop: Header=BB159_294 Depth=2
	v_mov_b32_e32 v3, v19
	ds_store_b128 v19, v[2:5] offset:3072
	s_branch .LBB159_293
.LBB159_299:                            ;   in Loop: Header=BB159_12 Depth=1
	s_mov_b32 s22, -1
	s_mov_b32 s26, 0
                                        ; implicit-def: $sgpr23
                                        ; implicit-def: $vgpr6_vgpr7
	s_mov_b32 s25, s22
	s_cbranch_execnz .LBB159_302
	s_branch .LBB159_315
.LBB159_300:                            ;   in Loop: Header=BB159_12 Depth=1
	s_set_inst_prefetch_distance 0x2
	s_or_b32 exec_lo, exec_lo, s23
	s_delay_alu instid0(SALU_CYCLE_1)
	s_and_b32 s26, s22, exec_lo
.LBB159_301:                            ;   in Loop: Header=BB159_12 Depth=1
	s_or_b32 exec_lo, exec_lo, s7
	s_mov_b32 s22, 0
	s_mov_b32 s23, -1
	s_mov_b32 s25, s22
	s_branch .LBB159_315
.LBB159_302:                            ;   in Loop: Header=BB159_12 Depth=1
	s_mov_b32 s26, s59
	s_delay_alu instid0(SALU_CYCLE_1)
	s_cmp_lg_u64 s[26:27], 0
	s_cbranch_scc0 .LBB159_344
; %bb.303:                              ;   in Loop: Header=BB159_12 Depth=1
	v_cvt_f32_u32_e32 v3, s49
	s_sub_u32 s9, 0, s49
	s_subb_u32 s22, 0, 0
	s_delay_alu instid0(VALU_DEP_1) | instskip(NEXT) | instid1(VALU_DEP_1)
	v_fmac_f32_e64 v3, 0, 0x4f800000
	v_rcp_f32_e32 v3, v3
	s_waitcnt_depctr 0xfff
	v_mul_f32_e32 v3, 0x5f7ffffc, v3
	s_delay_alu instid0(VALU_DEP_1) | instskip(NEXT) | instid1(VALU_DEP_1)
	v_mul_f32_e32 v4, 0x2f800000, v3
	v_trunc_f32_e32 v4, v4
	s_delay_alu instid0(VALU_DEP_1) | instskip(SKIP_1) | instid1(VALU_DEP_2)
	v_fmac_f32_e32 v3, 0xcf800000, v4
	v_cvt_u32_f32_e32 v4, v4
	v_cvt_u32_f32_e32 v3, v3
	s_delay_alu instid0(VALU_DEP_2) | instskip(NEXT) | instid1(VALU_DEP_2)
	v_readfirstlane_b32 s7, v4
	v_readfirstlane_b32 s8, v3
	s_delay_alu instid0(VALU_DEP_2) | instskip(NEXT) | instid1(VALU_DEP_1)
	s_mul_i32 s23, s9, s7
	s_mul_hi_u32 s26, s9, s8
	s_mul_i32 s25, s22, s8
	s_add_i32 s23, s26, s23
	s_mul_i32 s65, s9, s8
	s_add_i32 s23, s23, s25
	s_mul_hi_u32 s26, s8, s65
	s_mul_hi_u32 s66, s7, s65
	s_mul_i32 s25, s7, s65
	s_mul_hi_u32 s65, s8, s23
	s_mul_i32 s8, s8, s23
	s_mul_hi_u32 s67, s7, s23
	s_add_u32 s8, s26, s8
	s_addc_u32 s26, 0, s65
	s_add_u32 s8, s8, s25
	s_mul_i32 s23, s7, s23
	s_addc_u32 s8, s26, s66
	s_addc_u32 s25, s67, 0
	s_add_u32 s8, s8, s23
	s_addc_u32 s23, 0, s25
	v_add_co_u32 v3, s8, v3, s8
	s_delay_alu instid0(VALU_DEP_1) | instskip(SKIP_1) | instid1(VALU_DEP_1)
	s_cmp_lg_u32 s8, 0
	s_addc_u32 s7, s7, s23
	v_readfirstlane_b32 s8, v3
	s_mul_i32 s23, s9, s7
	s_delay_alu instid0(VALU_DEP_1)
	s_mul_hi_u32 s25, s9, s8
	s_mul_i32 s22, s22, s8
	s_add_i32 s23, s25, s23
	s_mul_i32 s9, s9, s8
	s_add_i32 s23, s23, s22
	s_mul_hi_u32 s25, s7, s9
	s_mul_i32 s26, s7, s9
	s_mul_hi_u32 s9, s8, s9
	s_mul_hi_u32 s65, s8, s23
	s_mul_i32 s8, s8, s23
	s_mul_hi_u32 s22, s7, s23
	s_add_u32 s8, s9, s8
	s_addc_u32 s9, 0, s65
	s_add_u32 s8, s8, s26
	s_mul_i32 s23, s7, s23
	s_addc_u32 s8, s9, s25
	s_addc_u32 s9, s22, 0
	s_add_u32 s8, s8, s23
	s_addc_u32 s9, 0, s9
	v_add_co_u32 v3, s8, v3, s8
	s_delay_alu instid0(VALU_DEP_1) | instskip(SKIP_1) | instid1(VALU_DEP_1)
	s_cmp_lg_u32 s8, 0
	s_addc_u32 s7, s7, s9
	v_readfirstlane_b32 s8, v3
	s_mul_i32 s22, s76, s7
	s_mul_hi_u32 s9, s76, s7
	s_mul_hi_u32 s23, s27, s7
	s_mul_i32 s7, s27, s7
	s_mul_hi_u32 s25, s76, s8
	s_mul_hi_u32 s26, s27, s8
	s_mul_i32 s8, s27, s8
	s_add_u32 s22, s25, s22
	s_addc_u32 s9, 0, s9
	s_add_u32 s8, s22, s8
	s_addc_u32 s8, s9, s26
	s_addc_u32 s9, s23, 0
	s_add_u32 s7, s8, s7
	s_addc_u32 s8, 0, s9
	s_mul_hi_u32 s9, s49, s7
	s_mul_i32 s7, s49, s7
	s_mul_i32 s8, s49, s8
	v_sub_co_u32 v3, s7, s76, s7
	s_add_i32 s9, s9, s8
	s_cmp_lg_u32 s7, 0
	s_delay_alu instid0(VALU_DEP_1) | instskip(SKIP_2) | instid1(VALU_DEP_1)
	v_sub_co_u32 v4, s7, v3, s49
	s_subb_u32 s8, s27, s9
	s_cmp_lg_u32 s7, 0
	v_cmp_le_u32_e32 vcc_lo, s49, v4
	v_sub_co_u32 v5, s7, v4, s49
	s_subb_u32 s9, s8, 0
	s_cmp_lg_u32 s7, 0
	v_cndmask_b32_e64 v6, 0, -1, vcc_lo
	s_subb_u32 s7, s9, 0
	s_cmp_eq_u32 s9, 0
	v_mov_b32_e32 v8, s7
	s_cselect_b32 vcc_lo, -1, 0
	s_cmp_eq_u32 s8, 0
	v_cndmask_b32_e32 v6, -1, v6, vcc_lo
	v_cmp_le_u32_e32 vcc_lo, s49, v3
	s_cselect_b32 s7, -1, 0
	v_cndmask_b32_e64 v7, 0, -1, vcc_lo
	s_delay_alu instid0(VALU_DEP_3) | instskip(NEXT) | instid1(VALU_DEP_2)
	v_cmp_ne_u32_e32 vcc_lo, 0, v6
	v_cndmask_b32_e64 v6, -1, v7, s7
	v_cndmask_b32_e32 v7, s9, v8, vcc_lo
	v_cndmask_b32_e32 v5, v4, v5, vcc_lo
	s_delay_alu instid0(VALU_DEP_3) | instskip(NEXT) | instid1(VALU_DEP_3)
	v_cmp_ne_u32_e32 vcc_lo, 0, v6
	v_cndmask_b32_e32 v4, s8, v7, vcc_lo
	s_delay_alu instid0(VALU_DEP_3)
	v_cndmask_b32_e32 v3, v3, v5, vcc_lo
	s_cbranch_execnz .LBB159_305
.LBB159_304:                            ;   in Loop: Header=BB159_12 Depth=1
	v_cvt_f32_u32_e32 v3, s49
	s_sub_i32 s7, 0, s49
	s_delay_alu instid0(VALU_DEP_1) | instskip(SKIP_2) | instid1(VALU_DEP_1)
	v_rcp_iflag_f32_e32 v3, v3
	s_waitcnt_depctr 0xfff
	v_mul_f32_e32 v3, 0x4f7ffffe, v3
	v_cvt_u32_f32_e32 v3, v3
	s_delay_alu instid0(VALU_DEP_1) | instskip(NEXT) | instid1(VALU_DEP_1)
	v_mul_lo_u32 v4, s7, v3
	v_mul_hi_u32 v4, v3, v4
	s_delay_alu instid0(VALU_DEP_1) | instskip(NEXT) | instid1(VALU_DEP_1)
	v_add_nc_u32_e32 v3, v3, v4
	v_mul_hi_u32 v3, s76, v3
	s_delay_alu instid0(VALU_DEP_1) | instskip(NEXT) | instid1(VALU_DEP_1)
	v_mul_lo_u32 v3, v3, s49
	v_sub_nc_u32_e32 v3, s76, v3
	s_delay_alu instid0(VALU_DEP_1) | instskip(SKIP_1) | instid1(VALU_DEP_2)
	v_subrev_nc_u32_e32 v4, s49, v3
	v_cmp_le_u32_e32 vcc_lo, s49, v3
	v_cndmask_b32_e32 v3, v3, v4, vcc_lo
	s_delay_alu instid0(VALU_DEP_1) | instskip(SKIP_1) | instid1(VALU_DEP_2)
	v_subrev_nc_u32_e32 v4, s49, v3
	v_cmp_le_u32_e32 vcc_lo, s49, v3
	v_cndmask_b32_e32 v18, v3, v4, vcc_lo
	s_delay_alu instid0(VALU_DEP_1)
	v_dual_mov_b32 v3, v18 :: v_dual_mov_b32 v4, v19
.LBB159_305:                            ;   in Loop: Header=BB159_12 Depth=1
	s_delay_alu instid0(VALU_DEP_1) | instskip(NEXT) | instid1(VALU_DEP_2)
	v_sub_co_u32 v8, vcc_lo, s76, v3
	v_sub_co_ci_u32_e32 v9, vcc_lo, s27, v4, vcc_lo
	s_mov_b32 s26, 0
	s_mov_b32 s8, exec_lo
                                        ; implicit-def: $vgpr6_vgpr7
	s_delay_alu instid0(VALU_DEP_1)
	v_cmpx_gt_u64_e64 v[8:9], v[0:1]
	s_cbranch_execz .LBB159_314
; %bb.306:                              ;   in Loop: Header=BB159_12 Depth=1
	v_dual_mov_b32 v11, v1 :: v_dual_mov_b32 v10, v0
	s_mov_b32 s22, 0
                                        ; implicit-def: $sgpr9
	s_branch .LBB159_308
.LBB159_307:                            ;   in Loop: Header=BB159_308 Depth=2
	s_or_b32 exec_lo, exec_lo, s7
	s_waitcnt vmcnt(0) lgkmcnt(0)
	s_barrier
	buffer_gl0_inv
	ds_load_b128 v[4:7], v19 offset:3072
	v_add_co_u32 v10, vcc_lo, v10, s49
	v_add_co_ci_u32_e32 v11, vcc_lo, 0, v11, vcc_lo
	s_waitcnt lgkmcnt(0)
	s_barrier
	buffer_gl0_inv
	v_cmp_ge_u64_e32 vcc_lo, v[10:11], v[8:9]
	v_readfirstlane_b32 s67, v5
	v_readfirstlane_b32 s66, v4
	s_delay_alu instid0(VALU_DEP_1) | instskip(SKIP_1) | instid1(SALU_CYCLE_1)
	s_cmp_lg_u64 s[66:67], 0
	s_cselect_b32 s7, -1, 0
	s_or_b32 s23, vcc_lo, s7
	s_delay_alu instid0(SALU_CYCLE_1) | instskip(NEXT) | instid1(SALU_CYCLE_1)
	s_and_b32 s23, exec_lo, s23
	s_or_b32 s22, s23, s22
	s_and_not1_b32 s9, s9, exec_lo
	s_and_b32 s7, s7, exec_lo
	s_delay_alu instid0(SALU_CYCLE_1)
	s_or_b32 s9, s9, s7
	s_and_not1_b32 exec_lo, exec_lo, s22
	s_cbranch_execz .LBB159_313
.LBB159_308:                            ;   Parent Loop BB159_12 Depth=1
                                        ; =>  This Inner Loop Header: Depth=2
	s_delay_alu instid0(VALU_DEP_1)
	v_cmp_gt_u64_e32 vcc_lo, s[36:37], v[10:11]
	v_mov_b32_e32 v4, 0
	v_mov_b32_e32 v5, 0
	s_and_saveexec_b32 s23, vcc_lo
	s_cbranch_execz .LBB159_310
; %bb.309:                              ;   in Loop: Header=BB159_308 Depth=2
	v_mul_lo_u32 v5, v11, s30
	v_mul_lo_u32 v6, v10, s31
	v_mad_u64_u32 v[3:4], null, v10, s30, 0
	s_delay_alu instid0(VALU_DEP_1) | instskip(NEXT) | instid1(VALU_DEP_1)
	v_add3_u32 v4, v4, v6, v5
	v_lshlrev_b64 v[3:4], 3, v[3:4]
	s_delay_alu instid0(VALU_DEP_1) | instskip(NEXT) | instid1(VALU_DEP_1)
	v_add_co_u32 v3, s7, s33, v3
	v_add_co_ci_u32_e64 v4, s7, s35, v4, s7
	global_load_b64 v[4:5], v[3:4], off
.LBB159_310:                            ;   in Loop: Header=BB159_308 Depth=2
	s_or_b32 exec_lo, exec_lo, s23
	s_and_saveexec_b32 s7, vcc_lo
	s_cbranch_execz .LBB159_307
; %bb.311:                              ;   in Loop: Header=BB159_308 Depth=2
	s_waitcnt vmcnt(0)
	v_xor_b32_e32 v3, 0x80000000, v5
	v_and_b32_e32 v6, v4, v22
	s_delay_alu instid0(VALU_DEP_2) | instskip(NEXT) | instid1(VALU_DEP_1)
	v_and_b32_e32 v7, v3, v23
	v_cmp_eq_u64_e32 vcc_lo, v[6:7], v[24:25]
	s_and_b32 exec_lo, exec_lo, vcc_lo
	s_cbranch_execz .LBB159_307
; %bb.312:                              ;   in Loop: Header=BB159_308 Depth=2
	v_mov_b32_e32 v3, v19
	ds_store_b128 v19, v[2:5] offset:3072
	s_branch .LBB159_307
.LBB159_313:                            ;   in Loop: Header=BB159_12 Depth=1
	s_or_b32 exec_lo, exec_lo, s22
	s_delay_alu instid0(SALU_CYCLE_1)
	s_and_b32 s26, s9, exec_lo
.LBB159_314:                            ;   in Loop: Header=BB159_12 Depth=1
	s_or_b32 exec_lo, exec_lo, s8
	s_mov_b32 s23, 0
	s_mov_b32 s22, -1
	s_mov_b32 s25, 0
.LBB159_315:                            ;   in Loop: Header=BB159_12 Depth=1
	s_or_not1_b32 s7, s26, exec_lo
.LBB159_316:                            ;   in Loop: Header=BB159_12 Depth=1
	s_or_b32 exec_lo, exec_lo, s63
                                        ; implicit-def: $vgpr5
                                        ; implicit-def: $vgpr28_vgpr29
                                        ; implicit-def: $vgpr12_vgpr13
                                        ; implicit-def: $vgpr14_vgpr15
                                        ; implicit-def: $vgpr10_vgpr11
	s_and_saveexec_b32 s63, s7
	s_cbranch_execz .LBB159_479
; %bb.317:                              ;   in Loop: Header=BB159_12 Depth=1
	v_dual_mov_b32 v28, 1 :: v_dual_mov_b32 v5, 1
	v_mov_b32_e32 v29, 0
	s_xor_b32 s8, s64, -1
	s_mov_b32 s26, 0
	s_and_saveexec_b32 s7, s8
	s_cbranch_execz .LBB159_327
; %bb.318:                              ;   in Loop: Header=BB159_12 Depth=1
	s_mov_b32 s9, exec_lo
                                        ; implicit-def: $sgpr26
                                        ; implicit-def: $sgpr8
	v_cmpx_ge_u64_e64 s[20:21], v[26:27]
	s_xor_b32 s9, exec_lo, s9
	s_cbranch_execz .LBB159_324
; %bb.319:                              ;   in Loop: Header=BB159_12 Depth=1
	ds_load_b64 v[3:4], v19 offset:5120
	s_waitcnt lgkmcnt(0)
	v_cmp_ne_u64_e32 vcc_lo, 0, v[3:4]
	s_cbranch_vccnz .LBB159_323
; %bb.320:                              ;   in Loop: Header=BB159_12 Depth=1
	s_and_saveexec_b32 s8, s5
	s_cbranch_execz .LBB159_322
; %bb.321:                              ;   in Loop: Header=BB159_12 Depth=1
	v_dual_mov_b32 v3, s20 :: v_dual_mov_b32 v4, s21
	ds_store_b64 v19, v[3:4] offset:5128
.LBB159_322:                            ;   in Loop: Header=BB159_12 Depth=1
	s_or_b32 exec_lo, exec_lo, s8
	s_waitcnt lgkmcnt(0)
	s_barrier
	buffer_gl0_inv
.LBB159_323:                            ;   in Loop: Header=BB159_12 Depth=1
	v_or_b32_e32 v25, s13, v25
	v_or_b32_e32 v24, s12, v24
	;; [unrolled: 1-line block ×4, first 2 shown]
	s_mov_b32 s8, 0
	s_mov_b32 s26, 5
.LBB159_324:                            ;   in Loop: Header=BB159_12 Depth=1
	s_or_saveexec_b32 s9, s9
	v_mov_b32_e32 v5, s26
	s_xor_b32 exec_lo, exec_lo, s9
; %bb.325:                              ;   in Loop: Header=BB159_12 Depth=1
	v_sub_co_u32 v26, vcc_lo, v26, s20
	v_subrev_co_ci_u32_e32 v27, vcc_lo, s21, v27, vcc_lo
	v_mov_b32_e32 v5, 0
	s_or_b32 s8, s8, exec_lo
; %bb.326:                              ;   in Loop: Header=BB159_12 Depth=1
	s_or_b32 exec_lo, exec_lo, s9
	s_delay_alu instid0(VALU_DEP_2)
	v_dual_mov_b32 v29, v27 :: v_dual_mov_b32 v28, v26
	s_and_b32 s26, s8, exec_lo
.LBB159_327:                            ;   in Loop: Header=BB159_12 Depth=1
	s_or_b32 exec_lo, exec_lo, s7
	s_mov_b32 s21, -1
                                        ; implicit-def: $sgpr8
                                        ; implicit-def: $sgpr9
                                        ; implicit-def: $sgpr20
	s_and_saveexec_b32 s7, s26
	s_delay_alu instid0(SALU_CYCLE_1)
	s_xor_b32 s64, exec_lo, s7
	s_cbranch_execz .LBB159_476
; %bb.328:                              ;   in Loop: Header=BB159_12 Depth=1
	v_cmp_eq_u64_e32 vcc_lo, 1, v[28:29]
	s_cmp_eq_u64 s[18:19], 1
                                        ; implicit-def: $sgpr20
                                        ; implicit-def: $sgpr21
                                        ; implicit-def: $sgpr65
	s_cselect_b32 s7, -1, 0
	s_delay_alu instid0(SALU_CYCLE_1)
	s_and_b32 s67, s7, vcc_lo
	s_mov_b32 s7, -1
	s_and_saveexec_b32 s66, s67
	s_cbranch_execz .LBB159_362
; %bb.329:                              ;   in Loop: Header=BB159_12 Depth=1
	ds_load_b64 v[3:4], v19 offset:5120
	s_waitcnt lgkmcnt(0)
	s_barrier
	buffer_gl0_inv
	v_readfirstlane_b32 s8, v3
	v_readfirstlane_b32 s9, v4
	s_and_saveexec_b32 s7, s6
	s_cbranch_execz .LBB159_331
; %bb.330:                              ;   in Loop: Header=BB159_12 Depth=1
	v_mov_b32_e32 v18, v19
	ds_store_b64 v38, v[18:19]
.LBB159_331:                            ;   in Loop: Header=BB159_12 Depth=1
	s_or_b32 exec_lo, exec_lo, s7
	v_and_b32_e32 v3, s15, v25
	v_and_b32_e32 v4, s14, v24
	s_lshl_b64 s[20:21], 2, s24
	v_or_b32_e32 v23, s13, v23
	v_or_b32_e32 v22, s12, v22
	;; [unrolled: 1-line block ×4, first 2 shown]
	s_cmp_eq_u64 s[8:9], 0
	s_waitcnt lgkmcnt(0)
	s_barrier
	buffer_gl0_inv
	s_cbranch_scc1 .LBB159_345
; %bb.332:                              ;   in Loop: Header=BB159_12 Depth=1
	s_add_u32 s26, s74, s8
	s_addc_u32 s21, s75, s9
	s_mov_b32 s20, s59
	s_delay_alu instid0(SALU_CYCLE_1)
	s_cmp_lg_u64 s[20:21], 0
	s_cbranch_scc0 .LBB159_389
; %bb.333:                              ;   in Loop: Header=BB159_12 Depth=1
	v_cvt_f32_u32_e32 v3, s49
	s_sub_u32 s65, 0, s49
	s_subb_u32 s68, 0, 0
	s_delay_alu instid0(VALU_DEP_1) | instskip(NEXT) | instid1(VALU_DEP_1)
	v_fmac_f32_e64 v3, 0, 0x4f800000
	v_rcp_f32_e32 v3, v3
	s_waitcnt_depctr 0xfff
	v_mul_f32_e32 v3, 0x5f7ffffc, v3
	s_delay_alu instid0(VALU_DEP_1) | instskip(NEXT) | instid1(VALU_DEP_1)
	v_mul_f32_e32 v4, 0x2f800000, v3
	v_trunc_f32_e32 v4, v4
	s_delay_alu instid0(VALU_DEP_1) | instskip(SKIP_1) | instid1(VALU_DEP_2)
	v_fmac_f32_e32 v3, 0xcf800000, v4
	v_cvt_u32_f32_e32 v4, v4
	v_cvt_u32_f32_e32 v3, v3
	s_delay_alu instid0(VALU_DEP_2) | instskip(NEXT) | instid1(VALU_DEP_2)
	v_readfirstlane_b32 s7, v4
	v_readfirstlane_b32 s20, v3
	s_delay_alu instid0(VALU_DEP_2) | instskip(NEXT) | instid1(VALU_DEP_1)
	s_mul_i32 s69, s65, s7
	s_mul_hi_u32 s71, s65, s20
	s_mul_i32 s70, s68, s20
	s_add_i32 s69, s71, s69
	s_mul_i32 s96, s65, s20
	s_add_i32 s69, s69, s70
	s_mul_hi_u32 s71, s20, s96
	s_mul_hi_u32 s97, s7, s96
	s_mul_i32 s70, s7, s96
	s_mul_hi_u32 s96, s20, s69
	s_mul_i32 s20, s20, s69
	s_mul_hi_u32 s98, s7, s69
	s_add_u32 s20, s71, s20
	s_addc_u32 s71, 0, s96
	s_add_u32 s20, s20, s70
	s_mul_i32 s69, s7, s69
	s_addc_u32 s20, s71, s97
	s_addc_u32 s70, s98, 0
	s_add_u32 s20, s20, s69
	s_addc_u32 s69, 0, s70
	v_add_co_u32 v3, s20, v3, s20
	s_delay_alu instid0(VALU_DEP_1) | instskip(SKIP_1) | instid1(VALU_DEP_1)
	s_cmp_lg_u32 s20, 0
	s_addc_u32 s7, s7, s69
	v_readfirstlane_b32 s20, v3
	s_mul_i32 s69, s65, s7
	s_delay_alu instid0(VALU_DEP_1)
	s_mul_hi_u32 s70, s65, s20
	s_mul_i32 s68, s68, s20
	s_add_i32 s69, s70, s69
	s_mul_i32 s65, s65, s20
	s_add_i32 s69, s69, s68
	s_mul_hi_u32 s70, s7, s65
	s_mul_i32 s71, s7, s65
	s_mul_hi_u32 s65, s20, s65
	s_mul_hi_u32 s96, s20, s69
	s_mul_i32 s20, s20, s69
	s_mul_hi_u32 s68, s7, s69
	s_add_u32 s20, s65, s20
	s_addc_u32 s65, 0, s96
	s_add_u32 s20, s20, s71
	s_mul_i32 s69, s7, s69
	s_addc_u32 s20, s65, s70
	s_addc_u32 s65, s68, 0
	s_add_u32 s20, s20, s69
	s_addc_u32 s65, 0, s65
	v_add_co_u32 v3, s20, v3, s20
	s_delay_alu instid0(VALU_DEP_1) | instskip(SKIP_1) | instid1(VALU_DEP_1)
	s_cmp_lg_u32 s20, 0
	s_addc_u32 s7, s7, s65
	v_readfirstlane_b32 s20, v3
	s_mul_i32 s68, s26, s7
	s_mul_hi_u32 s65, s26, s7
	s_mul_hi_u32 s69, s21, s7
	s_mul_i32 s7, s21, s7
	s_mul_hi_u32 s70, s26, s20
	s_mul_hi_u32 s71, s21, s20
	s_mul_i32 s20, s21, s20
	s_add_u32 s68, s70, s68
	s_addc_u32 s65, 0, s65
	s_add_u32 s20, s68, s20
	s_addc_u32 s20, s65, s71
	s_addc_u32 s65, s69, 0
	s_add_u32 s7, s20, s7
	s_addc_u32 s20, 0, s65
	s_mul_hi_u32 s65, s49, s7
	s_mul_i32 s7, s49, s7
	s_mul_i32 s20, s49, s20
	v_sub_co_u32 v3, s7, s26, s7
	s_add_i32 s65, s65, s20
	s_cmp_lg_u32 s7, 0
	s_delay_alu instid0(VALU_DEP_1) | instskip(SKIP_2) | instid1(VALU_DEP_1)
	v_sub_co_u32 v4, s7, v3, s49
	s_subb_u32 s20, s21, s65
	s_cmp_lg_u32 s7, 0
	v_cmp_le_u32_e32 vcc_lo, s49, v4
	v_sub_co_u32 v5, s7, v4, s49
	s_subb_u32 s65, s20, 0
	s_cmp_lg_u32 s7, 0
	v_cndmask_b32_e64 v6, 0, -1, vcc_lo
	s_subb_u32 s7, s65, 0
	s_cmp_eq_u32 s65, 0
	v_mov_b32_e32 v8, s7
	s_cselect_b32 vcc_lo, -1, 0
	s_cmp_eq_u32 s20, 0
	v_cndmask_b32_e32 v6, -1, v6, vcc_lo
	v_cmp_le_u32_e32 vcc_lo, s49, v3
	s_cselect_b32 s7, -1, 0
	v_cndmask_b32_e64 v7, 0, -1, vcc_lo
	s_delay_alu instid0(VALU_DEP_3) | instskip(NEXT) | instid1(VALU_DEP_2)
	v_cmp_ne_u32_e32 vcc_lo, 0, v6
	v_cndmask_b32_e64 v6, -1, v7, s7
	v_cndmask_b32_e32 v7, s65, v8, vcc_lo
	v_cndmask_b32_e32 v5, v4, v5, vcc_lo
	s_delay_alu instid0(VALU_DEP_3) | instskip(NEXT) | instid1(VALU_DEP_3)
	v_cmp_ne_u32_e32 vcc_lo, 0, v6
	v_cndmask_b32_e32 v4, s20, v7, vcc_lo
	s_delay_alu instid0(VALU_DEP_3)
	v_cndmask_b32_e32 v3, v3, v5, vcc_lo
	s_cbranch_execnz .LBB159_335
.LBB159_334:                            ;   in Loop: Header=BB159_12 Depth=1
	v_cvt_f32_u32_e32 v3, s49
	s_sub_i32 s7, 0, s49
	s_delay_alu instid0(VALU_DEP_1) | instskip(SKIP_2) | instid1(VALU_DEP_1)
	v_rcp_iflag_f32_e32 v3, v3
	s_waitcnt_depctr 0xfff
	v_mul_f32_e32 v3, 0x4f7ffffe, v3
	v_cvt_u32_f32_e32 v3, v3
	s_delay_alu instid0(VALU_DEP_1) | instskip(NEXT) | instid1(VALU_DEP_1)
	v_mul_lo_u32 v4, s7, v3
	v_mul_hi_u32 v4, v3, v4
	s_delay_alu instid0(VALU_DEP_1) | instskip(NEXT) | instid1(VALU_DEP_1)
	v_add_nc_u32_e32 v3, v3, v4
	v_mul_hi_u32 v3, s26, v3
	s_delay_alu instid0(VALU_DEP_1) | instskip(NEXT) | instid1(VALU_DEP_1)
	v_mul_lo_u32 v3, v3, s49
	v_sub_nc_u32_e32 v3, s26, v3
	s_delay_alu instid0(VALU_DEP_1) | instskip(SKIP_1) | instid1(VALU_DEP_2)
	v_subrev_nc_u32_e32 v4, s49, v3
	v_cmp_le_u32_e32 vcc_lo, s49, v3
	v_cndmask_b32_e32 v3, v3, v4, vcc_lo
	s_delay_alu instid0(VALU_DEP_1) | instskip(SKIP_1) | instid1(VALU_DEP_2)
	v_subrev_nc_u32_e32 v4, s49, v3
	v_cmp_le_u32_e32 vcc_lo, s49, v3
	v_cndmask_b32_e32 v18, v3, v4, vcc_lo
	s_delay_alu instid0(VALU_DEP_1)
	v_dual_mov_b32 v3, v18 :: v_dual_mov_b32 v4, v19
.LBB159_335:                            ;   in Loop: Header=BB159_12 Depth=1
	s_delay_alu instid0(VALU_DEP_1) | instskip(NEXT) | instid1(VALU_DEP_2)
	v_sub_co_u32 v8, vcc_lo, s26, v3
	v_sub_co_ci_u32_e32 v9, vcc_lo, s21, v4, vcc_lo
	s_mov_b32 s26, 0
	s_mov_b32 s7, exec_lo
                                        ; implicit-def: $vgpr6_vgpr7
	s_delay_alu instid0(VALU_DEP_1)
	v_cmpx_gt_u64_e64 v[8:9], v[0:1]
	s_cbranch_execz .LBB159_347
; %bb.336:                              ;   in Loop: Header=BB159_12 Depth=1
	v_mov_b32_e32 v12, v37
	v_dual_mov_b32 v11, v1 :: v_dual_mov_b32 v10, v0
	s_mov_b32 s21, 0
                                        ; implicit-def: $sgpr20
	s_set_inst_prefetch_distance 0x1
	s_branch .LBB159_338
	.p2align	6
.LBB159_337:                            ;   in Loop: Header=BB159_338 Depth=2
	s_or_b32 exec_lo, exec_lo, s26
	s_waitcnt lgkmcnt(0)
	s_barrier
	buffer_gl0_inv
	ds_load_b128 v[4:7], v19 offset:3072
	v_add_co_u32 v10, vcc_lo, v10, s49
	v_add_co_ci_u32_e32 v11, vcc_lo, 0, v11, vcc_lo
	v_add_nc_u32_e32 v12, s82, v12
	s_waitcnt lgkmcnt(0)
	s_barrier
	s_delay_alu instid0(VALU_DEP_2) | instskip(SKIP_3) | instid1(VALU_DEP_1)
	v_cmp_ge_u64_e32 vcc_lo, v[10:11], v[8:9]
	buffer_gl0_inv
	v_readfirstlane_b32 s69, v5
	v_readfirstlane_b32 s68, v4
	s_cmp_lg_u64 s[68:69], 0
	s_cselect_b32 s26, -1, 0
	s_delay_alu instid0(SALU_CYCLE_1) | instskip(NEXT) | instid1(SALU_CYCLE_1)
	s_or_b32 s65, vcc_lo, s26
	s_and_b32 s65, exec_lo, s65
	s_delay_alu instid0(SALU_CYCLE_1) | instskip(SKIP_2) | instid1(SALU_CYCLE_1)
	s_or_b32 s21, s65, s21
	s_and_not1_b32 s20, s20, exec_lo
	s_and_b32 s26, s26, exec_lo
	s_or_b32 s20, s20, s26
	s_and_not1_b32 exec_lo, exec_lo, s21
	s_cbranch_execz .LBB159_346
.LBB159_338:                            ;   Parent Loop BB159_12 Depth=1
                                        ; =>  This Inner Loop Header: Depth=2
	s_delay_alu instid0(VALU_DEP_1)
	v_cmp_gt_u64_e32 vcc_lo, s[8:9], v[10:11]
	v_mov_b32_e32 v4, 0
	v_mov_b32_e32 v5, 0
	s_and_saveexec_b32 s26, vcc_lo
	s_cbranch_execz .LBB159_340
; %bb.339:                              ;   in Loop: Header=BB159_338 Depth=2
	ds_load_b64 v[4:5], v12
.LBB159_340:                            ;   in Loop: Header=BB159_338 Depth=2
	s_or_b32 exec_lo, exec_lo, s26
	s_and_saveexec_b32 s26, vcc_lo
	s_cbranch_execz .LBB159_337
; %bb.341:                              ;   in Loop: Header=BB159_338 Depth=2
	s_waitcnt lgkmcnt(0)
	v_xor_b32_e32 v3, 0x80000000, v5
	v_and_b32_e32 v6, v4, v22
	s_delay_alu instid0(VALU_DEP_2) | instskip(NEXT) | instid1(VALU_DEP_1)
	v_and_b32_e32 v7, v3, v23
	v_cmp_eq_u64_e32 vcc_lo, v[6:7], v[24:25]
	s_and_b32 exec_lo, exec_lo, vcc_lo
	s_cbranch_execz .LBB159_337
; %bb.342:                              ;   in Loop: Header=BB159_338 Depth=2
	v_mov_b32_e32 v3, v19
	ds_store_b128 v19, v[2:5] offset:3072
	s_branch .LBB159_337
.LBB159_343:                            ;   in Loop: Header=BB159_12 Depth=1
                                        ; implicit-def: $vgpr3_vgpr4
	s_branch .LBB159_290
.LBB159_344:                            ;   in Loop: Header=BB159_12 Depth=1
                                        ; implicit-def: $vgpr3_vgpr4
	s_branch .LBB159_304
.LBB159_345:                            ;   in Loop: Header=BB159_12 Depth=1
	s_mov_b32 s20, -1
	s_mov_b32 s26, 0
                                        ; implicit-def: $sgpr21
                                        ; implicit-def: $vgpr6_vgpr7
	s_mov_b32 s65, s20
	s_cbranch_execnz .LBB159_348
	s_branch .LBB159_361
.LBB159_346:                            ;   in Loop: Header=BB159_12 Depth=1
	s_set_inst_prefetch_distance 0x2
	s_or_b32 exec_lo, exec_lo, s21
	s_delay_alu instid0(SALU_CYCLE_1)
	s_and_b32 s26, s20, exec_lo
.LBB159_347:                            ;   in Loop: Header=BB159_12 Depth=1
	s_or_b32 exec_lo, exec_lo, s7
	s_mov_b32 s20, 0
	s_mov_b32 s21, -1
	s_mov_b32 s65, s20
	s_branch .LBB159_361
.LBB159_348:                            ;   in Loop: Header=BB159_12 Depth=1
	s_mov_b32 s26, s59
	s_delay_alu instid0(SALU_CYCLE_1)
	s_cmp_lg_u64 s[26:27], 0
	s_cbranch_scc0 .LBB159_390
; %bb.349:                              ;   in Loop: Header=BB159_12 Depth=1
	v_cvt_f32_u32_e32 v3, s49
	s_sub_u32 s9, 0, s49
	s_subb_u32 s20, 0, 0
	s_delay_alu instid0(VALU_DEP_1) | instskip(NEXT) | instid1(VALU_DEP_1)
	v_fmac_f32_e64 v3, 0, 0x4f800000
	v_rcp_f32_e32 v3, v3
	s_waitcnt_depctr 0xfff
	v_mul_f32_e32 v3, 0x5f7ffffc, v3
	s_delay_alu instid0(VALU_DEP_1) | instskip(NEXT) | instid1(VALU_DEP_1)
	v_mul_f32_e32 v4, 0x2f800000, v3
	v_trunc_f32_e32 v4, v4
	s_delay_alu instid0(VALU_DEP_1) | instskip(SKIP_1) | instid1(VALU_DEP_2)
	v_fmac_f32_e32 v3, 0xcf800000, v4
	v_cvt_u32_f32_e32 v4, v4
	v_cvt_u32_f32_e32 v3, v3
	s_delay_alu instid0(VALU_DEP_2) | instskip(NEXT) | instid1(VALU_DEP_2)
	v_readfirstlane_b32 s7, v4
	v_readfirstlane_b32 s8, v3
	s_delay_alu instid0(VALU_DEP_2) | instskip(NEXT) | instid1(VALU_DEP_1)
	s_mul_i32 s21, s9, s7
	s_mul_hi_u32 s65, s9, s8
	s_mul_i32 s26, s20, s8
	s_add_i32 s21, s65, s21
	s_mul_i32 s68, s9, s8
	s_add_i32 s21, s21, s26
	s_mul_hi_u32 s65, s8, s68
	s_mul_hi_u32 s69, s7, s68
	s_mul_i32 s26, s7, s68
	s_mul_hi_u32 s68, s8, s21
	s_mul_i32 s8, s8, s21
	s_mul_hi_u32 s70, s7, s21
	s_add_u32 s8, s65, s8
	s_addc_u32 s65, 0, s68
	s_add_u32 s8, s8, s26
	s_mul_i32 s21, s7, s21
	s_addc_u32 s8, s65, s69
	s_addc_u32 s26, s70, 0
	s_add_u32 s8, s8, s21
	s_addc_u32 s21, 0, s26
	v_add_co_u32 v3, s8, v3, s8
	s_delay_alu instid0(VALU_DEP_1) | instskip(SKIP_1) | instid1(VALU_DEP_1)
	s_cmp_lg_u32 s8, 0
	s_addc_u32 s7, s7, s21
	v_readfirstlane_b32 s8, v3
	s_mul_i32 s21, s9, s7
	s_delay_alu instid0(VALU_DEP_1)
	s_mul_hi_u32 s26, s9, s8
	s_mul_i32 s20, s20, s8
	s_add_i32 s21, s26, s21
	s_mul_i32 s9, s9, s8
	s_add_i32 s21, s21, s20
	s_mul_hi_u32 s26, s7, s9
	s_mul_i32 s65, s7, s9
	s_mul_hi_u32 s9, s8, s9
	s_mul_hi_u32 s68, s8, s21
	s_mul_i32 s8, s8, s21
	s_mul_hi_u32 s20, s7, s21
	s_add_u32 s8, s9, s8
	s_addc_u32 s9, 0, s68
	s_add_u32 s8, s8, s65
	s_mul_i32 s21, s7, s21
	s_addc_u32 s8, s9, s26
	s_addc_u32 s9, s20, 0
	s_add_u32 s8, s8, s21
	s_addc_u32 s9, 0, s9
	v_add_co_u32 v3, s8, v3, s8
	s_delay_alu instid0(VALU_DEP_1) | instskip(SKIP_1) | instid1(VALU_DEP_1)
	s_cmp_lg_u32 s8, 0
	s_addc_u32 s7, s7, s9
	v_readfirstlane_b32 s8, v3
	s_mul_i32 s20, s76, s7
	s_mul_hi_u32 s9, s76, s7
	s_mul_hi_u32 s21, s27, s7
	s_mul_i32 s7, s27, s7
	s_mul_hi_u32 s26, s76, s8
	s_mul_hi_u32 s65, s27, s8
	s_mul_i32 s8, s27, s8
	s_add_u32 s20, s26, s20
	s_addc_u32 s9, 0, s9
	s_add_u32 s8, s20, s8
	s_addc_u32 s8, s9, s65
	s_addc_u32 s9, s21, 0
	s_add_u32 s7, s8, s7
	s_addc_u32 s8, 0, s9
	s_mul_hi_u32 s9, s49, s7
	s_mul_i32 s7, s49, s7
	s_mul_i32 s8, s49, s8
	v_sub_co_u32 v3, s7, s76, s7
	s_add_i32 s9, s9, s8
	s_cmp_lg_u32 s7, 0
	s_delay_alu instid0(VALU_DEP_1) | instskip(SKIP_2) | instid1(VALU_DEP_1)
	v_sub_co_u32 v4, s7, v3, s49
	s_subb_u32 s8, s27, s9
	s_cmp_lg_u32 s7, 0
	v_cmp_le_u32_e32 vcc_lo, s49, v4
	v_sub_co_u32 v5, s7, v4, s49
	s_subb_u32 s9, s8, 0
	s_cmp_lg_u32 s7, 0
	v_cndmask_b32_e64 v6, 0, -1, vcc_lo
	s_subb_u32 s7, s9, 0
	s_cmp_eq_u32 s9, 0
	v_mov_b32_e32 v8, s7
	s_cselect_b32 vcc_lo, -1, 0
	s_cmp_eq_u32 s8, 0
	v_cndmask_b32_e32 v6, -1, v6, vcc_lo
	v_cmp_le_u32_e32 vcc_lo, s49, v3
	s_cselect_b32 s7, -1, 0
	v_cndmask_b32_e64 v7, 0, -1, vcc_lo
	s_delay_alu instid0(VALU_DEP_3) | instskip(NEXT) | instid1(VALU_DEP_2)
	v_cmp_ne_u32_e32 vcc_lo, 0, v6
	v_cndmask_b32_e64 v6, -1, v7, s7
	v_cndmask_b32_e32 v7, s9, v8, vcc_lo
	v_cndmask_b32_e32 v5, v4, v5, vcc_lo
	s_delay_alu instid0(VALU_DEP_3) | instskip(NEXT) | instid1(VALU_DEP_3)
	v_cmp_ne_u32_e32 vcc_lo, 0, v6
	v_cndmask_b32_e32 v4, s8, v7, vcc_lo
	s_delay_alu instid0(VALU_DEP_3)
	v_cndmask_b32_e32 v3, v3, v5, vcc_lo
	s_cbranch_execnz .LBB159_351
.LBB159_350:                            ;   in Loop: Header=BB159_12 Depth=1
	v_cvt_f32_u32_e32 v3, s49
	s_sub_i32 s7, 0, s49
	s_delay_alu instid0(VALU_DEP_1) | instskip(SKIP_2) | instid1(VALU_DEP_1)
	v_rcp_iflag_f32_e32 v3, v3
	s_waitcnt_depctr 0xfff
	v_mul_f32_e32 v3, 0x4f7ffffe, v3
	v_cvt_u32_f32_e32 v3, v3
	s_delay_alu instid0(VALU_DEP_1) | instskip(NEXT) | instid1(VALU_DEP_1)
	v_mul_lo_u32 v4, s7, v3
	v_mul_hi_u32 v4, v3, v4
	s_delay_alu instid0(VALU_DEP_1) | instskip(NEXT) | instid1(VALU_DEP_1)
	v_add_nc_u32_e32 v3, v3, v4
	v_mul_hi_u32 v3, s76, v3
	s_delay_alu instid0(VALU_DEP_1) | instskip(NEXT) | instid1(VALU_DEP_1)
	v_mul_lo_u32 v3, v3, s49
	v_sub_nc_u32_e32 v3, s76, v3
	s_delay_alu instid0(VALU_DEP_1) | instskip(SKIP_1) | instid1(VALU_DEP_2)
	v_subrev_nc_u32_e32 v4, s49, v3
	v_cmp_le_u32_e32 vcc_lo, s49, v3
	v_cndmask_b32_e32 v3, v3, v4, vcc_lo
	s_delay_alu instid0(VALU_DEP_1) | instskip(SKIP_1) | instid1(VALU_DEP_2)
	v_subrev_nc_u32_e32 v4, s49, v3
	v_cmp_le_u32_e32 vcc_lo, s49, v3
	v_cndmask_b32_e32 v18, v3, v4, vcc_lo
	s_delay_alu instid0(VALU_DEP_1)
	v_dual_mov_b32 v3, v18 :: v_dual_mov_b32 v4, v19
.LBB159_351:                            ;   in Loop: Header=BB159_12 Depth=1
	s_delay_alu instid0(VALU_DEP_1) | instskip(NEXT) | instid1(VALU_DEP_2)
	v_sub_co_u32 v8, vcc_lo, s76, v3
	v_sub_co_ci_u32_e32 v9, vcc_lo, s27, v4, vcc_lo
	s_mov_b32 s26, 0
	s_mov_b32 s8, exec_lo
                                        ; implicit-def: $vgpr6_vgpr7
	s_delay_alu instid0(VALU_DEP_1)
	v_cmpx_gt_u64_e64 v[8:9], v[0:1]
	s_cbranch_execz .LBB159_360
; %bb.352:                              ;   in Loop: Header=BB159_12 Depth=1
	v_dual_mov_b32 v11, v1 :: v_dual_mov_b32 v10, v0
	s_mov_b32 s20, 0
                                        ; implicit-def: $sgpr9
	s_branch .LBB159_354
.LBB159_353:                            ;   in Loop: Header=BB159_354 Depth=2
	s_or_b32 exec_lo, exec_lo, s7
	s_waitcnt vmcnt(0) lgkmcnt(0)
	s_barrier
	buffer_gl0_inv
	ds_load_b128 v[4:7], v19 offset:3072
	v_add_co_u32 v10, vcc_lo, v10, s49
	v_add_co_ci_u32_e32 v11, vcc_lo, 0, v11, vcc_lo
	s_waitcnt lgkmcnt(0)
	s_barrier
	buffer_gl0_inv
	v_cmp_ge_u64_e32 vcc_lo, v[10:11], v[8:9]
	v_readfirstlane_b32 s69, v5
	v_readfirstlane_b32 s68, v4
	s_delay_alu instid0(VALU_DEP_1) | instskip(SKIP_1) | instid1(SALU_CYCLE_1)
	s_cmp_lg_u64 s[68:69], 0
	s_cselect_b32 s7, -1, 0
	s_or_b32 s21, vcc_lo, s7
	s_delay_alu instid0(SALU_CYCLE_1) | instskip(NEXT) | instid1(SALU_CYCLE_1)
	s_and_b32 s21, exec_lo, s21
	s_or_b32 s20, s21, s20
	s_and_not1_b32 s9, s9, exec_lo
	s_and_b32 s7, s7, exec_lo
	s_delay_alu instid0(SALU_CYCLE_1)
	s_or_b32 s9, s9, s7
	s_and_not1_b32 exec_lo, exec_lo, s20
	s_cbranch_execz .LBB159_359
.LBB159_354:                            ;   Parent Loop BB159_12 Depth=1
                                        ; =>  This Inner Loop Header: Depth=2
	s_delay_alu instid0(VALU_DEP_1)
	v_cmp_gt_u64_e32 vcc_lo, s[36:37], v[10:11]
	v_mov_b32_e32 v4, 0
	v_mov_b32_e32 v5, 0
	s_and_saveexec_b32 s21, vcc_lo
	s_cbranch_execz .LBB159_356
; %bb.355:                              ;   in Loop: Header=BB159_354 Depth=2
	v_mul_lo_u32 v5, v11, s30
	v_mul_lo_u32 v6, v10, s31
	v_mad_u64_u32 v[3:4], null, v10, s30, 0
	s_delay_alu instid0(VALU_DEP_1) | instskip(NEXT) | instid1(VALU_DEP_1)
	v_add3_u32 v4, v4, v6, v5
	v_lshlrev_b64 v[3:4], 3, v[3:4]
	s_delay_alu instid0(VALU_DEP_1) | instskip(NEXT) | instid1(VALU_DEP_1)
	v_add_co_u32 v3, s7, s33, v3
	v_add_co_ci_u32_e64 v4, s7, s35, v4, s7
	global_load_b64 v[4:5], v[3:4], off
.LBB159_356:                            ;   in Loop: Header=BB159_354 Depth=2
	s_or_b32 exec_lo, exec_lo, s21
	s_and_saveexec_b32 s7, vcc_lo
	s_cbranch_execz .LBB159_353
; %bb.357:                              ;   in Loop: Header=BB159_354 Depth=2
	s_waitcnt vmcnt(0)
	v_xor_b32_e32 v3, 0x80000000, v5
	v_and_b32_e32 v6, v4, v22
	s_delay_alu instid0(VALU_DEP_2) | instskip(NEXT) | instid1(VALU_DEP_1)
	v_and_b32_e32 v7, v3, v23
	v_cmp_eq_u64_e32 vcc_lo, v[6:7], v[24:25]
	s_and_b32 exec_lo, exec_lo, vcc_lo
	s_cbranch_execz .LBB159_353
; %bb.358:                              ;   in Loop: Header=BB159_354 Depth=2
	v_mov_b32_e32 v3, v19
	ds_store_b128 v19, v[2:5] offset:3072
	s_branch .LBB159_353
.LBB159_359:                            ;   in Loop: Header=BB159_12 Depth=1
	s_or_b32 exec_lo, exec_lo, s20
	s_delay_alu instid0(SALU_CYCLE_1)
	s_and_b32 s26, s9, exec_lo
.LBB159_360:                            ;   in Loop: Header=BB159_12 Depth=1
	s_or_b32 exec_lo, exec_lo, s8
	s_mov_b32 s21, 0
	s_mov_b32 s20, -1
	s_mov_b32 s65, 0
.LBB159_361:                            ;   in Loop: Header=BB159_12 Depth=1
	s_or_not1_b32 s7, s26, exec_lo
.LBB159_362:                            ;   in Loop: Header=BB159_12 Depth=1
	s_or_b32 exec_lo, exec_lo, s66
	s_mov_b32 s26, 0
                                        ; implicit-def: $vgpr5
	s_and_saveexec_b32 s66, s7
	s_cbranch_execz .LBB159_475
; %bb.363:                              ;   in Loop: Header=BB159_12 Depth=1
	v_dual_mov_b32 v8, 1 :: v_dual_mov_b32 v5, 1
	v_mov_b32_e32 v9, 0
	s_xor_b32 s8, s67, -1
	s_delay_alu instid0(SALU_CYCLE_1)
	s_and_saveexec_b32 s7, s8
	s_cbranch_execz .LBB159_373
; %bb.364:                              ;   in Loop: Header=BB159_12 Depth=1
	s_mov_b32 s9, exec_lo
                                        ; implicit-def: $sgpr26
                                        ; implicit-def: $sgpr8
	v_cmpx_ge_u64_e64 s[18:19], v[28:29]
	s_xor_b32 s9, exec_lo, s9
	s_cbranch_execz .LBB159_370
; %bb.365:                              ;   in Loop: Header=BB159_12 Depth=1
	ds_load_b64 v[3:4], v19 offset:5120
	s_waitcnt lgkmcnt(0)
	v_cmp_ne_u64_e32 vcc_lo, 0, v[3:4]
	s_cbranch_vccnz .LBB159_369
; %bb.366:                              ;   in Loop: Header=BB159_12 Depth=1
	s_and_saveexec_b32 s8, s5
	s_cbranch_execz .LBB159_368
; %bb.367:                              ;   in Loop: Header=BB159_12 Depth=1
	v_dual_mov_b32 v3, s18 :: v_dual_mov_b32 v4, s19
	ds_store_b64 v19, v[3:4] offset:5128
.LBB159_368:                            ;   in Loop: Header=BB159_12 Depth=1
	s_or_b32 exec_lo, exec_lo, s8
	s_waitcnt lgkmcnt(0)
	s_barrier
	buffer_gl0_inv
.LBB159_369:                            ;   in Loop: Header=BB159_12 Depth=1
	v_and_b32_e32 v3, s15, v25
	v_and_b32_e32 v4, s14, v24
	s_lshl_b64 s[68:69], 2, s24
	v_or_b32_e32 v23, s13, v23
	v_or_b32_e32 v22, s12, v22
	;; [unrolled: 1-line block ×4, first 2 shown]
	s_mov_b32 s8, 0
	s_mov_b32 s26, 5
.LBB159_370:                            ;   in Loop: Header=BB159_12 Depth=1
	s_or_saveexec_b32 s9, s9
	v_mov_b32_e32 v5, s26
	s_xor_b32 exec_lo, exec_lo, s9
; %bb.371:                              ;   in Loop: Header=BB159_12 Depth=1
	v_sub_co_u32 v28, vcc_lo, v28, s18
	v_subrev_co_ci_u32_e32 v29, vcc_lo, s19, v29, vcc_lo
	v_mov_b32_e32 v5, 0
	s_or_b32 s8, s8, exec_lo
; %bb.372:                              ;   in Loop: Header=BB159_12 Depth=1
	s_or_b32 exec_lo, exec_lo, s9
	s_delay_alu instid0(VALU_DEP_2)
	v_dual_mov_b32 v8, v28 :: v_dual_mov_b32 v9, v29
	s_and_b32 s26, s8, exec_lo
.LBB159_373:                            ;   in Loop: Header=BB159_12 Depth=1
	s_or_b32 exec_lo, exec_lo, s7
	s_mov_b32 s7, -1
                                        ; implicit-def: $sgpr8
                                        ; implicit-def: $sgpr9
                                        ; implicit-def: $sgpr18
	s_and_saveexec_b32 s67, s26
	s_cbranch_execz .LBB159_474
; %bb.374:                              ;   in Loop: Header=BB159_12 Depth=1
	v_cmp_eq_u64_e32 vcc_lo, 1, v[8:9]
	s_cmp_eq_u64 s[16:17], 1
                                        ; implicit-def: $sgpr18
                                        ; implicit-def: $sgpr19
                                        ; implicit-def: $sgpr68
	s_cselect_b32 s7, -1, 0
	s_delay_alu instid0(SALU_CYCLE_1)
	s_and_b32 s70, s7, vcc_lo
	s_mov_b32 s7, -1
	s_and_saveexec_b32 s69, s70
	s_cbranch_execz .LBB159_408
; %bb.375:                              ;   in Loop: Header=BB159_12 Depth=1
	ds_load_b64 v[3:4], v19 offset:5120
	s_waitcnt lgkmcnt(0)
	s_barrier
	buffer_gl0_inv
	v_readfirstlane_b32 s8, v3
	v_readfirstlane_b32 s9, v4
	s_and_saveexec_b32 s7, s6
	s_cbranch_execz .LBB159_377
; %bb.376:                              ;   in Loop: Header=BB159_12 Depth=1
	v_mov_b32_e32 v18, v19
	ds_store_b64 v38, v[18:19]
.LBB159_377:                            ;   in Loop: Header=BB159_12 Depth=1
	s_or_b32 exec_lo, exec_lo, s7
	v_and_b32_e32 v3, s15, v25
	v_and_b32_e32 v4, s14, v24
	s_lshl_b64 s[18:19], 1, s24
	v_or_b32_e32 v23, s13, v23
	v_or_b32_e32 v22, s12, v22
	;; [unrolled: 1-line block ×4, first 2 shown]
	s_cmp_eq_u64 s[8:9], 0
	s_waitcnt lgkmcnt(0)
	s_barrier
	buffer_gl0_inv
	s_cbranch_scc1 .LBB159_391
; %bb.378:                              ;   in Loop: Header=BB159_12 Depth=1
	s_add_u32 s26, s74, s8
	s_addc_u32 s19, s75, s9
	s_mov_b32 s18, s59
	s_delay_alu instid0(SALU_CYCLE_1)
	s_cmp_lg_u64 s[18:19], 0
	s_cbranch_scc0 .LBB159_426
; %bb.379:                              ;   in Loop: Header=BB159_12 Depth=1
	v_cvt_f32_u32_e32 v3, s49
	s_sub_u32 s68, 0, s49
	s_subb_u32 s71, 0, 0
	s_delay_alu instid0(VALU_DEP_1) | instskip(NEXT) | instid1(VALU_DEP_1)
	v_fmac_f32_e64 v3, 0, 0x4f800000
	v_rcp_f32_e32 v3, v3
	s_waitcnt_depctr 0xfff
	v_mul_f32_e32 v3, 0x5f7ffffc, v3
	s_delay_alu instid0(VALU_DEP_1) | instskip(NEXT) | instid1(VALU_DEP_1)
	v_mul_f32_e32 v4, 0x2f800000, v3
	v_trunc_f32_e32 v4, v4
	s_delay_alu instid0(VALU_DEP_1) | instskip(SKIP_1) | instid1(VALU_DEP_2)
	v_fmac_f32_e32 v3, 0xcf800000, v4
	v_cvt_u32_f32_e32 v4, v4
	v_cvt_u32_f32_e32 v3, v3
	s_delay_alu instid0(VALU_DEP_2) | instskip(NEXT) | instid1(VALU_DEP_2)
	v_readfirstlane_b32 s7, v4
	v_readfirstlane_b32 s18, v3
	s_delay_alu instid0(VALU_DEP_2) | instskip(NEXT) | instid1(VALU_DEP_1)
	s_mul_i32 s96, s68, s7
	s_mul_hi_u32 s98, s68, s18
	s_mul_i32 s97, s71, s18
	s_add_i32 s96, s98, s96
	s_mul_i32 s99, s68, s18
	s_add_i32 s96, s96, s97
	s_mul_hi_u32 s98, s18, s99
	s_mul_hi_u32 s100, s7, s99
	s_mul_i32 s97, s7, s99
	s_mul_hi_u32 s99, s18, s96
	s_mul_i32 s18, s18, s96
	s_mul_hi_u32 s101, s7, s96
	s_add_u32 s18, s98, s18
	s_addc_u32 s98, 0, s99
	s_add_u32 s18, s18, s97
	s_mul_i32 s96, s7, s96
	s_addc_u32 s18, s98, s100
	s_addc_u32 s97, s101, 0
	s_add_u32 s18, s18, s96
	s_addc_u32 s96, 0, s97
	v_add_co_u32 v3, s18, v3, s18
	s_delay_alu instid0(VALU_DEP_1) | instskip(SKIP_1) | instid1(VALU_DEP_1)
	s_cmp_lg_u32 s18, 0
	s_addc_u32 s7, s7, s96
	v_readfirstlane_b32 s18, v3
	s_mul_i32 s96, s68, s7
	s_delay_alu instid0(VALU_DEP_1)
	s_mul_hi_u32 s97, s68, s18
	s_mul_i32 s71, s71, s18
	s_add_i32 s96, s97, s96
	s_mul_i32 s68, s68, s18
	s_add_i32 s96, s96, s71
	s_mul_hi_u32 s97, s7, s68
	s_mul_i32 s98, s7, s68
	s_mul_hi_u32 s68, s18, s68
	s_mul_hi_u32 s99, s18, s96
	s_mul_i32 s18, s18, s96
	s_mul_hi_u32 s71, s7, s96
	s_add_u32 s18, s68, s18
	s_addc_u32 s68, 0, s99
	s_add_u32 s18, s18, s98
	s_mul_i32 s96, s7, s96
	s_addc_u32 s18, s68, s97
	s_addc_u32 s68, s71, 0
	s_add_u32 s18, s18, s96
	s_addc_u32 s68, 0, s68
	v_add_co_u32 v3, s18, v3, s18
	s_delay_alu instid0(VALU_DEP_1) | instskip(SKIP_1) | instid1(VALU_DEP_1)
	s_cmp_lg_u32 s18, 0
	s_addc_u32 s7, s7, s68
	v_readfirstlane_b32 s18, v3
	s_mul_i32 s71, s26, s7
	s_mul_hi_u32 s68, s26, s7
	s_mul_hi_u32 s96, s19, s7
	s_mul_i32 s7, s19, s7
	s_mul_hi_u32 s97, s26, s18
	s_mul_hi_u32 s98, s19, s18
	s_mul_i32 s18, s19, s18
	s_add_u32 s71, s97, s71
	s_addc_u32 s68, 0, s68
	s_add_u32 s18, s71, s18
	s_addc_u32 s18, s68, s98
	s_addc_u32 s68, s96, 0
	s_add_u32 s7, s18, s7
	s_addc_u32 s18, 0, s68
	s_mul_hi_u32 s68, s49, s7
	s_mul_i32 s7, s49, s7
	s_mul_i32 s18, s49, s18
	v_sub_co_u32 v3, s7, s26, s7
	s_add_i32 s68, s68, s18
	s_cmp_lg_u32 s7, 0
	s_delay_alu instid0(VALU_DEP_1) | instskip(SKIP_2) | instid1(VALU_DEP_1)
	v_sub_co_u32 v4, s7, v3, s49
	s_subb_u32 s18, s19, s68
	s_cmp_lg_u32 s7, 0
	v_cmp_le_u32_e32 vcc_lo, s49, v4
	v_sub_co_u32 v5, s7, v4, s49
	s_subb_u32 s68, s18, 0
	s_cmp_lg_u32 s7, 0
	v_cndmask_b32_e64 v6, 0, -1, vcc_lo
	s_subb_u32 s7, s68, 0
	s_cmp_eq_u32 s68, 0
	v_mov_b32_e32 v10, s7
	s_cselect_b32 vcc_lo, -1, 0
	s_cmp_eq_u32 s18, 0
	v_cndmask_b32_e32 v6, -1, v6, vcc_lo
	v_cmp_le_u32_e32 vcc_lo, s49, v3
	s_cselect_b32 s7, -1, 0
	v_cndmask_b32_e64 v7, 0, -1, vcc_lo
	s_delay_alu instid0(VALU_DEP_3) | instskip(NEXT) | instid1(VALU_DEP_2)
	v_cmp_ne_u32_e32 vcc_lo, 0, v6
	v_cndmask_b32_e64 v6, -1, v7, s7
	v_cndmask_b32_e32 v7, s68, v10, vcc_lo
	v_cndmask_b32_e32 v5, v4, v5, vcc_lo
	s_delay_alu instid0(VALU_DEP_3) | instskip(NEXT) | instid1(VALU_DEP_3)
	v_cmp_ne_u32_e32 vcc_lo, 0, v6
	v_cndmask_b32_e32 v4, s18, v7, vcc_lo
	s_delay_alu instid0(VALU_DEP_3)
	v_cndmask_b32_e32 v3, v3, v5, vcc_lo
	s_cbranch_execnz .LBB159_381
.LBB159_380:                            ;   in Loop: Header=BB159_12 Depth=1
	v_cvt_f32_u32_e32 v3, s49
	s_sub_i32 s7, 0, s49
	s_delay_alu instid0(VALU_DEP_1) | instskip(SKIP_2) | instid1(VALU_DEP_1)
	v_rcp_iflag_f32_e32 v3, v3
	s_waitcnt_depctr 0xfff
	v_mul_f32_e32 v3, 0x4f7ffffe, v3
	v_cvt_u32_f32_e32 v3, v3
	s_delay_alu instid0(VALU_DEP_1) | instskip(NEXT) | instid1(VALU_DEP_1)
	v_mul_lo_u32 v4, s7, v3
	v_mul_hi_u32 v4, v3, v4
	s_delay_alu instid0(VALU_DEP_1) | instskip(NEXT) | instid1(VALU_DEP_1)
	v_add_nc_u32_e32 v3, v3, v4
	v_mul_hi_u32 v3, s26, v3
	s_delay_alu instid0(VALU_DEP_1) | instskip(NEXT) | instid1(VALU_DEP_1)
	v_mul_lo_u32 v3, v3, s49
	v_sub_nc_u32_e32 v3, s26, v3
	s_delay_alu instid0(VALU_DEP_1) | instskip(SKIP_1) | instid1(VALU_DEP_2)
	v_subrev_nc_u32_e32 v4, s49, v3
	v_cmp_le_u32_e32 vcc_lo, s49, v3
	v_cndmask_b32_e32 v3, v3, v4, vcc_lo
	s_delay_alu instid0(VALU_DEP_1) | instskip(SKIP_1) | instid1(VALU_DEP_2)
	v_subrev_nc_u32_e32 v4, s49, v3
	v_cmp_le_u32_e32 vcc_lo, s49, v3
	v_cndmask_b32_e32 v18, v3, v4, vcc_lo
	s_delay_alu instid0(VALU_DEP_1)
	v_dual_mov_b32 v3, v18 :: v_dual_mov_b32 v4, v19
.LBB159_381:                            ;   in Loop: Header=BB159_12 Depth=1
	s_delay_alu instid0(VALU_DEP_1) | instskip(NEXT) | instid1(VALU_DEP_2)
	v_sub_co_u32 v10, vcc_lo, s26, v3
	v_sub_co_ci_u32_e32 v11, vcc_lo, s19, v4, vcc_lo
	s_mov_b32 s26, 0
	s_mov_b32 s7, exec_lo
                                        ; implicit-def: $vgpr6_vgpr7
	s_delay_alu instid0(VALU_DEP_1)
	v_cmpx_gt_u64_e64 v[10:11], v[0:1]
	s_cbranch_execz .LBB159_393
; %bb.382:                              ;   in Loop: Header=BB159_12 Depth=1
	v_mov_b32_e32 v14, v37
	v_dual_mov_b32 v13, v1 :: v_dual_mov_b32 v12, v0
	s_mov_b32 s19, 0
                                        ; implicit-def: $sgpr18
	s_set_inst_prefetch_distance 0x1
	s_branch .LBB159_384
	.p2align	6
.LBB159_383:                            ;   in Loop: Header=BB159_384 Depth=2
	s_or_b32 exec_lo, exec_lo, s26
	s_waitcnt lgkmcnt(0)
	s_barrier
	buffer_gl0_inv
	ds_load_b128 v[4:7], v19 offset:3072
	v_add_co_u32 v12, vcc_lo, v12, s49
	v_add_co_ci_u32_e32 v13, vcc_lo, 0, v13, vcc_lo
	v_add_nc_u32_e32 v14, s82, v14
	s_waitcnt lgkmcnt(0)
	s_barrier
	s_delay_alu instid0(VALU_DEP_2) | instskip(SKIP_3) | instid1(VALU_DEP_1)
	v_cmp_ge_u64_e32 vcc_lo, v[12:13], v[10:11]
	buffer_gl0_inv
	v_readfirstlane_b32 s97, v5
	v_readfirstlane_b32 s96, v4
	s_cmp_lg_u64 s[96:97], 0
	s_cselect_b32 s26, -1, 0
	s_delay_alu instid0(SALU_CYCLE_1) | instskip(NEXT) | instid1(SALU_CYCLE_1)
	s_or_b32 s68, vcc_lo, s26
	s_and_b32 s68, exec_lo, s68
	s_delay_alu instid0(SALU_CYCLE_1) | instskip(SKIP_2) | instid1(SALU_CYCLE_1)
	s_or_b32 s19, s68, s19
	s_and_not1_b32 s18, s18, exec_lo
	s_and_b32 s26, s26, exec_lo
	s_or_b32 s18, s18, s26
	s_and_not1_b32 exec_lo, exec_lo, s19
	s_cbranch_execz .LBB159_392
.LBB159_384:                            ;   Parent Loop BB159_12 Depth=1
                                        ; =>  This Inner Loop Header: Depth=2
	s_delay_alu instid0(VALU_DEP_1)
	v_cmp_gt_u64_e32 vcc_lo, s[8:9], v[12:13]
	v_mov_b32_e32 v4, 0
	v_mov_b32_e32 v5, 0
	s_and_saveexec_b32 s26, vcc_lo
	s_cbranch_execz .LBB159_386
; %bb.385:                              ;   in Loop: Header=BB159_384 Depth=2
	ds_load_b64 v[4:5], v14
.LBB159_386:                            ;   in Loop: Header=BB159_384 Depth=2
	s_or_b32 exec_lo, exec_lo, s26
	s_and_saveexec_b32 s26, vcc_lo
	s_cbranch_execz .LBB159_383
; %bb.387:                              ;   in Loop: Header=BB159_384 Depth=2
	s_waitcnt lgkmcnt(0)
	v_xor_b32_e32 v3, 0x80000000, v5
	v_and_b32_e32 v6, v4, v22
	s_delay_alu instid0(VALU_DEP_2) | instskip(NEXT) | instid1(VALU_DEP_1)
	v_and_b32_e32 v7, v3, v23
	v_cmp_eq_u64_e32 vcc_lo, v[6:7], v[24:25]
	s_and_b32 exec_lo, exec_lo, vcc_lo
	s_cbranch_execz .LBB159_383
; %bb.388:                              ;   in Loop: Header=BB159_384 Depth=2
	v_mov_b32_e32 v3, v19
	ds_store_b128 v19, v[2:5] offset:3072
	s_branch .LBB159_383
.LBB159_389:                            ;   in Loop: Header=BB159_12 Depth=1
                                        ; implicit-def: $vgpr3_vgpr4
	s_branch .LBB159_334
.LBB159_390:                            ;   in Loop: Header=BB159_12 Depth=1
                                        ; implicit-def: $vgpr3_vgpr4
	s_branch .LBB159_350
.LBB159_391:                            ;   in Loop: Header=BB159_12 Depth=1
	s_mov_b32 s18, -1
	s_mov_b32 s26, 0
                                        ; implicit-def: $sgpr19
                                        ; implicit-def: $vgpr6_vgpr7
	s_mov_b32 s68, s18
	s_cbranch_execnz .LBB159_394
	s_branch .LBB159_407
.LBB159_392:                            ;   in Loop: Header=BB159_12 Depth=1
	s_set_inst_prefetch_distance 0x2
	s_or_b32 exec_lo, exec_lo, s19
	s_delay_alu instid0(SALU_CYCLE_1)
	s_and_b32 s26, s18, exec_lo
.LBB159_393:                            ;   in Loop: Header=BB159_12 Depth=1
	s_or_b32 exec_lo, exec_lo, s7
	s_mov_b32 s18, 0
	s_mov_b32 s19, -1
	s_mov_b32 s68, s18
	s_branch .LBB159_407
.LBB159_394:                            ;   in Loop: Header=BB159_12 Depth=1
	s_mov_b32 s26, s59
	s_delay_alu instid0(SALU_CYCLE_1)
	s_cmp_lg_u64 s[26:27], 0
	s_cbranch_scc0 .LBB159_427
; %bb.395:                              ;   in Loop: Header=BB159_12 Depth=1
	v_cvt_f32_u32_e32 v3, s49
	s_sub_u32 s9, 0, s49
	s_subb_u32 s18, 0, 0
	s_delay_alu instid0(VALU_DEP_1) | instskip(NEXT) | instid1(VALU_DEP_1)
	v_fmac_f32_e64 v3, 0, 0x4f800000
	v_rcp_f32_e32 v3, v3
	s_waitcnt_depctr 0xfff
	v_mul_f32_e32 v3, 0x5f7ffffc, v3
	s_delay_alu instid0(VALU_DEP_1) | instskip(NEXT) | instid1(VALU_DEP_1)
	v_mul_f32_e32 v4, 0x2f800000, v3
	v_trunc_f32_e32 v4, v4
	s_delay_alu instid0(VALU_DEP_1) | instskip(SKIP_1) | instid1(VALU_DEP_2)
	v_fmac_f32_e32 v3, 0xcf800000, v4
	v_cvt_u32_f32_e32 v4, v4
	v_cvt_u32_f32_e32 v3, v3
	s_delay_alu instid0(VALU_DEP_2) | instskip(NEXT) | instid1(VALU_DEP_2)
	v_readfirstlane_b32 s7, v4
	v_readfirstlane_b32 s8, v3
	s_delay_alu instid0(VALU_DEP_2) | instskip(NEXT) | instid1(VALU_DEP_1)
	s_mul_i32 s19, s9, s7
	s_mul_hi_u32 s68, s9, s8
	s_mul_i32 s26, s18, s8
	s_add_i32 s19, s68, s19
	s_mul_i32 s71, s9, s8
	s_add_i32 s19, s19, s26
	s_mul_hi_u32 s68, s8, s71
	s_mul_hi_u32 s96, s7, s71
	s_mul_i32 s26, s7, s71
	s_mul_hi_u32 s71, s8, s19
	s_mul_i32 s8, s8, s19
	s_mul_hi_u32 s97, s7, s19
	s_add_u32 s8, s68, s8
	s_addc_u32 s68, 0, s71
	s_add_u32 s8, s8, s26
	s_mul_i32 s19, s7, s19
	s_addc_u32 s8, s68, s96
	s_addc_u32 s26, s97, 0
	s_add_u32 s8, s8, s19
	s_addc_u32 s19, 0, s26
	v_add_co_u32 v3, s8, v3, s8
	s_delay_alu instid0(VALU_DEP_1) | instskip(SKIP_1) | instid1(VALU_DEP_1)
	s_cmp_lg_u32 s8, 0
	s_addc_u32 s7, s7, s19
	v_readfirstlane_b32 s8, v3
	s_mul_i32 s19, s9, s7
	s_delay_alu instid0(VALU_DEP_1)
	s_mul_hi_u32 s26, s9, s8
	s_mul_i32 s18, s18, s8
	s_add_i32 s19, s26, s19
	s_mul_i32 s9, s9, s8
	s_add_i32 s19, s19, s18
	s_mul_hi_u32 s26, s7, s9
	s_mul_i32 s68, s7, s9
	s_mul_hi_u32 s9, s8, s9
	s_mul_hi_u32 s71, s8, s19
	s_mul_i32 s8, s8, s19
	s_mul_hi_u32 s18, s7, s19
	s_add_u32 s8, s9, s8
	s_addc_u32 s9, 0, s71
	s_add_u32 s8, s8, s68
	s_mul_i32 s19, s7, s19
	s_addc_u32 s8, s9, s26
	s_addc_u32 s9, s18, 0
	s_add_u32 s8, s8, s19
	s_addc_u32 s9, 0, s9
	v_add_co_u32 v3, s8, v3, s8
	s_delay_alu instid0(VALU_DEP_1) | instskip(SKIP_1) | instid1(VALU_DEP_1)
	s_cmp_lg_u32 s8, 0
	s_addc_u32 s7, s7, s9
	v_readfirstlane_b32 s8, v3
	s_mul_i32 s18, s76, s7
	s_mul_hi_u32 s9, s76, s7
	s_mul_hi_u32 s19, s27, s7
	s_mul_i32 s7, s27, s7
	s_mul_hi_u32 s26, s76, s8
	s_mul_hi_u32 s68, s27, s8
	s_mul_i32 s8, s27, s8
	s_add_u32 s18, s26, s18
	s_addc_u32 s9, 0, s9
	s_add_u32 s8, s18, s8
	s_addc_u32 s8, s9, s68
	s_addc_u32 s9, s19, 0
	s_add_u32 s7, s8, s7
	s_addc_u32 s8, 0, s9
	s_mul_hi_u32 s9, s49, s7
	s_mul_i32 s7, s49, s7
	s_mul_i32 s8, s49, s8
	v_sub_co_u32 v3, s7, s76, s7
	s_add_i32 s9, s9, s8
	s_cmp_lg_u32 s7, 0
	s_delay_alu instid0(VALU_DEP_1) | instskip(SKIP_2) | instid1(VALU_DEP_1)
	v_sub_co_u32 v4, s7, v3, s49
	s_subb_u32 s8, s27, s9
	s_cmp_lg_u32 s7, 0
	v_cmp_le_u32_e32 vcc_lo, s49, v4
	v_sub_co_u32 v5, s7, v4, s49
	s_subb_u32 s9, s8, 0
	s_cmp_lg_u32 s7, 0
	v_cndmask_b32_e64 v6, 0, -1, vcc_lo
	s_subb_u32 s7, s9, 0
	s_cmp_eq_u32 s9, 0
	v_mov_b32_e32 v10, s7
	s_cselect_b32 vcc_lo, -1, 0
	s_cmp_eq_u32 s8, 0
	v_cndmask_b32_e32 v6, -1, v6, vcc_lo
	v_cmp_le_u32_e32 vcc_lo, s49, v3
	s_cselect_b32 s7, -1, 0
	v_cndmask_b32_e64 v7, 0, -1, vcc_lo
	s_delay_alu instid0(VALU_DEP_3) | instskip(NEXT) | instid1(VALU_DEP_2)
	v_cmp_ne_u32_e32 vcc_lo, 0, v6
	v_cndmask_b32_e64 v6, -1, v7, s7
	v_cndmask_b32_e32 v7, s9, v10, vcc_lo
	v_cndmask_b32_e32 v5, v4, v5, vcc_lo
	s_delay_alu instid0(VALU_DEP_3) | instskip(NEXT) | instid1(VALU_DEP_3)
	v_cmp_ne_u32_e32 vcc_lo, 0, v6
	v_cndmask_b32_e32 v4, s8, v7, vcc_lo
	s_delay_alu instid0(VALU_DEP_3)
	v_cndmask_b32_e32 v3, v3, v5, vcc_lo
	s_cbranch_execnz .LBB159_397
.LBB159_396:                            ;   in Loop: Header=BB159_12 Depth=1
	v_cvt_f32_u32_e32 v3, s49
	s_sub_i32 s7, 0, s49
	s_delay_alu instid0(VALU_DEP_1) | instskip(SKIP_2) | instid1(VALU_DEP_1)
	v_rcp_iflag_f32_e32 v3, v3
	s_waitcnt_depctr 0xfff
	v_mul_f32_e32 v3, 0x4f7ffffe, v3
	v_cvt_u32_f32_e32 v3, v3
	s_delay_alu instid0(VALU_DEP_1) | instskip(NEXT) | instid1(VALU_DEP_1)
	v_mul_lo_u32 v4, s7, v3
	v_mul_hi_u32 v4, v3, v4
	s_delay_alu instid0(VALU_DEP_1) | instskip(NEXT) | instid1(VALU_DEP_1)
	v_add_nc_u32_e32 v3, v3, v4
	v_mul_hi_u32 v3, s76, v3
	s_delay_alu instid0(VALU_DEP_1) | instskip(NEXT) | instid1(VALU_DEP_1)
	v_mul_lo_u32 v3, v3, s49
	v_sub_nc_u32_e32 v3, s76, v3
	s_delay_alu instid0(VALU_DEP_1) | instskip(SKIP_1) | instid1(VALU_DEP_2)
	v_subrev_nc_u32_e32 v4, s49, v3
	v_cmp_le_u32_e32 vcc_lo, s49, v3
	v_cndmask_b32_e32 v3, v3, v4, vcc_lo
	s_delay_alu instid0(VALU_DEP_1) | instskip(SKIP_1) | instid1(VALU_DEP_2)
	v_subrev_nc_u32_e32 v4, s49, v3
	v_cmp_le_u32_e32 vcc_lo, s49, v3
	v_cndmask_b32_e32 v18, v3, v4, vcc_lo
	s_delay_alu instid0(VALU_DEP_1)
	v_dual_mov_b32 v3, v18 :: v_dual_mov_b32 v4, v19
.LBB159_397:                            ;   in Loop: Header=BB159_12 Depth=1
	s_delay_alu instid0(VALU_DEP_1) | instskip(NEXT) | instid1(VALU_DEP_2)
	v_sub_co_u32 v10, vcc_lo, s76, v3
	v_sub_co_ci_u32_e32 v11, vcc_lo, s27, v4, vcc_lo
	s_mov_b32 s26, 0
	s_mov_b32 s8, exec_lo
                                        ; implicit-def: $vgpr6_vgpr7
	s_delay_alu instid0(VALU_DEP_1)
	v_cmpx_gt_u64_e64 v[10:11], v[0:1]
	s_cbranch_execz .LBB159_406
; %bb.398:                              ;   in Loop: Header=BB159_12 Depth=1
	v_dual_mov_b32 v13, v1 :: v_dual_mov_b32 v12, v0
	s_mov_b32 s18, 0
                                        ; implicit-def: $sgpr9
	s_branch .LBB159_400
.LBB159_399:                            ;   in Loop: Header=BB159_400 Depth=2
	s_or_b32 exec_lo, exec_lo, s7
	s_waitcnt vmcnt(0) lgkmcnt(0)
	s_barrier
	buffer_gl0_inv
	ds_load_b128 v[4:7], v19 offset:3072
	v_add_co_u32 v12, vcc_lo, v12, s49
	v_add_co_ci_u32_e32 v13, vcc_lo, 0, v13, vcc_lo
	s_waitcnt lgkmcnt(0)
	s_barrier
	buffer_gl0_inv
	v_cmp_ge_u64_e32 vcc_lo, v[12:13], v[10:11]
	v_readfirstlane_b32 s97, v5
	v_readfirstlane_b32 s96, v4
	s_delay_alu instid0(VALU_DEP_1) | instskip(SKIP_1) | instid1(SALU_CYCLE_1)
	s_cmp_lg_u64 s[96:97], 0
	s_cselect_b32 s7, -1, 0
	s_or_b32 s19, vcc_lo, s7
	s_delay_alu instid0(SALU_CYCLE_1) | instskip(NEXT) | instid1(SALU_CYCLE_1)
	s_and_b32 s19, exec_lo, s19
	s_or_b32 s18, s19, s18
	s_and_not1_b32 s9, s9, exec_lo
	s_and_b32 s7, s7, exec_lo
	s_delay_alu instid0(SALU_CYCLE_1)
	s_or_b32 s9, s9, s7
	s_and_not1_b32 exec_lo, exec_lo, s18
	s_cbranch_execz .LBB159_405
.LBB159_400:                            ;   Parent Loop BB159_12 Depth=1
                                        ; =>  This Inner Loop Header: Depth=2
	s_delay_alu instid0(VALU_DEP_1)
	v_cmp_gt_u64_e32 vcc_lo, s[36:37], v[12:13]
	v_mov_b32_e32 v4, 0
	v_mov_b32_e32 v5, 0
	s_and_saveexec_b32 s19, vcc_lo
	s_cbranch_execz .LBB159_402
; %bb.401:                              ;   in Loop: Header=BB159_400 Depth=2
	v_mul_lo_u32 v5, v13, s30
	v_mul_lo_u32 v6, v12, s31
	v_mad_u64_u32 v[3:4], null, v12, s30, 0
	s_delay_alu instid0(VALU_DEP_1) | instskip(NEXT) | instid1(VALU_DEP_1)
	v_add3_u32 v4, v4, v6, v5
	v_lshlrev_b64 v[3:4], 3, v[3:4]
	s_delay_alu instid0(VALU_DEP_1) | instskip(NEXT) | instid1(VALU_DEP_1)
	v_add_co_u32 v3, s7, s33, v3
	v_add_co_ci_u32_e64 v4, s7, s35, v4, s7
	global_load_b64 v[4:5], v[3:4], off
.LBB159_402:                            ;   in Loop: Header=BB159_400 Depth=2
	s_or_b32 exec_lo, exec_lo, s19
	s_and_saveexec_b32 s7, vcc_lo
	s_cbranch_execz .LBB159_399
; %bb.403:                              ;   in Loop: Header=BB159_400 Depth=2
	s_waitcnt vmcnt(0)
	v_xor_b32_e32 v3, 0x80000000, v5
	v_and_b32_e32 v6, v4, v22
	s_delay_alu instid0(VALU_DEP_2) | instskip(NEXT) | instid1(VALU_DEP_1)
	v_and_b32_e32 v7, v3, v23
	v_cmp_eq_u64_e32 vcc_lo, v[6:7], v[24:25]
	s_and_b32 exec_lo, exec_lo, vcc_lo
	s_cbranch_execz .LBB159_399
; %bb.404:                              ;   in Loop: Header=BB159_400 Depth=2
	v_mov_b32_e32 v3, v19
	ds_store_b128 v19, v[2:5] offset:3072
	s_branch .LBB159_399
.LBB159_405:                            ;   in Loop: Header=BB159_12 Depth=1
	s_or_b32 exec_lo, exec_lo, s18
	s_delay_alu instid0(SALU_CYCLE_1)
	s_and_b32 s26, s9, exec_lo
.LBB159_406:                            ;   in Loop: Header=BB159_12 Depth=1
	s_or_b32 exec_lo, exec_lo, s8
	s_mov_b32 s19, 0
	s_mov_b32 s18, -1
	s_mov_b32 s68, 0
.LBB159_407:                            ;   in Loop: Header=BB159_12 Depth=1
	s_or_not1_b32 s7, s26, exec_lo
.LBB159_408:                            ;   in Loop: Header=BB159_12 Depth=1
	s_or_b32 exec_lo, exec_lo, s69
	s_mov_b32 s26, 0
                                        ; implicit-def: $vgpr5
	s_and_saveexec_b32 s69, s7
	s_cbranch_execz .LBB159_473
; %bb.409:                              ;   in Loop: Header=BB159_12 Depth=1
	v_dual_mov_b32 v10, 1 :: v_dual_mov_b32 v5, 1
	v_mov_b32_e32 v11, 0
	s_xor_b32 s8, s70, -1
	s_delay_alu instid0(SALU_CYCLE_1)
	s_and_saveexec_b32 s7, s8
	s_cbranch_execz .LBB159_419
; %bb.410:                              ;   in Loop: Header=BB159_12 Depth=1
	s_mov_b32 s9, exec_lo
                                        ; implicit-def: $sgpr26
                                        ; implicit-def: $sgpr8
	v_cmpx_ge_u64_e64 s[16:17], v[8:9]
	s_xor_b32 s9, exec_lo, s9
	s_cbranch_execz .LBB159_416
; %bb.411:                              ;   in Loop: Header=BB159_12 Depth=1
	ds_load_b64 v[3:4], v19 offset:5120
	s_waitcnt lgkmcnt(0)
	v_cmp_ne_u64_e32 vcc_lo, 0, v[3:4]
	s_cbranch_vccnz .LBB159_415
; %bb.412:                              ;   in Loop: Header=BB159_12 Depth=1
	s_and_saveexec_b32 s8, s5
	s_cbranch_execz .LBB159_414
; %bb.413:                              ;   in Loop: Header=BB159_12 Depth=1
	v_dual_mov_b32 v3, s16 :: v_dual_mov_b32 v4, s17
	ds_store_b64 v19, v[3:4] offset:5128
.LBB159_414:                            ;   in Loop: Header=BB159_12 Depth=1
	s_or_b32 exec_lo, exec_lo, s8
	s_waitcnt lgkmcnt(0)
	s_barrier
	buffer_gl0_inv
.LBB159_415:                            ;   in Loop: Header=BB159_12 Depth=1
	v_and_b32_e32 v3, s15, v25
	v_and_b32_e32 v4, s14, v24
	s_lshl_b64 s[70:71], 1, s24
	v_or_b32_e32 v23, s13, v23
	v_or_b32_e32 v22, s12, v22
	;; [unrolled: 1-line block ×4, first 2 shown]
	s_mov_b32 s8, 0
	s_mov_b32 s26, 5
.LBB159_416:                            ;   in Loop: Header=BB159_12 Depth=1
	s_or_saveexec_b32 s9, s9
	v_mov_b32_e32 v5, s26
	s_xor_b32 exec_lo, exec_lo, s9
; %bb.417:                              ;   in Loop: Header=BB159_12 Depth=1
	v_sub_co_u32 v8, vcc_lo, v8, s16
	v_subrev_co_ci_u32_e32 v9, vcc_lo, s17, v9, vcc_lo
	v_mov_b32_e32 v5, 0
	s_or_b32 s8, s8, exec_lo
; %bb.418:                              ;   in Loop: Header=BB159_12 Depth=1
	s_or_b32 exec_lo, exec_lo, s9
	s_delay_alu instid0(VALU_DEP_2)
	v_dual_mov_b32 v11, v9 :: v_dual_mov_b32 v10, v8
	s_and_b32 s26, s8, exec_lo
.LBB159_419:                            ;   in Loop: Header=BB159_12 Depth=1
	s_or_b32 exec_lo, exec_lo, s7
	s_mov_b32 s16, -1
                                        ; implicit-def: $sgpr7
                                        ; implicit-def: $sgpr8
                                        ; implicit-def: $sgpr9
	s_and_saveexec_b32 s24, s26
	s_cbranch_execz .LBB159_472
; %bb.420:                              ;   in Loop: Header=BB159_12 Depth=1
	v_cmp_eq_u64_e32 vcc_lo, 1, v[10:11]
	s_cmp_eq_u64 s[10:11], 1
	s_mov_b32 s17, -1
	s_cselect_b32 s7, -1, 0
                                        ; implicit-def: $sgpr8
                                        ; implicit-def: $sgpr9
	s_delay_alu instid0(SALU_CYCLE_1) | instskip(NEXT) | instid1(SALU_CYCLE_1)
	s_and_b32 s70, s7, vcc_lo
                                        ; implicit-def: $sgpr7
	s_and_saveexec_b32 s71, s70
	s_cbranch_execz .LBB159_459
; %bb.421:                              ;   in Loop: Header=BB159_12 Depth=1
	ds_load_b64 v[3:4], v19 offset:5120
	s_waitcnt lgkmcnt(0)
	s_barrier
	buffer_gl0_inv
	v_readfirstlane_b32 s8, v3
	v_readfirstlane_b32 s9, v4
	s_and_saveexec_b32 s7, s6
	s_cbranch_execz .LBB159_423
; %bb.422:                              ;   in Loop: Header=BB159_12 Depth=1
	v_mov_b32_e32 v18, v19
	ds_store_b64 v38, v[18:19]
.LBB159_423:                            ;   in Loop: Header=BB159_12 Depth=1
	s_or_b32 exec_lo, exec_lo, s7
	v_and_b32_e32 v25, s15, v25
	v_and_b32_e32 v24, s14, v24
	v_or_b32_e32 v23, s13, v23
	v_or_b32_e32 v22, s12, v22
	s_cmp_eq_u64 s[8:9], 0
	s_waitcnt lgkmcnt(0)
	s_barrier
	buffer_gl0_inv
	s_cbranch_scc1 .LBB159_428
; %bb.424:                              ;   in Loop: Header=BB159_12 Depth=1
	s_add_u32 s26, s74, s8
	s_addc_u32 s17, s75, s9
	s_mov_b32 s16, s59
	s_delay_alu instid0(SALU_CYCLE_1)
	s_cmp_lg_u64 s[16:17], 0
	s_cbranch_scc0 .LBB159_429
; %bb.425:                              ;   in Loop: Header=BB159_12 Depth=1
	v_cvt_f32_u32_e32 v3, s49
	s_sub_u32 s96, 0, s49
	s_subb_u32 s97, 0, 0
	s_delay_alu instid0(VALU_DEP_1) | instskip(NEXT) | instid1(VALU_DEP_1)
	v_fmac_f32_e64 v3, 0, 0x4f800000
	v_rcp_f32_e32 v3, v3
	s_waitcnt_depctr 0xfff
	v_mul_f32_e32 v3, 0x5f7ffffc, v3
	s_delay_alu instid0(VALU_DEP_1) | instskip(NEXT) | instid1(VALU_DEP_1)
	v_mul_f32_e32 v4, 0x2f800000, v3
	v_trunc_f32_e32 v4, v4
	s_delay_alu instid0(VALU_DEP_1) | instskip(SKIP_1) | instid1(VALU_DEP_2)
	v_fmac_f32_e32 v3, 0xcf800000, v4
	v_cvt_u32_f32_e32 v4, v4
	v_cvt_u32_f32_e32 v3, v3
	s_delay_alu instid0(VALU_DEP_2) | instskip(NEXT) | instid1(VALU_DEP_2)
	v_readfirstlane_b32 s7, v4
	v_readfirstlane_b32 s16, v3
	s_delay_alu instid0(VALU_DEP_2) | instskip(NEXT) | instid1(VALU_DEP_1)
	s_mul_i32 s98, s96, s7
	s_mul_hi_u32 s100, s96, s16
	s_mul_i32 s99, s97, s16
	s_add_i32 s98, s100, s98
	s_mul_i32 s101, s96, s16
	s_add_i32 s98, s98, s99
	s_mul_hi_u32 s100, s16, s101
	s_mul_hi_u32 s102, s7, s101
	s_mul_i32 s99, s7, s101
	s_mul_hi_u32 s101, s16, s98
	s_mul_i32 s16, s16, s98
	s_mul_hi_u32 s103, s7, s98
	s_add_u32 s16, s100, s16
	s_addc_u32 s100, 0, s101
	s_add_u32 s16, s16, s99
	s_mul_i32 s98, s7, s98
	s_addc_u32 s16, s100, s102
	s_addc_u32 s99, s103, 0
	s_add_u32 s16, s16, s98
	s_addc_u32 s98, 0, s99
	v_add_co_u32 v3, s16, v3, s16
	s_delay_alu instid0(VALU_DEP_1) | instskip(SKIP_1) | instid1(VALU_DEP_1)
	s_cmp_lg_u32 s16, 0
	s_addc_u32 s7, s7, s98
	v_readfirstlane_b32 s16, v3
	s_mul_i32 s98, s96, s7
	s_delay_alu instid0(VALU_DEP_1)
	s_mul_hi_u32 s99, s96, s16
	s_mul_i32 s97, s97, s16
	s_add_i32 s98, s99, s98
	s_mul_i32 s96, s96, s16
	s_add_i32 s98, s98, s97
	s_mul_hi_u32 s99, s7, s96
	s_mul_i32 s100, s7, s96
	s_mul_hi_u32 s96, s16, s96
	s_mul_hi_u32 s101, s16, s98
	s_mul_i32 s16, s16, s98
	s_mul_hi_u32 s97, s7, s98
	s_add_u32 s16, s96, s16
	s_addc_u32 s96, 0, s101
	s_add_u32 s16, s16, s100
	s_mul_i32 s98, s7, s98
	s_addc_u32 s16, s96, s99
	s_addc_u32 s96, s97, 0
	s_add_u32 s16, s16, s98
	s_addc_u32 s96, 0, s96
	v_add_co_u32 v3, s16, v3, s16
	s_delay_alu instid0(VALU_DEP_1) | instskip(SKIP_1) | instid1(VALU_DEP_1)
	s_cmp_lg_u32 s16, 0
	s_addc_u32 s7, s7, s96
	v_readfirstlane_b32 s16, v3
	s_mul_i32 s97, s26, s7
	s_mul_hi_u32 s96, s26, s7
	s_mul_hi_u32 s98, s17, s7
	s_mul_i32 s7, s17, s7
	s_mul_hi_u32 s99, s26, s16
	s_mul_hi_u32 s100, s17, s16
	s_mul_i32 s16, s17, s16
	s_add_u32 s97, s99, s97
	s_addc_u32 s96, 0, s96
	s_add_u32 s16, s97, s16
	s_addc_u32 s16, s96, s100
	s_addc_u32 s96, s98, 0
	s_add_u32 s7, s16, s7
	s_addc_u32 s16, 0, s96
	s_mul_hi_u32 s96, s49, s7
	s_mul_i32 s7, s49, s7
	s_mul_i32 s16, s49, s16
	v_sub_co_u32 v3, s7, s26, s7
	s_add_i32 s96, s96, s16
	s_cmp_lg_u32 s7, 0
	s_delay_alu instid0(VALU_DEP_1) | instskip(SKIP_2) | instid1(VALU_DEP_1)
	v_sub_co_u32 v4, s7, v3, s49
	s_subb_u32 s16, s17, s96
	s_cmp_lg_u32 s7, 0
	v_cmp_le_u32_e32 vcc_lo, s49, v4
	v_sub_co_u32 v5, s7, v4, s49
	s_subb_u32 s96, s16, 0
	s_cmp_lg_u32 s7, 0
	v_cndmask_b32_e64 v6, 0, -1, vcc_lo
	s_subb_u32 s7, s96, 0
	s_cmp_eq_u32 s96, 0
	v_mov_b32_e32 v8, s7
	s_cselect_b32 vcc_lo, -1, 0
	s_cmp_eq_u32 s16, 0
	v_cndmask_b32_e32 v6, -1, v6, vcc_lo
	v_cmp_le_u32_e32 vcc_lo, s49, v3
	s_cselect_b32 s7, -1, 0
	v_cndmask_b32_e64 v7, 0, -1, vcc_lo
	s_delay_alu instid0(VALU_DEP_3) | instskip(NEXT) | instid1(VALU_DEP_2)
	v_cmp_ne_u32_e32 vcc_lo, 0, v6
	v_cndmask_b32_e64 v6, -1, v7, s7
	v_cndmask_b32_e32 v7, s96, v8, vcc_lo
	v_cndmask_b32_e32 v5, v4, v5, vcc_lo
	s_mov_b32 s7, 0
	s_delay_alu instid0(VALU_DEP_3) | instskip(NEXT) | instid1(VALU_DEP_3)
	v_cmp_ne_u32_e32 vcc_lo, 0, v6
	v_cndmask_b32_e32 v4, s16, v7, vcc_lo
	s_delay_alu instid0(VALU_DEP_3)
	v_cndmask_b32_e32 v3, v3, v5, vcc_lo
	s_branch .LBB159_430
.LBB159_426:                            ;   in Loop: Header=BB159_12 Depth=1
                                        ; implicit-def: $vgpr3_vgpr4
	s_branch .LBB159_380
.LBB159_427:                            ;   in Loop: Header=BB159_12 Depth=1
                                        ; implicit-def: $vgpr3_vgpr4
	s_branch .LBB159_396
.LBB159_428:                            ;   in Loop: Header=BB159_12 Depth=1
	s_mov_b32 s7, -1
	s_mov_b32 s16, 0
                                        ; implicit-def: $sgpr8
                                        ; implicit-def: $vgpr6_vgpr7
	s_branch .LBB159_442
.LBB159_429:                            ;   in Loop: Header=BB159_12 Depth=1
	s_mov_b32 s7, -1
                                        ; implicit-def: $vgpr3_vgpr4
.LBB159_430:                            ;   in Loop: Header=BB159_12 Depth=1
	s_delay_alu instid0(SALU_CYCLE_1)
	s_and_not1_b32 vcc_lo, exec_lo, s7
	s_cbranch_vccnz .LBB159_432
; %bb.431:                              ;   in Loop: Header=BB159_12 Depth=1
	v_cvt_f32_u32_e32 v3, s49
	s_sub_i32 s7, 0, s49
	s_delay_alu instid0(VALU_DEP_1) | instskip(SKIP_2) | instid1(VALU_DEP_1)
	v_rcp_iflag_f32_e32 v3, v3
	s_waitcnt_depctr 0xfff
	v_mul_f32_e32 v3, 0x4f7ffffe, v3
	v_cvt_u32_f32_e32 v3, v3
	s_delay_alu instid0(VALU_DEP_1) | instskip(NEXT) | instid1(VALU_DEP_1)
	v_mul_lo_u32 v4, s7, v3
	v_mul_hi_u32 v4, v3, v4
	s_delay_alu instid0(VALU_DEP_1) | instskip(NEXT) | instid1(VALU_DEP_1)
	v_add_nc_u32_e32 v3, v3, v4
	v_mul_hi_u32 v3, s26, v3
	s_delay_alu instid0(VALU_DEP_1) | instskip(NEXT) | instid1(VALU_DEP_1)
	v_mul_lo_u32 v3, v3, s49
	v_sub_nc_u32_e32 v3, s26, v3
	s_delay_alu instid0(VALU_DEP_1) | instskip(SKIP_1) | instid1(VALU_DEP_2)
	v_subrev_nc_u32_e32 v4, s49, v3
	v_cmp_le_u32_e32 vcc_lo, s49, v3
	v_cndmask_b32_e32 v3, v3, v4, vcc_lo
	s_delay_alu instid0(VALU_DEP_1) | instskip(SKIP_1) | instid1(VALU_DEP_2)
	v_subrev_nc_u32_e32 v4, s49, v3
	v_cmp_le_u32_e32 vcc_lo, s49, v3
	v_cndmask_b32_e32 v18, v3, v4, vcc_lo
	s_delay_alu instid0(VALU_DEP_1)
	v_dual_mov_b32 v3, v18 :: v_dual_mov_b32 v4, v19
.LBB159_432:                            ;   in Loop: Header=BB159_12 Depth=1
	s_delay_alu instid0(VALU_DEP_1) | instskip(NEXT) | instid1(VALU_DEP_2)
	v_sub_co_u32 v8, vcc_lo, s26, v3
	v_sub_co_ci_u32_e32 v9, vcc_lo, s17, v4, vcc_lo
	s_mov_b32 s16, 0
	s_mov_b32 s7, exec_lo
                                        ; implicit-def: $vgpr6_vgpr7
	s_delay_alu instid0(VALU_DEP_1)
	v_cmpx_gt_u64_e64 v[8:9], v[0:1]
	s_cbranch_execz .LBB159_441
; %bb.433:                              ;   in Loop: Header=BB159_12 Depth=1
	v_mov_b32_e32 v14, v37
	v_dual_mov_b32 v13, v1 :: v_dual_mov_b32 v12, v0
	s_mov_b32 s17, 0
                                        ; implicit-def: $sgpr16
	s_set_inst_prefetch_distance 0x1
	s_branch .LBB159_435
	.p2align	6
.LBB159_434:                            ;   in Loop: Header=BB159_435 Depth=2
	s_or_b32 exec_lo, exec_lo, s26
	s_waitcnt lgkmcnt(0)
	s_barrier
	buffer_gl0_inv
	ds_load_b128 v[4:7], v19 offset:3072
	v_add_co_u32 v12, vcc_lo, v12, s49
	v_add_co_ci_u32_e32 v13, vcc_lo, 0, v13, vcc_lo
	v_add_nc_u32_e32 v14, s82, v14
	s_waitcnt lgkmcnt(0)
	s_barrier
	s_delay_alu instid0(VALU_DEP_2) | instskip(SKIP_3) | instid1(VALU_DEP_1)
	v_cmp_ge_u64_e32 vcc_lo, v[12:13], v[8:9]
	buffer_gl0_inv
	v_readfirstlane_b32 s97, v5
	v_readfirstlane_b32 s96, v4
	s_cmp_lg_u64 s[96:97], 0
	s_cselect_b32 s26, -1, 0
	s_delay_alu instid0(SALU_CYCLE_1) | instskip(NEXT) | instid1(SALU_CYCLE_1)
	s_or_b32 s96, vcc_lo, s26
	s_and_b32 s96, exec_lo, s96
	s_delay_alu instid0(SALU_CYCLE_1) | instskip(SKIP_2) | instid1(SALU_CYCLE_1)
	s_or_b32 s17, s96, s17
	s_and_not1_b32 s16, s16, exec_lo
	s_and_b32 s26, s26, exec_lo
	s_or_b32 s16, s16, s26
	s_and_not1_b32 exec_lo, exec_lo, s17
	s_cbranch_execz .LBB159_440
.LBB159_435:                            ;   Parent Loop BB159_12 Depth=1
                                        ; =>  This Inner Loop Header: Depth=2
	s_delay_alu instid0(VALU_DEP_1)
	v_cmp_gt_u64_e32 vcc_lo, s[8:9], v[12:13]
	v_mov_b32_e32 v4, 0
	v_mov_b32_e32 v5, 0
	s_and_saveexec_b32 s26, vcc_lo
	s_cbranch_execz .LBB159_437
; %bb.436:                              ;   in Loop: Header=BB159_435 Depth=2
	ds_load_b64 v[4:5], v14
.LBB159_437:                            ;   in Loop: Header=BB159_435 Depth=2
	s_or_b32 exec_lo, exec_lo, s26
	s_and_saveexec_b32 s26, vcc_lo
	s_cbranch_execz .LBB159_434
; %bb.438:                              ;   in Loop: Header=BB159_435 Depth=2
	s_waitcnt lgkmcnt(0)
	v_xor_b32_e32 v3, 0x80000000, v5
	v_and_b32_e32 v6, v4, v22
	s_delay_alu instid0(VALU_DEP_2) | instskip(NEXT) | instid1(VALU_DEP_1)
	v_and_b32_e32 v7, v3, v23
	v_cmp_eq_u64_e32 vcc_lo, v[6:7], v[24:25]
	s_and_b32 exec_lo, exec_lo, vcc_lo
	s_cbranch_execz .LBB159_434
; %bb.439:                              ;   in Loop: Header=BB159_435 Depth=2
	v_mov_b32_e32 v3, v19
	ds_store_b128 v19, v[2:5] offset:3072
	s_branch .LBB159_434
.LBB159_440:                            ;   in Loop: Header=BB159_12 Depth=1
	s_set_inst_prefetch_distance 0x2
	s_or_b32 exec_lo, exec_lo, s17
	s_delay_alu instid0(SALU_CYCLE_1)
	s_and_b32 s16, s16, exec_lo
.LBB159_441:                            ;   in Loop: Header=BB159_12 Depth=1
	s_or_b32 exec_lo, exec_lo, s7
	s_mov_b32 s7, 0
	s_mov_b32 s8, -1
.LBB159_442:                            ;   in Loop: Header=BB159_12 Depth=1
	s_and_b32 vcc_lo, exec_lo, s7
	s_mov_b32 s9, s7
	s_cbranch_vccz .LBB159_458
; %bb.443:                              ;   in Loop: Header=BB159_12 Depth=1
	s_mov_b32 s26, s59
	s_delay_alu instid0(SALU_CYCLE_1)
	s_cmp_lg_u64 s[26:27], 0
	s_cbranch_scc0 .LBB159_445
; %bb.444:                              ;   in Loop: Header=BB159_12 Depth=1
	v_cvt_f32_u32_e32 v3, s49
	s_sub_u32 s9, 0, s49
	s_subb_u32 s16, 0, 0
	s_delay_alu instid0(VALU_DEP_1) | instskip(NEXT) | instid1(VALU_DEP_1)
	v_fmac_f32_e64 v3, 0, 0x4f800000
	v_rcp_f32_e32 v3, v3
	s_waitcnt_depctr 0xfff
	v_mul_f32_e32 v3, 0x5f7ffffc, v3
	s_delay_alu instid0(VALU_DEP_1) | instskip(NEXT) | instid1(VALU_DEP_1)
	v_mul_f32_e32 v4, 0x2f800000, v3
	v_trunc_f32_e32 v4, v4
	s_delay_alu instid0(VALU_DEP_1) | instskip(SKIP_1) | instid1(VALU_DEP_2)
	v_fmac_f32_e32 v3, 0xcf800000, v4
	v_cvt_u32_f32_e32 v4, v4
	v_cvt_u32_f32_e32 v3, v3
	s_delay_alu instid0(VALU_DEP_2) | instskip(NEXT) | instid1(VALU_DEP_2)
	v_readfirstlane_b32 s7, v4
	v_readfirstlane_b32 s8, v3
	s_delay_alu instid0(VALU_DEP_2) | instskip(NEXT) | instid1(VALU_DEP_1)
	s_mul_i32 s17, s9, s7
	s_mul_hi_u32 s96, s9, s8
	s_mul_i32 s26, s16, s8
	s_add_i32 s17, s96, s17
	s_mul_i32 s97, s9, s8
	s_add_i32 s17, s17, s26
	s_mul_hi_u32 s96, s8, s97
	s_mul_hi_u32 s98, s7, s97
	s_mul_i32 s26, s7, s97
	s_mul_hi_u32 s97, s8, s17
	s_mul_i32 s8, s8, s17
	s_mul_hi_u32 s99, s7, s17
	s_add_u32 s8, s96, s8
	s_addc_u32 s96, 0, s97
	s_add_u32 s8, s8, s26
	s_mul_i32 s17, s7, s17
	s_addc_u32 s8, s96, s98
	s_addc_u32 s26, s99, 0
	s_add_u32 s8, s8, s17
	s_addc_u32 s17, 0, s26
	v_add_co_u32 v3, s8, v3, s8
	s_delay_alu instid0(VALU_DEP_1) | instskip(SKIP_1) | instid1(VALU_DEP_1)
	s_cmp_lg_u32 s8, 0
	s_addc_u32 s7, s7, s17
	v_readfirstlane_b32 s8, v3
	s_mul_i32 s17, s9, s7
	s_delay_alu instid0(VALU_DEP_1)
	s_mul_hi_u32 s26, s9, s8
	s_mul_i32 s16, s16, s8
	s_add_i32 s17, s26, s17
	s_mul_i32 s9, s9, s8
	s_add_i32 s17, s17, s16
	s_mul_hi_u32 s26, s7, s9
	s_mul_i32 s96, s7, s9
	s_mul_hi_u32 s9, s8, s9
	s_mul_hi_u32 s97, s8, s17
	s_mul_i32 s8, s8, s17
	s_mul_hi_u32 s16, s7, s17
	s_add_u32 s8, s9, s8
	s_addc_u32 s9, 0, s97
	s_add_u32 s8, s8, s96
	s_mul_i32 s17, s7, s17
	s_addc_u32 s8, s9, s26
	s_addc_u32 s9, s16, 0
	s_add_u32 s8, s8, s17
	s_addc_u32 s9, 0, s9
	v_add_co_u32 v3, s8, v3, s8
	s_delay_alu instid0(VALU_DEP_1) | instskip(SKIP_1) | instid1(VALU_DEP_1)
	s_cmp_lg_u32 s8, 0
	s_addc_u32 s7, s7, s9
	v_readfirstlane_b32 s8, v3
	s_mul_i32 s16, s76, s7
	s_mul_hi_u32 s9, s76, s7
	s_mul_hi_u32 s17, s27, s7
	s_mul_i32 s7, s27, s7
	s_mul_hi_u32 s26, s76, s8
	s_mul_hi_u32 s96, s27, s8
	s_mul_i32 s8, s27, s8
	s_add_u32 s16, s26, s16
	s_addc_u32 s9, 0, s9
	s_add_u32 s8, s16, s8
	s_addc_u32 s8, s9, s96
	s_addc_u32 s9, s17, 0
	s_add_u32 s7, s8, s7
	s_addc_u32 s8, 0, s9
	s_mul_hi_u32 s9, s49, s7
	s_mul_i32 s7, s49, s7
	s_mul_i32 s8, s49, s8
	v_sub_co_u32 v3, s7, s76, s7
	s_add_i32 s9, s9, s8
	s_cmp_lg_u32 s7, 0
	s_delay_alu instid0(VALU_DEP_1) | instskip(SKIP_2) | instid1(VALU_DEP_1)
	v_sub_co_u32 v4, s7, v3, s49
	s_subb_u32 s8, s27, s9
	s_cmp_lg_u32 s7, 0
	v_cmp_le_u32_e32 vcc_lo, s49, v4
	v_sub_co_u32 v5, s7, v4, s49
	s_subb_u32 s9, s8, 0
	s_cmp_lg_u32 s7, 0
	v_cndmask_b32_e64 v6, 0, -1, vcc_lo
	s_subb_u32 s7, s9, 0
	s_cmp_eq_u32 s9, 0
	v_mov_b32_e32 v8, s7
	s_cselect_b32 vcc_lo, -1, 0
	s_cmp_eq_u32 s8, 0
	v_cndmask_b32_e32 v6, -1, v6, vcc_lo
	v_cmp_le_u32_e32 vcc_lo, s49, v3
	s_cselect_b32 s7, -1, 0
	v_cndmask_b32_e64 v7, 0, -1, vcc_lo
	s_delay_alu instid0(VALU_DEP_3) | instskip(NEXT) | instid1(VALU_DEP_2)
	v_cmp_ne_u32_e32 vcc_lo, 0, v6
	v_cndmask_b32_e64 v6, -1, v7, s7
	v_cndmask_b32_e32 v7, s9, v8, vcc_lo
	v_cndmask_b32_e32 v5, v4, v5, vcc_lo
	s_mov_b32 s7, 0
	s_delay_alu instid0(VALU_DEP_3) | instskip(NEXT) | instid1(VALU_DEP_3)
	v_cmp_ne_u32_e32 vcc_lo, 0, v6
	v_cndmask_b32_e32 v4, s8, v7, vcc_lo
	s_delay_alu instid0(VALU_DEP_3)
	v_cndmask_b32_e32 v3, v3, v5, vcc_lo
	s_branch .LBB159_446
.LBB159_445:                            ;   in Loop: Header=BB159_12 Depth=1
	s_mov_b32 s7, -1
                                        ; implicit-def: $vgpr3_vgpr4
.LBB159_446:                            ;   in Loop: Header=BB159_12 Depth=1
	s_delay_alu instid0(SALU_CYCLE_1)
	s_and_not1_b32 vcc_lo, exec_lo, s7
	s_cbranch_vccnz .LBB159_448
; %bb.447:                              ;   in Loop: Header=BB159_12 Depth=1
	v_cvt_f32_u32_e32 v3, s49
	s_sub_i32 s7, 0, s49
	s_delay_alu instid0(VALU_DEP_1) | instskip(SKIP_2) | instid1(VALU_DEP_1)
	v_rcp_iflag_f32_e32 v3, v3
	s_waitcnt_depctr 0xfff
	v_mul_f32_e32 v3, 0x4f7ffffe, v3
	v_cvt_u32_f32_e32 v3, v3
	s_delay_alu instid0(VALU_DEP_1) | instskip(NEXT) | instid1(VALU_DEP_1)
	v_mul_lo_u32 v4, s7, v3
	v_mul_hi_u32 v4, v3, v4
	s_delay_alu instid0(VALU_DEP_1) | instskip(NEXT) | instid1(VALU_DEP_1)
	v_add_nc_u32_e32 v3, v3, v4
	v_mul_hi_u32 v3, s76, v3
	s_delay_alu instid0(VALU_DEP_1) | instskip(NEXT) | instid1(VALU_DEP_1)
	v_mul_lo_u32 v3, v3, s49
	v_sub_nc_u32_e32 v3, s76, v3
	s_delay_alu instid0(VALU_DEP_1) | instskip(SKIP_1) | instid1(VALU_DEP_2)
	v_subrev_nc_u32_e32 v4, s49, v3
	v_cmp_le_u32_e32 vcc_lo, s49, v3
	v_cndmask_b32_e32 v3, v3, v4, vcc_lo
	s_delay_alu instid0(VALU_DEP_1) | instskip(SKIP_1) | instid1(VALU_DEP_2)
	v_subrev_nc_u32_e32 v4, s49, v3
	v_cmp_le_u32_e32 vcc_lo, s49, v3
	v_cndmask_b32_e32 v18, v3, v4, vcc_lo
	s_delay_alu instid0(VALU_DEP_1)
	v_dual_mov_b32 v3, v18 :: v_dual_mov_b32 v4, v19
.LBB159_448:                            ;   in Loop: Header=BB159_12 Depth=1
	s_delay_alu instid0(VALU_DEP_1) | instskip(NEXT) | instid1(VALU_DEP_2)
	v_sub_co_u32 v8, vcc_lo, s76, v3
	v_sub_co_ci_u32_e32 v9, vcc_lo, s27, v4, vcc_lo
	s_mov_b32 s16, 0
	s_mov_b32 s8, exec_lo
                                        ; implicit-def: $vgpr6_vgpr7
	s_delay_alu instid0(VALU_DEP_1)
	v_cmpx_gt_u64_e64 v[8:9], v[0:1]
	s_cbranch_execz .LBB159_457
; %bb.449:                              ;   in Loop: Header=BB159_12 Depth=1
	v_dual_mov_b32 v13, v1 :: v_dual_mov_b32 v12, v0
                                        ; implicit-def: $sgpr9
	s_branch .LBB159_451
.LBB159_450:                            ;   in Loop: Header=BB159_451 Depth=2
	s_or_b32 exec_lo, exec_lo, s7
	s_waitcnt vmcnt(0) lgkmcnt(0)
	s_barrier
	buffer_gl0_inv
	ds_load_b128 v[4:7], v19 offset:3072
	v_add_co_u32 v12, vcc_lo, v12, s49
	v_add_co_ci_u32_e32 v13, vcc_lo, 0, v13, vcc_lo
	s_waitcnt lgkmcnt(0)
	s_barrier
	buffer_gl0_inv
	v_cmp_ge_u64_e32 vcc_lo, v[12:13], v[8:9]
	v_readfirstlane_b32 s97, v5
	v_readfirstlane_b32 s96, v4
	s_delay_alu instid0(VALU_DEP_1) | instskip(SKIP_1) | instid1(SALU_CYCLE_1)
	s_cmp_lg_u64 s[96:97], 0
	s_cselect_b32 s7, -1, 0
	s_or_b32 s17, vcc_lo, s7
	s_delay_alu instid0(SALU_CYCLE_1) | instskip(NEXT) | instid1(SALU_CYCLE_1)
	s_and_b32 s17, exec_lo, s17
	s_or_b32 s16, s17, s16
	s_and_not1_b32 s9, s9, exec_lo
	s_and_b32 s7, s7, exec_lo
	s_delay_alu instid0(SALU_CYCLE_1)
	s_or_b32 s9, s9, s7
	s_and_not1_b32 exec_lo, exec_lo, s16
	s_cbranch_execz .LBB159_456
.LBB159_451:                            ;   Parent Loop BB159_12 Depth=1
                                        ; =>  This Inner Loop Header: Depth=2
	s_delay_alu instid0(VALU_DEP_1)
	v_cmp_gt_u64_e32 vcc_lo, s[36:37], v[12:13]
	v_mov_b32_e32 v4, 0
	v_mov_b32_e32 v5, 0
	s_and_saveexec_b32 s17, vcc_lo
	s_cbranch_execz .LBB159_453
; %bb.452:                              ;   in Loop: Header=BB159_451 Depth=2
	v_mul_lo_u32 v5, v13, s30
	v_mul_lo_u32 v6, v12, s31
	v_mad_u64_u32 v[3:4], null, v12, s30, 0
	s_delay_alu instid0(VALU_DEP_1) | instskip(NEXT) | instid1(VALU_DEP_1)
	v_add3_u32 v4, v4, v6, v5
	v_lshlrev_b64 v[3:4], 3, v[3:4]
	s_delay_alu instid0(VALU_DEP_1) | instskip(NEXT) | instid1(VALU_DEP_1)
	v_add_co_u32 v3, s7, s33, v3
	v_add_co_ci_u32_e64 v4, s7, s35, v4, s7
	global_load_b64 v[4:5], v[3:4], off
.LBB159_453:                            ;   in Loop: Header=BB159_451 Depth=2
	s_or_b32 exec_lo, exec_lo, s17
	s_and_saveexec_b32 s7, vcc_lo
	s_cbranch_execz .LBB159_450
; %bb.454:                              ;   in Loop: Header=BB159_451 Depth=2
	s_waitcnt vmcnt(0)
	v_xor_b32_e32 v3, 0x80000000, v5
	v_and_b32_e32 v6, v4, v22
	s_delay_alu instid0(VALU_DEP_2) | instskip(NEXT) | instid1(VALU_DEP_1)
	v_and_b32_e32 v7, v3, v23
	v_cmp_eq_u64_e32 vcc_lo, v[6:7], v[24:25]
	s_and_b32 exec_lo, exec_lo, vcc_lo
	s_cbranch_execz .LBB159_450
; %bb.455:                              ;   in Loop: Header=BB159_451 Depth=2
	v_mov_b32_e32 v3, v19
	ds_store_b128 v19, v[2:5] offset:3072
	s_branch .LBB159_450
.LBB159_456:                            ;   in Loop: Header=BB159_12 Depth=1
	s_or_b32 exec_lo, exec_lo, s16
	s_delay_alu instid0(SALU_CYCLE_1)
	s_and_b32 s16, s9, exec_lo
.LBB159_457:                            ;   in Loop: Header=BB159_12 Depth=1
	s_or_b32 exec_lo, exec_lo, s8
	s_mov_b32 s8, 0
	s_mov_b32 s7, -1
	s_mov_b32 s9, 0
.LBB159_458:                            ;   in Loop: Header=BB159_12 Depth=1
	s_or_not1_b32 s17, s16, exec_lo
.LBB159_459:                            ;   in Loop: Header=BB159_12 Depth=1
	s_or_b32 exec_lo, exec_lo, s71
	s_mov_b32 s26, 0
                                        ; implicit-def: $vgpr5
                                        ; implicit-def: $vgpr3_vgpr4
	s_and_saveexec_b32 s16, s17
	s_cbranch_execz .LBB159_471
; %bb.460:                              ;   in Loop: Header=BB159_12 Depth=1
	v_mov_b32_e32 v3, 1
	v_dual_mov_b32 v4, 0 :: v_dual_mov_b32 v5, 1
	s_xor_b32 s26, s70, -1
	s_delay_alu instid0(SALU_CYCLE_1)
	s_and_saveexec_b32 s17, s26
	s_cbranch_execz .LBB159_470
; %bb.461:                              ;   in Loop: Header=BB159_12 Depth=1
	s_mov_b32 s26, exec_lo
                                        ; implicit-def: $sgpr70
	v_cmpx_ge_u64_e64 s[10:11], v[10:11]
	s_xor_b32 s26, exec_lo, s26
	s_cbranch_execz .LBB159_467
; %bb.462:                              ;   in Loop: Header=BB159_12 Depth=1
	ds_load_b64 v[3:4], v19 offset:5120
	s_waitcnt lgkmcnt(0)
	v_cmp_ne_u64_e32 vcc_lo, 0, v[3:4]
	s_cbranch_vccnz .LBB159_466
; %bb.463:                              ;   in Loop: Header=BB159_12 Depth=1
	s_and_saveexec_b32 s70, s5
	s_cbranch_execz .LBB159_465
; %bb.464:                              ;   in Loop: Header=BB159_12 Depth=1
	v_dual_mov_b32 v3, s10 :: v_dual_mov_b32 v4, s11
	ds_store_b64 v19, v[3:4] offset:5128
.LBB159_465:                            ;   in Loop: Header=BB159_12 Depth=1
	s_or_b32 exec_lo, exec_lo, s70
	s_waitcnt lgkmcnt(0)
	s_barrier
	buffer_gl0_inv
.LBB159_466:                            ;   in Loop: Header=BB159_12 Depth=1
	v_and_b32_e32 v25, s15, v25
	v_and_b32_e32 v24, s14, v24
	v_or_b32_e32 v23, s13, v23
	v_or_b32_e32 v22, s12, v22
	s_mov_b32 s70, 5
.LBB159_467:                            ;   in Loop: Header=BB159_12 Depth=1
	s_or_saveexec_b32 s12, s26
	v_mov_b32_e32 v5, s70
	s_xor_b32 exec_lo, exec_lo, s12
; %bb.468:                              ;   in Loop: Header=BB159_12 Depth=1
	v_sub_co_u32 v10, vcc_lo, v10, s10
	v_subrev_co_ci_u32_e32 v11, vcc_lo, s11, v11, vcc_lo
	v_mov_b32_e32 v5, 5
; %bb.469:                              ;   in Loop: Header=BB159_12 Depth=1
	s_or_b32 exec_lo, exec_lo, s12
	s_delay_alu instid0(VALU_DEP_2)
	v_dual_mov_b32 v3, v10 :: v_dual_mov_b32 v4, v11
.LBB159_470:                            ;   in Loop: Header=BB159_12 Depth=1
	s_or_b32 exec_lo, exec_lo, s17
	s_delay_alu instid0(SALU_CYCLE_1)
	s_mov_b32 s26, exec_lo
.LBB159_471:                            ;   in Loop: Header=BB159_12 Depth=1
	s_or_b32 exec_lo, exec_lo, s16
	s_delay_alu instid0(VALU_DEP_1)
	v_dual_mov_b32 v11, v4 :: v_dual_mov_b32 v10, v3
	s_or_not1_b32 s16, s26, exec_lo
.LBB159_472:                            ;   in Loop: Header=BB159_12 Depth=1
	s_or_b32 exec_lo, exec_lo, s24
	s_delay_alu instid0(SALU_CYCLE_1)
	s_and_not1_b32 s10, s18, exec_lo
	s_and_b32 s7, s7, exec_lo
	s_and_b32 s8, s8, exec_lo
	s_or_b32 s18, s10, s7
	s_and_not1_b32 s7, s19, exec_lo
	s_and_not1_b32 s10, s68, exec_lo
	s_and_b32 s9, s9, exec_lo
	v_dual_mov_b32 v8, v10 :: v_dual_mov_b32 v9, v11
	s_or_b32 s19, s7, s8
	s_or_b32 s68, s10, s9
	s_and_b32 s26, s16, exec_lo
.LBB159_473:                            ;   in Loop: Header=BB159_12 Depth=1
	s_or_b32 exec_lo, exec_lo, s69
	s_delay_alu instid0(SALU_CYCLE_1)
	s_and_b32 s18, s18, exec_lo
	s_and_b32 s9, s19, exec_lo
	;; [unrolled: 1-line block ×3, first 2 shown]
	s_or_not1_b32 s7, s26, exec_lo
.LBB159_474:                            ;   in Loop: Header=BB159_12 Depth=1
	s_or_b32 exec_lo, exec_lo, s67
	s_delay_alu instid0(SALU_CYCLE_1)
	s_and_not1_b32 s10, s20, exec_lo
	s_and_b32 s11, s18, exec_lo
	s_and_b32 s9, s9, exec_lo
	s_or_b32 s20, s10, s11
	s_and_not1_b32 s10, s21, exec_lo
	s_and_not1_b32 s11, s65, exec_lo
	s_and_b32 s8, s8, exec_lo
	v_dual_mov_b32 v29, v9 :: v_dual_mov_b32 v28, v8
	s_or_b32 s21, s10, s9
	s_or_b32 s65, s11, s8
	s_and_b32 s26, s7, exec_lo
.LBB159_475:                            ;   in Loop: Header=BB159_12 Depth=1
	s_or_b32 exec_lo, exec_lo, s66
	s_delay_alu instid0(SALU_CYCLE_1)
	s_and_b32 s20, s20, exec_lo
	s_and_b32 s9, s21, exec_lo
	;; [unrolled: 1-line block ×3, first 2 shown]
	s_or_not1_b32 s21, s26, exec_lo
.LBB159_476:                            ;   in Loop: Header=BB159_12 Depth=1
	s_or_b32 exec_lo, exec_lo, s64
	s_mov_b32 s7, s62
	s_mov_b32 s10, s58
	s_and_saveexec_b32 s11, s21
; %bb.477:                              ;   in Loop: Header=BB159_12 Depth=1
	v_cmp_eq_u32_e32 vcc_lo, 5, v5
	v_cmp_ne_u32_e64 s7, 5, v5
	s_and_not1_b32 s10, s58, exec_lo
	s_and_not1_b32 s12, s62, exec_lo
	;; [unrolled: 1-line block ×3, first 2 shown]
	s_and_b32 s13, vcc_lo, exec_lo
	s_and_b32 s7, s7, exec_lo
	s_and_not1_b32 s9, s9, exec_lo
	s_and_not1_b32 s8, s8, exec_lo
	s_or_b32 s10, s10, s7
	s_or_b32 s7, s12, s13
; %bb.478:                              ;   in Loop: Header=BB159_12 Depth=1
	s_or_b32 exec_lo, exec_lo, s11
	s_delay_alu instid0(SALU_CYCLE_1)
	s_and_not1_b32 s11, s22, exec_lo
	s_and_b32 s12, s20, exec_lo
	s_and_b32 s9, s9, exec_lo
	s_or_b32 s22, s11, s12
	s_and_not1_b32 s11, s23, exec_lo
	s_and_not1_b32 s12, s25, exec_lo
	s_and_b32 s8, s8, exec_lo
	v_dual_mov_b32 v12, v24 :: v_dual_mov_b32 v13, v25
	v_dual_mov_b32 v14, v22 :: v_dual_mov_b32 v15, v23
	;; [unrolled: 1-line block ×3, first 2 shown]
	s_or_b32 s23, s11, s9
	s_or_b32 s25, s12, s8
	s_and_not1_b32 s8, s58, exec_lo
	s_and_b32 s9, s10, exec_lo
	s_and_not1_b32 s10, s62, exec_lo
	s_and_b32 s7, s7, exec_lo
	s_or_b32 s58, s8, s9
	s_or_b32 s62, s10, s7
.LBB159_479:                            ;   in Loop: Header=BB159_12 Depth=1
	s_or_b32 exec_lo, exec_lo, s63
	s_mov_b32 s64, s25
	s_mov_b32 s63, s25
	s_and_saveexec_b32 s7, s62
.LBB159_480:                            ;   in Loop: Header=BB159_12 Depth=1
	v_mov_b32_e32 v5, 0
	s_and_not1_b32 s25, s25, exec_lo
	s_and_not1_b32 s22, s22, exec_lo
	;; [unrolled: 1-line block ×5, first 2 shown]
	s_or_b32 s58, s58, exec_lo
.LBB159_481:                            ;   in Loop: Header=BB159_12 Depth=1
	s_or_b32 exec_lo, exec_lo, s7
	s_delay_alu instid0(SALU_CYCLE_1)
	s_and_not1_b32 s7, s95, exec_lo
	s_and_b32 s9, s25, exec_lo
	s_and_not1_b32 s10, s92, exec_lo
	s_or_b32 s95, s7, s9
	s_and_not1_b32 s7, s94, exec_lo
	s_and_b32 s9, s22, exec_lo
	s_and_b32 s11, s23, exec_lo
	s_or_b32 s94, s7, s9
	s_or_b32 s92, s10, s11
	s_and_not1_b32 s7, s93, exec_lo
	s_and_b32 s9, s64, exec_lo
	s_and_not1_b32 s10, s91, exec_lo
	s_and_b32 s11, s63, exec_lo
	s_mov_b32 s8, -1
	s_or_b32 s93, s7, s9
	s_or_b32 s91, s10, s11
                                        ; implicit-def: $vgpr22_vgpr23
                                        ; implicit-def: $vgpr24_vgpr25
                                        ; implicit-def: $vgpr26_vgpr27
                                        ; implicit-def: $vgpr6_vgpr7
	s_and_saveexec_b32 s7, s58
	s_delay_alu instid0(SALU_CYCLE_1)
	s_xor_b32 s7, exec_lo, s7
	s_cbranch_execz .LBB159_11
; %bb.482:                              ;   in Loop: Header=BB159_12 Depth=1
	s_mov_b32 s9, -1
	s_mov_b32 s10, exec_lo
	v_cmpx_eq_u32_e32 0, v5
	s_cbranch_execz .LBB159_10
; %bb.483:                              ;   in Loop: Header=BB159_12 Depth=1
	s_xor_b32 s85, s85, 1
	s_add_i32 s11, s89, -2
	s_cmp_eq_u32 s89, 0
	s_mov_b32 s89, s11
	s_cselect_b32 s8, -1, 0
	s_xor_b32 s9, exec_lo, -1
	s_or_not1_b32 s8, s8, exec_lo
	s_branch .LBB159_10
.LBB159_484:
	s_or_b32 exec_lo, exec_lo, s83
	s_xor_b32 s7, s90, -1
	s_xor_b32 s9, s87, -1
	;; [unrolled: 1-line block ×5, first 2 shown]
	s_mov_b32 s8, 0
	s_and_saveexec_b32 s12, s11
	s_delay_alu instid0(SALU_CYCLE_1)
	s_xor_b32 s12, exec_lo, s12
	s_cbranch_execz .LBB159_541
; %bb.485:
	s_and_saveexec_b32 s11, s10
	s_delay_alu instid0(SALU_CYCLE_1)
	s_xor_b32 s13, exec_lo, s11
	s_cbranch_execz .LBB159_539
; %bb.486:
	;; [unrolled: 5-line block ×4, first 2 shown]
	s_and_saveexec_b32 s7, s6
	s_delay_alu instid0(SALU_CYCLE_1)
	s_xor_b32 s6, exec_lo, s7
; %bb.489:
	v_xor_b32_e32 v13, 0x80000000, v13
	s_delay_alu instid0(VALU_DEP_1)
	v_dual_mov_b32 v10, v12 :: v_dual_mov_b32 v11, v13
; %bb.490:
	s_or_b32 exec_lo, exec_lo, s6
	s_and_saveexec_b32 s6, s5
	s_cbranch_execz .LBB159_492
; %bb.491:
	v_mov_b32_e32 v2, 0
	s_delay_alu instid0(VALU_DEP_1)
	v_mov_b32_e32 v3, v2
	ds_store_b64 v2, v[2:3] offset:5136
.LBB159_492:
	s_or_b32 exec_lo, exec_lo, s6
	v_mov_b32_e32 v2, 0
	v_mov_b32_e32 v3, 0
	s_waitcnt lgkmcnt(0)
	s_barrier
	buffer_gl0_inv
	s_and_saveexec_b32 s5, s4
	s_cbranch_execz .LBB159_494
; %bb.493:
	global_load_b64 v[2:3], v[16:17], off
.LBB159_494:
	s_or_b32 exec_lo, exec_lo, s5
	s_add_u32 s5, s36, 31
	s_addc_u32 s7, s37, 0
	s_and_b32 s6, s5, 0xffffffe0
	s_mul_i32 s5, s48, s51
	s_mul_hi_u32 s8, s48, s50
	s_mul_i32 s9, s48, s50
	s_add_i32 s8, s8, s5
	s_sub_u32 s5, s34, s9
	s_subb_u32 s8, 0, s8
	s_mul_i32 s9, s5, s47
	s_mul_hi_u32 s10, s5, s46
	s_mul_i32 s8, s8, s46
	s_add_i32 s9, s10, s9
	s_mul_i32 s16, s5, s46
	s_add_i32 s17, s9, s8
	s_mul_i32 s8, s48, s45
	s_mul_hi_u32 s9, s48, s44
	s_mul_i32 s5, s52, s29
	s_add_i32 s9, s9, s8
	s_mul_hi_u32 s8, s52, s28
	s_mul_i32 s10, s52, s28
	s_add_i32 s5, s8, s5
	s_sub_u32 s18, s34, s10
	s_subb_u32 s5, 0, s5
	s_mul_i32 s10, s18, s43
	s_mul_hi_u32 s11, s18, s42
	s_mul_i32 s8, s48, s44
	s_add_i32 s10, s11, s10
	s_mul_i32 s5, s5, s42
	s_mul_i32 s11, s52, s41
	s_mul_hi_u32 s20, s52, s40
	s_add_i32 s19, s10, s5
	s_add_i32 s21, s20, s11
	s_lshl_b64 s[22:23], s[8:9], 3
	s_clause 0x1
	s_load_b64 s[8:9], s[0:1], 0x368
	s_load_b64 s[10:11], s[0:1], 0x510
	v_readlane_b32 s0, v51, 2
	v_readlane_b32 s1, v51, 3
	s_mul_i32 s20, s52, s40
	s_mul_i32 s18, s18, s42
	s_delay_alu instid0(VALU_DEP_2) | instskip(NEXT) | instid1(VALU_DEP_1)
	s_add_u32 s0, s0, s22
	s_addc_u32 s5, s1, s23
	s_lshl_b64 s[16:17], s[16:17], 3
	s_delay_alu instid0(SALU_CYCLE_1) | instskip(SKIP_4) | instid1(VALU_DEP_2)
	s_add_u32 s1, s0, s16
	s_addc_u32 s5, s5, s17
	s_lshl_b64 s[16:17], s[20:21], 3
	v_readlane_b32 s20, v51, 0
	v_readlane_b32 s21, v51, 1
	s_add_u32 s0, s20, s16
	s_delay_alu instid0(VALU_DEP_1)
	s_addc_u32 s20, s21, s17
	s_lshl_b64 s[16:17], s[18:19], 3
	s_mov_b32 s19, 0
	s_add_u32 s16, s0, s16
	s_addc_u32 s17, s20, s17
	s_mov_b32 s0, -1
	s_mov_b32 s18, 0
	s_mov_b32 s20, exec_lo
	v_cmpx_gt_u64_e64 s[6:7], v[0:1]
	s_cbranch_execz .LBB159_510
; %bb.495:
	v_xor_b32_e32 v5, 0x80000000, v11
	v_dual_mov_b32 v4, v10 :: v_dual_mov_b32 v7, 0
	v_dual_mov_b32 v19, v1 :: v_dual_mov_b32 v18, v0
                                        ; implicit-def: $sgpr21
                                        ; implicit-def: $vgpr12_vgpr13
	s_branch .LBB159_497
.LBB159_496:                            ;   in Loop: Header=BB159_497 Depth=1
	s_or_b32 exec_lo, exec_lo, s22
	s_xor_b32 s22, s24, -1
	s_and_b32 s0, exec_lo, s0
	v_dual_mov_b32 v2, v14 :: v_dual_mov_b32 v3, v15
	s_or_b32 s18, s0, s18
	v_dual_mov_b32 v19, v9 :: v_dual_mov_b32 v18, v8
	s_and_not1_b32 s0, s21, exec_lo
	s_and_b32 s21, s22, exec_lo
	s_delay_alu instid0(SALU_CYCLE_1)
	s_or_b32 s21, s0, s21
	s_and_not1_b32 exec_lo, exec_lo, s18
	s_cbranch_execz .LBB159_509
.LBB159_497:                            ; =>This Inner Loop Header: Depth=1
	s_delay_alu instid0(VALU_DEP_1) | instskip(SKIP_1) | instid1(VALU_DEP_3)
	v_add_co_u32 v8, vcc_lo, v18, s49
	v_mov_b32_e32 v14, 0
	v_add_co_ci_u32_e32 v9, vcc_lo, 0, v19, vcc_lo
	v_mov_b32_e32 v15, 0
	s_mov_b32 s0, exec_lo
	s_delay_alu instid0(VALU_DEP_2)
	v_cmpx_gt_u64_e64 s[36:37], v[8:9]
	s_cbranch_execz .LBB159_499
; %bb.498:                              ;   in Loop: Header=BB159_497 Depth=1
	v_mul_lo_u32 v6, v9, s30
	v_mul_lo_u32 v20, v8, s31
	v_mad_u64_u32 v[14:15], null, v8, s30, 0
	s_delay_alu instid0(VALU_DEP_1) | instskip(NEXT) | instid1(VALU_DEP_1)
	v_add3_u32 v15, v15, v20, v6
	v_lshlrev_b64 v[14:15], 3, v[14:15]
	s_delay_alu instid0(VALU_DEP_1) | instskip(NEXT) | instid1(VALU_DEP_2)
	v_add_co_u32 v14, vcc_lo, s33, v14
	v_add_co_ci_u32_e32 v15, vcc_lo, s35, v15, vcc_lo
	global_load_b64 v[14:15], v[14:15], off
.LBB159_499:                            ;   in Loop: Header=BB159_497 Depth=1
	s_or_b32 exec_lo, exec_lo, s0
	s_waitcnt vmcnt(0)
	v_xor_b32_e32 v21, 0x80000000, v3
	v_mov_b32_e32 v20, v2
	s_delay_alu instid0(VALU_DEP_1) | instskip(SKIP_4) | instid1(VALU_DEP_2)
	v_cmp_gt_u64_e32 vcc_lo, v[20:21], v[4:5]
	v_cndmask_b32_e64 v6, 0, 1, vcc_lo
	v_cmp_lt_u64_e32 vcc_lo, v[20:21], v[4:5]
	v_cndmask_b32_e64 v20, 0, 1, vcc_lo
	v_cmp_gt_u64_e32 vcc_lo, s[36:37], v[18:19]
	v_cndmask_b32_e64 v6, v20, v6, s3
	s_delay_alu instid0(VALU_DEP_1) | instskip(NEXT) | instid1(VALU_DEP_1)
	v_and_b32_e32 v6, 1, v6
	v_cmp_eq_u32_e64 s0, 1, v6
	s_delay_alu instid0(VALU_DEP_1) | instskip(NEXT) | instid1(SALU_CYCLE_1)
	s_and_b32 s23, vcc_lo, s0
	v_cndmask_b32_e64 v6, 0, 1, s23
	s_delay_alu instid0(VALU_DEP_1) | instskip(SKIP_2) | instid1(SALU_CYCLE_1)
	v_cmp_ne_u32_e32 vcc_lo, 0, v6
	s_cmp_lg_u32 vcc_lo, 0
	s_cselect_b32 s0, -1, 0
	s_and_b32 s0, s2, s0
	s_delay_alu instid0(SALU_CYCLE_1)
	s_and_saveexec_b32 s22, s0
	s_cbranch_execz .LBB159_503
; %bb.500:                              ;   in Loop: Header=BB159_497 Depth=1
	s_mov_b32 s26, exec_lo
	s_bcnt1_i32_b32 s24, vcc_lo
	v_mbcnt_lo_u32_b32 v20, s26, 0
	s_mov_b32 s25, exec_lo
                                        ; implicit-def: $vgpr12_vgpr13
	s_delay_alu instid0(VALU_DEP_1)
	v_cmpx_eq_u32_e32 0, v20
	s_cbranch_execz .LBB159_502
; %bb.501:                              ;   in Loop: Header=BB159_497 Depth=1
	s_bcnt1_i32_b32 s0, s26
	s_delay_alu instid0(SALU_CYCLE_1) | instskip(NEXT) | instid1(SALU_CYCLE_1)
	s_mul_i32 s0, s24, s0
	v_mov_b32_e32 v6, s0
	s_waitcnt lgkmcnt(0)
	ds_add_rtn_u64 v[12:13], v7, v[6:7] offset:5136
.LBB159_502:                            ;   in Loop: Header=BB159_497 Depth=1
	s_or_b32 exec_lo, exec_lo, s25
	s_waitcnt lgkmcnt(0)
	v_readfirstlane_b32 s27, v13
	v_readfirstlane_b32 s26, v12
	s_delay_alu instid0(VALU_DEP_1)
	v_mad_u64_u32 v[12:13], null, s24, v20, s[26:27]
.LBB159_503:                            ;   in Loop: Header=BB159_497 Depth=1
	s_or_b32 exec_lo, exec_lo, s22
	s_waitcnt lgkmcnt(0)
	ds_bpermute_b32 v12, v7, v12
	ds_bpermute_b32 v13, v7, v13
	s_mov_b32 s0, -1
	s_mov_b32 s25, -1
                                        ; implicit-def: $sgpr24
	s_and_saveexec_b32 s22, s23
	s_cbranch_execz .LBB159_507
; %bb.504:                              ;   in Loop: Header=BB159_497 Depth=1
	v_and_b32_e32 v6, vcc_lo, v34
	s_mov_b32 s23, 0
	s_mov_b32 s24, exec_lo
	s_delay_alu instid0(VALU_DEP_1) | instskip(SKIP_1) | instid1(VALU_DEP_1)
	v_bcnt_u32_b32 v6, v6, 0
	s_waitcnt lgkmcnt(0)
	v_add_co_u32 v20, vcc_lo, v12, v6
	v_add_co_ci_u32_e32 v21, vcc_lo, 0, v13, vcc_lo
	s_delay_alu instid0(VALU_DEP_1)
	v_cmpx_gt_u64_e64 s[38:39], v[20:21]
	s_cbranch_execz .LBB159_506
; %bb.505:                              ;   in Loop: Header=BB159_497 Depth=1
	v_mul_lo_u32 v6, v21, s8
	v_mul_lo_u32 v26, v20, s9
	v_mad_u64_u32 v[22:23], null, v20, s8, 0
	v_mul_lo_u32 v21, v21, s10
	v_mul_lo_u32 v27, v20, s11
	v_mad_u64_u32 v[24:25], null, v20, s10, 0
	s_mov_b32 s23, exec_lo
	s_delay_alu instid0(VALU_DEP_4) | instskip(NEXT) | instid1(VALU_DEP_2)
	v_add3_u32 v23, v23, v26, v6
	v_add3_u32 v25, v25, v27, v21
	s_delay_alu instid0(VALU_DEP_2) | instskip(NEXT) | instid1(VALU_DEP_2)
	v_lshlrev_b64 v[20:21], 3, v[22:23]
	v_lshlrev_b64 v[22:23], 3, v[24:25]
	s_delay_alu instid0(VALU_DEP_2) | instskip(NEXT) | instid1(VALU_DEP_3)
	v_add_co_u32 v20, vcc_lo, s1, v20
	v_add_co_ci_u32_e32 v21, vcc_lo, s5, v21, vcc_lo
	s_delay_alu instid0(VALU_DEP_3) | instskip(NEXT) | instid1(VALU_DEP_4)
	v_add_co_u32 v22, vcc_lo, s16, v22
	v_add_co_ci_u32_e32 v23, vcc_lo, s17, v23, vcc_lo
	global_store_b64 v[20:21], v[2:3], off
	global_store_b64 v[22:23], v[18:19], off
.LBB159_506:                            ;   in Loop: Header=BB159_497 Depth=1
	s_or_b32 exec_lo, exec_lo, s24
	s_mov_b32 s24, -1
	s_or_not1_b32 s25, s23, exec_lo
.LBB159_507:                            ;   in Loop: Header=BB159_497 Depth=1
	s_or_b32 exec_lo, exec_lo, s22
	s_and_saveexec_b32 s22, s25
	s_cbranch_execz .LBB159_496
; %bb.508:                              ;   in Loop: Header=BB159_497 Depth=1
	v_cmp_le_u64_e32 vcc_lo, s[6:7], v[8:9]
	s_and_not1_b32 s24, s24, exec_lo
	s_or_not1_b32 s0, vcc_lo, exec_lo
	s_branch .LBB159_496
.LBB159_509:
	s_or_b32 exec_lo, exec_lo, s18
	s_delay_alu instid0(SALU_CYCLE_1)
	s_mov_b32 s18, exec_lo
	s_or_not1_b32 s0, s21, exec_lo
.LBB159_510:
	s_or_b32 exec_lo, exec_lo, s20
	s_and_saveexec_b32 s3, s0
	s_cbranch_execz .LBB159_533
; %bb.511:
	v_mov_b32_e32 v8, 0
	v_mov_b32_e32 v9, 0
	s_waitcnt vmcnt(0) lgkmcnt(0)
	s_waitcnt_vscnt null, 0x0
	s_barrier
	buffer_gl0_inv
	s_and_saveexec_b32 s0, s4
	s_cbranch_execz .LBB159_513
; %bb.512:
	global_load_b64 v[8:9], v[16:17], off
.LBB159_513:
	s_or_b32 exec_lo, exec_lo, s0
	v_mov_b32_e32 v3, 0
	s_mov_b32 s19, 0
                                        ; implicit-def: $sgpr4
                                        ; implicit-def: $sgpr20
                                        ; implicit-def: $sgpr21
                                        ; implicit-def: $vgpr4_vgpr5
	s_branch .LBB159_516
.LBB159_514:                            ;   in Loop: Header=BB159_516 Depth=1
	s_or_b32 exec_lo, exec_lo, s24
	v_dual_mov_b32 v0, v6 :: v_dual_mov_b32 v1, v7
	s_and_not1_b32 s21, s21, exec_lo
	s_and_b32 s23, s26, exec_lo
	s_and_not1_b32 s20, s20, exec_lo
	s_and_b32 s0, s0, exec_lo
	s_or_b32 s21, s21, s23
	s_or_b32 s20, s20, s0
.LBB159_515:                            ;   in Loop: Header=BB159_516 Depth=1
	s_or_b32 exec_lo, exec_lo, s22
	s_xor_b32 s0, s21, -1
	s_and_b32 s22, exec_lo, s20
	s_delay_alu instid0(SALU_CYCLE_1) | instskip(SKIP_2) | instid1(SALU_CYCLE_1)
	s_or_b32 s19, s22, s19
	s_and_not1_b32 s4, s4, exec_lo
	s_and_b32 s0, s0, exec_lo
	s_or_b32 s4, s4, s0
	s_and_not1_b32 exec_lo, exec_lo, s19
	s_cbranch_execz .LBB159_531
.LBB159_516:                            ; =>This Inner Loop Header: Depth=1
	s_or_b32 s21, s21, exec_lo
	s_or_b32 s20, s20, exec_lo
	s_mov_b32 s22, exec_lo
	v_cmpx_gt_u64_e64 s[6:7], v[0:1]
	s_cbranch_execz .LBB159_515
; %bb.517:                              ;   in Loop: Header=BB159_516 Depth=1
	v_add_co_u32 v6, vcc_lo, v0, s49
	v_mov_b32_e32 v12, 0
	v_add_co_ci_u32_e32 v7, vcc_lo, 0, v1, vcc_lo
	v_mov_b32_e32 v13, 0
	s_mov_b32 s0, exec_lo
	s_delay_alu instid0(VALU_DEP_2)
	v_cmpx_gt_u64_e64 s[36:37], v[6:7]
	s_cbranch_execz .LBB159_519
; %bb.518:                              ;   in Loop: Header=BB159_516 Depth=1
	v_mul_lo_u32 v2, v7, s30
	v_mul_lo_u32 v14, v6, s31
	v_mad_u64_u32 v[12:13], null, v6, s30, 0
	s_delay_alu instid0(VALU_DEP_1) | instskip(NEXT) | instid1(VALU_DEP_1)
	v_add3_u32 v13, v13, v14, v2
	v_lshlrev_b64 v[12:13], 3, v[12:13]
	s_delay_alu instid0(VALU_DEP_1) | instskip(NEXT) | instid1(VALU_DEP_2)
	v_add_co_u32 v12, vcc_lo, s33, v12
	v_add_co_ci_u32_e32 v13, vcc_lo, s35, v13, vcc_lo
	global_load_b64 v[12:13], v[12:13], off
.LBB159_519:                            ;   in Loop: Header=BB159_516 Depth=1
	s_or_b32 exec_lo, exec_lo, s0
	v_cmp_gt_u64_e32 vcc_lo, s[36:37], v[0:1]
	s_waitcnt vmcnt(0)
	v_cmp_eq_u64_e64 s0, v[8:9], v[10:11]
	s_delay_alu instid0(VALU_DEP_1) | instskip(NEXT) | instid1(SALU_CYCLE_1)
	s_and_b32 s24, vcc_lo, s0
	v_cndmask_b32_e64 v2, 0, 1, s24
	s_delay_alu instid0(VALU_DEP_1) | instskip(SKIP_2) | instid1(SALU_CYCLE_1)
	v_cmp_ne_u32_e32 vcc_lo, 0, v2
	s_cmp_lg_u32 vcc_lo, 0
	s_cselect_b32 s0, -1, 0
	s_and_b32 s0, s2, s0
	s_delay_alu instid0(SALU_CYCLE_1)
	s_and_saveexec_b32 s23, s0
	s_cbranch_execz .LBB159_523
; %bb.520:                              ;   in Loop: Header=BB159_516 Depth=1
	s_mov_b32 s27, exec_lo
	s_bcnt1_i32_b32 s25, vcc_lo
	v_mbcnt_lo_u32_b32 v14, s27, 0
	s_mov_b32 s26, exec_lo
                                        ; implicit-def: $vgpr4_vgpr5
	s_delay_alu instid0(VALU_DEP_1)
	v_cmpx_eq_u32_e32 0, v14
	s_cbranch_execz .LBB159_522
; %bb.521:                              ;   in Loop: Header=BB159_516 Depth=1
	s_bcnt1_i32_b32 s0, s27
	s_delay_alu instid0(SALU_CYCLE_1) | instskip(NEXT) | instid1(SALU_CYCLE_1)
	s_mul_i32 s0, s25, s0
	v_mov_b32_e32 v2, s0
	ds_add_rtn_u64 v[4:5], v3, v[2:3] offset:5136
.LBB159_522:                            ;   in Loop: Header=BB159_516 Depth=1
	s_or_b32 exec_lo, exec_lo, s26
	s_waitcnt lgkmcnt(0)
	v_readfirstlane_b32 s27, v5
	v_readfirstlane_b32 s26, v4
	s_delay_alu instid0(VALU_DEP_1)
	v_mad_u64_u32 v[4:5], null, s25, v14, s[26:27]
.LBB159_523:                            ;   in Loop: Header=BB159_516 Depth=1
	s_or_b32 exec_lo, exec_lo, s23
	ds_bpermute_b32 v4, v3, v4
	ds_bpermute_b32 v5, v3, v5
	s_cmp_eq_u32 vcc_lo, 0
	s_mov_b32 s25, -1
	s_cselect_b32 s23, -1, 0
	s_mov_b32 s26, -1
	s_waitcnt lgkmcnt(0)
	v_cmp_gt_u64_e64 s0, s[38:39], v[4:5]
	s_delay_alu instid0(VALU_DEP_1) | instskip(SKIP_4) | instid1(SALU_CYCLE_1)
	s_or_b32 s23, s23, s0
	s_mov_b32 s0, -1
	v_cndmask_b32_e64 v9, v9, v13, s23
	v_cndmask_b32_e64 v8, v8, v12, s23
	s_and_b32 s27, s24, s23
	s_and_saveexec_b32 s24, s27
	s_cbranch_execz .LBB159_529
; %bb.524:                              ;   in Loop: Header=BB159_516 Depth=1
	v_and_b32_e32 v2, vcc_lo, v34
	v_sub_co_u32 v8, vcc_lo, s38, v4
	v_sub_co_ci_u32_e32 v9, vcc_lo, s39, v5, vcc_lo
	s_delay_alu instid0(VALU_DEP_3) | instskip(SKIP_2) | instid1(VALU_DEP_1)
	v_bcnt_u32_b32 v2, v2, 0
	s_mov_b32 s27, -1
	s_mov_b32 s26, exec_lo
	v_cmp_le_u64_e64 s25, v[8:9], v[2:3]
	v_cmpx_gt_u64_e64 v[8:9], v[2:3]
	s_cbranch_execz .LBB159_528
; %bb.525:                              ;   in Loop: Header=BB159_516 Depth=1
	v_add_co_u32 v8, vcc_lo, v4, v2
	v_add_co_ci_u32_e32 v9, vcc_lo, 0, v5, vcc_lo
	s_delay_alu instid0(VALU_DEP_4) | instskip(SKIP_1) | instid1(VALU_DEP_1)
	s_mov_b32 s28, s25
	s_mov_b32 s27, exec_lo
	v_cmpx_gt_u64_e64 s[38:39], v[8:9]
	s_cbranch_execz .LBB159_527
; %bb.526:                              ;   in Loop: Header=BB159_516 Depth=1
	v_mul_lo_u32 v2, v9, s8
	v_mul_lo_u32 v18, v8, s9
	v_mad_u64_u32 v[14:15], null, v8, s8, 0
	v_mul_lo_u32 v9, v9, s10
	v_mul_lo_u32 v19, v8, s11
	v_mad_u64_u32 v[16:17], null, v8, s10, 0
	s_or_b32 s28, s25, exec_lo
	s_delay_alu instid0(VALU_DEP_4) | instskip(NEXT) | instid1(VALU_DEP_2)
	v_add3_u32 v15, v15, v18, v2
	v_add3_u32 v17, v17, v19, v9
	s_delay_alu instid0(VALU_DEP_2) | instskip(NEXT) | instid1(VALU_DEP_2)
	v_lshlrev_b64 v[8:9], 3, v[14:15]
	v_lshlrev_b64 v[14:15], 3, v[16:17]
	s_delay_alu instid0(VALU_DEP_2) | instskip(NEXT) | instid1(VALU_DEP_3)
	v_add_co_u32 v8, vcc_lo, s1, v8
	v_add_co_ci_u32_e32 v9, vcc_lo, s5, v9, vcc_lo
	s_delay_alu instid0(VALU_DEP_3) | instskip(NEXT) | instid1(VALU_DEP_4)
	v_add_co_u32 v14, vcc_lo, s16, v14
	v_add_co_ci_u32_e32 v15, vcc_lo, s17, v15, vcc_lo
	global_store_b64 v[8:9], v[10:11], off
	global_store_b64 v[14:15], v[0:1], off
.LBB159_527:                            ;   in Loop: Header=BB159_516 Depth=1
	s_or_b32 exec_lo, exec_lo, s27
	s_delay_alu instid0(SALU_CYCLE_1)
	s_and_not1_b32 s25, s25, exec_lo
	s_and_b32 s28, s28, exec_lo
	s_xor_b32 s27, exec_lo, -1
	s_or_b32 s25, s25, s28
.LBB159_528:                            ;   in Loop: Header=BB159_516 Depth=1
	s_or_b32 exec_lo, exec_lo, s26
	v_dual_mov_b32 v8, v12 :: v_dual_mov_b32 v9, v13
	s_or_not1_b32 s26, s27, exec_lo
	s_or_b32 s23, s23, exec_lo
	s_or_not1_b32 s25, s25, exec_lo
.LBB159_529:                            ;   in Loop: Header=BB159_516 Depth=1
	s_or_b32 exec_lo, exec_lo, s24
	s_and_saveexec_b32 s24, s25
	s_cbranch_execz .LBB159_514
; %bb.530:                              ;   in Loop: Header=BB159_516 Depth=1
	s_xor_b32 s0, s23, -1
	s_or_b32 s26, s26, exec_lo
	s_or_not1_b32 s0, s0, exec_lo
	s_branch .LBB159_514
.LBB159_531:
	s_or_b32 exec_lo, exec_lo, s19
	s_mov_b32 s0, 0
	s_and_saveexec_b32 s1, s4
	s_delay_alu instid0(SALU_CYCLE_1)
	s_xor_b32 s1, exec_lo, s1
	s_cbranch_execnz .LBB159_563
.LBB159_532:
	s_or_b32 exec_lo, exec_lo, s1
	s_delay_alu instid0(SALU_CYCLE_1)
	s_and_b32 s19, s0, exec_lo
	s_and_not1_b32 s18, s18, exec_lo
.LBB159_533:
	s_or_b32 exec_lo, exec_lo, s3
	s_and_saveexec_b32 s0, s18
	s_delay_alu instid0(SALU_CYCLE_1)
	s_xor_b32 s0, exec_lo, s0
	s_cbranch_execnz .LBB159_559
.LBB159_534:
	s_or_b32 exec_lo, exec_lo, s0
	s_waitcnt lgkmcnt(0)
	s_and_b32 s8, s19, exec_lo
.LBB159_535:
	s_and_not1_saveexec_b32 s0, s15
	s_cbranch_execnz .LBB159_555
.LBB159_536:
	s_or_b32 exec_lo, exec_lo, s0
	s_delay_alu instid0(SALU_CYCLE_1)
	s_and_b32 s8, s8, exec_lo
.LBB159_537:
	s_and_not1_saveexec_b32 s0, s14
	s_cbranch_execnz .LBB159_551
.LBB159_538:
	s_or_b32 exec_lo, exec_lo, s0
	s_delay_alu instid0(SALU_CYCLE_1)
	s_and_b32 s8, s8, exec_lo
.LBB159_539:
	s_and_not1_saveexec_b32 s0, s13
	s_cbranch_execnz .LBB159_547
.LBB159_540:
	s_or_b32 exec_lo, exec_lo, s0
	s_delay_alu instid0(SALU_CYCLE_1)
	s_and_b32 s8, s8, exec_lo
.LBB159_541:
	s_and_not1_saveexec_b32 s0, s12
	s_cbranch_execnz .LBB159_545
; %bb.542:
	s_or_b32 exec_lo, exec_lo, s0
	s_and_saveexec_b32 s0, s8
.LBB159_543:
	; divergent unreachable
.LBB159_544:
	s_nop 0
	s_sendmsg sendmsg(MSG_DEALLOC_VGPRS)
	s_endpgm
.LBB159_545:
	s_cbranch_execnz .LBB159_549
; %bb.546:
	s_or_b32 s8, s8, exec_lo
	s_or_b32 exec_lo, exec_lo, s0
	s_and_saveexec_b32 s0, s8
	s_cbranch_execnz .LBB159_543
	s_branch .LBB159_544
.LBB159_547:
	s_cbranch_execnz .LBB159_553
; %bb.548:
	s_or_b32 s8, s8, exec_lo
	s_branch .LBB159_540
.LBB159_549:
	s_trap 2
	s_sendmsg_rtn_b32 s0, sendmsg(MSG_RTN_GET_DOORBELL)
	s_mov_b32 ttmp2, m0
	s_waitcnt lgkmcnt(0)
	s_and_b32 s0, s0, 0x3ff
	s_delay_alu instid0(SALU_CYCLE_1) | instskip(NEXT) | instid1(SALU_CYCLE_1)
	s_bitset1_b32 s0, 10
	s_mov_b32 m0, s0
	s_sendmsg sendmsg(MSG_INTERRUPT)
	s_mov_b32 m0, ttmp2
.LBB159_550:                            ; =>This Inner Loop Header: Depth=1
	s_sethalt 5
	s_branch .LBB159_550
.LBB159_551:
	s_cbranch_execnz .LBB159_557
; %bb.552:
	s_or_b32 s8, s8, exec_lo
	s_branch .LBB159_538
.LBB159_553:
	s_trap 2
	s_sendmsg_rtn_b32 s0, sendmsg(MSG_RTN_GET_DOORBELL)
	s_mov_b32 ttmp2, m0
	s_waitcnt lgkmcnt(0)
	s_and_b32 s0, s0, 0x3ff
	s_delay_alu instid0(SALU_CYCLE_1) | instskip(NEXT) | instid1(SALU_CYCLE_1)
	s_bitset1_b32 s0, 10
	s_mov_b32 m0, s0
	s_sendmsg sendmsg(MSG_INTERRUPT)
	s_mov_b32 m0, ttmp2
.LBB159_554:                            ; =>This Inner Loop Header: Depth=1
	s_sethalt 5
	s_branch .LBB159_554
.LBB159_555:
	s_cbranch_execnz .LBB159_561
; %bb.556:
	s_or_b32 s8, s8, exec_lo
	s_branch .LBB159_536
.LBB159_557:
	s_trap 2
	s_sendmsg_rtn_b32 s0, sendmsg(MSG_RTN_GET_DOORBELL)
	s_mov_b32 ttmp2, m0
	s_waitcnt lgkmcnt(0)
	s_and_b32 s0, s0, 0x3ff
	s_delay_alu instid0(SALU_CYCLE_1) | instskip(NEXT) | instid1(SALU_CYCLE_1)
	s_bitset1_b32 s0, 10
	s_mov_b32 m0, s0
	s_sendmsg sendmsg(MSG_INTERRUPT)
	s_mov_b32 m0, ttmp2
.LBB159_558:                            ; =>This Inner Loop Header: Depth=1
	s_sethalt 5
	s_branch .LBB159_558
.LBB159_559:
	s_cbranch_execnz .LBB159_565
; %bb.560:
	s_or_b32 s19, s19, exec_lo
	s_branch .LBB159_534
.LBB159_561:
	s_trap 2
	s_sendmsg_rtn_b32 s0, sendmsg(MSG_RTN_GET_DOORBELL)
	s_mov_b32 ttmp2, m0
	s_waitcnt lgkmcnt(0)
	s_and_b32 s0, s0, 0x3ff
	s_delay_alu instid0(SALU_CYCLE_1) | instskip(NEXT) | instid1(SALU_CYCLE_1)
	s_bitset1_b32 s0, 10
	s_mov_b32 m0, s0
	s_sendmsg sendmsg(MSG_INTERRUPT)
	s_mov_b32 m0, ttmp2
.LBB159_562:                            ; =>This Inner Loop Header: Depth=1
	s_sethalt 5
	s_branch .LBB159_562
.LBB159_563:
	s_cbranch_execnz .LBB159_567
; %bb.564:
	s_mov_b32 s0, exec_lo
	s_branch .LBB159_532
.LBB159_565:
	s_trap 2
	s_sendmsg_rtn_b32 s0, sendmsg(MSG_RTN_GET_DOORBELL)
	s_mov_b32 ttmp2, m0
	s_waitcnt lgkmcnt(0)
	s_and_b32 s0, s0, 0x3ff
	s_delay_alu instid0(SALU_CYCLE_1) | instskip(NEXT) | instid1(SALU_CYCLE_1)
	s_bitset1_b32 s0, 10
	s_mov_b32 m0, s0
	s_sendmsg sendmsg(MSG_INTERRUPT)
	s_mov_b32 m0, ttmp2
.LBB159_566:                            ; =>This Inner Loop Header: Depth=1
	s_sethalt 5
	s_branch .LBB159_566
.LBB159_567:
	s_trap 2
	s_sendmsg_rtn_b32 s0, sendmsg(MSG_RTN_GET_DOORBELL)
	s_mov_b32 ttmp2, m0
	s_waitcnt lgkmcnt(0)
	s_and_b32 s0, s0, 0x3ff
	s_delay_alu instid0(SALU_CYCLE_1) | instskip(NEXT) | instid1(SALU_CYCLE_1)
	s_bitset1_b32 s0, 10
	s_mov_b32 m0, s0
	s_sendmsg sendmsg(MSG_INTERRUPT)
	s_mov_b32 m0, ttmp2
.LBB159_568:                            ; =>This Inner Loop Header: Depth=1
	s_sethalt 5
	s_branch .LBB159_568
	.section	.rodata,"a",@progbits
	.p2align	6, 0x0
	.amdhsa_kernel _ZN2at6native6sbtopk10gatherTopKIlmLi2ELb0EEEvNS_4cuda6detail10TensorInfoIKT_T0_EES8_S8_bS8_S8_NS5_IS6_S8_EES8_NS5_IlS8_EES8_PS6_
		.amdhsa_group_segment_fixed_size 5152
		.amdhsa_private_segment_fixed_size 0
		.amdhsa_kernarg_size 1568
		.amdhsa_user_sgpr_count 13
		.amdhsa_user_sgpr_dispatch_ptr 0
		.amdhsa_user_sgpr_queue_ptr 0
		.amdhsa_user_sgpr_kernarg_segment_ptr 1
		.amdhsa_user_sgpr_dispatch_id 0
		.amdhsa_user_sgpr_private_segment_size 0
		.amdhsa_wavefront_size32 1
		.amdhsa_uses_dynamic_stack 0
		.amdhsa_enable_private_segment 0
		.amdhsa_system_sgpr_workgroup_id_x 1
		.amdhsa_system_sgpr_workgroup_id_y 1
		.amdhsa_system_sgpr_workgroup_id_z 1
		.amdhsa_system_sgpr_workgroup_info 0
		.amdhsa_system_vgpr_workitem_id 0
		.amdhsa_next_free_vgpr 52
		.amdhsa_next_free_sgpr 105
		.amdhsa_reserve_vcc 1
		.amdhsa_float_round_mode_32 0
		.amdhsa_float_round_mode_16_64 0
		.amdhsa_float_denorm_mode_32 3
		.amdhsa_float_denorm_mode_16_64 3
		.amdhsa_dx10_clamp 1
		.amdhsa_ieee_mode 1
		.amdhsa_fp16_overflow 0
		.amdhsa_workgroup_processor_mode 1
		.amdhsa_memory_ordered 1
		.amdhsa_forward_progress 0
		.amdhsa_shared_vgpr_count 0
		.amdhsa_exception_fp_ieee_invalid_op 0
		.amdhsa_exception_fp_denorm_src 0
		.amdhsa_exception_fp_ieee_div_zero 0
		.amdhsa_exception_fp_ieee_overflow 0
		.amdhsa_exception_fp_ieee_underflow 0
		.amdhsa_exception_fp_ieee_inexact 0
		.amdhsa_exception_int_div_zero 0
	.end_amdhsa_kernel
	.section	.text._ZN2at6native6sbtopk10gatherTopKIlmLi2ELb0EEEvNS_4cuda6detail10TensorInfoIKT_T0_EES8_S8_bS8_S8_NS5_IS6_S8_EES8_NS5_IlS8_EES8_PS6_,"axG",@progbits,_ZN2at6native6sbtopk10gatherTopKIlmLi2ELb0EEEvNS_4cuda6detail10TensorInfoIKT_T0_EES8_S8_bS8_S8_NS5_IS6_S8_EES8_NS5_IlS8_EES8_PS6_,comdat
.Lfunc_end159:
	.size	_ZN2at6native6sbtopk10gatherTopKIlmLi2ELb0EEEvNS_4cuda6detail10TensorInfoIKT_T0_EES8_S8_bS8_S8_NS5_IS6_S8_EES8_NS5_IlS8_EES8_PS6_, .Lfunc_end159-_ZN2at6native6sbtopk10gatherTopKIlmLi2ELb0EEEvNS_4cuda6detail10TensorInfoIKT_T0_EES8_S8_bS8_S8_NS5_IS6_S8_EES8_NS5_IlS8_EES8_PS6_
                                        ; -- End function
	.section	.AMDGPU.csdata,"",@progbits
; Kernel info:
; codeLenInByte = 29632
; NumSgprs: 107
; NumVgprs: 52
; ScratchSize: 0
; MemoryBound: 0
; FloatMode: 240
; IeeeMode: 1
; LDSByteSize: 5152 bytes/workgroup (compile time only)
; SGPRBlocks: 13
; VGPRBlocks: 6
; NumSGPRsForWavesPerEU: 107
; NumVGPRsForWavesPerEU: 52
; Occupancy: 16
; WaveLimiterHint : 1
; COMPUTE_PGM_RSRC2:SCRATCH_EN: 0
; COMPUTE_PGM_RSRC2:USER_SGPR: 13
; COMPUTE_PGM_RSRC2:TRAP_HANDLER: 0
; COMPUTE_PGM_RSRC2:TGID_X_EN: 1
; COMPUTE_PGM_RSRC2:TGID_Y_EN: 1
; COMPUTE_PGM_RSRC2:TGID_Z_EN: 1
; COMPUTE_PGM_RSRC2:TIDIG_COMP_CNT: 0
	.section	.text._ZN2at6native6mbtopk23computeBlockDigitCountsIlmmLi3EEEvNS_4cuda6detail10TensorInfoIKT_T0_EEjPjjS8_iijT1_PSB_Ps,"axG",@progbits,_ZN2at6native6mbtopk23computeBlockDigitCountsIlmmLi3EEEvNS_4cuda6detail10TensorInfoIKT_T0_EEjPjjS8_iijT1_PSB_Ps,comdat
	.protected	_ZN2at6native6mbtopk23computeBlockDigitCountsIlmmLi3EEEvNS_4cuda6detail10TensorInfoIKT_T0_EEjPjjS8_iijT1_PSB_Ps ; -- Begin function _ZN2at6native6mbtopk23computeBlockDigitCountsIlmmLi3EEEvNS_4cuda6detail10TensorInfoIKT_T0_EEjPjjS8_iijT1_PSB_Ps
	.globl	_ZN2at6native6mbtopk23computeBlockDigitCountsIlmmLi3EEEvNS_4cuda6detail10TensorInfoIKT_T0_EEjPjjS8_iijT1_PSB_Ps
	.p2align	8
	.type	_ZN2at6native6mbtopk23computeBlockDigitCountsIlmmLi3EEEvNS_4cuda6detail10TensorInfoIKT_T0_EEjPjjS8_iijT1_PSB_Ps,@function
_ZN2at6native6mbtopk23computeBlockDigitCountsIlmmLi3EEEvNS_4cuda6detail10TensorInfoIKT_T0_EEjPjjS8_iijT1_PSB_Ps: ; @_ZN2at6native6mbtopk23computeBlockDigitCountsIlmmLi3EEEvNS_4cuda6detail10TensorInfoIKT_T0_EEjPjjS8_iijT1_PSB_Ps
; %bb.0:
	s_clause 0x2
	s_load_b128 s[8:11], s[0:1], 0x1c0
	s_load_b32 s5, s[0:1], 0x1b0
	s_load_b64 s[2:3], s[0:1], 0x1e8
	s_mov_b32 s21, 0
	s_waitcnt lgkmcnt(0)
	v_cvt_f32_u32_e32 v1, s10
	s_sub_i32 s6, 0, s10
	s_mul_i32 s3, s3, s15
	s_delay_alu instid0(SALU_CYCLE_1) | instskip(NEXT) | instid1(VALU_DEP_1)
	s_add_i32 s3, s3, s14
	v_rcp_iflag_f32_e32 v1, v1
	s_mul_i32 s26, s3, s2
	s_delay_alu instid0(SALU_CYCLE_1) | instskip(SKIP_2) | instid1(VALU_DEP_1)
	s_add_i32 s26, s26, s13
	s_waitcnt_depctr 0xfff
	v_mul_f32_e32 v1, 0x4f7ffffe, v1
	v_cvt_u32_f32_e32 v1, v1
	s_delay_alu instid0(VALU_DEP_1) | instskip(NEXT) | instid1(VALU_DEP_1)
	v_readfirstlane_b32 s4, v1
	s_mul_i32 s6, s6, s4
	s_delay_alu instid0(SALU_CYCLE_1) | instskip(NEXT) | instid1(SALU_CYCLE_1)
	s_mul_hi_u32 s2, s4, s6
	s_add_i32 s4, s4, s2
	s_delay_alu instid0(SALU_CYCLE_1) | instskip(NEXT) | instid1(SALU_CYCLE_1)
	s_mul_hi_u32 s2, s26, s4
	s_mul_i32 s3, s2, s10
	s_add_i32 s4, s2, 1
	s_sub_i32 s3, s26, s3
	s_delay_alu instid0(SALU_CYCLE_1)
	s_sub_i32 s6, s3, s10
	s_cmp_ge_u32 s3, s10
	s_cselect_b32 s2, s4, s2
	s_cselect_b32 s3, s6, s3
	s_add_i32 s4, s2, 1
	s_cmp_ge_u32 s3, s10
	s_cselect_b32 s20, s4, s2
	s_delay_alu instid0(SALU_CYCLE_1)
	s_cmp_ge_u32 s20, s5
	s_cbranch_scc1 .LBB160_27
; %bb.1:
	s_clause 0x1
	s_load_b128 s[12:15], s[0:1], 0x10
	s_load_b128 s[4:7], s[0:1], 0x1d0
	s_lshl_b64 s[2:3], s[20:21], 3
	s_mov_b64 s[22:23], 0
	s_mov_b64 s[24:25], 0
	s_waitcnt lgkmcnt(0)
	v_cmp_lt_u64_e64 s11, s[20:21], s[14:15]
	s_add_u32 s6, s6, s2
	s_addc_u32 s7, s7, s3
	s_delay_alu instid0(VALU_DEP_1)
	s_and_b32 vcc_lo, exec_lo, s11
	s_cbranch_vccz .LBB160_15
; %bb.2:
	s_load_b64 s[2:3], s[0:1], 0x1e0
	v_cmp_lt_u64_e64 s11, s[24:25], s[12:13]
	s_delay_alu instid0(VALU_DEP_1)
	s_and_b32 vcc_lo, exec_lo, s11
	s_cbranch_vccz .LBB160_16
.LBB160_3:
	v_cmp_gt_u32_e32 vcc_lo, 0x100, v0
	v_lshlrev_b32_e32 v3, 2, v0
	s_and_saveexec_b32 s11, vcc_lo
	s_cbranch_execz .LBB160_5
.LBB160_4:
	v_mov_b32_e32 v1, 0
	ds_store_b32 v3, v1
.LBB160_5:
	s_or_b32 exec_lo, exec_lo, s11
	s_load_b32 s21, s[0:1], 0x1a0
	s_mul_i32 s11, s20, s10
	s_mov_b32 s23, 0
	s_sub_i32 s11, s26, s11
	s_waitcnt lgkmcnt(0)
	s_mul_i32 s16, s9, s11
	s_add_i32 s11, s11, 1
	s_lshl_b32 s27, s16, 8
	s_barrier
	buffer_gl0_inv
	s_sub_i32 s16, s21, s27
	s_delay_alu instid0(SALU_CYCLE_1) | instskip(SKIP_3) | instid1(VALU_DEP_1)
	s_add_u32 s16, s16, 0xff
	s_addc_u32 s17, 0, 0
	s_cmp_lt_u32 s11, s10
	v_alignbit_b32 v1, s17, s16, 8
	v_readfirstlane_b32 s16, v1
	s_delay_alu instid0(VALU_DEP_1) | instskip(NEXT) | instid1(SALU_CYCLE_1)
	s_cselect_b32 s9, s9, s16
	s_cmp_lt_i32 s9, 1
	s_cbranch_scc1 .LBB160_23
; %bb.6:
	s_clause 0x2
	s_load_b64 s[28:29], s[0:1], 0xe0
	s_load_b128 s[16:19], s[0:1], 0xd0
	s_load_b64 s[30:31], s[0:1], 0x0
	s_load_b64 s[6:7], s[6:7], 0x0
	s_mul_i32 s15, s24, s15
	s_mul_hi_u32 s33, s24, s14
	s_mul_i32 s14, s24, s14
	s_add_i32 s33, s33, s15
	s_mul_i32 s13, s22, s13
	s_mul_hi_u32 s34, s22, s12
	s_sub_u32 s20, s20, s14
	s_load_b64 s[10:11], s[0:1], 0x1b8
	s_subb_u32 s0, 0, s33
	s_add_i32 s34, s34, s13
	s_mul_i32 s12, s22, s12
	v_add_nc_u32_e32 v4, s27, v0
	s_waitcnt lgkmcnt(0)
	s_mul_i32 s1, s20, s29
	s_mul_hi_u32 s13, s20, s28
	s_mul_i32 s14, s0, s28
	s_add_i32 s1, s13, s1
	s_mul_i32 s15, s22, s17
	s_add_i32 s13, s1, s14
	s_mul_hi_u32 s17, s22, s16
	s_sub_u32 s12, s24, s12
	s_mul_i32 s0, s22, s16
	s_subb_u32 s14, s25, s34
	s_add_i32 s1, s17, s15
	s_mul_i32 s15, s12, s19
	s_mul_hi_u32 s16, s12, s18
	s_mul_i32 s14, s14, s18
	s_add_i32 s15, s16, s15
	s_lshl_b64 s[0:1], s[0:1], 3
	s_add_i32 s15, s15, s14
	s_mul_i32 s14, s12, s18
	s_add_u32 s16, s30, s0
	s_addc_u32 s17, s31, s1
	s_lshl_b64 s[0:1], s[14:15], 3
	s_mul_i32 s12, s20, s28
	s_add_u32 s14, s16, s0
	s_addc_u32 s15, s17, s1
	s_lshl_b64 s[0:1], s[12:13], 3
	s_delay_alu instid0(SALU_CYCLE_1)
	s_add_u32 s12, s14, s0
	s_addc_u32 s13, s15, s1
	s_and_b32 s1, s8, 0xff
	s_cmp_eq_u32 s9, 1
	s_cbranch_scc1 .LBB160_18
; %bb.7:
	v_dual_mov_b32 v5, 1 :: v_dual_mov_b32 v6, v4
	s_and_b32 s8, s9, 0x7ffffffe
	s_mov_b32 s14, 0
	s_branch .LBB160_9
.LBB160_8:                              ;   in Loop: Header=BB160_9 Depth=1
	s_or_b32 exec_lo, exec_lo, s15
	v_add_nc_u32_e32 v6, 0x200, v6
	s_add_i32 s14, s14, 2
	s_delay_alu instid0(SALU_CYCLE_1)
	s_cmp_eq_u32 s8, s14
	s_cbranch_scc1 .LBB160_17
.LBB160_9:                              ; =>This Inner Loop Header: Depth=1
	s_mov_b32 s15, exec_lo
	v_cmpx_gt_u32_e64 s21, v6
	s_cbranch_execz .LBB160_12
; %bb.10:                               ;   in Loop: Header=BB160_9 Depth=1
	v_mad_u64_u32 v[1:2], null, v6, s10, 0
	s_delay_alu instid0(VALU_DEP_1) | instskip(NEXT) | instid1(VALU_DEP_1)
	v_mad_u64_u32 v[7:8], null, v6, s11, v[2:3]
	v_mov_b32_e32 v2, v7
	s_delay_alu instid0(VALU_DEP_1) | instskip(NEXT) | instid1(VALU_DEP_1)
	v_lshlrev_b64 v[1:2], 3, v[1:2]
	v_add_co_u32 v1, s0, s12, v1
	s_delay_alu instid0(VALU_DEP_1) | instskip(SKIP_4) | instid1(VALU_DEP_2)
	v_add_co_ci_u32_e64 v2, s0, s13, v2, s0
	global_load_b64 v[1:2], v[1:2], off
	s_waitcnt vmcnt(0)
	v_xor_b32_e32 v2, 0x80000000, v2
	v_xor_b32_e32 v9, s6, v1
	;; [unrolled: 1-line block ×3, first 2 shown]
	s_delay_alu instid0(VALU_DEP_1) | instskip(NEXT) | instid1(VALU_DEP_3)
	v_and_b32_e32 v8, s5, v7
	v_and_b32_e32 v7, s4, v9
	s_delay_alu instid0(VALU_DEP_1) | instskip(NEXT) | instid1(VALU_DEP_1)
	v_cmp_eq_u64_e64 s0, 0, v[7:8]
	s_and_b32 exec_lo, exec_lo, s0
	s_cbranch_execz .LBB160_12
; %bb.11:                               ;   in Loop: Header=BB160_9 Depth=1
	v_lshrrev_b64 v[1:2], s1, v[1:2]
	s_delay_alu instid0(VALU_DEP_1) | instskip(NEXT) | instid1(VALU_DEP_1)
	v_and_b32_e32 v1, 0xff, v1
	v_lshlrev_b32_e32 v1, 2, v1
	ds_add_u32 v1, v5
.LBB160_12:                             ;   in Loop: Header=BB160_9 Depth=1
	s_or_b32 exec_lo, exec_lo, s15
	v_add_nc_u32_e32 v1, 0x100, v6
	s_mov_b32 s15, exec_lo
	s_delay_alu instid0(VALU_DEP_1)
	v_cmpx_gt_u32_e64 s21, v1
	s_cbranch_execz .LBB160_8
; %bb.13:                               ;   in Loop: Header=BB160_9 Depth=1
	v_mad_u64_u32 v[7:8], null, v1, s10, 0
	s_delay_alu instid0(VALU_DEP_1) | instskip(NEXT) | instid1(VALU_DEP_1)
	v_mov_b32_e32 v2, v8
	v_mad_u64_u32 v[8:9], null, v1, s11, v[2:3]
	s_delay_alu instid0(VALU_DEP_1) | instskip(NEXT) | instid1(VALU_DEP_1)
	v_lshlrev_b64 v[1:2], 3, v[7:8]
	v_add_co_u32 v1, s0, s12, v1
	s_delay_alu instid0(VALU_DEP_1) | instskip(SKIP_4) | instid1(VALU_DEP_2)
	v_add_co_ci_u32_e64 v2, s0, s13, v2, s0
	global_load_b64 v[1:2], v[1:2], off
	s_waitcnt vmcnt(0)
	v_xor_b32_e32 v2, 0x80000000, v2
	v_xor_b32_e32 v9, s6, v1
	;; [unrolled: 1-line block ×3, first 2 shown]
	s_delay_alu instid0(VALU_DEP_1) | instskip(NEXT) | instid1(VALU_DEP_3)
	v_and_b32_e32 v8, s5, v7
	v_and_b32_e32 v7, s4, v9
	s_delay_alu instid0(VALU_DEP_1) | instskip(NEXT) | instid1(VALU_DEP_1)
	v_cmp_eq_u64_e64 s0, 0, v[7:8]
	s_and_b32 exec_lo, exec_lo, s0
	s_cbranch_execz .LBB160_8
; %bb.14:                               ;   in Loop: Header=BB160_9 Depth=1
	v_lshrrev_b64 v[1:2], s1, v[1:2]
	s_delay_alu instid0(VALU_DEP_1) | instskip(NEXT) | instid1(VALU_DEP_1)
	v_and_b32_e32 v1, 0xff, v1
	v_lshlrev_b32_e32 v1, 2, v1
	ds_add_u32 v1, v5
	s_branch .LBB160_8
.LBB160_15:
	v_cvt_f32_u32_e32 v1, s14
	s_sub_i32 s3, 0, s14
	s_mov_b32 s25, 0
	s_delay_alu instid0(VALU_DEP_1) | instskip(SKIP_2) | instid1(VALU_DEP_1)
	v_rcp_iflag_f32_e32 v1, v1
	s_waitcnt_depctr 0xfff
	v_mul_f32_e32 v1, 0x4f7ffffe, v1
	v_cvt_u32_f32_e32 v1, v1
	s_delay_alu instid0(VALU_DEP_1) | instskip(NEXT) | instid1(VALU_DEP_1)
	v_readfirstlane_b32 s2, v1
	s_mul_i32 s3, s3, s2
	s_delay_alu instid0(SALU_CYCLE_1) | instskip(NEXT) | instid1(SALU_CYCLE_1)
	s_mul_hi_u32 s3, s2, s3
	s_add_i32 s2, s2, s3
	s_delay_alu instid0(SALU_CYCLE_1) | instskip(NEXT) | instid1(SALU_CYCLE_1)
	s_mul_hi_u32 s2, s20, s2
	s_mul_i32 s3, s2, s14
	s_add_i32 s11, s2, 1
	s_sub_i32 s3, s20, s3
	s_delay_alu instid0(SALU_CYCLE_1)
	s_sub_i32 s16, s3, s14
	s_cmp_ge_u32 s3, s14
	s_cselect_b32 s2, s11, s2
	s_cselect_b32 s3, s16, s3
	s_add_i32 s11, s2, 1
	s_cmp_ge_u32 s3, s14
	s_cselect_b32 s24, s11, s2
	s_load_b64 s[2:3], s[0:1], 0x1e0
	v_cmp_lt_u64_e64 s11, s[24:25], s[12:13]
	s_delay_alu instid0(VALU_DEP_1)
	s_and_b32 vcc_lo, exec_lo, s11
	s_cbranch_vccnz .LBB160_3
.LBB160_16:
	v_cvt_f32_u32_e32 v1, s12
	s_sub_i32 s16, 0, s12
	s_delay_alu instid0(VALU_DEP_1) | instskip(SKIP_2) | instid1(VALU_DEP_1)
	v_rcp_iflag_f32_e32 v1, v1
	s_waitcnt_depctr 0xfff
	v_mul_f32_e32 v1, 0x4f7ffffe, v1
	v_cvt_u32_f32_e32 v1, v1
	s_delay_alu instid0(VALU_DEP_1) | instskip(NEXT) | instid1(VALU_DEP_1)
	v_readfirstlane_b32 s11, v1
	s_mul_i32 s16, s16, s11
	s_delay_alu instid0(SALU_CYCLE_1) | instskip(NEXT) | instid1(SALU_CYCLE_1)
	s_mul_hi_u32 s16, s11, s16
	s_add_i32 s11, s11, s16
	s_delay_alu instid0(SALU_CYCLE_1) | instskip(NEXT) | instid1(SALU_CYCLE_1)
	s_mul_hi_u32 s11, s24, s11
	s_mul_i32 s16, s11, s12
	s_add_i32 s17, s11, 1
	s_sub_i32 s16, s24, s16
	s_delay_alu instid0(SALU_CYCLE_1)
	s_sub_i32 s18, s16, s12
	s_cmp_ge_u32 s16, s12
	s_cselect_b32 s11, s17, s11
	s_cselect_b32 s16, s18, s16
	s_add_i32 s17, s11, 1
	s_cmp_ge_u32 s16, s12
	s_cselect_b32 s22, s17, s11
	v_cmp_gt_u32_e32 vcc_lo, 0x100, v0
	v_lshlrev_b32_e32 v3, 2, v0
	s_and_saveexec_b32 s11, vcc_lo
	s_cbranch_execnz .LBB160_4
	s_branch .LBB160_5
.LBB160_17:
	s_lshl_b32 s23, s8, 8
.LBB160_18:
	s_bitcmp0_b32 s9, 0
	s_cbranch_scc1 .LBB160_23
; %bb.19:
	v_add_nc_u32_e32 v1, s23, v4
	s_mov_b32 s8, exec_lo
	s_delay_alu instid0(VALU_DEP_1)
	v_cmpx_gt_u32_e64 s21, v1
	s_cbranch_execz .LBB160_22
; %bb.20:
	v_mad_u64_u32 v[4:5], null, v1, s10, 0
	s_delay_alu instid0(VALU_DEP_1) | instskip(NEXT) | instid1(VALU_DEP_1)
	v_mov_b32_e32 v2, v5
	v_mad_u64_u32 v[5:6], null, v1, s11, v[2:3]
	s_delay_alu instid0(VALU_DEP_1) | instskip(NEXT) | instid1(VALU_DEP_1)
	v_lshlrev_b64 v[1:2], 3, v[4:5]
	v_add_co_u32 v1, s0, s12, v1
	s_delay_alu instid0(VALU_DEP_1) | instskip(SKIP_4) | instid1(VALU_DEP_2)
	v_add_co_ci_u32_e64 v2, s0, s13, v2, s0
	global_load_b64 v[1:2], v[1:2], off
	s_waitcnt vmcnt(0)
	v_xor_b32_e32 v2, 0x80000000, v2
	v_xor_b32_e32 v6, s6, v1
	;; [unrolled: 1-line block ×3, first 2 shown]
	s_delay_alu instid0(VALU_DEP_1) | instskip(NEXT) | instid1(VALU_DEP_3)
	v_and_b32_e32 v5, s5, v4
	v_and_b32_e32 v4, s4, v6
	s_delay_alu instid0(VALU_DEP_1) | instskip(NEXT) | instid1(VALU_DEP_1)
	v_cmp_eq_u64_e64 s0, 0, v[4:5]
	s_and_b32 exec_lo, exec_lo, s0
	s_cbranch_execz .LBB160_22
; %bb.21:
	v_lshrrev_b64 v[1:2], s1, v[1:2]
	s_delay_alu instid0(VALU_DEP_1) | instskip(NEXT) | instid1(VALU_DEP_1)
	v_dual_mov_b32 v2, 1 :: v_dual_and_b32 v1, 0xff, v1
	v_lshlrev_b32_e32 v1, 2, v1
	ds_add_u32 v1, v2
.LBB160_22:
	s_or_b32 exec_lo, exec_lo, s8
.LBB160_23:
	v_mov_b32_e32 v1, 0
	s_waitcnt lgkmcnt(0)
	s_barrier
	buffer_gl0_inv
	s_and_saveexec_b32 s0, vcc_lo
	s_cbranch_execz .LBB160_25
; %bb.24:
	ds_load_b32 v1, v3
.LBB160_25:
	s_or_b32 exec_lo, exec_lo, s0
	s_and_saveexec_b32 s0, vcc_lo
	s_cbranch_execz .LBB160_27
; %bb.26:
	v_lshl_or_b32 v2, s26, 8, v0
	v_mov_b32_e32 v3, 0
	s_delay_alu instid0(VALU_DEP_1) | instskip(NEXT) | instid1(VALU_DEP_1)
	v_lshlrev_b64 v[2:3], 1, v[2:3]
	v_add_co_u32 v2, vcc_lo, s2, v2
	s_delay_alu instid0(VALU_DEP_2)
	v_add_co_ci_u32_e32 v3, vcc_lo, s3, v3, vcc_lo
	s_waitcnt lgkmcnt(0)
	global_store_b16 v[2:3], v1, off
.LBB160_27:
	s_nop 0
	s_sendmsg sendmsg(MSG_DEALLOC_VGPRS)
	s_endpgm
	.section	.rodata,"a",@progbits
	.p2align	6, 0x0
	.amdhsa_kernel _ZN2at6native6mbtopk23computeBlockDigitCountsIlmmLi3EEEvNS_4cuda6detail10TensorInfoIKT_T0_EEjPjjS8_iijT1_PSB_Ps
		.amdhsa_group_segment_fixed_size 1024
		.amdhsa_private_segment_fixed_size 0
		.amdhsa_kernarg_size 744
		.amdhsa_user_sgpr_count 13
		.amdhsa_user_sgpr_dispatch_ptr 0
		.amdhsa_user_sgpr_queue_ptr 0
		.amdhsa_user_sgpr_kernarg_segment_ptr 1
		.amdhsa_user_sgpr_dispatch_id 0
		.amdhsa_user_sgpr_private_segment_size 0
		.amdhsa_wavefront_size32 1
		.amdhsa_uses_dynamic_stack 0
		.amdhsa_enable_private_segment 0
		.amdhsa_system_sgpr_workgroup_id_x 1
		.amdhsa_system_sgpr_workgroup_id_y 1
		.amdhsa_system_sgpr_workgroup_id_z 1
		.amdhsa_system_sgpr_workgroup_info 0
		.amdhsa_system_vgpr_workitem_id 0
		.amdhsa_next_free_vgpr 10
		.amdhsa_next_free_sgpr 35
		.amdhsa_reserve_vcc 1
		.amdhsa_float_round_mode_32 0
		.amdhsa_float_round_mode_16_64 0
		.amdhsa_float_denorm_mode_32 3
		.amdhsa_float_denorm_mode_16_64 3
		.amdhsa_dx10_clamp 1
		.amdhsa_ieee_mode 1
		.amdhsa_fp16_overflow 0
		.amdhsa_workgroup_processor_mode 1
		.amdhsa_memory_ordered 1
		.amdhsa_forward_progress 0
		.amdhsa_shared_vgpr_count 0
		.amdhsa_exception_fp_ieee_invalid_op 0
		.amdhsa_exception_fp_denorm_src 0
		.amdhsa_exception_fp_ieee_div_zero 0
		.amdhsa_exception_fp_ieee_overflow 0
		.amdhsa_exception_fp_ieee_underflow 0
		.amdhsa_exception_fp_ieee_inexact 0
		.amdhsa_exception_int_div_zero 0
	.end_amdhsa_kernel
	.section	.text._ZN2at6native6mbtopk23computeBlockDigitCountsIlmmLi3EEEvNS_4cuda6detail10TensorInfoIKT_T0_EEjPjjS8_iijT1_PSB_Ps,"axG",@progbits,_ZN2at6native6mbtopk23computeBlockDigitCountsIlmmLi3EEEvNS_4cuda6detail10TensorInfoIKT_T0_EEjPjjS8_iijT1_PSB_Ps,comdat
.Lfunc_end160:
	.size	_ZN2at6native6mbtopk23computeBlockDigitCountsIlmmLi3EEEvNS_4cuda6detail10TensorInfoIKT_T0_EEjPjjS8_iijT1_PSB_Ps, .Lfunc_end160-_ZN2at6native6mbtopk23computeBlockDigitCountsIlmmLi3EEEvNS_4cuda6detail10TensorInfoIKT_T0_EEjPjjS8_iijT1_PSB_Ps
                                        ; -- End function
	.section	.AMDGPU.csdata,"",@progbits
; Kernel info:
; codeLenInByte = 1600
; NumSgprs: 37
; NumVgprs: 10
; ScratchSize: 0
; MemoryBound: 0
; FloatMode: 240
; IeeeMode: 1
; LDSByteSize: 1024 bytes/workgroup (compile time only)
; SGPRBlocks: 4
; VGPRBlocks: 1
; NumSGPRsForWavesPerEU: 37
; NumVGPRsForWavesPerEU: 10
; Occupancy: 16
; WaveLimiterHint : 1
; COMPUTE_PGM_RSRC2:SCRATCH_EN: 0
; COMPUTE_PGM_RSRC2:USER_SGPR: 13
; COMPUTE_PGM_RSRC2:TRAP_HANDLER: 0
; COMPUTE_PGM_RSRC2:TGID_X_EN: 1
; COMPUTE_PGM_RSRC2:TGID_Y_EN: 1
; COMPUTE_PGM_RSRC2:TGID_Z_EN: 1
; COMPUTE_PGM_RSRC2:TIDIG_COMP_CNT: 0
	.section	.text._ZN2at6native6mbtopk10gatherTopKIlmLi3EEEvNS_4cuda6detail10TensorInfoIKT_T0_EES8_S8_bjS8_NS5_IS6_S8_EES8_NS5_IlS8_EES8_jjPS6_PjSD_j,"axG",@progbits,_ZN2at6native6mbtopk10gatherTopKIlmLi3EEEvNS_4cuda6detail10TensorInfoIKT_T0_EES8_S8_bjS8_NS5_IS6_S8_EES8_NS5_IlS8_EES8_jjPS6_PjSD_j,comdat
	.protected	_ZN2at6native6mbtopk10gatherTopKIlmLi3EEEvNS_4cuda6detail10TensorInfoIKT_T0_EES8_S8_bjS8_NS5_IS6_S8_EES8_NS5_IlS8_EES8_jjPS6_PjSD_j ; -- Begin function _ZN2at6native6mbtopk10gatherTopKIlmLi3EEEvNS_4cuda6detail10TensorInfoIKT_T0_EES8_S8_bjS8_NS5_IS6_S8_EES8_NS5_IlS8_EES8_jjPS6_PjSD_j
	.globl	_ZN2at6native6mbtopk10gatherTopKIlmLi3EEEvNS_4cuda6detail10TensorInfoIKT_T0_EES8_S8_bjS8_NS5_IS6_S8_EES8_NS5_IlS8_EES8_jjPS6_PjSD_j
	.p2align	8
	.type	_ZN2at6native6mbtopk10gatherTopKIlmLi3EEEvNS_4cuda6detail10TensorInfoIKT_T0_EES8_S8_bjS8_NS5_IS6_S8_EES8_NS5_IlS8_EES8_jjPS6_PjSD_j,@function
_ZN2at6native6mbtopk10gatherTopKIlmLi3EEEvNS_4cuda6detail10TensorInfoIKT_T0_EES8_S8_bjS8_NS5_IS6_S8_EES8_NS5_IlS8_EES8_jjPS6_PjSD_j: ; @_ZN2at6native6mbtopk10gatherTopKIlmLi3EEEvNS_4cuda6detail10TensorInfoIKT_T0_EES8_S8_bjS8_NS5_IS6_S8_EES8_NS5_IlS8_EES8_jjPS6_PjSD_j
; %bb.0:
	s_clause 0x1
	s_load_b64 s[2:3], s[0:1], 0x538
	s_load_b32 s4, s[0:1], 0x530
	s_waitcnt lgkmcnt(0)
	s_mul_i32 s3, s3, s15
	s_delay_alu instid0(SALU_CYCLE_1) | instskip(NEXT) | instid1(SALU_CYCLE_1)
	s_add_i32 s3, s3, s14
	s_mul_i32 s2, s3, s2
	s_delay_alu instid0(SALU_CYCLE_1) | instskip(NEXT) | instid1(SALU_CYCLE_1)
	s_add_i32 s2, s2, s13
	s_cmp_ge_u32 s2, s4
	s_cbranch_scc1 .LBB161_54
; %bb.1:
	s_load_b64 s[34:35], s[0:1], 0x510
	s_mov_b32 s47, 0
	s_waitcnt lgkmcnt(0)
	v_cvt_f32_u32_e32 v1, s35
	s_sub_i32 s4, 0, s35
	s_lshl_b32 s33, s34, 8
	s_delay_alu instid0(VALU_DEP_1) | instskip(SKIP_2) | instid1(VALU_DEP_1)
	v_rcp_iflag_f32_e32 v1, v1
	s_waitcnt_depctr 0xfff
	v_mul_f32_e32 v1, 0x4f7ffffe, v1
	v_cvt_u32_f32_e32 v1, v1
	s_delay_alu instid0(VALU_DEP_1) | instskip(NEXT) | instid1(VALU_DEP_1)
	v_readfirstlane_b32 s3, v1
	s_mul_i32 s4, s4, s3
	s_delay_alu instid0(SALU_CYCLE_1) | instskip(NEXT) | instid1(SALU_CYCLE_1)
	s_mul_hi_u32 s4, s3, s4
	s_add_i32 s3, s3, s4
	s_clause 0x1
	s_load_b128 s[4:7], s[0:1], 0x1a0
	s_load_b128 s[8:11], s[0:1], 0x10
	s_mul_hi_u32 s3, s2, s3
	s_delay_alu instid0(SALU_CYCLE_1) | instskip(SKIP_2) | instid1(SALU_CYCLE_1)
	s_mul_i32 s12, s3, s35
	s_add_i32 s13, s3, 1
	s_sub_i32 s12, s2, s12
	s_sub_i32 s14, s12, s35
	s_cmp_ge_u32 s12, s35
	s_cselect_b32 s3, s13, s3
	s_cselect_b32 s12, s14, s12
	s_add_i32 s13, s3, 1
	s_cmp_ge_u32 s12, s35
	s_cselect_b32 s46, s13, s3
	s_delay_alu instid0(SALU_CYCLE_1) | instskip(NEXT) | instid1(SALU_CYCLE_1)
	s_mul_i32 s54, s46, s35
	s_sub_i32 s74, s2, s54
	s_delay_alu instid0(SALU_CYCLE_1) | instskip(NEXT) | instid1(SALU_CYCLE_1)
	s_add_i32 s2, s74, 1
	s_cmp_lt_u32 s2, s35
	s_cbranch_scc1 .LBB161_3
; %bb.2:
	s_mul_i32 s2, s74, s33
	s_waitcnt lgkmcnt(0)
	s_sub_u32 s2, s4, s2
	s_subb_u32 s3, s5, 0
	s_add_u32 s2, s2, 0xff
	s_addc_u32 s3, s3, 0
	s_delay_alu instid0(SALU_CYCLE_1) | instskip(NEXT) | instid1(SALU_CYCLE_1)
	s_ashr_i32 s12, s3, 31
	s_lshr_b32 s12, s12, 24
	s_delay_alu instid0(SALU_CYCLE_1) | instskip(SKIP_1) | instid1(SALU_CYCLE_1)
	s_add_u32 s2, s2, s12
	s_addc_u32 s3, s3, 0
	v_alignbit_b32 v1, s3, s2, 8
	s_delay_alu instid0(VALU_DEP_1)
	v_readfirstlane_b32 s34, v1
.LBB161_3:
	s_waitcnt lgkmcnt(0)
	v_cmp_lt_u64_e64 s2, s[46:47], s[10:11]
	s_mov_b64 s[48:49], 0
	s_mov_b64 s[50:51], 0
	s_delay_alu instid0(VALU_DEP_1)
	s_and_b32 vcc_lo, exec_lo, s2
	s_cbranch_vccnz .LBB161_5
; %bb.4:
	v_cvt_f32_u32_e32 v1, s10
	s_sub_i32 s3, 0, s10
	s_mov_b32 s51, 0
	s_delay_alu instid0(VALU_DEP_1) | instskip(SKIP_2) | instid1(VALU_DEP_1)
	v_rcp_iflag_f32_e32 v1, v1
	s_waitcnt_depctr 0xfff
	v_mul_f32_e32 v1, 0x4f7ffffe, v1
	v_cvt_u32_f32_e32 v1, v1
	s_delay_alu instid0(VALU_DEP_1) | instskip(NEXT) | instid1(VALU_DEP_1)
	v_readfirstlane_b32 s2, v1
	s_mul_i32 s3, s3, s2
	s_delay_alu instid0(SALU_CYCLE_1) | instskip(NEXT) | instid1(SALU_CYCLE_1)
	s_mul_hi_u32 s3, s2, s3
	s_add_i32 s2, s2, s3
	s_delay_alu instid0(SALU_CYCLE_1) | instskip(NEXT) | instid1(SALU_CYCLE_1)
	s_mul_hi_u32 s2, s46, s2
	s_mul_i32 s3, s2, s10
	s_add_i32 s12, s2, 1
	s_sub_i32 s3, s46, s3
	s_delay_alu instid0(SALU_CYCLE_1)
	s_sub_i32 s13, s3, s10
	s_cmp_ge_u32 s3, s10
	s_cselect_b32 s2, s12, s2
	s_cselect_b32 s3, s13, s3
	s_add_i32 s12, s2, 1
	s_cmp_ge_u32 s3, s10
	s_cselect_b32 s50, s12, s2
.LBB161_5:
	s_load_b128 s[20:23], s[0:1], 0x1d0
	v_cmp_lt_u64_e64 s2, s[50:51], s[8:9]
	s_delay_alu instid0(VALU_DEP_1)
	s_and_b32 vcc_lo, exec_lo, s2
	s_cbranch_vccnz .LBB161_7
; %bb.6:
	v_cvt_f32_u32_e32 v1, s8
	s_sub_i32 s3, 0, s8
	s_delay_alu instid0(VALU_DEP_1) | instskip(SKIP_2) | instid1(VALU_DEP_1)
	v_rcp_iflag_f32_e32 v1, v1
	s_waitcnt_depctr 0xfff
	v_mul_f32_e32 v1, 0x4f7ffffe, v1
	v_cvt_u32_f32_e32 v1, v1
	s_delay_alu instid0(VALU_DEP_1) | instskip(NEXT) | instid1(VALU_DEP_1)
	v_readfirstlane_b32 s2, v1
	s_mul_i32 s3, s3, s2
	s_delay_alu instid0(SALU_CYCLE_1) | instskip(NEXT) | instid1(SALU_CYCLE_1)
	s_mul_hi_u32 s3, s2, s3
	s_add_i32 s2, s2, s3
	s_delay_alu instid0(SALU_CYCLE_1) | instskip(NEXT) | instid1(SALU_CYCLE_1)
	s_mul_hi_u32 s2, s50, s2
	s_mul_i32 s3, s2, s8
	s_add_i32 s12, s2, 1
	s_sub_i32 s3, s50, s3
	s_delay_alu instid0(SALU_CYCLE_1)
	s_sub_i32 s13, s3, s8
	s_cmp_ge_u32 s3, s8
	s_cselect_b32 s2, s12, s2
	s_cselect_b32 s3, s13, s3
	s_add_i32 s12, s2, 1
	s_cmp_ge_u32 s3, s8
	s_cselect_b32 s48, s12, s2
.LBB161_7:
	s_waitcnt lgkmcnt(0)
	v_cmp_lt_u64_e64 s2, s[46:47], s[22:23]
	s_mov_b64 s[52:53], 0
	s_mov_b64 s[62:63], 0
	s_delay_alu instid0(VALU_DEP_1)
	s_and_b32 vcc_lo, exec_lo, s2
	s_cbranch_vccnz .LBB161_9
; %bb.8:
	v_cvt_f32_u32_e32 v1, s22
	s_sub_i32 s3, 0, s22
	s_mov_b32 s63, 0
	s_delay_alu instid0(VALU_DEP_1) | instskip(SKIP_2) | instid1(VALU_DEP_1)
	v_rcp_iflag_f32_e32 v1, v1
	s_waitcnt_depctr 0xfff
	v_mul_f32_e32 v1, 0x4f7ffffe, v1
	v_cvt_u32_f32_e32 v1, v1
	s_delay_alu instid0(VALU_DEP_1) | instskip(NEXT) | instid1(VALU_DEP_1)
	v_readfirstlane_b32 s2, v1
	s_mul_i32 s3, s3, s2
	s_delay_alu instid0(SALU_CYCLE_1) | instskip(NEXT) | instid1(SALU_CYCLE_1)
	s_mul_hi_u32 s3, s2, s3
	s_add_i32 s2, s2, s3
	s_delay_alu instid0(SALU_CYCLE_1) | instskip(NEXT) | instid1(SALU_CYCLE_1)
	s_mul_hi_u32 s2, s46, s2
	s_mul_i32 s3, s2, s22
	s_add_i32 s12, s2, 1
	s_sub_i32 s3, s46, s3
	s_delay_alu instid0(SALU_CYCLE_1)
	s_sub_i32 s13, s3, s22
	s_cmp_ge_u32 s3, s22
	s_cselect_b32 s2, s12, s2
	s_cselect_b32 s3, s13, s3
	s_add_i32 s12, s2, 1
	s_cmp_ge_u32 s3, s22
	s_cselect_b32 s62, s12, s2
.LBB161_9:
	s_load_b128 s[24:27], s[0:1], 0x378
	v_cmp_lt_u64_e64 s2, s[62:63], s[20:21]
	s_delay_alu instid0(VALU_DEP_1)
	s_and_b32 vcc_lo, exec_lo, s2
	s_cbranch_vccnz .LBB161_11
; %bb.10:
	v_cvt_f32_u32_e32 v1, s20
	s_sub_i32 s3, 0, s20
	s_delay_alu instid0(VALU_DEP_1) | instskip(SKIP_2) | instid1(VALU_DEP_1)
	v_rcp_iflag_f32_e32 v1, v1
	s_waitcnt_depctr 0xfff
	v_mul_f32_e32 v1, 0x4f7ffffe, v1
	v_cvt_u32_f32_e32 v1, v1
	s_delay_alu instid0(VALU_DEP_1) | instskip(NEXT) | instid1(VALU_DEP_1)
	v_readfirstlane_b32 s2, v1
	s_mul_i32 s3, s3, s2
	s_delay_alu instid0(SALU_CYCLE_1) | instskip(NEXT) | instid1(SALU_CYCLE_1)
	s_mul_hi_u32 s3, s2, s3
	s_add_i32 s2, s2, s3
	s_delay_alu instid0(SALU_CYCLE_1) | instskip(NEXT) | instid1(SALU_CYCLE_1)
	s_mul_hi_u32 s2, s62, s2
	s_mul_i32 s3, s2, s20
	s_add_i32 s12, s2, 1
	s_sub_i32 s3, s62, s3
	s_delay_alu instid0(SALU_CYCLE_1)
	s_sub_i32 s13, s3, s20
	s_cmp_ge_u32 s3, s20
	s_cselect_b32 s2, s12, s2
	s_cselect_b32 s3, s13, s3
	s_add_i32 s12, s2, 1
	s_cmp_ge_u32 s3, s20
	s_cselect_b32 s52, s12, s2
.LBB161_11:
	s_waitcnt lgkmcnt(0)
	v_cmp_lt_u64_e64 s2, s[46:47], s[26:27]
	s_mov_b64 s[56:57], 0
	s_mov_b64 s[66:67], 0
	s_delay_alu instid0(VALU_DEP_1)
	s_and_b32 vcc_lo, exec_lo, s2
	s_cbranch_vccnz .LBB161_13
; %bb.12:
	v_cvt_f32_u32_e32 v1, s26
	s_sub_i32 s3, 0, s26
	s_mov_b32 s67, 0
	s_delay_alu instid0(VALU_DEP_1) | instskip(SKIP_2) | instid1(VALU_DEP_1)
	v_rcp_iflag_f32_e32 v1, v1
	s_waitcnt_depctr 0xfff
	v_mul_f32_e32 v1, 0x4f7ffffe, v1
	v_cvt_u32_f32_e32 v1, v1
	s_delay_alu instid0(VALU_DEP_1) | instskip(NEXT) | instid1(VALU_DEP_1)
	v_readfirstlane_b32 s2, v1
	s_mul_i32 s3, s3, s2
	s_delay_alu instid0(SALU_CYCLE_1) | instskip(NEXT) | instid1(SALU_CYCLE_1)
	s_mul_hi_u32 s3, s2, s3
	s_add_i32 s2, s2, s3
	s_delay_alu instid0(SALU_CYCLE_1) | instskip(NEXT) | instid1(SALU_CYCLE_1)
	s_mul_hi_u32 s2, s46, s2
	s_mul_i32 s3, s2, s26
	s_add_i32 s12, s2, 1
	s_sub_i32 s3, s46, s3
	s_delay_alu instid0(SALU_CYCLE_1)
	s_sub_i32 s13, s3, s26
	s_cmp_ge_u32 s3, s26
	s_cselect_b32 s2, s12, s2
	s_cselect_b32 s3, s13, s3
	s_add_i32 s12, s2, 1
	s_cmp_ge_u32 s3, s26
	s_cselect_b32 s66, s12, s2
.LBB161_13:
	s_clause 0x5
	s_load_b64 s[64:65], s[0:1], 0xe0
	s_load_b128 s[40:43], s[0:1], 0xd0
	s_load_b64 s[60:61], s[0:1], 0x2a0
	s_load_b128 s[36:39], s[0:1], 0x290
	;; [unrolled: 2-line block ×3, first 2 shown]
	v_cmp_lt_u64_e64 s2, s[66:67], s[24:25]
	s_delay_alu instid0(VALU_DEP_1)
	s_and_b32 vcc_lo, exec_lo, s2
	s_cbranch_vccnz .LBB161_15
; %bb.14:
	v_cvt_f32_u32_e32 v1, s24
	s_sub_i32 s3, 0, s24
	s_delay_alu instid0(VALU_DEP_1) | instskip(SKIP_2) | instid1(VALU_DEP_1)
	v_rcp_iflag_f32_e32 v1, v1
	s_waitcnt_depctr 0xfff
	v_mul_f32_e32 v1, 0x4f7ffffe, v1
	v_cvt_u32_f32_e32 v1, v1
	s_delay_alu instid0(VALU_DEP_1) | instskip(NEXT) | instid1(VALU_DEP_1)
	v_readfirstlane_b32 s2, v1
	s_mul_i32 s3, s3, s2
	s_delay_alu instid0(SALU_CYCLE_1) | instskip(NEXT) | instid1(SALU_CYCLE_1)
	s_mul_hi_u32 s3, s2, s3
	s_add_i32 s2, s2, s3
	s_delay_alu instid0(SALU_CYCLE_1) | instskip(NEXT) | instid1(SALU_CYCLE_1)
	s_mul_hi_u32 s2, s66, s2
	s_mul_i32 s3, s2, s24
	s_add_i32 s12, s2, 1
	s_sub_i32 s3, s66, s3
	s_delay_alu instid0(SALU_CYCLE_1)
	s_sub_i32 s13, s3, s24
	s_cmp_ge_u32 s3, s24
	s_cselect_b32 s2, s12, s2
	s_cselect_b32 s3, s13, s3
	s_add_i32 s12, s2, 1
	s_cmp_ge_u32 s3, s24
	s_cselect_b32 s56, s12, s2
.LBB161_15:
	s_load_b128 s[12:15], s[0:1], 0x518
	s_lshl_b64 s[2:3], s[46:47], 3
	s_mov_b32 s55, 0
	s_waitcnt lgkmcnt(0)
	s_add_u32 s2, s12, s2
	s_addc_u32 s3, s13, s3
	s_load_b64 s[68:69], s[0:1], 0x0
	s_load_b64 s[44:45], s[2:3], 0x0
	v_cmp_ne_u32_e64 s2, 0, v0
	v_cmp_eq_u32_e64 s3, 0, v0
	s_delay_alu instid0(VALU_DEP_1)
	s_and_saveexec_b32 s47, s3
	s_cbranch_execz .LBB161_31
; %bb.16:
	s_load_b64 s[12:13], s[0:1], 0x528
	s_lshl_b64 s[70:71], s[54:55], 2
	s_mov_b32 s49, 0
	s_add_u32 s16, s14, s70
	s_addc_u32 s17, s15, s71
	s_mov_b32 s53, 0
	s_waitcnt lgkmcnt(0)
	s_add_u32 s18, s12, s70
	s_addc_u32 s19, s13, s71
	s_cmp_lt_u32 s35, 4
	s_cbranch_scc1 .LBB161_28
; %bb.17:
	s_mov_b32 s54, 0
.LBB161_18:                             ; =>This Inner Loop Header: Depth=1
	s_add_u32 s16, s14, s70
	s_addc_u32 s17, s15, s71
	s_add_u32 s72, s12, s70
	s_load_b128 s[16:19], s[16:17], 0x0
	s_addc_u32 s73, s13, s71
	s_cmp_ge_u32 s54, s74
	s_cbranch_scc0 .LBB161_25
; %bb.19:                               ;   in Loop: Header=BB161_18 Depth=1
	s_add_i32 s57, s54, 1
	s_delay_alu instid0(SALU_CYCLE_1)
	s_cmp_ge_u32 s57, s74
	s_cbranch_scc0 .LBB161_26
.LBB161_20:                             ;   in Loop: Header=BB161_18 Depth=1
	s_add_i32 s57, s57, 1
	s_delay_alu instid0(SALU_CYCLE_1)
	s_cmp_ge_u32 s57, s74
	s_cbranch_scc0 .LBB161_27
.LBB161_21:                             ;   in Loop: Header=BB161_18 Depth=1
	s_add_i32 s57, s57, 1
	s_delay_alu instid0(SALU_CYCLE_1)
	s_cmp_ge_u32 s57, s74
	s_cbranch_scc1 .LBB161_23
.LBB161_22:                             ;   in Loop: Header=BB161_18 Depth=1
	s_load_b32 s72, s[72:73], 0xc
	s_waitcnt lgkmcnt(0)
	s_add_i32 s55, s55, s19
	s_add_i32 s49, s72, s49
.LBB161_23:                             ;   in Loop: Header=BB161_18 Depth=1
	s_waitcnt lgkmcnt(0)
	s_add_i32 s16, s16, s53
	s_delay_alu instid0(SALU_CYCLE_1) | instskip(NEXT) | instid1(SALU_CYCLE_1)
	s_add_i32 s16, s16, s17
	s_add_i32 s16, s16, s18
	s_delay_alu instid0(SALU_CYCLE_1)
	s_add_i32 s53, s16, s19
	s_add_u32 s14, s14, 16
	s_addc_u32 s15, s15, 0
	s_add_u32 s12, s12, 16
	s_addc_u32 s13, s13, 0
	s_add_i32 s72, s57, 4
	s_add_u32 s18, s12, s70
	s_addc_u32 s19, s13, s71
	s_add_u32 s16, s14, s70
	s_addc_u32 s17, s15, s71
	s_add_i32 s57, s57, 1
	s_cmp_ge_u32 s72, s35
	s_cbranch_scc1 .LBB161_29
; %bb.24:                               ;   in Loop: Header=BB161_18 Depth=1
	s_mov_b32 s54, s57
	s_branch .LBB161_18
.LBB161_25:                             ;   in Loop: Header=BB161_18 Depth=1
	s_load_b32 s57, s[72:73], 0x0
	s_waitcnt lgkmcnt(0)
	s_add_i32 s55, s16, s55
	s_add_i32 s49, s57, s49
	;; [unrolled: 1-line block ×3, first 2 shown]
	s_delay_alu instid0(SALU_CYCLE_1)
	s_cmp_ge_u32 s57, s74
	s_cbranch_scc1 .LBB161_20
.LBB161_26:                             ;   in Loop: Header=BB161_18 Depth=1
	s_load_b32 s75, s[72:73], 0x4
	s_waitcnt lgkmcnt(0)
	s_add_i32 s55, s55, s17
	s_add_i32 s49, s75, s49
	;; [unrolled: 1-line block ×3, first 2 shown]
	s_delay_alu instid0(SALU_CYCLE_1)
	s_cmp_ge_u32 s57, s74
	s_cbranch_scc1 .LBB161_21
.LBB161_27:                             ;   in Loop: Header=BB161_18 Depth=1
	s_load_b32 s75, s[72:73], 0x8
	s_waitcnt lgkmcnt(0)
	s_add_i32 s55, s55, s18
	s_add_i32 s49, s75, s49
	;; [unrolled: 1-line block ×3, first 2 shown]
	s_delay_alu instid0(SALU_CYCLE_1)
	s_cmp_ge_u32 s57, s74
	s_cbranch_scc0 .LBB161_22
	s_branch .LBB161_23
.LBB161_28:
	s_mov_b32 s12, 0
	s_delay_alu instid0(SALU_CYCLE_1)
	s_cmp_ge_u32 s12, s35
	s_cbranch_scc0 .LBB161_52
	s_branch .LBB161_30
.LBB161_29:
	s_add_i32 s12, s54, 4
	s_delay_alu instid0(SALU_CYCLE_1)
	s_cmp_ge_u32 s12, s35
	s_cbranch_scc0 .LBB161_52
.LBB161_30:
	v_dual_mov_b32 v1, s49 :: v_dual_mov_b32 v2, s53
	v_dual_mov_b32 v3, s55 :: v_dual_mov_b32 v4, 0
	ds_store_b96 v4, v[1:3] offset:1056
.LBB161_31:
	s_or_b32 exec_lo, exec_lo, s47
	s_clause 0x1
	s_load_b128 s[12:15], s[0:1], 0x1b8
	s_load_b128 s[16:19], s[0:1], 0x360
	s_cmp_eq_u32 s34, 0
	s_waitcnt lgkmcnt(0)
	s_barrier
	buffer_gl0_inv
	s_cbranch_scc1 .LBB161_54
; %bb.32:
	s_mul_i32 s27, s66, s27
	s_mul_hi_u32 s35, s66, s26
	s_mul_i32 s26, s66, s26
	s_add_i32 s35, s35, s27
	s_sub_u32 s26, s46, s26
	s_subb_u32 s35, 0, s35
	s_mul_i32 s27, s26, s59
	s_mul_hi_u32 s47, s26, s58
	s_mul_i32 s35, s35, s58
	s_add_i32 s27, s47, s27
	s_mul_i32 s21, s52, s21
	s_add_i32 s27, s27, s35
	s_mul_hi_u32 s35, s52, s20
	s_mul_i32 s20, s52, s20
	s_add_i32 s35, s35, s21
	s_sub_u32 s20, s62, s20
	s_subb_u32 s35, s63, s35
	s_mul_i32 s21, s20, s39
	s_mul_hi_u32 s39, s20, s38
	s_mul_i32 s35, s35, s38
	s_add_i32 s21, s39, s21
	s_mul_i32 s39, s52, s37
	s_mul_hi_u32 s47, s52, s36
	s_add_i32 s37, s21, s35
	s_mul_i32 s21, s62, s23
	s_mul_hi_u32 s23, s62, s22
	s_mul_i32 s22, s62, s22
	s_add_i32 s47, s47, s39
	s_add_i32 s23, s23, s21
	s_sub_u32 s35, s46, s22
	s_subb_u32 s23, 0, s23
	s_mul_i32 s21, s35, s61
	s_mul_hi_u32 s22, s35, s60
	s_mul_i32 s23, s23, s60
	s_add_i32 s21, s22, s21
	s_mul_i32 s9, s48, s9
	s_mul_hi_u32 s22, s48, s8
	s_mul_i32 s8, s48, s8
	s_add_i32 s21, s21, s23
	s_add_i32 s22, s22, s9
	s_sub_u32 s8, s50, s8
	s_subb_u32 s22, s51, s22
	s_mul_i32 s9, s8, s43
	s_mul_hi_u32 s23, s8, s42
	s_mul_i32 s22, s22, s42
	s_add_i32 s9, s23, s9
	s_mul_i32 s23, s48, s41
	s_mul_hi_u32 s39, s48, s40
	s_add_i32 s9, s9, s22
	s_mul_i32 s11, s50, s11
	s_mul_hi_u32 s22, s50, s10
	s_mul_i32 s10, s50, s10
	s_add_i32 s23, s39, s23
	s_add_i32 s22, s22, s11
	s_sub_u32 s10, s46, s10
	s_subb_u32 s22, 0, s22
	s_mul_i32 s11, s10, s65
	s_mul_hi_u32 s39, s10, s64
	s_mul_i32 s22, s22, s64
	s_add_i32 s11, s39, s11
	s_mul_i32 s29, s56, s29
	s_add_i32 s11, s11, s22
	s_mul_i32 s22, s56, s25
	s_mul_hi_u32 s25, s56, s24
	s_mul_i32 s24, s56, s24
	s_add_i32 s25, s25, s22
	s_sub_u32 s24, s66, s24
	s_subb_u32 s25, s67, s25
	s_mul_i32 s22, s24, s31
	s_mul_hi_u32 s31, s24, s30
	s_mul_i32 s25, s25, s30
	s_add_i32 s31, s31, s22
	s_mul_i32 s22, s48, s40
	s_add_i32 s25, s31, s25
	s_mul_hi_u32 s31, s56, s28
	s_lshl_b64 s[22:23], s[22:23], 3
	s_mul_i32 s8, s8, s42
	s_add_i32 s29, s31, s29
	s_add_u32 s22, s68, s22
	s_addc_u32 s23, s69, s23
	s_lshl_b64 s[8:9], s[8:9], 3
	s_mul_i32 s10, s10, s64
	s_add_u32 s22, s22, s8
	s_addc_u32 s23, s23, s9
	s_lshl_b64 s[8:9], s[10:11], 3
	s_mul_i32 s46, s52, s36
	v_dual_mov_b32 v5, 0 :: v_dual_add_nc_u32 v4, -1, v0
	s_add_u32 s22, s22, s8
	s_addc_u32 s23, s23, s9
	s_lshl_b64 s[8:9], s[46:47], 3
	s_mul_i32 s36, s20, s38
	s_add_u32 s10, s14, s8
	s_addc_u32 s11, s15, s9
	s_lshl_b64 s[8:9], s[36:37], 3
	ds_load_b96 v[1:3], v5 offset:1056
	s_mul_i32 s20, s35, s60
	s_add_u32 s10, s10, s8
	s_addc_u32 s11, s11, s9
	s_lshl_b64 s[8:9], s[20:21], 3
	s_mul_i32 s28, s56, s28
	s_add_u32 s14, s10, s8
	s_addc_u32 s15, s11, s9
	s_lshl_b64 s[8:9], s[28:29], 3
	;; [unrolled: 4-line block ×4, first 2 shown]
	v_lshlrev_b32_e32 v8, 3, v0
	s_add_u32 s18, s10, s8
	s_load_b32 s8, s[0:1], 0x1b0
	s_addc_u32 s19, s11, s9
	s_load_b64 s[10:11], s[0:1], 0x508
	s_waitcnt lgkmcnt(0)
	v_add_nc_u32_e32 v1, v1, v2
	v_lshrrev_b32_e32 v2, 5, v0
	v_lshrrev_b32_e32 v9, 2, v0
	;; [unrolled: 1-line block ×3, first 2 shown]
	v_mbcnt_lo_u32_b32 v10, -1, 0
	v_mad_u64_u32 v[6:7], null, s74, s33, v[0:1]
	s_xor_b32 s9, s45, 0x80000000
	v_add_lshl_u32 v11, v2, v0, 2
	v_cmp_gt_u32_e64 s0, 32, v0
	v_add_lshl_u32 v0, v9, v8, 2
	v_add_lshl_u32 v12, v12, v4, 2
	v_dual_mov_b32 v4, v6 :: v_dual_and_b32 v13, 15, v10
	v_bfe_i32 v14, v10, 4, 1
	v_add_nc_u32_e32 v15, -1, v10
                                        ; implicit-def: $vgpr6_vgpr7
	s_bitcmp1_b32 s8, 0
	s_mov_b32 s8, s44
	s_cselect_b32 s1, -1, 0
	s_branch .LBB161_35
.LBB161_33:                             ;   in Loop: Header=BB161_35 Depth=1
	s_or_b32 exec_lo, exec_lo, s20
	v_add_nc_u32_e32 v1, v2, v1
.LBB161_34:                             ;   in Loop: Header=BB161_35 Depth=1
	v_add_nc_u32_e32 v3, v16, v3
	v_add_nc_u32_e32 v4, 0x100, v4
	s_add_i32 s34, s34, -1
	s_delay_alu instid0(SALU_CYCLE_1)
	s_cmp_lg_u32 s34, 0
	s_cbranch_scc0 .LBB161_54
.LBB161_35:                             ; =>This Inner Loop Header: Depth=1
	v_mov_b32_e32 v2, v5
	v_mov_b32_e32 v8, v5
	s_mov_b32 s20, exec_lo
	v_cmpx_gt_u64_e64 s[4:5], v[4:5]
	s_cbranch_execz .LBB161_37
; %bb.36:                               ;   in Loop: Header=BB161_35 Depth=1
	v_mad_u64_u32 v[6:7], null, v4, s12, 0
	s_delay_alu instid0(VALU_DEP_1) | instskip(NEXT) | instid1(VALU_DEP_1)
	v_mov_b32_e32 v2, v7
	v_mad_u64_u32 v[7:8], null, v4, s13, v[2:3]
	s_delay_alu instid0(VALU_DEP_1) | instskip(NEXT) | instid1(VALU_DEP_1)
	v_lshlrev_b64 v[6:7], 3, v[6:7]
	v_add_co_u32 v6, vcc_lo, s22, v6
	s_delay_alu instid0(VALU_DEP_2) | instskip(SKIP_4) | instid1(VALU_DEP_1)
	v_add_co_ci_u32_e32 v7, vcc_lo, s23, v7, vcc_lo
	global_load_b64 v[6:7], v[6:7], off
	s_waitcnt vmcnt(0)
	v_xor_b32_e32 v9, 0x80000000, v7
	v_mov_b32_e32 v8, v6
	v_cmp_lt_u64_e32 vcc_lo, s[8:9], v[8:9]
	v_cndmask_b32_e64 v2, 0, 1, vcc_lo
	v_cmp_gt_u64_e32 vcc_lo, s[8:9], v[8:9]
	v_cndmask_b32_e64 v8, 0, 1, vcc_lo
	v_cmp_eq_u64_e32 vcc_lo, s[44:45], v[6:7]
	s_delay_alu instid0(VALU_DEP_2) | instskip(SKIP_1) | instid1(VALU_DEP_2)
	v_cndmask_b32_e64 v2, v8, v2, s1
	v_cndmask_b32_e64 v8, 0, 1, vcc_lo
	v_and_b32_e32 v2, 1, v2
.LBB161_37:                             ;   in Loop: Header=BB161_35 Depth=1
	s_or_b32 exec_lo, exec_lo, s20
	ds_store_b32 v11, v2
	s_waitcnt lgkmcnt(0)
	s_waitcnt_vscnt null, 0x0
	s_barrier
	buffer_gl0_inv
	s_and_saveexec_b32 s20, s0
	s_cbranch_execz .LBB161_39
; %bb.38:                               ;   in Loop: Header=BB161_35 Depth=1
	ds_load_2addr_b32 v[16:17], v0 offset1:1
	ds_load_2addr_b32 v[18:19], v0 offset0:2 offset1:3
	ds_load_2addr_b32 v[20:21], v0 offset0:4 offset1:5
	;; [unrolled: 1-line block ×3, first 2 shown]
	v_cmp_ne_u32_e32 vcc_lo, 0, v13
	; wave barrier
	s_waitcnt lgkmcnt(3)
	v_add_nc_u32_e32 v9, v17, v16
	s_waitcnt lgkmcnt(2)
	s_delay_alu instid0(VALU_DEP_1) | instskip(SKIP_1) | instid1(VALU_DEP_1)
	v_add3_u32 v9, v9, v18, v19
	s_waitcnt lgkmcnt(1)
	v_add3_u32 v9, v9, v20, v21
	s_waitcnt lgkmcnt(0)
	s_delay_alu instid0(VALU_DEP_1) | instskip(NEXT) | instid1(VALU_DEP_1)
	v_add3_u32 v9, v9, v22, v23
	v_mov_b32_dpp v17, v9 row_shr:1 row_mask:0xf bank_mask:0xf
	s_delay_alu instid0(VALU_DEP_1) | instskip(SKIP_1) | instid1(VALU_DEP_2)
	v_cndmask_b32_e32 v17, 0, v17, vcc_lo
	v_cmp_lt_u32_e32 vcc_lo, 1, v13
	v_add_nc_u32_e32 v9, v17, v9
	s_delay_alu instid0(VALU_DEP_1) | instskip(NEXT) | instid1(VALU_DEP_1)
	v_mov_b32_dpp v17, v9 row_shr:2 row_mask:0xf bank_mask:0xf
	v_cndmask_b32_e32 v17, 0, v17, vcc_lo
	v_cmp_lt_u32_e32 vcc_lo, 3, v13
	s_delay_alu instid0(VALU_DEP_2) | instskip(NEXT) | instid1(VALU_DEP_1)
	v_add_nc_u32_e32 v9, v9, v17
	v_mov_b32_dpp v17, v9 row_shr:4 row_mask:0xf bank_mask:0xf
	s_delay_alu instid0(VALU_DEP_1) | instskip(SKIP_1) | instid1(VALU_DEP_2)
	v_cndmask_b32_e32 v17, 0, v17, vcc_lo
	v_cmp_lt_u32_e32 vcc_lo, 7, v13
	v_add_nc_u32_e32 v9, v9, v17
	s_delay_alu instid0(VALU_DEP_1) | instskip(NEXT) | instid1(VALU_DEP_1)
	v_mov_b32_dpp v17, v9 row_shr:8 row_mask:0xf bank_mask:0xf
	v_cndmask_b32_e32 v17, 0, v17, vcc_lo
	v_cmp_gt_i32_e32 vcc_lo, 0, v15
	s_delay_alu instid0(VALU_DEP_2) | instskip(SKIP_4) | instid1(VALU_DEP_1)
	v_dual_cndmask_b32 v18, v15, v10 :: v_dual_add_nc_u32 v9, v9, v17
	ds_swizzle_b32 v17, v9 offset:swizzle(BROADCAST,32,15)
	v_lshlrev_b32_e32 v18, 2, v18
	s_waitcnt lgkmcnt(0)
	v_and_b32_e32 v17, v14, v17
	v_add_nc_u32_e32 v9, v9, v17
	ds_bpermute_b32 v9, v18, v9
	s_waitcnt lgkmcnt(0)
	v_add_nc_u32_e32 v9, v9, v16
	s_delay_alu instid0(VALU_DEP_1)
	v_cndmask_b32_e64 v9, v9, v2, s3
	ds_store_b32 v0, v9
	; wave barrier
	ds_load_2addr_b32 v[16:17], v0 offset0:1 offset1:2
	ds_load_2addr_b32 v[18:19], v0 offset0:3 offset1:4
	ds_load_2addr_b32 v[20:21], v0 offset0:5 offset1:6
	ds_load_b32 v22, v0 offset:28
	s_waitcnt lgkmcnt(3)
	v_add_nc_u32_e32 v9, v16, v9
	s_delay_alu instid0(VALU_DEP_1) | instskip(SKIP_1) | instid1(VALU_DEP_1)
	v_add_nc_u32_e32 v16, v17, v9
	s_waitcnt lgkmcnt(2)
	v_add_nc_u32_e32 v17, v18, v16
	s_delay_alu instid0(VALU_DEP_1) | instskip(SKIP_1) | instid1(VALU_DEP_1)
	v_add_nc_u32_e32 v18, v19, v17
	;; [unrolled: 4-line block ×3, first 2 shown]
	s_waitcnt lgkmcnt(0)
	v_add_nc_u32_e32 v21, v22, v20
	ds_store_2addr_b32 v0, v9, v16 offset0:1 offset1:2
	ds_store_2addr_b32 v0, v17, v18 offset0:3 offset1:4
	;; [unrolled: 1-line block ×3, first 2 shown]
	ds_store_b32 v0, v21 offset:28
.LBB161_39:                             ;   in Loop: Header=BB161_35 Depth=1
	s_or_b32 exec_lo, exec_lo, s20
	v_mov_b32_e32 v9, 0
	s_waitcnt lgkmcnt(0)
	s_barrier
	buffer_gl0_inv
	s_and_saveexec_b32 s20, s2
	s_cbranch_execz .LBB161_41
; %bb.40:                               ;   in Loop: Header=BB161_35 Depth=1
	ds_load_b32 v9, v12
.LBB161_41:                             ;   in Loop: Header=BB161_35 Depth=1
	s_or_b32 exec_lo, exec_lo, s20
	ds_load_b32 v16, v5 offset:1048
	s_mov_b32 s20, exec_lo
	s_waitcnt lgkmcnt(0)
	s_barrier
	buffer_gl0_inv
	v_cmpx_ne_u32_e32 0, v2
	s_cbranch_execz .LBB161_43
; %bb.42:                               ;   in Loop: Header=BB161_35 Depth=1
	v_add_nc_u32_e32 v23, v9, v3
	s_delay_alu instid0(VALU_DEP_1) | instskip(NEXT) | instid1(VALU_DEP_1)
	v_mad_u64_u32 v[17:18], null, v23, s16, 0
	v_mov_b32_e32 v2, v18
	v_mad_u64_u32 v[19:20], null, v23, s10, 0
	s_delay_alu instid0(VALU_DEP_1) | instskip(NEXT) | instid1(VALU_DEP_3)
	v_mov_b32_e32 v9, v20
	v_mad_u64_u32 v[20:21], null, v23, s17, v[2:3]
	s_delay_alu instid0(VALU_DEP_2) | instskip(NEXT) | instid1(VALU_DEP_2)
	v_mad_u64_u32 v[21:22], null, v23, s11, v[9:10]
	v_mov_b32_e32 v18, v20
	s_delay_alu instid0(VALU_DEP_2) | instskip(NEXT) | instid1(VALU_DEP_2)
	v_mov_b32_e32 v20, v21
	v_lshlrev_b64 v[17:18], 3, v[17:18]
	s_delay_alu instid0(VALU_DEP_2) | instskip(NEXT) | instid1(VALU_DEP_2)
	v_lshlrev_b64 v[19:20], 3, v[19:20]
	v_add_co_u32 v17, vcc_lo, s14, v17
	s_delay_alu instid0(VALU_DEP_3) | instskip(NEXT) | instid1(VALU_DEP_3)
	v_add_co_ci_u32_e32 v18, vcc_lo, s15, v18, vcc_lo
	v_add_co_u32 v19, vcc_lo, s18, v19
	s_delay_alu instid0(VALU_DEP_4)
	v_add_co_ci_u32_e32 v20, vcc_lo, s19, v20, vcc_lo
	global_store_b64 v[17:18], v[6:7], off
	global_store_b64 v[19:20], v[4:5], off
.LBB161_43:                             ;   in Loop: Header=BB161_35 Depth=1
	s_or_b32 exec_lo, exec_lo, s20
	v_mov_b32_e32 v2, v5
	s_delay_alu instid0(VALU_DEP_1)
	v_cmp_le_u64_e32 vcc_lo, s[6:7], v[1:2]
	s_cbranch_vccnz .LBB161_34
; %bb.44:                               ;   in Loop: Header=BB161_35 Depth=1
	ds_store_b32 v11, v8
	s_waitcnt lgkmcnt(0)
	s_waitcnt_vscnt null, 0x0
	s_barrier
	buffer_gl0_inv
	s_and_saveexec_b32 s20, s0
	s_cbranch_execz .LBB161_46
; %bb.45:                               ;   in Loop: Header=BB161_35 Depth=1
	ds_load_2addr_b32 v[17:18], v0 offset1:1
	ds_load_2addr_b32 v[19:20], v0 offset0:2 offset1:3
	ds_load_2addr_b32 v[21:22], v0 offset0:4 offset1:5
	;; [unrolled: 1-line block ×3, first 2 shown]
	v_cmp_ne_u32_e32 vcc_lo, 0, v13
	; wave barrier
	s_waitcnt lgkmcnt(3)
	v_add_nc_u32_e32 v2, v18, v17
	s_waitcnt lgkmcnt(2)
	s_delay_alu instid0(VALU_DEP_1) | instskip(SKIP_1) | instid1(VALU_DEP_1)
	v_add3_u32 v2, v2, v19, v20
	s_waitcnt lgkmcnt(1)
	v_add3_u32 v2, v2, v21, v22
	s_waitcnt lgkmcnt(0)
	s_delay_alu instid0(VALU_DEP_1) | instskip(NEXT) | instid1(VALU_DEP_1)
	v_add3_u32 v2, v2, v23, v24
	v_mov_b32_dpp v9, v2 row_shr:1 row_mask:0xf bank_mask:0xf
	s_delay_alu instid0(VALU_DEP_1) | instskip(SKIP_1) | instid1(VALU_DEP_2)
	v_cndmask_b32_e32 v9, 0, v9, vcc_lo
	v_cmp_lt_u32_e32 vcc_lo, 1, v13
	v_add_nc_u32_e32 v2, v9, v2
	s_delay_alu instid0(VALU_DEP_1) | instskip(NEXT) | instid1(VALU_DEP_1)
	v_mov_b32_dpp v9, v2 row_shr:2 row_mask:0xf bank_mask:0xf
	v_cndmask_b32_e32 v9, 0, v9, vcc_lo
	v_cmp_lt_u32_e32 vcc_lo, 3, v13
	s_delay_alu instid0(VALU_DEP_2) | instskip(NEXT) | instid1(VALU_DEP_1)
	v_add_nc_u32_e32 v2, v2, v9
	v_mov_b32_dpp v9, v2 row_shr:4 row_mask:0xf bank_mask:0xf
	s_delay_alu instid0(VALU_DEP_1) | instskip(SKIP_1) | instid1(VALU_DEP_2)
	v_cndmask_b32_e32 v9, 0, v9, vcc_lo
	v_cmp_lt_u32_e32 vcc_lo, 7, v13
	v_add_nc_u32_e32 v2, v2, v9
	s_delay_alu instid0(VALU_DEP_1) | instskip(NEXT) | instid1(VALU_DEP_1)
	v_mov_b32_dpp v9, v2 row_shr:8 row_mask:0xf bank_mask:0xf
	v_cndmask_b32_e32 v9, 0, v9, vcc_lo
	v_cmp_gt_i32_e32 vcc_lo, 0, v15
	s_delay_alu instid0(VALU_DEP_2)
	v_add_nc_u32_e32 v2, v2, v9
	v_cndmask_b32_e32 v18, v15, v10, vcc_lo
	ds_swizzle_b32 v9, v2 offset:swizzle(BROADCAST,32,15)
	v_lshlrev_b32_e32 v18, 2, v18
	s_waitcnt lgkmcnt(0)
	v_and_b32_e32 v9, v14, v9
	s_delay_alu instid0(VALU_DEP_1) | instskip(SKIP_3) | instid1(VALU_DEP_1)
	v_add_nc_u32_e32 v2, v2, v9
	ds_bpermute_b32 v2, v18, v2
	s_waitcnt lgkmcnt(0)
	v_add_nc_u32_e32 v2, v2, v17
	v_cndmask_b32_e64 v2, v2, v8, s3
	ds_store_b32 v0, v2
	; wave barrier
	ds_load_2addr_b32 v[17:18], v0 offset0:1 offset1:2
	ds_load_2addr_b32 v[19:20], v0 offset0:3 offset1:4
	;; [unrolled: 1-line block ×3, first 2 shown]
	ds_load_b32 v9, v0 offset:28
	s_waitcnt lgkmcnt(3)
	v_add_nc_u32_e32 v2, v17, v2
	s_delay_alu instid0(VALU_DEP_1) | instskip(SKIP_1) | instid1(VALU_DEP_1)
	v_add_nc_u32_e32 v17, v18, v2
	s_waitcnt lgkmcnt(2)
	v_add_nc_u32_e32 v18, v19, v17
	s_delay_alu instid0(VALU_DEP_1) | instskip(SKIP_1) | instid1(VALU_DEP_1)
	v_add_nc_u32_e32 v19, v20, v18
	;; [unrolled: 4-line block ×3, first 2 shown]
	s_waitcnt lgkmcnt(0)
	v_add_nc_u32_e32 v9, v9, v21
	ds_store_2addr_b32 v0, v2, v17 offset0:1 offset1:2
	ds_store_2addr_b32 v0, v18, v19 offset0:3 offset1:4
	;; [unrolled: 1-line block ×3, first 2 shown]
	ds_store_b32 v0, v9 offset:28
.LBB161_46:                             ;   in Loop: Header=BB161_35 Depth=1
	s_or_b32 exec_lo, exec_lo, s20
	v_mov_b32_e32 v9, 0
	s_waitcnt lgkmcnt(0)
	s_barrier
	buffer_gl0_inv
	s_and_saveexec_b32 s20, s2
	s_cbranch_execz .LBB161_48
; %bb.47:                               ;   in Loop: Header=BB161_35 Depth=1
	ds_load_b32 v9, v12
.LBB161_48:                             ;   in Loop: Header=BB161_35 Depth=1
	s_or_b32 exec_lo, exec_lo, s20
	ds_load_b32 v2, v5 offset:1048
	s_mov_b32 s20, exec_lo
	s_waitcnt lgkmcnt(0)
	s_barrier
	buffer_gl0_inv
	v_cmpx_ne_u32_e32 0, v8
	s_cbranch_execz .LBB161_33
; %bb.49:                               ;   in Loop: Header=BB161_35 Depth=1
	v_add_nc_u32_e32 v8, v9, v1
	v_mov_b32_e32 v9, v5
	s_delay_alu instid0(VALU_DEP_1)
	v_cmp_gt_u64_e32 vcc_lo, s[6:7], v[8:9]
	s_and_b32 exec_lo, exec_lo, vcc_lo
	s_cbranch_execz .LBB161_33
; %bb.50:                               ;   in Loop: Header=BB161_35 Depth=1
	v_mad_u64_u32 v[17:18], null, v8, s16, 0
	v_mad_u64_u32 v[19:20], null, v8, s10, 0
	s_delay_alu instid0(VALU_DEP_1) | instskip(NEXT) | instid1(VALU_DEP_1)
	v_dual_mov_b32 v9, v18 :: v_dual_mov_b32 v18, v20
	v_mad_u64_u32 v[20:21], null, v8, s17, v[9:10]
	s_delay_alu instid0(VALU_DEP_2) | instskip(NEXT) | instid1(VALU_DEP_2)
	v_mad_u64_u32 v[21:22], null, v8, s11, v[18:19]
	v_mov_b32_e32 v18, v20
	s_delay_alu instid0(VALU_DEP_2) | instskip(NEXT) | instid1(VALU_DEP_2)
	v_mov_b32_e32 v20, v21
	v_lshlrev_b64 v[8:9], 3, v[17:18]
	s_delay_alu instid0(VALU_DEP_2) | instskip(NEXT) | instid1(VALU_DEP_2)
	v_lshlrev_b64 v[17:18], 3, v[19:20]
	v_add_co_u32 v8, vcc_lo, s14, v8
	s_delay_alu instid0(VALU_DEP_3) | instskip(NEXT) | instid1(VALU_DEP_3)
	v_add_co_ci_u32_e32 v9, vcc_lo, s15, v9, vcc_lo
	v_add_co_u32 v17, vcc_lo, s18, v17
	s_delay_alu instid0(VALU_DEP_4)
	v_add_co_ci_u32_e32 v18, vcc_lo, s19, v18, vcc_lo
	global_store_b64 v[8:9], v[6:7], off
	global_store_b64 v[17:18], v[4:5], off
	s_branch .LBB161_33
	.p2align	6
.LBB161_51:                             ;   in Loop: Header=BB161_52 Depth=1
	s_add_u32 s16, s16, 4
	s_addc_u32 s17, s17, 0
	s_waitcnt lgkmcnt(0)
	s_add_i32 s53, s13, s53
	s_add_u32 s18, s18, 4
	s_addc_u32 s19, s19, 0
	s_add_i32 s12, s12, 1
	s_delay_alu instid0(SALU_CYCLE_1)
	s_cmp_lt_u32 s12, s35
	s_cbranch_scc0 .LBB161_30
.LBB161_52:                             ; =>This Inner Loop Header: Depth=1
	s_load_b32 s13, s[16:17], 0x0
	s_cmp_ge_u32 s12, s74
	s_cbranch_scc1 .LBB161_51
; %bb.53:                               ;   in Loop: Header=BB161_52 Depth=1
	s_load_b32 s14, s[18:19], 0x0
	s_waitcnt lgkmcnt(0)
	s_add_i32 s55, s13, s55
	s_add_i32 s49, s14, s49
	s_branch .LBB161_51
.LBB161_54:
	s_nop 0
	s_sendmsg sendmsg(MSG_DEALLOC_VGPRS)
	s_endpgm
	.section	.rodata,"a",@progbits
	.p2align	6, 0x0
	.amdhsa_kernel _ZN2at6native6mbtopk10gatherTopKIlmLi3EEEvNS_4cuda6detail10TensorInfoIKT_T0_EES8_S8_bjS8_NS5_IS6_S8_EES8_NS5_IlS8_EES8_jjPS6_PjSD_j
		.amdhsa_group_segment_fixed_size 1068
		.amdhsa_private_segment_fixed_size 0
		.amdhsa_kernarg_size 1592
		.amdhsa_user_sgpr_count 13
		.amdhsa_user_sgpr_dispatch_ptr 0
		.amdhsa_user_sgpr_queue_ptr 0
		.amdhsa_user_sgpr_kernarg_segment_ptr 1
		.amdhsa_user_sgpr_dispatch_id 0
		.amdhsa_user_sgpr_private_segment_size 0
		.amdhsa_wavefront_size32 1
		.amdhsa_uses_dynamic_stack 0
		.amdhsa_enable_private_segment 0
		.amdhsa_system_sgpr_workgroup_id_x 1
		.amdhsa_system_sgpr_workgroup_id_y 1
		.amdhsa_system_sgpr_workgroup_id_z 1
		.amdhsa_system_sgpr_workgroup_info 0
		.amdhsa_system_vgpr_workitem_id 0
		.amdhsa_next_free_vgpr 25
		.amdhsa_next_free_sgpr 76
		.amdhsa_reserve_vcc 1
		.amdhsa_float_round_mode_32 0
		.amdhsa_float_round_mode_16_64 0
		.amdhsa_float_denorm_mode_32 3
		.amdhsa_float_denorm_mode_16_64 3
		.amdhsa_dx10_clamp 1
		.amdhsa_ieee_mode 1
		.amdhsa_fp16_overflow 0
		.amdhsa_workgroup_processor_mode 1
		.amdhsa_memory_ordered 1
		.amdhsa_forward_progress 0
		.amdhsa_shared_vgpr_count 0
		.amdhsa_exception_fp_ieee_invalid_op 0
		.amdhsa_exception_fp_denorm_src 0
		.amdhsa_exception_fp_ieee_div_zero 0
		.amdhsa_exception_fp_ieee_overflow 0
		.amdhsa_exception_fp_ieee_underflow 0
		.amdhsa_exception_fp_ieee_inexact 0
		.amdhsa_exception_int_div_zero 0
	.end_amdhsa_kernel
	.section	.text._ZN2at6native6mbtopk10gatherTopKIlmLi3EEEvNS_4cuda6detail10TensorInfoIKT_T0_EES8_S8_bjS8_NS5_IS6_S8_EES8_NS5_IlS8_EES8_jjPS6_PjSD_j,"axG",@progbits,_ZN2at6native6mbtopk10gatherTopKIlmLi3EEEvNS_4cuda6detail10TensorInfoIKT_T0_EES8_S8_bjS8_NS5_IS6_S8_EES8_NS5_IlS8_EES8_jjPS6_PjSD_j,comdat
.Lfunc_end161:
	.size	_ZN2at6native6mbtopk10gatherTopKIlmLi3EEEvNS_4cuda6detail10TensorInfoIKT_T0_EES8_S8_bjS8_NS5_IS6_S8_EES8_NS5_IlS8_EES8_jjPS6_PjSD_j, .Lfunc_end161-_ZN2at6native6mbtopk10gatherTopKIlmLi3EEEvNS_4cuda6detail10TensorInfoIKT_T0_EES8_S8_bjS8_NS5_IS6_S8_EES8_NS5_IlS8_EES8_jjPS6_PjSD_j
                                        ; -- End function
	.section	.AMDGPU.csdata,"",@progbits
; Kernel info:
; codeLenInByte = 3880
; NumSgprs: 78
; NumVgprs: 25
; ScratchSize: 0
; MemoryBound: 0
; FloatMode: 240
; IeeeMode: 1
; LDSByteSize: 1068 bytes/workgroup (compile time only)
; SGPRBlocks: 9
; VGPRBlocks: 3
; NumSGPRsForWavesPerEU: 78
; NumVGPRsForWavesPerEU: 25
; Occupancy: 16
; WaveLimiterHint : 1
; COMPUTE_PGM_RSRC2:SCRATCH_EN: 0
; COMPUTE_PGM_RSRC2:USER_SGPR: 13
; COMPUTE_PGM_RSRC2:TRAP_HANDLER: 0
; COMPUTE_PGM_RSRC2:TGID_X_EN: 1
; COMPUTE_PGM_RSRC2:TGID_Y_EN: 1
; COMPUTE_PGM_RSRC2:TGID_Z_EN: 1
; COMPUTE_PGM_RSRC2:TIDIG_COMP_CNT: 0
	.section	.text._ZN2at6native6sbtopk10gatherTopKIlmLi3ELb0EEEvNS_4cuda6detail10TensorInfoIKT_T0_EES8_S8_bS8_S8_NS5_IS6_S8_EES8_NS5_IlS8_EES8_PS6_,"axG",@progbits,_ZN2at6native6sbtopk10gatherTopKIlmLi3ELb0EEEvNS_4cuda6detail10TensorInfoIKT_T0_EES8_S8_bS8_S8_NS5_IS6_S8_EES8_NS5_IlS8_EES8_PS6_,comdat
	.protected	_ZN2at6native6sbtopk10gatherTopKIlmLi3ELb0EEEvNS_4cuda6detail10TensorInfoIKT_T0_EES8_S8_bS8_S8_NS5_IS6_S8_EES8_NS5_IlS8_EES8_PS6_ ; -- Begin function _ZN2at6native6sbtopk10gatherTopKIlmLi3ELb0EEEvNS_4cuda6detail10TensorInfoIKT_T0_EES8_S8_bS8_S8_NS5_IS6_S8_EES8_NS5_IlS8_EES8_PS6_
	.globl	_ZN2at6native6sbtopk10gatherTopKIlmLi3ELb0EEEvNS_4cuda6detail10TensorInfoIKT_T0_EES8_S8_bS8_S8_NS5_IS6_S8_EES8_NS5_IlS8_EES8_PS6_
	.p2align	8
	.type	_ZN2at6native6sbtopk10gatherTopKIlmLi3ELb0EEEvNS_4cuda6detail10TensorInfoIKT_T0_EES8_S8_bS8_S8_NS5_IS6_S8_EES8_NS5_IlS8_EES8_PS6_,@function
_ZN2at6native6sbtopk10gatherTopKIlmLi3ELb0EEEvNS_4cuda6detail10TensorInfoIKT_T0_EES8_S8_bS8_S8_NS5_IS6_S8_EES8_NS5_IlS8_EES8_PS6_: ; @_ZN2at6native6sbtopk10gatherTopKIlmLi3ELb0EEEvNS_4cuda6detail10TensorInfoIKT_T0_EES8_S8_bS8_S8_NS5_IS6_S8_EES8_NS5_IlS8_EES8_PS6_
; %bb.0:
	s_clause 0x1
	s_load_b64 s[22:23], s[0:1], 0x520
	s_load_b128 s[28:31], s[0:1], 0x1b8
	s_add_u32 s20, s0, 0x520
	s_addc_u32 s21, s1, 0
	s_mov_b32 s35, 0
	s_waitcnt lgkmcnt(0)
	s_mul_i32 s2, s23, s15
	s_delay_alu instid0(SALU_CYCLE_1) | instskip(NEXT) | instid1(SALU_CYCLE_1)
	s_add_i32 s2, s2, s14
	s_mul_i32 s2, s2, s22
	s_delay_alu instid0(SALU_CYCLE_1) | instskip(NEXT) | instid1(SALU_CYCLE_1)
	s_add_i32 s34, s2, s13
	v_cmp_ge_u64_e64 s2, s[34:35], s[28:29]
	s_delay_alu instid0(VALU_DEP_1)
	s_and_b32 vcc_lo, exec_lo, s2
	s_cbranch_vccnz .LBB162_550
; %bb.1:
	s_load_b128 s[8:11], s[0:1], 0x10
	s_mov_b64 s[2:3], 0
	s_mov_b64 s[6:7], 0
	s_waitcnt lgkmcnt(0)
	v_cmp_lt_u64_e64 s4, s[34:35], s[10:11]
	s_delay_alu instid0(VALU_DEP_1)
	s_and_b32 vcc_lo, exec_lo, s4
	s_cbranch_vccnz .LBB162_3
; %bb.2:
	v_cvt_f32_u32_e32 v1, s10
	s_sub_i32 s4, 0, s10
	s_mov_b32 s7, 0
	s_delay_alu instid0(VALU_DEP_1) | instskip(SKIP_2) | instid1(VALU_DEP_1)
	v_rcp_iflag_f32_e32 v1, v1
	s_waitcnt_depctr 0xfff
	v_mul_f32_e32 v1, 0x4f7ffffe, v1
	v_cvt_u32_f32_e32 v1, v1
	s_delay_alu instid0(VALU_DEP_1) | instskip(NEXT) | instid1(VALU_DEP_1)
	v_readfirstlane_b32 s3, v1
	s_mul_i32 s4, s4, s3
	s_delay_alu instid0(SALU_CYCLE_1) | instskip(NEXT) | instid1(SALU_CYCLE_1)
	s_mul_hi_u32 s4, s3, s4
	s_add_i32 s3, s3, s4
	s_delay_alu instid0(SALU_CYCLE_1) | instskip(NEXT) | instid1(SALU_CYCLE_1)
	s_mul_hi_u32 s3, s34, s3
	s_mul_i32 s4, s3, s10
	s_add_i32 s5, s3, 1
	s_sub_i32 s4, s34, s4
	s_delay_alu instid0(SALU_CYCLE_1)
	s_sub_i32 s6, s4, s10
	s_cmp_ge_u32 s4, s10
	s_cselect_b32 s3, s5, s3
	s_cselect_b32 s4, s6, s4
	s_add_i32 s5, s3, 1
	s_cmp_ge_u32 s4, s10
	s_cselect_b32 s6, s5, s3
.LBB162_3:
	s_load_b128 s[40:43], s[0:1], 0x1d8
	v_cmp_lt_u64_e64 s3, s[6:7], s[8:9]
	s_delay_alu instid0(VALU_DEP_1)
	s_and_b32 vcc_lo, exec_lo, s3
	s_cbranch_vccnz .LBB162_5
; %bb.4:
	v_cvt_f32_u32_e32 v1, s8
	s_sub_i32 s3, 0, s8
	s_delay_alu instid0(VALU_DEP_1) | instskip(SKIP_2) | instid1(VALU_DEP_1)
	v_rcp_iflag_f32_e32 v1, v1
	s_waitcnt_depctr 0xfff
	v_mul_f32_e32 v1, 0x4f7ffffe, v1
	v_cvt_u32_f32_e32 v1, v1
	s_delay_alu instid0(VALU_DEP_1) | instskip(NEXT) | instid1(VALU_DEP_1)
	v_readfirstlane_b32 s2, v1
	s_mul_i32 s3, s3, s2
	s_delay_alu instid0(SALU_CYCLE_1) | instskip(NEXT) | instid1(SALU_CYCLE_1)
	s_mul_hi_u32 s3, s2, s3
	s_add_i32 s2, s2, s3
	s_delay_alu instid0(SALU_CYCLE_1) | instskip(NEXT) | instid1(SALU_CYCLE_1)
	s_mul_hi_u32 s2, s6, s2
	s_mul_i32 s3, s2, s8
	s_add_i32 s4, s2, 1
	s_sub_i32 s3, s6, s3
	s_delay_alu instid0(SALU_CYCLE_1)
	s_sub_i32 s5, s3, s8
	s_cmp_ge_u32 s3, s8
	s_cselect_b32 s2, s4, s2
	s_cselect_b32 s3, s5, s3
	s_add_i32 s4, s2, 1
	s_cmp_ge_u32 s3, s8
	s_cselect_b32 s2, s4, s2
.LBB162_5:
	s_waitcnt lgkmcnt(0)
	v_cmp_lt_u64_e64 s3, s[34:35], s[42:43]
	s_mov_b64 s[28:29], 0
	s_mov_b64 s[56:57], 0
	s_delay_alu instid0(VALU_DEP_1)
	s_and_b32 vcc_lo, exec_lo, s3
	s_cbranch_vccnz .LBB162_7
; %bb.6:
	v_cvt_f32_u32_e32 v1, s42
	s_sub_i32 s4, 0, s42
	s_mov_b32 s57, 0
	s_delay_alu instid0(VALU_DEP_1) | instskip(SKIP_2) | instid1(VALU_DEP_1)
	v_rcp_iflag_f32_e32 v1, v1
	s_waitcnt_depctr 0xfff
	v_mul_f32_e32 v1, 0x4f7ffffe, v1
	v_cvt_u32_f32_e32 v1, v1
	s_delay_alu instid0(VALU_DEP_1) | instskip(NEXT) | instid1(VALU_DEP_1)
	v_readfirstlane_b32 s3, v1
	s_mul_i32 s4, s4, s3
	s_delay_alu instid0(SALU_CYCLE_1) | instskip(NEXT) | instid1(SALU_CYCLE_1)
	s_mul_hi_u32 s4, s3, s4
	s_add_i32 s3, s3, s4
	s_delay_alu instid0(SALU_CYCLE_1) | instskip(NEXT) | instid1(SALU_CYCLE_1)
	s_mul_hi_u32 s3, s34, s3
	s_mul_i32 s4, s3, s42
	s_add_i32 s5, s3, 1
	s_sub_i32 s4, s34, s4
	s_delay_alu instid0(SALU_CYCLE_1)
	s_sub_i32 s12, s4, s42
	s_cmp_ge_u32 s4, s42
	s_cselect_b32 s3, s5, s3
	s_cselect_b32 s4, s12, s4
	s_add_i32 s5, s3, 1
	s_cmp_ge_u32 s4, s42
	s_cselect_b32 s56, s5, s3
.LBB162_7:
	s_load_b128 s[44:47], s[0:1], 0x380
	v_cmp_lt_u64_e64 s3, s[56:57], s[40:41]
	s_delay_alu instid0(VALU_DEP_1)
	s_and_b32 vcc_lo, exec_lo, s3
	s_cbranch_vccnz .LBB162_9
; %bb.8:
	v_cvt_f32_u32_e32 v1, s40
	s_sub_i32 s4, 0, s40
	s_delay_alu instid0(VALU_DEP_1) | instskip(SKIP_2) | instid1(VALU_DEP_1)
	v_rcp_iflag_f32_e32 v1, v1
	s_waitcnt_depctr 0xfff
	v_mul_f32_e32 v1, 0x4f7ffffe, v1
	v_cvt_u32_f32_e32 v1, v1
	s_delay_alu instid0(VALU_DEP_1) | instskip(NEXT) | instid1(VALU_DEP_1)
	v_readfirstlane_b32 s3, v1
	s_mul_i32 s4, s4, s3
	s_delay_alu instid0(SALU_CYCLE_1) | instskip(NEXT) | instid1(SALU_CYCLE_1)
	s_mul_hi_u32 s4, s3, s4
	s_add_i32 s3, s3, s4
	s_delay_alu instid0(SALU_CYCLE_1) | instskip(NEXT) | instid1(SALU_CYCLE_1)
	s_mul_hi_u32 s3, s56, s3
	s_mul_i32 s4, s3, s40
	s_add_i32 s5, s3, 1
	s_sub_i32 s4, s56, s4
	s_delay_alu instid0(SALU_CYCLE_1)
	s_sub_i32 s12, s4, s40
	s_cmp_ge_u32 s4, s40
	s_cselect_b32 s3, s5, s3
	s_cselect_b32 s4, s12, s4
	s_add_i32 s5, s3, 1
	s_cmp_ge_u32 s4, s40
	s_cselect_b32 s28, s5, s3
.LBB162_9:
	s_clause 0x1
	s_load_b64 s[14:15], s[0:1], 0xe0
	s_load_b128 s[16:19], s[0:1], 0xd0
	s_waitcnt lgkmcnt(0)
	v_cmp_lt_u64_e64 s3, s[34:35], s[46:47]
	s_mov_b64 s[60:61], 0
	s_mov_b64 s[62:63], 0
	s_delay_alu instid0(VALU_DEP_1)
	s_and_b32 vcc_lo, exec_lo, s3
	s_cbranch_vccnz .LBB162_11
; %bb.10:
	v_cvt_f32_u32_e32 v1, s46
	s_sub_i32 s4, 0, s46
	s_mov_b32 s63, 0
	s_delay_alu instid0(VALU_DEP_1) | instskip(SKIP_2) | instid1(VALU_DEP_1)
	v_rcp_iflag_f32_e32 v1, v1
	s_waitcnt_depctr 0xfff
	v_mul_f32_e32 v1, 0x4f7ffffe, v1
	v_cvt_u32_f32_e32 v1, v1
	s_delay_alu instid0(VALU_DEP_1) | instskip(NEXT) | instid1(VALU_DEP_1)
	v_readfirstlane_b32 s3, v1
	s_mul_i32 s4, s4, s3
	s_delay_alu instid0(SALU_CYCLE_1) | instskip(NEXT) | instid1(SALU_CYCLE_1)
	s_mul_hi_u32 s4, s3, s4
	s_add_i32 s3, s3, s4
	s_delay_alu instid0(SALU_CYCLE_1) | instskip(NEXT) | instid1(SALU_CYCLE_1)
	s_mul_hi_u32 s3, s34, s3
	s_mul_i32 s4, s3, s46
	s_add_i32 s5, s3, 1
	s_sub_i32 s4, s34, s4
	s_delay_alu instid0(SALU_CYCLE_1)
	s_sub_i32 s12, s4, s46
	s_cmp_ge_u32 s4, s46
	s_cselect_b32 s3, s5, s3
	s_cselect_b32 s4, s12, s4
	s_add_i32 s5, s3, 1
	s_cmp_ge_u32 s4, s46
	s_cselect_b32 s62, s5, s3
.LBB162_11:
	s_load_b64 s[24:25], s[0:1], 0x0
	v_cmp_lt_u64_e64 s3, s[62:63], s[44:45]
	s_delay_alu instid0(VALU_DEP_1)
	s_and_b32 vcc_lo, exec_lo, s3
	s_cbranch_vccnz .LBB162_13
; %bb.12:
	v_cvt_f32_u32_e32 v1, s44
	s_sub_i32 s4, 0, s44
	s_delay_alu instid0(VALU_DEP_1) | instskip(SKIP_2) | instid1(VALU_DEP_1)
	v_rcp_iflag_f32_e32 v1, v1
	s_waitcnt_depctr 0xfff
	v_mul_f32_e32 v1, 0x4f7ffffe, v1
	v_cvt_u32_f32_e32 v1, v1
	s_delay_alu instid0(VALU_DEP_1) | instskip(NEXT) | instid1(VALU_DEP_1)
	v_readfirstlane_b32 s3, v1
	s_mul_i32 s4, s4, s3
	s_delay_alu instid0(SALU_CYCLE_1) | instskip(NEXT) | instid1(SALU_CYCLE_1)
	s_mul_hi_u32 s4, s3, s4
	s_add_i32 s3, s3, s4
	s_delay_alu instid0(SALU_CYCLE_1) | instskip(NEXT) | instid1(SALU_CYCLE_1)
	s_mul_hi_u32 s3, s62, s3
	s_mul_i32 s4, s3, s44
	s_add_i32 s5, s3, 1
	s_sub_i32 s4, s62, s4
	s_delay_alu instid0(SALU_CYCLE_1)
	s_sub_i32 s12, s4, s44
	s_cmp_ge_u32 s4, s44
	s_cselect_b32 s3, s5, s3
	s_cselect_b32 s4, s12, s4
	s_add_i32 s5, s3, 1
	s_cmp_ge_u32 s4, s44
	s_cselect_b32 s60, s5, s3
.LBB162_13:
	s_clause 0x1
	s_load_b64 s[4:5], s[0:1], 0x370
	s_load_b128 s[36:39], s[0:1], 0x1a0
                                        ; implicit-def: $vgpr43 : SGPR spill to VGPR lane
	s_mov_b32 s71, 0
	s_waitcnt lgkmcnt(0)
	v_writelane_b32 v43, s4, 0
	v_writelane_b32 v43, s5, 1
	v_cmp_eq_u32_e64 s5, 0, v0
	s_delay_alu instid0(VALU_DEP_1)
	s_and_saveexec_b32 s3, s5
	s_cbranch_execz .LBB162_15
; %bb.14:
	v_dual_mov_b32 v1, 0 :: v_dual_mov_b32 v4, s37
	s_delay_alu instid0(VALU_DEP_1)
	v_dual_mov_b32 v3, s36 :: v_dual_mov_b32 v2, v1
	ds_store_b32 v1, v1 offset:5144
	ds_store_b128 v1, v[1:4] offset:5120
.LBB162_15:
	s_or_b32 exec_lo, exec_lo, s3
	s_mul_i32 s3, s2, s9
	s_mul_hi_u32 s4, s2, s8
	s_mul_i32 s8, s2, s8
	s_add_i32 s4, s4, s3
	s_sub_u32 s3, s6, s8
	s_subb_u32 s4, s7, s4
	s_mul_i32 s8, s3, s19
	s_mul_hi_u32 s9, s3, s18
	s_mul_i32 s4, s4, s18
	s_add_i32 s7, s9, s8
	s_mul_i32 s8, s3, s18
	s_add_i32 s9, s7, s4
	s_mul_i32 s4, s2, s17
	s_mul_hi_u32 s7, s2, s16
	s_mul_i32 s2, s2, s16
	s_add_i32 s3, s7, s4
	s_mul_i32 s4, s6, s11
	s_mul_hi_u32 s7, s6, s10
	s_mul_i32 s6, s6, s10
	s_add_i32 s7, s7, s4
	s_sub_u32 s4, s34, s6
	s_subb_u32 s7, 0, s7
	s_mul_i32 s6, s4, s15
	s_mul_hi_u32 s11, s4, s14
	s_mul_i32 s7, s7, s14
	s_add_i32 s6, s11, s6
	s_lshl_b64 s[2:3], s[2:3], 3
	s_add_i32 s7, s6, s7
	s_add_u32 s11, s24, s2
	s_load_b32 s10, s[0:1], 0x1b0
	s_addc_u32 s12, s25, s3
	s_lshl_b64 s[2:3], s[8:9], 3
	s_mul_i32 s6, s4, s14
	v_mad_u64_u32 v[2:3], null, v0, s30, 0
	s_add_u32 s4, s11, s2
	s_addc_u32 s8, s12, s3
	s_lshl_b64 s[2:3], s[6:7], 3
	s_waitcnt lgkmcnt(0)
	s_barrier
	buffer_gl0_inv
	s_load_b32 s7, s[20:21], 0xc
	v_dual_mov_b32 v1, v3 :: v_dual_lshlrev_b32 v20, 2, v0
	v_mbcnt_lo_u32_b32 v35, -1, 0
	s_add_u32 s29, s4, s2
	s_addc_u32 s33, s8, s3
	s_delay_alu instid0(VALU_DEP_2)
	v_mad_u64_u32 v[3:4], null, v0, s31, v[1:2]
	v_cmp_gt_u32_e32 vcc_lo, 32, v0
	v_cmp_gt_i32_e64 s4, 4, v35
	s_bitcmp1_b32 s10, 0
	v_lshrrev_b32_e32 v4, 3, v0
	s_cselect_b32 s3, -1, 0
	v_mov_b32_e32 v19, 0
	v_lshlrev_b64 v[2:3], 3, v[2:3]
	s_xor_b32 s61, s3, -1
	v_and_b32_e32 v36, 0x7c, v4
	s_and_b32 s84, vcc_lo, s4
	v_dual_mov_b32 v21, v19 :: v_dual_mov_b32 v6, 0
	s_waitcnt lgkmcnt(0)
	s_and_b32 s35, s7, 0xffff
	s_bfe_u32 s8, s7, 0xb0005
	s_add_u32 s86, s35, -1
	s_addc_u32 s87, 0, -1
	s_add_u32 s88, s86, s36
	s_addc_u32 s27, s87, s37
	v_add_co_u32 v16, vcc_lo, s29, v2
	s_cmp_lt_u32 s13, s22
	v_add_co_ci_u32_e32 v17, vcc_lo, s33, v3, vcc_lo
	s_cselect_b32 s9, 12, 18
	v_lshlrev_b64 v[2:3], v35, -1
	v_dual_mov_b32 v26, s38 :: v_dual_lshlrev_b32 v37, 3, v0
	v_mov_b32_e32 v1, v19
	v_mov_b32_e32 v7, 0
	s_add_u32 s72, s20, s9
	s_addc_u32 s73, s21, 0
	s_add_i32 s9, s8, -1
	s_bfe_u32 s89, s35, 0x30005
	s_cmp_gt_u32 s9, 6
	v_cmp_lt_u64_e64 s85, 0x180, s[36:37]
	v_add_nc_u32_e32 v38, 0xc00, v37
	v_cmp_gt_u64_e64 s4, s[36:37], v[0:1]
	v_not_b32_e32 v34, v2
	v_dual_mov_b32 v2, 1 :: v_dual_mov_b32 v25, v7
	v_mov_b32_e32 v23, v7
	v_cmp_eq_u32_e64 s2, 0, v35
	v_cmp_gt_u32_e64 s6, 2, v0
	s_cselect_b32 s90, -1, 0
	s_and_b32 s91, s8, 0x7f8
	v_cmp_gt_u16_e64 s92, s7, 31
	v_dual_mov_b32 v24, v6 :: v_dual_lshlrev_b32 v39, 5, v0
	v_lshl_or_b32 v40, v35, 3, 0xc00
	v_dual_mov_b32 v27, s39 :: v_dual_mov_b32 v22, v6
	s_cmp_lg_u32 s89, 0
	s_mov_b32 s101, 62
	s_cselect_b32 s93, -1, 0
	s_lshl_b32 s94, s35, 3
	s_mov_b32 s95, 0
	s_mov_b32 s97, 0
                                        ; implicit-def: $sgpr96
                                        ; implicit-def: $sgpr100
                                        ; implicit-def: $sgpr99
                                        ; implicit-def: $sgpr102
                                        ; implicit-def: $sgpr98
                                        ; implicit-def: $sgpr103
                                        ; implicit-def: $vcc_hi
                                        ; implicit-def: $sgpr104
                                        ; implicit-def: $sgpr66
                                        ; implicit-def: $sgpr67
	s_branch .LBB162_18
.LBB162_16:                             ;   in Loop: Header=BB162_18 Depth=1
	s_or_b32 exec_lo, exec_lo, s10
	v_dual_mov_b32 v23, v15 :: v_dual_mov_b32 v22, v14
	v_dual_mov_b32 v25, v13 :: v_dual_mov_b32 v24, v12
	;; [unrolled: 1-line block ×4, first 2 shown]
	s_and_not1_b32 s10, s67, exec_lo
	s_and_b32 s9, s9, exec_lo
	s_and_not1_b32 s66, s66, exec_lo
	s_or_b32 s67, s10, s9
	s_and_not1_b32 s104, s104, exec_lo
	s_and_not1_b32 vcc_hi, vcc_hi, exec_lo
	s_and_not1_b32 s103, s103, exec_lo
	s_or_not1_b32 s8, s8, exec_lo
.LBB162_17:                             ;   in Loop: Header=BB162_18 Depth=1
	s_or_b32 exec_lo, exec_lo, s7
	s_delay_alu instid0(SALU_CYCLE_1) | instskip(NEXT) | instid1(SALU_CYCLE_1)
	s_and_b32 s7, exec_lo, s8
	s_or_b32 s95, s7, s95
	s_and_not1_b32 s7, s98, exec_lo
	s_and_b32 s8, s67, exec_lo
	s_and_not1_b32 s9, s102, exec_lo
	s_or_b32 s98, s7, s8
	s_and_b32 s7, s66, exec_lo
	s_and_not1_b32 s8, s99, exec_lo
	s_and_b32 s10, s104, exec_lo
	s_or_b32 s102, s9, s7
	s_or_b32 s99, s8, s10
	s_and_not1_b32 s7, s100, exec_lo
	s_and_b32 s8, vcc_hi, exec_lo
	s_and_not1_b32 s9, s96, exec_lo
	s_and_b32 s10, s103, exec_lo
	s_or_b32 s100, s7, s8
	s_or_b32 s96, s9, s10
	s_and_not1_b32 exec_lo, exec_lo, s95
	s_cbranch_execz .LBB162_490
.LBB162_18:                             ; =>This Loop Header: Depth=1
                                        ;     Child Loop BB162_26 Depth 2
                                        ;     Child Loop BB162_44 Depth 2
	;; [unrolled: 1-line block ×24, first 2 shown]
	ds_load_b128 v[8:11], v19 offset:5120
	s_waitcnt lgkmcnt(0)
	v_readfirstlane_b32 s75, v9
	v_readfirstlane_b32 s74, v8
	s_delay_alu instid0(VALU_DEP_1)
	s_cmp_lg_u64 s[74:75], 0
	s_cbranch_scc1 .LBB162_51
; %bb.19:                               ;   in Loop: Header=BB162_18 Depth=1
	s_and_b32 vcc_lo, exec_lo, s85
	s_cbranch_vccz .LBB162_34
; %bb.20:                               ;   in Loop: Header=BB162_18 Depth=1
	v_cmp_gt_u64_e32 vcc_lo, 0x181, v[10:11]
	s_mov_b32 s9, 0
	s_mov_b32 s7, 0
	s_cbranch_vccz .LBB162_35
; %bb.21:                               ;   in Loop: Header=BB162_18 Depth=1
	v_mov_b32_e32 v3, 0
	v_mov_b32_e32 v4, 0
	s_and_saveexec_b32 s7, s4
	s_cbranch_execz .LBB162_23
; %bb.22:                               ;   in Loop: Header=BB162_18 Depth=1
	global_load_b64 v[3:4], v[16:17], off
.LBB162_23:                             ;   in Loop: Header=BB162_18 Depth=1
	s_or_b32 exec_lo, exec_lo, s7
	s_and_saveexec_b32 s10, s4
	s_cbranch_execz .LBB162_36
; %bb.24:                               ;   in Loop: Header=BB162_18 Depth=1
	global_load_u16 v5, v19, s[72:73]
	v_mov_b32_e32 v9, v1
	s_mov_b32 s11, 0
	s_waitcnt vmcnt(0)
	v_dual_mov_b32 v8, v0 :: v_dual_and_b32 v5, 0xffff, v5
	s_branch .LBB162_26
.LBB162_25:                             ;   in Loop: Header=BB162_26 Depth=2
	s_or_b32 exec_lo, exec_lo, s8
	s_waitcnt vmcnt(0)
	v_dual_mov_b32 v3, v10 :: v_dual_mov_b32 v4, v11
	s_and_not1_b32 exec_lo, exec_lo, s11
	s_cbranch_execz .LBB162_36
.LBB162_26:                             ;   Parent Loop BB162_18 Depth=1
                                        ; =>  This Inner Loop Header: Depth=2
	s_delay_alu instid0(VALU_DEP_1) | instskip(SKIP_4) | instid1(VALU_DEP_3)
	v_add_co_u32 v8, vcc_lo, v8, v5
	v_add_co_ci_u32_e32 v9, vcc_lo, 0, v9, vcc_lo
	v_mov_b32_e32 v10, 0
	v_mov_b32_e32 v11, 0
	s_mov_b32 s8, exec_lo
	v_cmp_le_u64_e32 vcc_lo, s[36:37], v[8:9]
	v_cmpx_gt_u64_e64 s[36:37], v[8:9]
	s_cbranch_execz .LBB162_28
; %bb.27:                               ;   in Loop: Header=BB162_26 Depth=2
	s_waitcnt lgkmcnt(0)
	v_mul_lo_u32 v12, v9, s30
	v_mul_lo_u32 v13, v8, s31
	v_mad_u64_u32 v[10:11], null, v8, s30, 0
	s_delay_alu instid0(VALU_DEP_1) | instskip(NEXT) | instid1(VALU_DEP_1)
	v_add3_u32 v11, v11, v13, v12
	v_lshlrev_b64 v[10:11], 3, v[10:11]
	s_delay_alu instid0(VALU_DEP_1) | instskip(NEXT) | instid1(VALU_DEP_1)
	v_add_co_u32 v10, s7, s29, v10
	v_add_co_ci_u32_e64 v11, s7, s33, v11, s7
	global_load_b64 v[10:11], v[10:11], off
.LBB162_28:                             ;   in Loop: Header=BB162_26 Depth=2
	s_or_b32 exec_lo, exec_lo, s8
	s_waitcnt lgkmcnt(0)
	v_xor_b32_e32 v12, 0x80000000, v4
	s_delay_alu instid0(VALU_DEP_1) | instskip(SKIP_1) | instid1(VALU_DEP_1)
	v_and_b32_e32 v13, v12, v23
	v_and_b32_e32 v12, v3, v22
	v_cmp_eq_u64_e64 s7, v[12:13], v[24:25]
	v_mov_b32_e32 v12, 0
	s_delay_alu instid0(VALU_DEP_2) | instskip(SKIP_1) | instid1(SALU_CYCLE_1)
	s_cmp_lg_u32 s7, 0
	s_cselect_b32 s8, -1, 0
	s_and_b32 s8, s2, s8
	s_delay_alu instid0(SALU_CYCLE_1)
	s_and_saveexec_b32 s12, s8
	s_cbranch_execz .LBB162_32
; %bb.29:                               ;   in Loop: Header=BB162_26 Depth=2
	s_mov_b32 s15, exec_lo
	s_bcnt1_i32_b32 s13, s7
	v_mbcnt_lo_u32_b32 v12, s15, 0
	s_mov_b32 s14, exec_lo
                                        ; implicit-def: $vgpr13
	s_delay_alu instid0(VALU_DEP_1)
	v_cmpx_eq_u32_e32 0, v12
	s_cbranch_execz .LBB162_31
; %bb.30:                               ;   in Loop: Header=BB162_26 Depth=2
	s_bcnt1_i32_b32 s8, s15
	s_delay_alu instid0(SALU_CYCLE_1) | instskip(NEXT) | instid1(SALU_CYCLE_1)
	s_mul_i32 s8, s13, s8
	v_mov_b32_e32 v13, s8
	ds_add_rtn_u32 v13, v19, v13 offset:5144
.LBB162_31:                             ;   in Loop: Header=BB162_26 Depth=2
	s_or_b32 exec_lo, exec_lo, s14
	s_waitcnt lgkmcnt(0)
	v_readfirstlane_b32 s8, v13
	s_delay_alu instid0(VALU_DEP_1)
	v_mad_u32_u24 v12, s13, v12, s8
.LBB162_32:                             ;   in Loop: Header=BB162_26 Depth=2
	s_or_b32 exec_lo, exec_lo, s12
	ds_bpermute_b32 v12, v19, v12
	s_and_b32 s8, exec_lo, vcc_lo
	s_delay_alu instid0(SALU_CYCLE_1)
	s_or_b32 s11, s8, s11
	s_and_saveexec_b32 s8, s7
	s_cbranch_execz .LBB162_25
; %bb.33:                               ;   in Loop: Header=BB162_26 Depth=2
	v_and_b32_e32 v13, s7, v34
	s_delay_alu instid0(VALU_DEP_1) | instskip(NEXT) | instid1(VALU_DEP_1)
	v_bcnt_u32_b32 v13, v13, 0
	v_lshlrev_b32_e32 v13, 3, v13
	s_waitcnt lgkmcnt(0)
	s_delay_alu instid0(VALU_DEP_1)
	v_lshl_add_u32 v12, v12, 3, v13
	ds_store_b64 v12, v[3:4]
	s_branch .LBB162_25
.LBB162_34:                             ;   in Loop: Header=BB162_18 Depth=1
	s_mov_b32 s7, 0
                                        ; implicit-def: $sgpr74_sgpr75
	s_cbranch_execnz .LBB162_39
	s_branch .LBB162_49
.LBB162_35:                             ;   in Loop: Header=BB162_18 Depth=1
	s_mov_b64 s[74:75], 0
	s_and_b32 vcc_lo, exec_lo, s9
	s_cbranch_vccnz .LBB162_39
	s_branch .LBB162_49
.LBB162_36:                             ;   in Loop: Header=BB162_18 Depth=1
	s_or_b32 exec_lo, exec_lo, s10
	s_waitcnt vmcnt(0) lgkmcnt(0)
	s_barrier
	buffer_gl0_inv
	s_and_saveexec_b32 s7, s5
	s_cbranch_execz .LBB162_38
; %bb.37:                               ;   in Loop: Header=BB162_18 Depth=1
	ds_load_b32 v3, v19 offset:5144
	s_waitcnt lgkmcnt(0)
	v_ashrrev_i32_e32 v4, 31, v3
	ds_store_b64 v19, v[3:4] offset:5120
.LBB162_38:                             ;   in Loop: Header=BB162_18 Depth=1
	s_or_b32 exec_lo, exec_lo, s7
	s_waitcnt lgkmcnt(0)
	s_mov_b32 s7, -1
	s_barrier
	s_mov_b64 s[74:75], 0
	s_and_b32 vcc_lo, exec_lo, s9
	s_cbranch_vccz .LBB162_49
.LBB162_39:                             ;   in Loop: Header=BB162_18 Depth=1
	v_mov_b32_e32 v3, 0
	v_mov_b32_e32 v4, 0
	s_and_saveexec_b32 s7, s4
	s_cbranch_execz .LBB162_41
; %bb.40:                               ;   in Loop: Header=BB162_18 Depth=1
	global_load_b64 v[3:4], v[16:17], off
.LBB162_41:                             ;   in Loop: Header=BB162_18 Depth=1
	s_or_b32 exec_lo, exec_lo, s7
	s_and_saveexec_b32 s8, s4
	s_cbranch_execz .LBB162_46
; %bb.42:                               ;   in Loop: Header=BB162_18 Depth=1
	global_load_u16 v5, v19, s[72:73]
	v_mov_b32_e32 v9, v1
	s_mov_b32 s9, 0
	v_mov_b32_e32 v12, v37
	s_waitcnt vmcnt(0)
	v_dual_mov_b32 v8, v0 :: v_dual_and_b32 v5, 0xffff, v5
	s_delay_alu instid0(VALU_DEP_1)
	v_lshlrev_b32_e32 v13, 3, v5
	s_set_inst_prefetch_distance 0x1
	s_branch .LBB162_44
	.p2align	6
.LBB162_43:                             ;   in Loop: Header=BB162_44 Depth=2
	s_or_b32 exec_lo, exec_lo, s10
	ds_store_b64 v12, v[3:4]
	s_waitcnt vmcnt(0)
	v_dual_mov_b32 v3, v10 :: v_dual_add_nc_u32 v12, v12, v13
	v_mov_b32_e32 v4, v11
	s_and_b32 s7, exec_lo, vcc_lo
	s_delay_alu instid0(SALU_CYCLE_1) | instskip(NEXT) | instid1(SALU_CYCLE_1)
	s_or_b32 s9, s7, s9
	s_and_not1_b32 exec_lo, exec_lo, s9
	s_cbranch_execz .LBB162_46
.LBB162_44:                             ;   Parent Loop BB162_18 Depth=1
                                        ; =>  This Inner Loop Header: Depth=2
	s_delay_alu instid0(VALU_DEP_2) | instskip(SKIP_4) | instid1(VALU_DEP_3)
	v_add_co_u32 v8, vcc_lo, v8, v5
	v_add_co_ci_u32_e32 v9, vcc_lo, 0, v9, vcc_lo
	v_mov_b32_e32 v10, 0
	v_mov_b32_e32 v11, 0
	s_mov_b32 s10, exec_lo
	v_cmp_le_u64_e32 vcc_lo, s[36:37], v[8:9]
	v_cmpx_gt_u64_e64 s[36:37], v[8:9]
	s_cbranch_execz .LBB162_43
; %bb.45:                               ;   in Loop: Header=BB162_44 Depth=2
	v_mul_lo_u32 v14, v9, s30
	v_mul_lo_u32 v15, v8, s31
	v_mad_u64_u32 v[10:11], null, v8, s30, 0
	s_delay_alu instid0(VALU_DEP_1) | instskip(NEXT) | instid1(VALU_DEP_1)
	v_add3_u32 v11, v11, v15, v14
	v_lshlrev_b64 v[10:11], 3, v[10:11]
	s_delay_alu instid0(VALU_DEP_1) | instskip(NEXT) | instid1(VALU_DEP_1)
	v_add_co_u32 v10, s7, s29, v10
	v_add_co_ci_u32_e64 v11, s7, s33, v11, s7
	global_load_b64 v[10:11], v[10:11], off
	s_branch .LBB162_43
.LBB162_46:                             ;   in Loop: Header=BB162_18 Depth=1
	s_set_inst_prefetch_distance 0x2
	s_or_b32 exec_lo, exec_lo, s8
	s_waitcnt vmcnt(0) lgkmcnt(0)
	s_barrier
	buffer_gl0_inv
	s_and_saveexec_b32 s7, s5
	s_cbranch_execz .LBB162_48
; %bb.47:                               ;   in Loop: Header=BB162_18 Depth=1
	v_dual_mov_b32 v3, s36 :: v_dual_mov_b32 v4, s37
	ds_store_b64 v19, v[3:4] offset:5120
.LBB162_48:                             ;   in Loop: Header=BB162_18 Depth=1
	s_or_b32 exec_lo, exec_lo, s7
	s_mov_b32 s7, -1
	s_waitcnt lgkmcnt(0)
	s_barrier
                                        ; implicit-def: $sgpr74_sgpr75
.LBB162_49:                             ;   in Loop: Header=BB162_18 Depth=1
	s_and_b32 vcc_lo, exec_lo, s7
	s_cbranch_vccz .LBB162_51
; %bb.50:                               ;   in Loop: Header=BB162_18 Depth=1
	buffer_gl0_inv
	ds_load_b64 v[3:4], v19 offset:5120
	s_waitcnt lgkmcnt(0)
	v_readfirstlane_b32 s74, v3
.LBB162_51:                             ;   in Loop: Header=BB162_18 Depth=1
	s_delay_alu instid0(VALU_DEP_1)
	s_cmp_lt_i32 s74, 1
	s_cbranch_scc0 .LBB162_66
; %bb.52:                               ;   in Loop: Header=BB162_18 Depth=1
	global_load_u16 v5, v19, s[72:73]
	s_mov_b32 s8, s71
	s_mov_b32 s9, s37
	s_waitcnt vmcnt(0)
	v_readfirstlane_b32 s7, v5
	s_delay_alu instid0(VALU_DEP_1) | instskip(NEXT) | instid1(SALU_CYCLE_1)
	s_and_b32 s7, 0xffff, s7
	s_lshl_b32 s26, s7, 2
	s_cmp_lg_u64 s[8:9], 0
	s_cbranch_scc0 .LBB162_86
; %bb.53:                               ;   in Loop: Header=BB162_18 Depth=1
	v_cvt_f32_u32_e32 v3, s26
	s_sub_u32 s9, 0, s26
	s_subb_u32 s10, 0, 0
	s_delay_alu instid0(VALU_DEP_1) | instskip(NEXT) | instid1(VALU_DEP_1)
	v_fmac_f32_e64 v3, 0, 0x4f800000
	v_rcp_f32_e32 v3, v3
	s_waitcnt_depctr 0xfff
	v_mul_f32_e32 v3, 0x5f7ffffc, v3
	s_delay_alu instid0(VALU_DEP_1) | instskip(NEXT) | instid1(VALU_DEP_1)
	v_mul_f32_e32 v4, 0x2f800000, v3
	v_trunc_f32_e32 v4, v4
	s_delay_alu instid0(VALU_DEP_1) | instskip(SKIP_1) | instid1(VALU_DEP_2)
	v_fmac_f32_e32 v3, 0xcf800000, v4
	v_cvt_u32_f32_e32 v4, v4
	v_cvt_u32_f32_e32 v3, v3
	s_delay_alu instid0(VALU_DEP_2) | instskip(NEXT) | instid1(VALU_DEP_2)
	v_readfirstlane_b32 s7, v4
	v_readfirstlane_b32 s8, v3
	s_delay_alu instid0(VALU_DEP_2) | instskip(NEXT) | instid1(VALU_DEP_1)
	s_mul_i32 s11, s9, s7
	s_mul_hi_u32 s13, s9, s8
	s_mul_i32 s12, s10, s8
	s_add_i32 s11, s13, s11
	s_mul_i32 s14, s9, s8
	s_add_i32 s11, s11, s12
	s_mul_hi_u32 s13, s8, s14
	s_mul_hi_u32 s15, s7, s14
	s_mul_i32 s12, s7, s14
	s_mul_hi_u32 s14, s8, s11
	s_mul_i32 s8, s8, s11
	s_mul_hi_u32 s16, s7, s11
	s_add_u32 s8, s13, s8
	s_addc_u32 s13, 0, s14
	s_add_u32 s8, s8, s12
	s_mul_i32 s11, s7, s11
	s_addc_u32 s8, s13, s15
	s_addc_u32 s12, s16, 0
	s_add_u32 s8, s8, s11
	s_addc_u32 s11, 0, s12
	v_add_co_u32 v3, s8, v3, s8
	s_delay_alu instid0(VALU_DEP_1) | instskip(SKIP_1) | instid1(VALU_DEP_1)
	s_cmp_lg_u32 s8, 0
	s_addc_u32 s7, s7, s11
	v_readfirstlane_b32 s8, v3
	s_mul_i32 s11, s9, s7
	s_delay_alu instid0(VALU_DEP_1)
	s_mul_hi_u32 s12, s9, s8
	s_mul_i32 s10, s10, s8
	s_add_i32 s11, s12, s11
	s_mul_i32 s9, s9, s8
	s_add_i32 s11, s11, s10
	s_mul_hi_u32 s12, s7, s9
	s_mul_i32 s13, s7, s9
	s_mul_hi_u32 s9, s8, s9
	s_mul_hi_u32 s14, s8, s11
	s_mul_i32 s8, s8, s11
	s_mul_hi_u32 s10, s7, s11
	s_add_u32 s8, s9, s8
	s_addc_u32 s9, 0, s14
	s_add_u32 s8, s8, s13
	s_mul_i32 s11, s7, s11
	s_addc_u32 s8, s9, s12
	s_addc_u32 s9, s10, 0
	s_add_u32 s8, s8, s11
	s_addc_u32 s9, 0, s9
	v_add_co_u32 v3, s8, v3, s8
	s_delay_alu instid0(VALU_DEP_1) | instskip(SKIP_1) | instid1(VALU_DEP_1)
	s_cmp_lg_u32 s8, 0
	s_addc_u32 s7, s7, s9
	v_readfirstlane_b32 s8, v3
	s_mul_i32 s10, s36, s7
	s_mul_hi_u32 s9, s36, s7
	s_mul_hi_u32 s11, s37, s7
	s_mul_i32 s7, s37, s7
	s_mul_hi_u32 s12, s36, s8
	s_mul_hi_u32 s13, s37, s8
	s_mul_i32 s8, s37, s8
	s_add_u32 s10, s12, s10
	s_addc_u32 s9, 0, s9
	s_add_u32 s8, s10, s8
	s_addc_u32 s8, s9, s13
	s_addc_u32 s9, s11, 0
	s_add_u32 s7, s8, s7
	s_addc_u32 s8, 0, s9
	s_mul_hi_u32 s9, s26, s7
	s_mul_i32 s7, s26, s7
	s_mul_i32 s8, s26, s8
	v_sub_co_u32 v3, s7, s36, s7
	s_add_i32 s9, s9, s8
	s_cmp_lg_u32 s7, 0
	s_delay_alu instid0(VALU_DEP_1) | instskip(SKIP_2) | instid1(VALU_DEP_1)
	v_sub_co_u32 v4, s7, v3, s26
	s_subb_u32 s8, s37, s9
	s_cmp_lg_u32 s7, 0
	v_cmp_le_u32_e32 vcc_lo, s26, v4
	v_sub_co_u32 v8, s7, v4, s26
	s_subb_u32 s9, s8, 0
	s_cmp_lg_u32 s7, 0
	v_cndmask_b32_e64 v9, 0, -1, vcc_lo
	s_subb_u32 s7, s9, 0
	s_cmp_eq_u32 s9, 0
	v_mov_b32_e32 v11, s7
	s_cselect_b32 vcc_lo, -1, 0
	s_cmp_eq_u32 s8, 0
	v_cndmask_b32_e32 v9, -1, v9, vcc_lo
	v_cmp_le_u32_e32 vcc_lo, s26, v3
	s_cselect_b32 s7, -1, 0
	v_cndmask_b32_e64 v10, 0, -1, vcc_lo
	s_delay_alu instid0(VALU_DEP_3) | instskip(NEXT) | instid1(VALU_DEP_2)
	v_cmp_ne_u32_e32 vcc_lo, 0, v9
	v_cndmask_b32_e64 v9, -1, v10, s7
	v_cndmask_b32_e32 v10, s9, v11, vcc_lo
	v_cndmask_b32_e32 v8, v4, v8, vcc_lo
	s_delay_alu instid0(VALU_DEP_3) | instskip(NEXT) | instid1(VALU_DEP_3)
	v_cmp_ne_u32_e32 vcc_lo, 0, v9
	v_cndmask_b32_e32 v4, s8, v10, vcc_lo
	s_delay_alu instid0(VALU_DEP_3)
	v_cndmask_b32_e32 v3, v3, v8, vcc_lo
	s_cbranch_execnz .LBB162_55
.LBB162_54:                             ;   in Loop: Header=BB162_18 Depth=1
	v_cvt_f32_u32_e32 v3, s26
	s_sub_i32 s7, 0, s26
	s_delay_alu instid0(VALU_DEP_1) | instskip(SKIP_2) | instid1(VALU_DEP_1)
	v_rcp_iflag_f32_e32 v3, v3
	s_waitcnt_depctr 0xfff
	v_mul_f32_e32 v3, 0x4f7ffffe, v3
	v_cvt_u32_f32_e32 v3, v3
	s_delay_alu instid0(VALU_DEP_1) | instskip(NEXT) | instid1(VALU_DEP_1)
	v_mul_lo_u32 v4, s7, v3
	v_mul_hi_u32 v4, v3, v4
	s_delay_alu instid0(VALU_DEP_1) | instskip(NEXT) | instid1(VALU_DEP_1)
	v_add_nc_u32_e32 v3, v3, v4
	v_mul_hi_u32 v3, s36, v3
	s_delay_alu instid0(VALU_DEP_1) | instskip(NEXT) | instid1(VALU_DEP_1)
	v_mul_lo_u32 v3, v3, s26
	v_sub_nc_u32_e32 v3, s36, v3
	s_delay_alu instid0(VALU_DEP_1) | instskip(SKIP_1) | instid1(VALU_DEP_2)
	v_subrev_nc_u32_e32 v4, s26, v3
	v_cmp_le_u32_e32 vcc_lo, s26, v3
	v_cndmask_b32_e32 v3, v3, v4, vcc_lo
	s_delay_alu instid0(VALU_DEP_1) | instskip(SKIP_1) | instid1(VALU_DEP_2)
	v_subrev_nc_u32_e32 v4, s26, v3
	v_cmp_le_u32_e32 vcc_lo, s26, v3
	v_cndmask_b32_e32 v18, v3, v4, vcc_lo
	s_delay_alu instid0(VALU_DEP_1)
	v_dual_mov_b32 v3, v18 :: v_dual_mov_b32 v4, v19
.LBB162_55:                             ;   in Loop: Header=BB162_18 Depth=1
	v_mov_b32_e32 v8, 0
	v_mov_b32_e32 v9, 0
	s_delay_alu instid0(VALU_DEP_3) | instskip(NEXT) | instid1(VALU_DEP_4)
	v_sub_co_u32 v3, vcc_lo, s36, v3
	v_sub_co_ci_u32_e32 v4, vcc_lo, s37, v4, vcc_lo
	s_delay_alu instid0(VALU_DEP_3)
	v_dual_mov_b32 v11, v9 :: v_dual_mov_b32 v10, v8
	v_dual_mov_b32 v13, v9 :: v_dual_mov_b32 v12, v8
	;; [unrolled: 1-line block ×3, first 2 shown]
	s_mov_b64 s[76:77], 0
	s_mov_b32 s58, exec_lo
	v_cmpx_gt_u64_e64 v[3:4], v[20:21]
	s_cbranch_execz .LBB162_59
; %bb.56:                               ;   in Loop: Header=BB162_18 Depth=1
	v_dual_mov_b32 v29, v21 :: v_dual_mov_b32 v28, v20
	s_and_b32 s59, s101, 0xfe
	s_mov_b32 s64, 0
	s_mov_b64 s[78:79], 0
	s_mov_b64 s[80:81], 0
	;; [unrolled: 1-line block ×3, first 2 shown]
.LBB162_57:                             ;   Parent Loop BB162_18 Depth=1
                                        ; =>  This Inner Loop Header: Depth=2
	v_mul_lo_u32 v10, v29, s30
	v_mul_lo_u32 v11, v28, s31
	v_mad_u64_u32 v[8:9], null, v28, s30, 0
	s_lshl_b64 s[8:9], s[30:31], 3
	v_add_co_u32 v28, s18, v28, s26
	s_delay_alu instid0(VALU_DEP_1) | instskip(NEXT) | instid1(VALU_DEP_3)
	v_add_co_ci_u32_e64 v29, s18, 0, v29, s18
	v_add3_u32 v9, v9, v11, v10
	s_delay_alu instid0(VALU_DEP_2) | instskip(NEXT) | instid1(VALU_DEP_2)
	v_cmp_ge_u64_e64 s18, v[28:29], v[3:4]
	v_lshlrev_b64 v[8:9], 3, v[8:9]
	s_delay_alu instid0(VALU_DEP_1) | instskip(NEXT) | instid1(VALU_DEP_2)
	v_add_co_u32 v8, vcc_lo, s29, v8
	v_add_co_ci_u32_e32 v9, vcc_lo, s33, v9, vcc_lo
	s_delay_alu instid0(VALU_DEP_2) | instskip(NEXT) | instid1(VALU_DEP_2)
	v_add_co_u32 v10, vcc_lo, v8, s8
	v_add_co_ci_u32_e32 v11, vcc_lo, s9, v9, vcc_lo
	global_load_b64 v[8:9], v[8:9], off
	s_waitcnt vmcnt(0)
	v_xor_b32_e32 v9, 0x80000000, v9
	v_and_b32_e32 v12, v8, v22
	s_delay_alu instid0(VALU_DEP_2) | instskip(SKIP_1) | instid1(VALU_DEP_2)
	v_and_b32_e32 v13, v9, v23
	v_lshrrev_b64 v[8:9], s59, v[8:9]
	v_cmp_eq_u64_e32 vcc_lo, v[12:13], v[24:25]
	s_delay_alu instid0(VALU_DEP_2) | instskip(SKIP_1) | instid1(VALU_DEP_1)
	v_and_b32_e32 v18, 3, v8
	v_add_co_u32 v8, s7, v10, s8
	v_add_co_ci_u32_e64 v9, s7, s9, v11, s7
	global_load_b64 v[10:11], v[10:11], off
	s_waitcnt vmcnt(0)
	v_xor_b32_e32 v11, 0x80000000, v11
	v_and_b32_e32 v12, v10, v22
	s_delay_alu instid0(VALU_DEP_2) | instskip(SKIP_2) | instid1(VALU_DEP_3)
	v_and_b32_e32 v13, v11, v23
	v_lshrrev_b64 v[10:11], s59, v[10:11]
	v_mov_b32_e32 v11, v19
	v_cmp_eq_u64_e64 s7, v[12:13], v[24:25]
	v_add_co_u32 v12, s8, v8, s8
	s_delay_alu instid0(VALU_DEP_1) | instskip(SKIP_2) | instid1(VALU_DEP_1)
	v_add_co_ci_u32_e64 v13, s8, s9, v9, s8
	global_load_b64 v[8:9], v[8:9], off
	v_and_b32_e32 v10, 3, v10
	v_cmp_eq_u64_e64 s9, 0, v[10:11]
	v_cmp_eq_u64_e64 s10, 1, v[10:11]
	;; [unrolled: 1-line block ×4, first 2 shown]
	global_load_b64 v[10:11], v[12:13], off
	s_waitcnt vmcnt(1)
	v_xor_b32_e32 v9, 0x80000000, v9
	v_and_b32_e32 v14, v8, v22
	s_delay_alu instid0(VALU_DEP_2)
	v_and_b32_e32 v15, v9, v23
	v_lshrrev_b64 v[8:9], s59, v[8:9]
	v_mov_b32_e32 v9, v19
	v_cmp_eq_u64_e64 s19, 0, v[18:19]
	v_cmp_eq_u64_e64 s20, 1, v[18:19]
	s_waitcnt vmcnt(0)
	v_xor_b32_e32 v11, 0x80000000, v11
	v_and_b32_e32 v12, v10, v22
	v_and_b32_e32 v8, 3, v8
	v_cmp_eq_u64_e64 s8, v[14:15], v[24:25]
	s_and_b32 s19, vcc_lo, s19
	v_and_b32_e32 v13, v11, v23
	v_cmp_eq_u64_e64 s21, 2, v[18:19]
	v_cmp_eq_u64_e64 s14, 0, v[8:9]
	;; [unrolled: 1-line block ×5, first 2 shown]
	v_lshrrev_b64 v[8:9], s59, v[10:11]
	v_mov_b32_e32 v9, v19
	v_cndmask_b32_e64 v10, 0, 1, s19
	s_and_b32 s19, s7, s9
	v_cmp_eq_u64_e64 s13, v[12:13], v[24:25]
	s_and_b32 s48, s8, s14
	v_and_b32_e32 v8, 3, v8
	v_cmp_ne_u32_e64 s9, 0, v10
	v_cndmask_b32_e64 v10, 0, 1, s19
	v_cmp_eq_u64_e64 s22, 3, v[18:19]
	s_delay_alu instid0(VALU_DEP_4)
	v_cmp_eq_u64_e64 s19, 0, v[8:9]
	v_cmp_eq_u64_e64 s23, 1, v[8:9]
	;; [unrolled: 1-line block ×4, first 2 shown]
	v_cmp_ne_u32_e64 s14, 0, v10
	v_cndmask_b32_e64 v8, 0, 1, s48
	s_bcnt1_i32_b32 s48, s9
	s_and_b32 s9, s13, s19
	s_delay_alu instid0(SALU_CYCLE_1) | instskip(SKIP_3) | instid1(VALU_DEP_2)
	v_cndmask_b32_e64 v9, 0, 1, s9
	s_bcnt1_i32_b32 s14, s14
	v_cmp_ne_u32_e64 s9, 0, v8
	s_add_i32 s19, s14, s48
	v_cmp_ne_u32_e64 s14, 0, v9
	s_delay_alu instid0(VALU_DEP_2) | instskip(NEXT) | instid1(SALU_CYCLE_1)
	s_bcnt1_i32_b32 s9, s9
	s_add_i32 s9, s19, s9
	s_delay_alu instid0(VALU_DEP_1) | instskip(NEXT) | instid1(SALU_CYCLE_1)
	s_bcnt1_i32_b32 s14, s14
	s_add_i32 s9, s9, s14
	s_delay_alu instid0(SALU_CYCLE_1)
	s_add_u32 s82, s82, s9
	s_addc_u32 s83, s83, 0
	s_and_b32 s9, vcc_lo, s20
	s_and_b32 s10, s7, s10
	v_cndmask_b32_e64 v8, 0, 1, s9
	s_and_b32 s14, s8, s15
	v_cndmask_b32_e64 v9, 0, 1, s10
	;; [unrolled: 2-line block ×3, first 2 shown]
	v_cmp_ne_u32_e64 s9, 0, v8
	v_cndmask_b32_e64 v8, 0, 1, s15
	v_cmp_ne_u32_e64 s10, 0, v9
	s_delay_alu instid0(VALU_DEP_4) | instskip(NEXT) | instid1(VALU_DEP_4)
	v_cmp_ne_u32_e64 s14, 0, v10
	s_bcnt1_i32_b32 s9, s9
	s_delay_alu instid0(VALU_DEP_3) | instskip(NEXT) | instid1(VALU_DEP_3)
	v_cmp_ne_u32_e64 s15, 0, v8
	s_bcnt1_i32_b32 s10, s10
	s_delay_alu instid0(VALU_DEP_2) | instskip(SKIP_1) | instid1(VALU_DEP_1)
	s_bcnt1_i32_b32 s14, s14
	s_add_i32 s9, s10, s9
	s_bcnt1_i32_b32 s15, s15
	s_add_i32 s9, s9, s14
	s_delay_alu instid0(SALU_CYCLE_1) | instskip(NEXT) | instid1(SALU_CYCLE_1)
	s_add_i32 s9, s9, s15
	s_add_u32 s80, s80, s9
	s_addc_u32 s81, s81, 0
	s_and_b32 s9, vcc_lo, s21
	s_and_b32 s10, s7, s11
	v_cndmask_b32_e64 v8, 0, 1, s9
	s_and_b32 s11, s8, s16
	v_cndmask_b32_e64 v9, 0, 1, s10
	;; [unrolled: 2-line block ×3, first 2 shown]
	v_cmp_ne_u32_e64 s9, 0, v8
	v_cndmask_b32_e64 v8, 0, 1, s14
	v_cmp_ne_u32_e64 s10, 0, v9
	s_delay_alu instid0(VALU_DEP_4) | instskip(NEXT) | instid1(VALU_DEP_4)
	v_cmp_ne_u32_e64 s11, 0, v10
	s_bcnt1_i32_b32 s9, s9
	s_delay_alu instid0(VALU_DEP_3) | instskip(NEXT) | instid1(VALU_DEP_3)
	v_cmp_ne_u32_e64 s14, 0, v8
	s_bcnt1_i32_b32 s10, s10
	s_delay_alu instid0(VALU_DEP_2) | instskip(SKIP_1) | instid1(VALU_DEP_1)
	s_bcnt1_i32_b32 s11, s11
	s_add_i32 s9, s10, s9
	s_bcnt1_i32_b32 s14, s14
	s_add_i32 s9, s9, s11
	s_delay_alu instid0(SALU_CYCLE_1) | instskip(NEXT) | instid1(SALU_CYCLE_1)
	s_add_i32 s9, s9, s14
	s_add_u32 s78, s78, s9
	s_addc_u32 s79, s79, 0
	s_and_b32 s9, vcc_lo, s22
	s_and_b32 s7, s7, s12
	v_cndmask_b32_e64 v8, 0, 1, s9
	s_and_b32 s8, s8, s17
	v_cndmask_b32_e64 v9, 0, 1, s7
	;; [unrolled: 2-line block ×3, first 2 shown]
	v_cmp_ne_u32_e32 vcc_lo, 0, v8
	v_cndmask_b32_e64 v8, 0, 1, s10
	v_cmp_ne_u32_e64 s7, 0, v9
	v_mov_b32_e32 v12, s78
	v_cmp_ne_u32_e64 s8, 0, v10
	s_bcnt1_i32_b32 s10, vcc_lo
	v_cmp_ne_u32_e64 s9, 0, v8
	s_bcnt1_i32_b32 s7, s7
	v_mov_b32_e32 v8, s82
	s_bcnt1_i32_b32 s8, s8
	s_add_i32 s7, s7, s10
	s_bcnt1_i32_b32 s9, s9
	s_add_i32 s7, s7, s8
	v_mov_b32_e32 v10, s80
	s_add_i32 s7, s7, s9
	v_mov_b32_e32 v9, s83
	s_add_u32 s76, s76, s7
	s_addc_u32 s77, s77, 0
	v_dual_mov_b32 v14, s76 :: v_dual_mov_b32 v11, s81
	v_mov_b32_e32 v13, s79
	v_mov_b32_e32 v15, s77
	s_or_b32 s64, s18, s64
	s_delay_alu instid0(SALU_CYCLE_1)
	s_and_not1_b32 exec_lo, exec_lo, s64
	s_cbranch_execnz .LBB162_57
; %bb.58:                               ;   in Loop: Header=BB162_18 Depth=1
	s_or_b32 exec_lo, exec_lo, s64
.LBB162_59:                             ;   in Loop: Header=BB162_18 Depth=1
	s_delay_alu instid0(SALU_CYCLE_1) | instskip(SKIP_4) | instid1(VALU_DEP_3)
	s_or_b32 exec_lo, exec_lo, s58
	v_add_co_u32 v3, vcc_lo, v3, v0
	v_add_co_ci_u32_e32 v4, vcc_lo, 0, v4, vcc_lo
	v_dual_mov_b32 v30, 0 :: v_dual_and_b32 v5, 0xffff, v5
	v_mov_b32_e32 v31, 0
	v_cmp_gt_u64_e32 vcc_lo, s[36:37], v[3:4]
	s_and_saveexec_b32 s8, vcc_lo
	s_cbranch_execz .LBB162_61
; %bb.60:                               ;   in Loop: Header=BB162_18 Depth=1
	v_mul_lo_u32 v18, v4, s30
	v_mul_lo_u32 v30, v3, s31
	v_mad_u64_u32 v[28:29], null, v3, s30, 0
	s_delay_alu instid0(VALU_DEP_1) | instskip(NEXT) | instid1(VALU_DEP_1)
	v_add3_u32 v29, v29, v30, v18
	v_lshlrev_b64 v[28:29], 3, v[28:29]
	s_delay_alu instid0(VALU_DEP_1) | instskip(NEXT) | instid1(VALU_DEP_1)
	v_add_co_u32 v28, s7, s29, v28
	v_add_co_ci_u32_e64 v29, s7, s33, v29, s7
	global_load_b64 v[30:31], v[28:29], off
.LBB162_61:                             ;   in Loop: Header=BB162_18 Depth=1
	s_or_b32 exec_lo, exec_lo, s8
	s_and_saveexec_b32 s11, vcc_lo
	s_cbranch_execz .LBB162_68
; %bb.62:                               ;   in Loop: Header=BB162_18 Depth=1
	s_and_b32 s12, s101, 0xfe
	s_mov_b32 s13, 0
	s_branch .LBB162_64
.LBB162_63:                             ;   in Loop: Header=BB162_64 Depth=2
	s_or_b32 exec_lo, exec_lo, s8
	s_waitcnt vmcnt(0)
	v_xor_b32_e32 v31, 0x80000000, v31
	s_and_b32 s9, exec_lo, vcc_lo
	s_delay_alu instid0(SALU_CYCLE_1) | instskip(NEXT) | instid1(VALU_DEP_1)
	s_or_b32 s13, s9, s13
	v_lshrrev_b64 v[32:33], s12, v[30:31]
	v_and_b32_e32 v30, v30, v22
	v_and_b32_e32 v31, v31, v23
	s_delay_alu instid0(VALU_DEP_3) | instskip(NEXT) | instid1(VALU_DEP_2)
	v_and_b32_e32 v18, 3, v32
	v_cmp_eq_u64_e64 s7, v[30:31], v[24:25]
	s_delay_alu instid0(VALU_DEP_2) | instskip(SKIP_3) | instid1(VALU_DEP_4)
	v_cmp_eq_u64_e64 s8, 0, v[18:19]
	v_cmp_eq_u64_e32 vcc_lo, 1, v[18:19]
	v_cmp_eq_u64_e64 s9, 2, v[18:19]
	v_cmp_eq_u64_e64 s10, 3, v[18:19]
	s_and_b32 s8, s7, s8
	s_delay_alu instid0(SALU_CYCLE_1) | instskip(SKIP_1) | instid1(SALU_CYCLE_1)
	v_cndmask_b32_e64 v18, 0, 1, s8
	s_and_b32 s8, s7, vcc_lo
	v_cndmask_b32_e64 v30, 0, 1, s8
	s_and_b32 s8, s7, s9
	s_delay_alu instid0(VALU_DEP_2) | instskip(SKIP_2) | instid1(SALU_CYCLE_1)
	v_cmp_ne_u32_e32 vcc_lo, 0, v18
	v_cndmask_b32_e64 v31, 0, 1, s8
	s_and_b32 s7, s7, s10
	v_cndmask_b32_e64 v32, 0, 1, s7
	v_cmp_ne_u32_e64 s7, 0, v30
	s_bcnt1_i32_b32 s10, vcc_lo
	v_cmp_ne_u32_e64 s8, 0, v31
	v_mov_b32_e32 v31, v29
	v_add_co_u32 v8, vcc_lo, v8, s10
	s_bcnt1_i32_b32 s7, s7
	v_cmp_ne_u32_e64 s9, 0, v32
	v_add_co_ci_u32_e32 v9, vcc_lo, 0, v9, vcc_lo
	v_add_co_u32 v10, vcc_lo, v10, s7
	s_bcnt1_i32_b32 s8, s8
	v_add_co_ci_u32_e32 v11, vcc_lo, 0, v11, vcc_lo
	v_add_co_u32 v12, vcc_lo, v12, s8
	s_bcnt1_i32_b32 s7, s9
	v_add_co_ci_u32_e32 v13, vcc_lo, 0, v13, vcc_lo
	v_add_co_u32 v14, vcc_lo, v14, s7
	v_add_co_ci_u32_e32 v15, vcc_lo, 0, v15, vcc_lo
	v_mov_b32_e32 v30, v28
	s_and_not1_b32 exec_lo, exec_lo, s13
	s_cbranch_execz .LBB162_67
.LBB162_64:                             ;   Parent Loop BB162_18 Depth=1
                                        ; =>  This Inner Loop Header: Depth=2
	v_add_co_u32 v3, vcc_lo, v3, v5
	v_add_co_ci_u32_e32 v4, vcc_lo, 0, v4, vcc_lo
	v_mov_b32_e32 v28, 0
	v_mov_b32_e32 v29, 0
	s_mov_b32 s8, exec_lo
	s_delay_alu instid0(VALU_DEP_3)
	v_cmp_le_u64_e32 vcc_lo, s[36:37], v[3:4]
	v_cmpx_gt_u64_e64 s[36:37], v[3:4]
	s_cbranch_execz .LBB162_63
; %bb.65:                               ;   in Loop: Header=BB162_64 Depth=2
	v_mul_lo_u32 v18, v4, s30
	v_mul_lo_u32 v32, v3, s31
	v_mad_u64_u32 v[28:29], null, v3, s30, 0
	s_delay_alu instid0(VALU_DEP_1) | instskip(NEXT) | instid1(VALU_DEP_1)
	v_add3_u32 v29, v29, v32, v18
	v_lshlrev_b64 v[28:29], 3, v[28:29]
	s_delay_alu instid0(VALU_DEP_1) | instskip(NEXT) | instid1(VALU_DEP_1)
	v_add_co_u32 v28, s7, s29, v28
	v_add_co_ci_u32_e64 v29, s7, s33, v29, s7
	global_load_b64 v[28:29], v[28:29], off
	s_branch .LBB162_63
.LBB162_66:                             ;   in Loop: Header=BB162_18 Depth=1
                                        ; implicit-def: $vgpr14_vgpr15
                                        ; implicit-def: $vgpr10_vgpr11
	s_cbranch_execnz .LBB162_69
	s_branch .LBB162_78
.LBB162_67:                             ;   in Loop: Header=BB162_18 Depth=1
	s_or_b32 exec_lo, exec_lo, s13
.LBB162_68:                             ;   in Loop: Header=BB162_18 Depth=1
	s_delay_alu instid0(SALU_CYCLE_1)
	s_or_b32 exec_lo, exec_lo, s11
	s_branch .LBB162_78
.LBB162_69:                             ;   in Loop: Header=BB162_18 Depth=1
	global_load_u16 v3, v19, s[72:73]
	v_mov_b32_e32 v8, 0
	s_mov_b64 s[76:77], 0
	s_mov_b32 s59, exec_lo
	v_mov_b32_e32 v9, 0
	s_delay_alu instid0(VALU_DEP_1)
	v_dual_mov_b32 v11, v9 :: v_dual_mov_b32 v10, v8
	v_dual_mov_b32 v13, v9 :: v_dual_mov_b32 v12, v8
	;; [unrolled: 1-line block ×3, first 2 shown]
	s_waitcnt vmcnt(0)
	v_readfirstlane_b32 s7, v3
	v_and_b32_e32 v5, 0xffff, v3
	s_delay_alu instid0(VALU_DEP_2) | instskip(NEXT) | instid1(SALU_CYCLE_1)
	s_and_b32 s7, 0xffff, s7
	s_lshl_b32 s58, s7, 2
	s_delay_alu instid0(SALU_CYCLE_1) | instskip(SKIP_1) | instid1(VALU_DEP_1)
	v_cvt_f32_u32_e32 v4, s58
	s_sub_i32 s8, 0, s58
	v_rcp_iflag_f32_e32 v4, v4
	s_waitcnt_depctr 0xfff
	v_mul_f32_e32 v4, 0x4f7ffffe, v4
	s_delay_alu instid0(VALU_DEP_1) | instskip(NEXT) | instid1(VALU_DEP_1)
	v_cvt_u32_f32_e32 v4, v4
	v_readfirstlane_b32 s7, v4
	s_delay_alu instid0(VALU_DEP_1) | instskip(NEXT) | instid1(SALU_CYCLE_1)
	s_mul_i32 s8, s8, s7
	s_mul_hi_u32 s8, s7, s8
	s_delay_alu instid0(SALU_CYCLE_1) | instskip(NEXT) | instid1(SALU_CYCLE_1)
	s_add_i32 s7, s7, s8
	s_mul_hi_u32 s7, s74, s7
	s_delay_alu instid0(SALU_CYCLE_1) | instskip(NEXT) | instid1(SALU_CYCLE_1)
	s_mul_i32 s7, s7, s58
	s_sub_i32 s7, s74, s7
	s_delay_alu instid0(SALU_CYCLE_1) | instskip(SKIP_2) | instid1(SALU_CYCLE_1)
	s_sub_i32 s8, s7, s58
	s_cmp_ge_u32 s7, s58
	s_cselect_b32 s7, s8, s7
	s_sub_i32 s8, s7, s58
	s_cmp_ge_u32 s7, s58
	s_cselect_b32 s7, s8, s7
	s_delay_alu instid0(SALU_CYCLE_1) | instskip(NEXT) | instid1(SALU_CYCLE_1)
	s_sub_i32 s70, s74, s7
	v_cmpx_gt_u32_e64 s70, v20
	s_cbranch_execz .LBB162_73
; %bb.70:                               ;   in Loop: Header=BB162_18 Depth=1
	v_dual_mov_b32 v29, v39 :: v_dual_lshlrev_b32 v28, 5, v5
	v_dual_mov_b32 v3, v20 :: v_dual_mov_b32 v4, v21
	s_and_b32 s64, s101, 0xfe
	s_mov_b32 s65, 0
	s_mov_b64 s[78:79], 0
	s_mov_b64 s[80:81], 0
	;; [unrolled: 1-line block ×3, first 2 shown]
.LBB162_71:                             ;   Parent Loop BB162_18 Depth=1
                                        ; =>  This Inner Loop Header: Depth=2
	ds_load_b128 v[8:11], v29
	v_add_co_u32 v3, s18, v3, s58
	s_delay_alu instid0(VALU_DEP_1) | instskip(NEXT) | instid1(VALU_DEP_1)
	v_add_co_ci_u32_e64 v4, s18, 0, v4, s18
	v_cmp_le_u64_e64 s18, s[70:71], v[3:4]
	s_waitcnt lgkmcnt(0)
	v_xor_b32_e32 v9, 0x80000000, v9
	v_xor_b32_e32 v11, 0x80000000, v11
	v_and_b32_e32 v12, v8, v22
	v_and_b32_e32 v14, v10, v22
	s_delay_alu instid0(VALU_DEP_4)
	v_lshrrev_b64 v[30:31], s64, v[8:9]
	v_and_b32_e32 v13, v9, v23
	v_and_b32_e32 v15, v11, v23
	v_lshrrev_b64 v[31:32], s64, v[10:11]
	ds_load_b128 v[8:11], v29 offset:16
	v_add_nc_u32_e32 v29, v29, v28
	v_and_b32_e32 v18, 3, v30
	s_delay_alu instid0(VALU_DEP_1)
	v_cmp_eq_u64_e64 s19, 0, v[18:19]
	v_cmp_eq_u64_e64 s21, 1, v[18:19]
	v_cmp_eq_u64_e64 s23, 2, v[18:19]
	s_waitcnt lgkmcnt(0)
	v_xor_b32_e32 v9, 0x80000000, v9
	v_xor_b32_e32 v11, 0x80000000, v11
	v_and_b32_e32 v32, v8, v22
	v_and_b32_e32 v41, v10, v22
	s_delay_alu instid0(VALU_DEP_4)
	v_and_b32_e32 v33, v9, v23
	v_lshrrev_b64 v[8:9], s64, v[8:9]
	v_lshrrev_b64 v[9:10], s64, v[10:11]
	v_and_b32_e32 v42, v11, v23
	v_dual_mov_b32 v11, v19 :: v_dual_and_b32 v10, 3, v31
	v_cmp_eq_u64_e32 vcc_lo, v[12:13], v[24:25]
	v_cmp_eq_u64_e64 s8, v[32:33], v[24:25]
	s_delay_alu instid0(VALU_DEP_4) | instskip(NEXT) | instid1(VALU_DEP_4)
	v_cmp_eq_u64_e64 s9, v[41:42], v[24:25]
	v_cmp_eq_u64_e64 s10, 0, v[10:11]
	;; [unrolled: 1-line block ×5, first 2 shown]
	v_and_b32_e32 v10, 3, v8
	v_dual_mov_b32 v9, v19 :: v_dual_and_b32 v8, 3, v9
	v_cmp_eq_u64_e64 s7, v[14:15], v[24:25]
	s_and_b32 s19, vcc_lo, s19
	s_delay_alu instid0(VALU_DEP_3)
	v_cmp_eq_u64_e64 s14, 0, v[10:11]
	v_cmp_eq_u64_e64 s15, 1, v[10:11]
	;; [unrolled: 1-line block ×4, first 2 shown]
	s_and_b32 s10, s7, s10
	v_cmp_eq_u64_e64 s24, 2, v[8:9]
	v_cmp_eq_u64_e64 s26, 3, v[8:9]
	v_cndmask_b32_e64 v8, 0, 1, s19
	s_and_b32 s14, s8, s14
	v_cndmask_b32_e64 v9, 0, 1, s10
	v_cmp_eq_u64_e64 s16, 2, v[10:11]
	v_cmp_eq_u64_e64 s17, 3, v[10:11]
	s_and_b32 s20, s9, s20
	v_cndmask_b32_e64 v10, 0, 1, s14
	v_cmp_ne_u32_e64 s10, 0, v8
	v_cndmask_b32_e64 v8, 0, 1, s20
	v_cmp_ne_u32_e64 s14, 0, v9
	s_delay_alu instid0(VALU_DEP_4) | instskip(NEXT) | instid1(VALU_DEP_4)
	v_cmp_ne_u32_e64 s19, 0, v10
	s_bcnt1_i32_b32 s10, s10
	s_delay_alu instid0(VALU_DEP_3) | instskip(NEXT) | instid1(VALU_DEP_3)
	v_cmp_ne_u32_e64 s20, 0, v8
	s_bcnt1_i32_b32 s14, s14
	s_delay_alu instid0(VALU_DEP_2) | instskip(SKIP_1) | instid1(VALU_DEP_1)
	s_bcnt1_i32_b32 s19, s19
	s_add_i32 s10, s14, s10
	s_bcnt1_i32_b32 s20, s20
	s_add_i32 s10, s10, s19
	s_delay_alu instid0(SALU_CYCLE_1) | instskip(NEXT) | instid1(SALU_CYCLE_1)
	s_add_i32 s10, s10, s20
	s_add_u32 s82, s82, s10
	s_addc_u32 s83, s83, 0
	s_and_b32 s10, vcc_lo, s21
	s_and_b32 s11, s7, s11
	v_cndmask_b32_e64 v8, 0, 1, s10
	s_and_b32 s14, s8, s15
	v_cndmask_b32_e64 v9, 0, 1, s11
	;; [unrolled: 2-line block ×3, first 2 shown]
	v_cmp_ne_u32_e64 s10, 0, v8
	v_cndmask_b32_e64 v8, 0, 1, s15
	v_cmp_ne_u32_e64 s11, 0, v9
	s_delay_alu instid0(VALU_DEP_4) | instskip(NEXT) | instid1(VALU_DEP_4)
	v_cmp_ne_u32_e64 s14, 0, v10
	s_bcnt1_i32_b32 s10, s10
	s_delay_alu instid0(VALU_DEP_3) | instskip(NEXT) | instid1(VALU_DEP_3)
	v_cmp_ne_u32_e64 s15, 0, v8
	s_bcnt1_i32_b32 s11, s11
	s_delay_alu instid0(VALU_DEP_2) | instskip(SKIP_1) | instid1(VALU_DEP_1)
	s_bcnt1_i32_b32 s14, s14
	s_add_i32 s10, s11, s10
	s_bcnt1_i32_b32 s15, s15
	s_add_i32 s10, s10, s14
	s_delay_alu instid0(SALU_CYCLE_1) | instskip(NEXT) | instid1(SALU_CYCLE_1)
	s_add_i32 s10, s10, s15
	s_add_u32 s80, s80, s10
	s_addc_u32 s81, s81, 0
	s_and_b32 s10, vcc_lo, s23
	s_and_b32 s11, s7, s12
	v_cndmask_b32_e64 v8, 0, 1, s10
	s_and_b32 s12, s8, s16
	v_cndmask_b32_e64 v9, 0, 1, s11
	;; [unrolled: 2-line block ×3, first 2 shown]
	v_cmp_ne_u32_e64 s10, 0, v8
	v_cndmask_b32_e64 v8, 0, 1, s14
	v_cmp_ne_u32_e64 s11, 0, v9
	s_delay_alu instid0(VALU_DEP_4) | instskip(NEXT) | instid1(VALU_DEP_4)
	v_cmp_ne_u32_e64 s12, 0, v10
	s_bcnt1_i32_b32 s10, s10
	s_delay_alu instid0(VALU_DEP_3) | instskip(NEXT) | instid1(VALU_DEP_3)
	v_cmp_ne_u32_e64 s14, 0, v8
	s_bcnt1_i32_b32 s11, s11
	s_delay_alu instid0(VALU_DEP_2) | instskip(SKIP_1) | instid1(VALU_DEP_1)
	s_bcnt1_i32_b32 s12, s12
	s_add_i32 s10, s11, s10
	s_bcnt1_i32_b32 s14, s14
	s_add_i32 s10, s10, s12
	s_delay_alu instid0(SALU_CYCLE_1) | instskip(NEXT) | instid1(SALU_CYCLE_1)
	s_add_i32 s10, s10, s14
	s_add_u32 s78, s78, s10
	s_addc_u32 s79, s79, 0
	s_delay_alu instid0(SALU_CYCLE_1)
	v_dual_mov_b32 v12, s78 :: v_dual_mov_b32 v13, s79
	v_cmp_eq_u64_e64 s25, 3, v[18:19]
	s_and_b32 s7, s7, s13
	s_and_b32 s8, s8, s17
	v_cndmask_b32_e64 v9, 0, 1, s7
	s_and_b32 s9, s9, s26
	v_cndmask_b32_e64 v10, 0, 1, s8
	s_and_b32 s10, vcc_lo, s25
	s_delay_alu instid0(SALU_CYCLE_1) | instskip(SKIP_1) | instid1(VALU_DEP_3)
	v_cndmask_b32_e64 v8, 0, 1, s10
	v_cmp_ne_u32_e64 s7, 0, v9
	v_cmp_ne_u32_e64 s8, 0, v10
	v_dual_mov_b32 v10, s80 :: v_dual_mov_b32 v11, s81
	s_delay_alu instid0(VALU_DEP_4) | instskip(SKIP_4) | instid1(VALU_DEP_1)
	v_cmp_ne_u32_e32 vcc_lo, 0, v8
	v_cndmask_b32_e64 v8, 0, 1, s9
	s_bcnt1_i32_b32 s7, s7
	s_bcnt1_i32_b32 s8, s8
	s_bcnt1_i32_b32 s10, vcc_lo
	v_cmp_ne_u32_e64 s9, 0, v8
	s_add_i32 s7, s7, s10
	v_mov_b32_e32 v8, s82
	s_add_i32 s7, s7, s8
	v_mov_b32_e32 v9, s83
	s_bcnt1_i32_b32 s9, s9
	s_delay_alu instid0(SALU_CYCLE_1) | instskip(NEXT) | instid1(SALU_CYCLE_1)
	s_add_i32 s7, s7, s9
	s_add_u32 s76, s76, s7
	s_addc_u32 s77, s77, 0
	s_delay_alu instid0(SALU_CYCLE_1) | instskip(SKIP_1) | instid1(SALU_CYCLE_1)
	v_dual_mov_b32 v14, s76 :: v_dual_mov_b32 v15, s77
	s_or_b32 s65, s18, s65
	s_and_not1_b32 exec_lo, exec_lo, s65
	s_cbranch_execnz .LBB162_71
; %bb.72:                               ;   in Loop: Header=BB162_18 Depth=1
	s_or_b32 exec_lo, exec_lo, s65
.LBB162_73:                             ;   in Loop: Header=BB162_18 Depth=1
	s_delay_alu instid0(SALU_CYCLE_1) | instskip(SKIP_2) | instid1(VALU_DEP_1)
	s_or_b32 exec_lo, exec_lo, s59
	v_add_nc_u32_e32 v18, s70, v0
	s_mov_b32 s14, exec_lo
	v_cmpx_gt_u32_e64 s74, v18
	s_cbranch_execz .LBB162_77
; %bb.74:                               ;   in Loop: Header=BB162_18 Depth=1
	v_dual_mov_b32 v3, v18 :: v_dual_lshlrev_b32 v28, 3, v18
	v_dual_mov_b32 v4, v19 :: v_dual_lshlrev_b32 v29, 3, v5
	s_mov_b32 s13, 0
	s_and_b32 s12, s74, 0x7fffffff
	s_and_b32 s16, s101, 0xfe
	s_mov_b32 s15, s13
.LBB162_75:                             ;   Parent Loop BB162_18 Depth=1
                                        ; =>  This Inner Loop Header: Depth=2
	ds_load_b64 v[30:31], v28
	v_add_co_u32 v3, vcc_lo, v3, v5
	v_add_co_ci_u32_e32 v4, vcc_lo, 0, v4, vcc_lo
	v_add_nc_u32_e32 v28, v28, v29
	s_delay_alu instid0(VALU_DEP_2) | instskip(SKIP_3) | instid1(VALU_DEP_2)
	v_cmp_le_u64_e32 vcc_lo, s[12:13], v[3:4]
	s_waitcnt lgkmcnt(0)
	v_xor_b32_e32 v31, 0x80000000, v31
	v_and_b32_e32 v32, v30, v22
	v_and_b32_e32 v33, v31, v23
	v_lshrrev_b64 v[30:31], s16, v[30:31]
	s_delay_alu instid0(VALU_DEP_2) | instskip(NEXT) | instid1(VALU_DEP_2)
	v_cmp_eq_u64_e64 s7, v[32:33], v[24:25]
	v_and_b32_e32 v18, 3, v30
	s_delay_alu instid0(VALU_DEP_1) | instskip(SKIP_3) | instid1(VALU_DEP_4)
	v_cmp_eq_u64_e64 s8, 0, v[18:19]
	v_cmp_eq_u64_e64 s9, 1, v[18:19]
	;; [unrolled: 1-line block ×4, first 2 shown]
	s_and_b32 s8, s7, s8
	s_delay_alu instid0(SALU_CYCLE_1) | instskip(NEXT) | instid1(VALU_DEP_4)
	v_cndmask_b32_e64 v18, 0, 1, s8
	s_and_b32 s8, s7, s9
	s_delay_alu instid0(SALU_CYCLE_1)
	v_cndmask_b32_e64 v30, 0, 1, s8
	s_and_b32 s8, s7, s10
	s_and_b32 s7, s7, s11
	v_cndmask_b32_e64 v31, 0, 1, s8
	v_cndmask_b32_e64 v32, 0, 1, s7
	v_cmp_ne_u32_e64 s7, 0, v18
	v_cmp_ne_u32_e64 s8, 0, v30
	s_delay_alu instid0(VALU_DEP_4) | instskip(NEXT) | instid1(VALU_DEP_4)
	v_cmp_ne_u32_e64 s9, 0, v31
	v_cmp_ne_u32_e64 s10, 0, v32
	s_delay_alu instid0(VALU_DEP_4) | instskip(NEXT) | instid1(VALU_DEP_3)
	s_bcnt1_i32_b32 s7, s7
	s_bcnt1_i32_b32 s8, s8
	v_add_co_u32 v8, s7, v8, s7
	s_delay_alu instid0(VALU_DEP_1)
	v_add_co_ci_u32_e64 v9, s7, 0, v9, s7
	v_add_co_u32 v10, s7, v10, s8
	s_bcnt1_i32_b32 s9, s9
	v_add_co_ci_u32_e64 v11, s7, 0, v11, s7
	v_add_co_u32 v12, s7, v12, s9
	s_bcnt1_i32_b32 s10, s10
	v_add_co_ci_u32_e64 v13, s7, 0, v13, s7
	v_add_co_u32 v14, s7, v14, s10
	s_delay_alu instid0(VALU_DEP_1) | instskip(SKIP_1) | instid1(SALU_CYCLE_1)
	v_add_co_ci_u32_e64 v15, s7, 0, v15, s7
	s_or_b32 s15, vcc_lo, s15
	s_and_not1_b32 exec_lo, exec_lo, s15
	s_cbranch_execnz .LBB162_75
; %bb.76:                               ;   in Loop: Header=BB162_18 Depth=1
	s_or_b32 exec_lo, exec_lo, s15
.LBB162_77:                             ;   in Loop: Header=BB162_18 Depth=1
	s_delay_alu instid0(SALU_CYCLE_1)
	s_or_b32 exec_lo, exec_lo, s14
.LBB162_78:                             ;   in Loop: Header=BB162_18 Depth=1
	s_lshl_b32 s7, s97, 7
	s_and_saveexec_b32 s8, s2
	s_cbranch_execz .LBB162_80
; %bb.79:                               ;   in Loop: Header=BB162_18 Depth=1
	v_or_b32_e32 v3, s7, v36
	s_delay_alu instid0(VALU_DEP_1)
	v_lshlrev_b32_e32 v3, 3, v3
	ds_store_b128 v3, v[8:11] offset:3072
	ds_store_b128 v3, v[12:15] offset:3088
.LBB162_80:                             ;   in Loop: Header=BB162_18 Depth=1
	s_or_b32 exec_lo, exec_lo, s8
	s_waitcnt vmcnt(0) lgkmcnt(0)
	s_barrier
	buffer_gl0_inv
	s_and_saveexec_b32 s8, s84
	s_cbranch_execz .LBB162_91
; %bb.81:                               ;   in Loop: Header=BB162_18 Depth=1
	v_mov_b32_e32 v3, 0
	v_mov_b32_e32 v4, 0
	s_and_not1_b32 vcc_lo, exec_lo, s92
	s_cbranch_vccnz .LBB162_90
; %bb.82:                               ;   in Loop: Header=BB162_18 Depth=1
	v_mov_b32_e32 v3, 0
	v_mov_b32_e32 v4, 0
	s_and_not1_b32 vcc_lo, exec_lo, s90
	s_cbranch_vccnz .LBB162_87
; %bb.83:                               ;   in Loop: Header=BB162_18 Depth=1
	v_lshl_add_u32 v5, s97, 10, v40
	s_mov_b32 s9, 0
	s_set_inst_prefetch_distance 0x1
	.p2align	6
.LBB162_84:                             ;   Parent Loop BB162_18 Depth=1
                                        ; =>  This Inner Loop Header: Depth=2
	ds_load_2addr_b64 v[8:11], v5 offset1:4
	ds_load_2addr_b64 v[12:15], v5 offset0:8 offset1:12
	ds_load_2addr_b64 v[28:31], v5 offset0:16 offset1:20
	s_add_i32 s9, s9, 8
	s_delay_alu instid0(SALU_CYCLE_1) | instskip(SKIP_3) | instid1(VALU_DEP_2)
	s_cmp_eq_u32 s91, s9
	s_waitcnt lgkmcnt(2)
	v_add_co_u32 v3, vcc_lo, v8, v3
	v_add_co_ci_u32_e32 v4, vcc_lo, v9, v4, vcc_lo
	v_add_co_u32 v3, vcc_lo, v10, v3
	s_delay_alu instid0(VALU_DEP_2)
	v_add_co_ci_u32_e32 v4, vcc_lo, v11, v4, vcc_lo
	ds_load_2addr_b64 v[8:11], v5 offset0:24 offset1:28
	s_waitcnt lgkmcnt(2)
	v_add_co_u32 v3, vcc_lo, v12, v3
	v_add_co_ci_u32_e32 v4, vcc_lo, v13, v4, vcc_lo
	v_add_nc_u32_e32 v5, 0x100, v5
	s_delay_alu instid0(VALU_DEP_3) | instskip(NEXT) | instid1(VALU_DEP_3)
	v_add_co_u32 v3, vcc_lo, v14, v3
	v_add_co_ci_u32_e32 v4, vcc_lo, v15, v4, vcc_lo
	s_waitcnt lgkmcnt(1)
	s_delay_alu instid0(VALU_DEP_2) | instskip(NEXT) | instid1(VALU_DEP_2)
	v_add_co_u32 v3, vcc_lo, v28, v3
	v_add_co_ci_u32_e32 v4, vcc_lo, v29, v4, vcc_lo
	s_delay_alu instid0(VALU_DEP_2) | instskip(NEXT) | instid1(VALU_DEP_2)
	v_add_co_u32 v3, vcc_lo, v30, v3
	v_add_co_ci_u32_e32 v4, vcc_lo, v31, v4, vcc_lo
	s_waitcnt lgkmcnt(0)
	s_delay_alu instid0(VALU_DEP_2) | instskip(NEXT) | instid1(VALU_DEP_2)
	v_add_co_u32 v3, vcc_lo, v8, v3
	v_add_co_ci_u32_e32 v4, vcc_lo, v9, v4, vcc_lo
	s_delay_alu instid0(VALU_DEP_2) | instskip(NEXT) | instid1(VALU_DEP_2)
	v_add_co_u32 v3, vcc_lo, v10, v3
	v_add_co_ci_u32_e32 v4, vcc_lo, v11, v4, vcc_lo
	s_cbranch_scc0 .LBB162_84
; %bb.85:                               ;   in Loop: Header=BB162_18 Depth=1
	s_set_inst_prefetch_distance 0x2
	s_mov_b32 s9, s91
	s_and_not1_b32 vcc_lo, exec_lo, s93
	s_cbranch_vccz .LBB162_88
	s_branch .LBB162_90
.LBB162_86:                             ;   in Loop: Header=BB162_18 Depth=1
                                        ; implicit-def: $vgpr3_vgpr4
	s_branch .LBB162_54
.LBB162_87:                             ;   in Loop: Header=BB162_18 Depth=1
	s_mov_b32 s9, 0
	s_and_not1_b32 vcc_lo, exec_lo, s93
	s_cbranch_vccnz .LBB162_90
.LBB162_88:                             ;   in Loop: Header=BB162_18 Depth=1
	s_lshl_b32 s10, s97, 10
	s_lshl_b32 s9, s9, 5
	s_delay_alu instid0(SALU_CYCLE_1)
	v_add3_u32 v5, s10, s9, v40
	s_mov_b32 s9, s89
.LBB162_89:                             ;   Parent Loop BB162_18 Depth=1
                                        ; =>  This Inner Loop Header: Depth=2
	ds_load_b64 v[8:9], v5
	v_add_nc_u32_e32 v5, 32, v5
	s_add_i32 s9, s9, -1
	s_delay_alu instid0(SALU_CYCLE_1)
	s_cmp_lg_u32 s9, 0
	s_waitcnt lgkmcnt(0)
	v_add_co_u32 v3, vcc_lo, v8, v3
	v_add_co_ci_u32_e32 v4, vcc_lo, v9, v4, vcc_lo
	s_cbranch_scc1 .LBB162_89
.LBB162_90:                             ;   in Loop: Header=BB162_18 Depth=1
	v_add_lshl_u32 v5, s7, v35, 3
	ds_store_b64 v5, v[3:4] offset:3072
.LBB162_91:                             ;   in Loop: Header=BB162_18 Depth=1
	s_or_b32 exec_lo, exec_lo, s8
	s_lshl_b32 s7, s7, 3
	s_waitcnt lgkmcnt(0)
	v_mov_b32_e32 v3, s7
	s_barrier
	buffer_gl0_inv
	s_and_b32 s24, s101, 0xfe
	v_cmp_eq_u64_e64 s7, 1, v[26:27]
	ds_load_b128 v[8:11], v3 offset:3072
	ds_load_b128 v[12:15], v3 offset:3088
	s_lshl_b64 s[12:13], 3, s24
	s_mov_b32 s74, 0
	s_and_not1_b32 vcc_lo, exec_lo, s61
	s_not_b64 s[14:15], s[12:13]
	s_waitcnt lgkmcnt(1)
	v_readfirstlane_b32 s11, v9
	v_readfirstlane_b32 s10, v8
	;; [unrolled: 1-line block ×4, first 2 shown]
	s_waitcnt lgkmcnt(0)
	v_readfirstlane_b32 s19, v13
	v_readfirstlane_b32 s18, v12
	;; [unrolled: 1-line block ×4, first 2 shown]
	s_cbranch_vccnz .LBB162_107
; %bb.92:                               ;   in Loop: Header=BB162_18 Depth=1
	s_cmp_eq_u64 s[10:11], 1
	v_dual_mov_b32 v12, v24 :: v_dual_mov_b32 v13, v25
	v_dual_mov_b32 v14, v22 :: v_dual_mov_b32 v15, v23
	;; [unrolled: 1-line block ×3, first 2 shown]
	s_cselect_b32 s8, -1, 0
                                        ; implicit-def: $sgpr25
                                        ; implicit-def: $sgpr76
                                        ; implicit-def: $sgpr75
	s_delay_alu instid0(SALU_CYCLE_1)
	s_and_b32 s58, s8, s7
	s_mov_b32 s8, -1
	s_and_saveexec_b32 s59, s58
	s_cbranch_execz .LBB162_126
; %bb.93:                               ;   in Loop: Header=BB162_18 Depth=1
	ds_load_b64 v[3:4], v19 offset:5120
	s_waitcnt lgkmcnt(0)
	s_barrier
	buffer_gl0_inv
	v_readfirstlane_b32 s22, v3
	v_readfirstlane_b32 s23, v4
	s_and_saveexec_b32 s8, s6
	s_cbranch_execz .LBB162_95
; %bb.94:                               ;   in Loop: Header=BB162_18 Depth=1
	v_mov_b32_e32 v18, v19
	ds_store_b64 v38, v[18:19]
.LBB162_95:                             ;   in Loop: Header=BB162_18 Depth=1
	s_or_b32 exec_lo, exec_lo, s8
	v_and_b32_e32 v13, s15, v25
	v_and_b32_e32 v12, s14, v24
	v_or_b32_e32 v15, s13, v23
	v_or_b32_e32 v14, s12, v22
	s_cmp_eq_u64 s[22:23], 0
	s_waitcnt lgkmcnt(0)
	s_barrier
	buffer_gl0_inv
	s_cbranch_scc1 .LBB162_109
; %bb.96:                               ;   in Loop: Header=BB162_18 Depth=1
	s_add_u32 s25, s86, s22
	s_addc_u32 s9, s87, s23
	s_mov_b32 s8, s71
	s_delay_alu instid0(SALU_CYCLE_1)
	s_cmp_lg_u64 s[8:9], 0
	s_cbranch_scc0 .LBB162_153
; %bb.97:                               ;   in Loop: Header=BB162_18 Depth=1
	v_cvt_f32_u32_e32 v3, s35
	s_sub_u32 s48, 0, s35
	s_subb_u32 s49, 0, 0
	s_delay_alu instid0(VALU_DEP_1) | instskip(NEXT) | instid1(VALU_DEP_1)
	v_fmac_f32_e64 v3, 0, 0x4f800000
	v_rcp_f32_e32 v3, v3
	s_waitcnt_depctr 0xfff
	v_mul_f32_e32 v3, 0x5f7ffffc, v3
	s_delay_alu instid0(VALU_DEP_1) | instskip(NEXT) | instid1(VALU_DEP_1)
	v_mul_f32_e32 v4, 0x2f800000, v3
	v_trunc_f32_e32 v4, v4
	s_delay_alu instid0(VALU_DEP_1) | instskip(SKIP_1) | instid1(VALU_DEP_2)
	v_fmac_f32_e32 v3, 0xcf800000, v4
	v_cvt_u32_f32_e32 v4, v4
	v_cvt_u32_f32_e32 v3, v3
	s_delay_alu instid0(VALU_DEP_2) | instskip(NEXT) | instid1(VALU_DEP_2)
	v_readfirstlane_b32 s8, v4
	v_readfirstlane_b32 s26, v3
	s_delay_alu instid0(VALU_DEP_2) | instskip(NEXT) | instid1(VALU_DEP_1)
	s_mul_i32 s50, s48, s8
	s_mul_hi_u32 s52, s48, s26
	s_mul_i32 s51, s49, s26
	s_add_i32 s50, s52, s50
	s_mul_i32 s53, s48, s26
	s_add_i32 s50, s50, s51
	s_mul_hi_u32 s52, s26, s53
	s_mul_hi_u32 s54, s8, s53
	s_mul_i32 s51, s8, s53
	s_mul_hi_u32 s53, s26, s50
	s_mul_i32 s26, s26, s50
	s_mul_hi_u32 s55, s8, s50
	s_add_u32 s26, s52, s26
	s_addc_u32 s52, 0, s53
	s_add_u32 s26, s26, s51
	s_mul_i32 s50, s8, s50
	s_addc_u32 s26, s52, s54
	s_addc_u32 s51, s55, 0
	s_add_u32 s26, s26, s50
	s_addc_u32 s50, 0, s51
	v_add_co_u32 v3, s26, v3, s26
	s_delay_alu instid0(VALU_DEP_1) | instskip(SKIP_1) | instid1(VALU_DEP_1)
	s_cmp_lg_u32 s26, 0
	s_addc_u32 s8, s8, s50
	v_readfirstlane_b32 s26, v3
	s_mul_i32 s50, s48, s8
	s_delay_alu instid0(VALU_DEP_1)
	s_mul_hi_u32 s51, s48, s26
	s_mul_i32 s49, s49, s26
	s_add_i32 s50, s51, s50
	s_mul_i32 s48, s48, s26
	s_add_i32 s50, s50, s49
	s_mul_hi_u32 s51, s8, s48
	s_mul_i32 s52, s8, s48
	s_mul_hi_u32 s48, s26, s48
	s_mul_hi_u32 s53, s26, s50
	s_mul_i32 s26, s26, s50
	s_mul_hi_u32 s49, s8, s50
	s_add_u32 s26, s48, s26
	s_addc_u32 s48, 0, s53
	s_add_u32 s26, s26, s52
	s_mul_i32 s50, s8, s50
	s_addc_u32 s26, s48, s51
	s_addc_u32 s48, s49, 0
	s_add_u32 s26, s26, s50
	s_addc_u32 s48, 0, s48
	v_add_co_u32 v3, s26, v3, s26
	s_delay_alu instid0(VALU_DEP_1) | instskip(SKIP_1) | instid1(VALU_DEP_1)
	s_cmp_lg_u32 s26, 0
	s_addc_u32 s8, s8, s48
	v_readfirstlane_b32 s26, v3
	s_mul_i32 s49, s25, s8
	s_mul_hi_u32 s48, s25, s8
	s_mul_hi_u32 s50, s9, s8
	s_mul_i32 s8, s9, s8
	s_mul_hi_u32 s51, s25, s26
	s_mul_hi_u32 s52, s9, s26
	s_mul_i32 s26, s9, s26
	s_add_u32 s49, s51, s49
	s_addc_u32 s48, 0, s48
	s_add_u32 s26, s49, s26
	s_addc_u32 s26, s48, s52
	s_addc_u32 s48, s50, 0
	s_add_u32 s8, s26, s8
	s_addc_u32 s26, 0, s48
	s_mul_hi_u32 s48, s35, s8
	s_mul_i32 s8, s35, s8
	s_mul_i32 s26, s35, s26
	v_sub_co_u32 v3, s8, s25, s8
	s_add_i32 s48, s48, s26
	s_cmp_lg_u32 s8, 0
	s_delay_alu instid0(VALU_DEP_1) | instskip(SKIP_3) | instid1(VALU_DEP_2)
	v_sub_co_u32 v4, s8, v3, s35
	s_subb_u32 s26, s9, s48
	s_cmp_lg_u32 s8, 0
	v_cmp_le_u32_e32 vcc_lo, s35, v3
	v_cmp_le_u32_e64 s8, s35, v4
	v_sub_co_u32 v5, s48, v4, s35
	s_subb_u32 s49, s26, 0
	s_cmp_lg_u32 s48, 0
	s_delay_alu instid0(VALU_DEP_2)
	v_cndmask_b32_e64 v8, 0, -1, s8
	s_subb_u32 s48, s49, 0
	s_cmp_eq_u32 s49, 0
	v_mov_b32_e32 v10, s48
	v_cndmask_b32_e64 v9, 0, -1, vcc_lo
	s_cselect_b32 vcc_lo, -1, 0
	s_cmp_eq_u32 s26, 0
	v_cndmask_b32_e32 v8, -1, v8, vcc_lo
	s_cselect_b32 vcc_lo, -1, 0
	v_cndmask_b32_e32 v9, -1, v9, vcc_lo
	s_delay_alu instid0(VALU_DEP_2) | instskip(NEXT) | instid1(VALU_DEP_2)
	v_cmp_ne_u32_e32 vcc_lo, 0, v8
	v_cmp_ne_u32_e64 s8, 0, v9
	v_cndmask_b32_e32 v8, s49, v10, vcc_lo
	v_cndmask_b32_e32 v5, v4, v5, vcc_lo
	s_delay_alu instid0(VALU_DEP_2) | instskip(NEXT) | instid1(VALU_DEP_2)
	v_cndmask_b32_e64 v4, s26, v8, s8
	v_cndmask_b32_e64 v3, v3, v5, s8
	s_cbranch_execnz .LBB162_99
.LBB162_98:                             ;   in Loop: Header=BB162_18 Depth=1
	v_cvt_f32_u32_e32 v3, s35
	s_sub_i32 s8, 0, s35
	s_delay_alu instid0(VALU_DEP_1) | instskip(SKIP_2) | instid1(VALU_DEP_1)
	v_rcp_iflag_f32_e32 v3, v3
	s_waitcnt_depctr 0xfff
	v_mul_f32_e32 v3, 0x4f7ffffe, v3
	v_cvt_u32_f32_e32 v3, v3
	s_delay_alu instid0(VALU_DEP_1) | instskip(NEXT) | instid1(VALU_DEP_1)
	v_mul_lo_u32 v4, s8, v3
	v_mul_hi_u32 v4, v3, v4
	s_delay_alu instid0(VALU_DEP_1) | instskip(NEXT) | instid1(VALU_DEP_1)
	v_add_nc_u32_e32 v3, v3, v4
	v_mul_hi_u32 v3, s25, v3
	s_delay_alu instid0(VALU_DEP_1) | instskip(NEXT) | instid1(VALU_DEP_1)
	v_mul_lo_u32 v3, v3, s35
	v_sub_nc_u32_e32 v3, s25, v3
	s_delay_alu instid0(VALU_DEP_1) | instskip(SKIP_1) | instid1(VALU_DEP_2)
	v_subrev_nc_u32_e32 v4, s35, v3
	v_cmp_le_u32_e32 vcc_lo, s35, v3
	v_cndmask_b32_e32 v3, v3, v4, vcc_lo
	s_delay_alu instid0(VALU_DEP_1) | instskip(SKIP_1) | instid1(VALU_DEP_2)
	v_subrev_nc_u32_e32 v4, s35, v3
	v_cmp_le_u32_e32 vcc_lo, s35, v3
	v_cndmask_b32_e32 v18, v3, v4, vcc_lo
	s_delay_alu instid0(VALU_DEP_1)
	v_dual_mov_b32 v3, v18 :: v_dual_mov_b32 v4, v19
.LBB162_99:                             ;   in Loop: Header=BB162_18 Depth=1
	s_delay_alu instid0(VALU_DEP_1) | instskip(NEXT) | instid1(VALU_DEP_2)
	v_sub_co_u32 v28, vcc_lo, s25, v3
	v_sub_co_ci_u32_e32 v29, vcc_lo, s9, v4, vcc_lo
	s_mov_b32 s26, 0
	s_mov_b32 s8, exec_lo
                                        ; implicit-def: $vgpr10_vgpr11
	s_delay_alu instid0(VALU_DEP_1)
	v_cmpx_gt_u64_e64 v[28:29], v[0:1]
	s_cbranch_execz .LBB162_111
; %bb.100:                              ;   in Loop: Header=BB162_18 Depth=1
	v_mov_b32_e32 v18, v37
	v_dual_mov_b32 v31, v1 :: v_dual_mov_b32 v30, v0
	s_mov_b32 s25, 0
                                        ; implicit-def: $sgpr9
	s_set_inst_prefetch_distance 0x1
	s_branch .LBB162_102
	.p2align	6
.LBB162_101:                            ;   in Loop: Header=BB162_102 Depth=2
	s_or_b32 exec_lo, exec_lo, s26
	s_waitcnt lgkmcnt(0)
	s_barrier
	buffer_gl0_inv
	ds_load_b128 v[8:11], v19 offset:3072
	v_add_co_u32 v30, vcc_lo, v30, s35
	v_add_co_ci_u32_e32 v31, vcc_lo, 0, v31, vcc_lo
	v_add_nc_u32_e32 v18, s94, v18
	s_waitcnt lgkmcnt(0)
	s_barrier
	s_delay_alu instid0(VALU_DEP_2) | instskip(SKIP_3) | instid1(VALU_DEP_1)
	v_cmp_ge_u64_e32 vcc_lo, v[30:31], v[28:29]
	buffer_gl0_inv
	v_readfirstlane_b32 s49, v9
	v_readfirstlane_b32 s48, v8
	s_cmp_lg_u64 s[48:49], 0
	s_cselect_b32 s26, -1, 0
	s_delay_alu instid0(SALU_CYCLE_1) | instskip(NEXT) | instid1(SALU_CYCLE_1)
	s_or_b32 s48, vcc_lo, s26
	s_and_b32 s48, exec_lo, s48
	s_delay_alu instid0(SALU_CYCLE_1) | instskip(SKIP_2) | instid1(SALU_CYCLE_1)
	s_or_b32 s25, s48, s25
	s_and_not1_b32 s9, s9, exec_lo
	s_and_b32 s26, s26, exec_lo
	s_or_b32 s9, s9, s26
	s_and_not1_b32 exec_lo, exec_lo, s25
	s_cbranch_execz .LBB162_110
.LBB162_102:                            ;   Parent Loop BB162_18 Depth=1
                                        ; =>  This Inner Loop Header: Depth=2
	s_delay_alu instid0(VALU_DEP_1)
	v_cmp_gt_u64_e32 vcc_lo, s[22:23], v[30:31]
	v_mov_b32_e32 v4, 0
	v_mov_b32_e32 v5, 0
	s_and_saveexec_b32 s26, vcc_lo
	s_cbranch_execz .LBB162_104
; %bb.103:                              ;   in Loop: Header=BB162_102 Depth=2
	ds_load_b64 v[4:5], v18
.LBB162_104:                            ;   in Loop: Header=BB162_102 Depth=2
	s_or_b32 exec_lo, exec_lo, s26
	s_and_saveexec_b32 s26, vcc_lo
	s_cbranch_execz .LBB162_101
; %bb.105:                              ;   in Loop: Header=BB162_102 Depth=2
	s_waitcnt lgkmcnt(0)
	v_xor_b32_e32 v3, 0x80000000, v5
	v_and_b32_e32 v8, v4, v14
	s_delay_alu instid0(VALU_DEP_2) | instskip(NEXT) | instid1(VALU_DEP_1)
	v_and_b32_e32 v9, v3, v15
	v_cmp_eq_u64_e32 vcc_lo, v[8:9], v[12:13]
	s_and_b32 exec_lo, exec_lo, vcc_lo
	s_cbranch_execz .LBB162_101
; %bb.106:                              ;   in Loop: Header=BB162_102 Depth=2
	v_mov_b32_e32 v3, v19
	ds_store_b128 v19, v[2:5] offset:3072
	s_branch .LBB162_101
.LBB162_107:                            ;   in Loop: Header=BB162_18 Depth=1
	s_mov_b32 s70, 0
                                        ; implicit-def: $sgpr75
                                        ; implicit-def: $sgpr76
                                        ; implicit-def: $sgpr25
                                        ; implicit-def: $vgpr5
                                        ; implicit-def: $vgpr28_vgpr29
                                        ; implicit-def: $vgpr12_vgpr13
                                        ; implicit-def: $vgpr14_vgpr15
                                        ; implicit-def: $vgpr10_vgpr11
	s_cbranch_execnz .LBB162_290
.LBB162_108:                            ;   in Loop: Header=BB162_18 Depth=1
	s_mov_b32 s22, s25
	s_mov_b32 s23, s25
	s_and_saveexec_b32 s7, s74
	s_cbranch_execnz .LBB162_486
	s_branch .LBB162_487
.LBB162_109:                            ;   in Loop: Header=BB162_18 Depth=1
	s_mov_b32 s25, -1
	s_mov_b32 s26, 0
                                        ; implicit-def: $sgpr75
                                        ; implicit-def: $vgpr10_vgpr11
	s_mov_b32 s76, s25
	s_cbranch_execnz .LBB162_112
	s_branch .LBB162_125
.LBB162_110:                            ;   in Loop: Header=BB162_18 Depth=1
	s_set_inst_prefetch_distance 0x2
	s_or_b32 exec_lo, exec_lo, s25
	s_delay_alu instid0(SALU_CYCLE_1)
	s_and_b32 s26, s9, exec_lo
.LBB162_111:                            ;   in Loop: Header=BB162_18 Depth=1
	s_or_b32 exec_lo, exec_lo, s8
	s_mov_b32 s75, -1
	s_mov_b32 s25, 0
	s_delay_alu instid0(SALU_CYCLE_1)
	s_mov_b32 s76, s25
	s_branch .LBB162_125
.LBB162_112:                            ;   in Loop: Header=BB162_18 Depth=1
	s_mov_b32 s26, s71
	s_delay_alu instid0(SALU_CYCLE_1)
	s_cmp_lg_u64 s[26:27], 0
	s_cbranch_scc0 .LBB162_154
; %bb.113:                              ;   in Loop: Header=BB162_18 Depth=1
	v_cvt_f32_u32_e32 v3, s35
	s_sub_u32 s22, 0, s35
	s_subb_u32 s23, 0, 0
	s_delay_alu instid0(VALU_DEP_1) | instskip(NEXT) | instid1(VALU_DEP_1)
	v_fmac_f32_e64 v3, 0, 0x4f800000
	v_rcp_f32_e32 v3, v3
	s_waitcnt_depctr 0xfff
	v_mul_f32_e32 v3, 0x5f7ffffc, v3
	s_delay_alu instid0(VALU_DEP_1) | instskip(NEXT) | instid1(VALU_DEP_1)
	v_mul_f32_e32 v4, 0x2f800000, v3
	v_trunc_f32_e32 v4, v4
	s_delay_alu instid0(VALU_DEP_1) | instskip(SKIP_1) | instid1(VALU_DEP_2)
	v_fmac_f32_e32 v3, 0xcf800000, v4
	v_cvt_u32_f32_e32 v4, v4
	v_cvt_u32_f32_e32 v3, v3
	s_delay_alu instid0(VALU_DEP_2) | instskip(NEXT) | instid1(VALU_DEP_2)
	v_readfirstlane_b32 s8, v4
	v_readfirstlane_b32 s9, v3
	s_delay_alu instid0(VALU_DEP_2) | instskip(NEXT) | instid1(VALU_DEP_1)
	s_mul_i32 s25, s22, s8
	s_mul_hi_u32 s48, s22, s9
	s_mul_i32 s26, s23, s9
	s_add_i32 s25, s48, s25
	s_mul_i32 s49, s22, s9
	s_add_i32 s25, s25, s26
	s_mul_hi_u32 s48, s9, s49
	s_mul_hi_u32 s50, s8, s49
	s_mul_i32 s26, s8, s49
	s_mul_hi_u32 s49, s9, s25
	s_mul_i32 s9, s9, s25
	s_mul_hi_u32 s51, s8, s25
	s_add_u32 s9, s48, s9
	s_addc_u32 s48, 0, s49
	s_add_u32 s9, s9, s26
	s_mul_i32 s25, s8, s25
	s_addc_u32 s9, s48, s50
	s_addc_u32 s26, s51, 0
	s_add_u32 s9, s9, s25
	s_addc_u32 s25, 0, s26
	v_add_co_u32 v3, s9, v3, s9
	s_delay_alu instid0(VALU_DEP_1) | instskip(SKIP_1) | instid1(VALU_DEP_1)
	s_cmp_lg_u32 s9, 0
	s_addc_u32 s8, s8, s25
	v_readfirstlane_b32 s9, v3
	s_mul_i32 s25, s22, s8
	s_delay_alu instid0(VALU_DEP_1)
	s_mul_hi_u32 s26, s22, s9
	s_mul_i32 s23, s23, s9
	s_add_i32 s25, s26, s25
	s_mul_i32 s22, s22, s9
	s_add_i32 s25, s25, s23
	s_mul_hi_u32 s26, s8, s22
	s_mul_i32 s48, s8, s22
	s_mul_hi_u32 s22, s9, s22
	s_mul_hi_u32 s49, s9, s25
	s_mul_i32 s9, s9, s25
	s_mul_hi_u32 s23, s8, s25
	s_add_u32 s9, s22, s9
	s_addc_u32 s22, 0, s49
	s_add_u32 s9, s9, s48
	s_mul_i32 s25, s8, s25
	s_addc_u32 s9, s22, s26
	s_addc_u32 s22, s23, 0
	s_add_u32 s9, s9, s25
	s_addc_u32 s22, 0, s22
	v_add_co_u32 v3, s9, v3, s9
	s_delay_alu instid0(VALU_DEP_1) | instskip(SKIP_1) | instid1(VALU_DEP_1)
	s_cmp_lg_u32 s9, 0
	s_addc_u32 s8, s8, s22
	v_readfirstlane_b32 s9, v3
	s_mul_i32 s23, s88, s8
	s_mul_hi_u32 s22, s88, s8
	s_mul_hi_u32 s25, s27, s8
	s_mul_i32 s8, s27, s8
	s_mul_hi_u32 s26, s88, s9
	s_mul_hi_u32 s48, s27, s9
	s_mul_i32 s9, s27, s9
	s_add_u32 s23, s26, s23
	s_addc_u32 s22, 0, s22
	s_add_u32 s9, s23, s9
	s_addc_u32 s9, s22, s48
	s_addc_u32 s22, s25, 0
	s_add_u32 s8, s9, s8
	s_addc_u32 s9, 0, s22
	s_mul_hi_u32 s22, s35, s8
	s_mul_i32 s8, s35, s8
	s_mul_i32 s9, s35, s9
	v_sub_co_u32 v3, s8, s88, s8
	s_add_i32 s22, s22, s9
	s_cmp_lg_u32 s8, 0
	s_delay_alu instid0(VALU_DEP_1) | instskip(SKIP_2) | instid1(VALU_DEP_1)
	v_sub_co_u32 v4, s8, v3, s35
	s_subb_u32 s9, s27, s22
	s_cmp_lg_u32 s8, 0
	v_cmp_le_u32_e32 vcc_lo, s35, v4
	v_sub_co_u32 v5, s8, v4, s35
	s_subb_u32 s22, s9, 0
	s_cmp_lg_u32 s8, 0
	v_cndmask_b32_e64 v8, 0, -1, vcc_lo
	s_subb_u32 s8, s22, 0
	s_cmp_eq_u32 s22, 0
	v_mov_b32_e32 v10, s8
	s_cselect_b32 vcc_lo, -1, 0
	s_cmp_eq_u32 s9, 0
	v_cndmask_b32_e32 v8, -1, v8, vcc_lo
	v_cmp_le_u32_e32 vcc_lo, s35, v3
	s_cselect_b32 s8, -1, 0
	v_cndmask_b32_e64 v9, 0, -1, vcc_lo
	s_delay_alu instid0(VALU_DEP_3) | instskip(NEXT) | instid1(VALU_DEP_2)
	v_cmp_ne_u32_e32 vcc_lo, 0, v8
	v_cndmask_b32_e64 v8, -1, v9, s8
	v_cndmask_b32_e32 v9, s22, v10, vcc_lo
	v_cndmask_b32_e32 v5, v4, v5, vcc_lo
	s_delay_alu instid0(VALU_DEP_3) | instskip(NEXT) | instid1(VALU_DEP_3)
	v_cmp_ne_u32_e32 vcc_lo, 0, v8
	v_cndmask_b32_e32 v4, s9, v9, vcc_lo
	s_delay_alu instid0(VALU_DEP_3)
	v_cndmask_b32_e32 v3, v3, v5, vcc_lo
	s_cbranch_execnz .LBB162_115
.LBB162_114:                            ;   in Loop: Header=BB162_18 Depth=1
	v_cvt_f32_u32_e32 v3, s35
	s_sub_i32 s8, 0, s35
	s_delay_alu instid0(VALU_DEP_1) | instskip(SKIP_2) | instid1(VALU_DEP_1)
	v_rcp_iflag_f32_e32 v3, v3
	s_waitcnt_depctr 0xfff
	v_mul_f32_e32 v3, 0x4f7ffffe, v3
	v_cvt_u32_f32_e32 v3, v3
	s_delay_alu instid0(VALU_DEP_1) | instskip(NEXT) | instid1(VALU_DEP_1)
	v_mul_lo_u32 v4, s8, v3
	v_mul_hi_u32 v4, v3, v4
	s_delay_alu instid0(VALU_DEP_1) | instskip(NEXT) | instid1(VALU_DEP_1)
	v_add_nc_u32_e32 v3, v3, v4
	v_mul_hi_u32 v3, s88, v3
	s_delay_alu instid0(VALU_DEP_1) | instskip(NEXT) | instid1(VALU_DEP_1)
	v_mul_lo_u32 v3, v3, s35
	v_sub_nc_u32_e32 v3, s88, v3
	s_delay_alu instid0(VALU_DEP_1) | instskip(SKIP_1) | instid1(VALU_DEP_2)
	v_subrev_nc_u32_e32 v4, s35, v3
	v_cmp_le_u32_e32 vcc_lo, s35, v3
	v_cndmask_b32_e32 v3, v3, v4, vcc_lo
	s_delay_alu instid0(VALU_DEP_1) | instskip(SKIP_1) | instid1(VALU_DEP_2)
	v_subrev_nc_u32_e32 v4, s35, v3
	v_cmp_le_u32_e32 vcc_lo, s35, v3
	v_cndmask_b32_e32 v18, v3, v4, vcc_lo
	s_delay_alu instid0(VALU_DEP_1)
	v_dual_mov_b32 v3, v18 :: v_dual_mov_b32 v4, v19
.LBB162_115:                            ;   in Loop: Header=BB162_18 Depth=1
	s_delay_alu instid0(VALU_DEP_1) | instskip(NEXT) | instid1(VALU_DEP_2)
	v_sub_co_u32 v28, vcc_lo, s88, v3
	v_sub_co_ci_u32_e32 v29, vcc_lo, s27, v4, vcc_lo
	s_mov_b32 s26, 0
	s_mov_b32 s9, exec_lo
                                        ; implicit-def: $vgpr10_vgpr11
	s_delay_alu instid0(VALU_DEP_1)
	v_cmpx_gt_u64_e64 v[28:29], v[0:1]
	s_cbranch_execz .LBB162_124
; %bb.116:                              ;   in Loop: Header=BB162_18 Depth=1
	v_dual_mov_b32 v31, v1 :: v_dual_mov_b32 v30, v0
	s_mov_b32 s23, 0
                                        ; implicit-def: $sgpr22
	s_branch .LBB162_118
.LBB162_117:                            ;   in Loop: Header=BB162_118 Depth=2
	s_or_b32 exec_lo, exec_lo, s8
	s_waitcnt vmcnt(0) lgkmcnt(0)
	s_barrier
	buffer_gl0_inv
	ds_load_b128 v[8:11], v19 offset:3072
	v_add_co_u32 v30, vcc_lo, v30, s35
	v_add_co_ci_u32_e32 v31, vcc_lo, 0, v31, vcc_lo
	s_waitcnt lgkmcnt(0)
	s_barrier
	buffer_gl0_inv
	v_cmp_ge_u64_e32 vcc_lo, v[30:31], v[28:29]
	v_readfirstlane_b32 s49, v9
	v_readfirstlane_b32 s48, v8
	s_delay_alu instid0(VALU_DEP_1) | instskip(SKIP_1) | instid1(SALU_CYCLE_1)
	s_cmp_lg_u64 s[48:49], 0
	s_cselect_b32 s8, -1, 0
	s_or_b32 s25, vcc_lo, s8
	s_delay_alu instid0(SALU_CYCLE_1) | instskip(NEXT) | instid1(SALU_CYCLE_1)
	s_and_b32 s25, exec_lo, s25
	s_or_b32 s23, s25, s23
	s_and_not1_b32 s22, s22, exec_lo
	s_and_b32 s8, s8, exec_lo
	s_delay_alu instid0(SALU_CYCLE_1)
	s_or_b32 s22, s22, s8
	s_and_not1_b32 exec_lo, exec_lo, s23
	s_cbranch_execz .LBB162_123
.LBB162_118:                            ;   Parent Loop BB162_18 Depth=1
                                        ; =>  This Inner Loop Header: Depth=2
	s_delay_alu instid0(VALU_DEP_1)
	v_cmp_gt_u64_e32 vcc_lo, s[36:37], v[30:31]
	v_mov_b32_e32 v4, 0
	v_mov_b32_e32 v5, 0
	s_and_saveexec_b32 s25, vcc_lo
	s_cbranch_execz .LBB162_120
; %bb.119:                              ;   in Loop: Header=BB162_118 Depth=2
	v_mul_lo_u32 v5, v31, s30
	v_mul_lo_u32 v8, v30, s31
	v_mad_u64_u32 v[3:4], null, v30, s30, 0
	s_delay_alu instid0(VALU_DEP_1) | instskip(NEXT) | instid1(VALU_DEP_1)
	v_add3_u32 v4, v4, v8, v5
	v_lshlrev_b64 v[3:4], 3, v[3:4]
	s_delay_alu instid0(VALU_DEP_1) | instskip(NEXT) | instid1(VALU_DEP_1)
	v_add_co_u32 v3, s8, s29, v3
	v_add_co_ci_u32_e64 v4, s8, s33, v4, s8
	global_load_b64 v[4:5], v[3:4], off
.LBB162_120:                            ;   in Loop: Header=BB162_118 Depth=2
	s_or_b32 exec_lo, exec_lo, s25
	s_and_saveexec_b32 s8, vcc_lo
	s_cbranch_execz .LBB162_117
; %bb.121:                              ;   in Loop: Header=BB162_118 Depth=2
	s_waitcnt vmcnt(0)
	v_xor_b32_e32 v3, 0x80000000, v5
	v_and_b32_e32 v8, v4, v14
	s_delay_alu instid0(VALU_DEP_2) | instskip(NEXT) | instid1(VALU_DEP_1)
	v_and_b32_e32 v9, v3, v15
	v_cmp_eq_u64_e32 vcc_lo, v[8:9], v[12:13]
	s_and_b32 exec_lo, exec_lo, vcc_lo
	s_cbranch_execz .LBB162_117
; %bb.122:                              ;   in Loop: Header=BB162_118 Depth=2
	v_mov_b32_e32 v3, v19
	ds_store_b128 v19, v[2:5] offset:3072
	s_branch .LBB162_117
.LBB162_123:                            ;   in Loop: Header=BB162_18 Depth=1
	s_or_b32 exec_lo, exec_lo, s23
	s_delay_alu instid0(SALU_CYCLE_1)
	s_and_b32 s26, s22, exec_lo
.LBB162_124:                            ;   in Loop: Header=BB162_18 Depth=1
	s_or_b32 exec_lo, exec_lo, s9
	s_mov_b32 s76, -1
	s_mov_b32 s25, 0
	s_mov_b32 s75, 0
.LBB162_125:                            ;   in Loop: Header=BB162_18 Depth=1
	s_or_not1_b32 s8, s26, exec_lo
.LBB162_126:                            ;   in Loop: Header=BB162_18 Depth=1
	s_or_b32 exec_lo, exec_lo, s59
	s_mov_b32 s77, 0
	s_mov_b32 s74, 0
	s_mov_b32 s70, 0
                                        ; implicit-def: $vgpr5
                                        ; implicit-def: $vgpr28_vgpr29
	s_and_saveexec_b32 s78, s8
	s_cbranch_execz .LBB162_289
; %bb.127:                              ;   in Loop: Header=BB162_18 Depth=1
	v_dual_mov_b32 v28, 1 :: v_dual_mov_b32 v5, 1
	v_mov_b32_e32 v29, 0
	s_xor_b32 s9, s58, -1
	s_mov_b32 s26, 0
	s_and_saveexec_b32 s8, s9
	s_cbranch_execz .LBB162_137
; %bb.128:                              ;   in Loop: Header=BB162_18 Depth=1
	s_mov_b32 s22, exec_lo
                                        ; implicit-def: $sgpr23
                                        ; implicit-def: $sgpr9
	v_cmpx_ge_u64_e64 s[10:11], v[26:27]
	s_xor_b32 s22, exec_lo, s22
	s_cbranch_execz .LBB162_134
; %bb.129:                              ;   in Loop: Header=BB162_18 Depth=1
	ds_load_b64 v[3:4], v19 offset:5120
	s_waitcnt lgkmcnt(0)
	v_cmp_ne_u64_e32 vcc_lo, 0, v[3:4]
	s_cbranch_vccnz .LBB162_133
; %bb.130:                              ;   in Loop: Header=BB162_18 Depth=1
	s_and_saveexec_b32 s9, s5
	s_cbranch_execz .LBB162_132
; %bb.131:                              ;   in Loop: Header=BB162_18 Depth=1
	v_dual_mov_b32 v3, s10 :: v_dual_mov_b32 v4, s11
	ds_store_b64 v19, v[3:4] offset:5128
.LBB162_132:                            ;   in Loop: Header=BB162_18 Depth=1
	s_or_b32 exec_lo, exec_lo, s9
	s_waitcnt lgkmcnt(0)
	s_barrier
	buffer_gl0_inv
.LBB162_133:                            ;   in Loop: Header=BB162_18 Depth=1
	v_and_b32_e32 v13, s15, v13
	v_and_b32_e32 v12, s14, v12
	v_or_b32_e32 v15, s13, v15
	v_or_b32_e32 v14, s12, v14
	s_mov_b32 s9, 0
	s_mov_b32 s23, 8
.LBB162_134:                            ;   in Loop: Header=BB162_18 Depth=1
	s_or_saveexec_b32 s22, s22
	v_mov_b32_e32 v29, v27
	v_dual_mov_b32 v5, s23 :: v_dual_mov_b32 v28, v26
	s_xor_b32 exec_lo, exec_lo, s22
; %bb.135:                              ;   in Loop: Header=BB162_18 Depth=1
	v_sub_co_u32 v28, vcc_lo, v26, s10
	v_subrev_co_ci_u32_e32 v29, vcc_lo, s11, v27, vcc_lo
	v_mov_b32_e32 v5, 0
	s_or_b32 s9, s9, exec_lo
; %bb.136:                              ;   in Loop: Header=BB162_18 Depth=1
	s_or_b32 exec_lo, exec_lo, s22
	s_delay_alu instid0(SALU_CYCLE_1)
	s_and_b32 s26, s9, exec_lo
.LBB162_137:                            ;   in Loop: Header=BB162_18 Depth=1
	s_or_b32 exec_lo, exec_lo, s8
	s_mov_b32 s58, -1
                                        ; implicit-def: $sgpr9
                                        ; implicit-def: $sgpr22
                                        ; implicit-def: $sgpr23
	s_and_saveexec_b32 s8, s26
	s_delay_alu instid0(SALU_CYCLE_1)
	s_xor_b32 s70, exec_lo, s8
	s_cbranch_execz .LBB162_286
; %bb.138:                              ;   in Loop: Header=BB162_18 Depth=1
	v_cmp_eq_u64_e32 vcc_lo, 1, v[28:29]
	s_cmp_eq_u64 s[16:17], 1
                                        ; implicit-def: $sgpr74
                                        ; implicit-def: $sgpr80
                                        ; implicit-def: $sgpr79
	s_cselect_b32 s8, -1, 0
	s_delay_alu instid0(SALU_CYCLE_1)
	s_and_b32 s58, s8, vcc_lo
	s_mov_b32 s8, -1
	s_and_saveexec_b32 s59, s58
	s_cbranch_execz .LBB162_172
; %bb.139:                              ;   in Loop: Header=BB162_18 Depth=1
	ds_load_b64 v[3:4], v19 offset:5120
	s_waitcnt lgkmcnt(0)
	s_barrier
	buffer_gl0_inv
	v_readfirstlane_b32 s22, v3
	v_readfirstlane_b32 s23, v4
	s_and_saveexec_b32 s8, s6
	s_cbranch_execz .LBB162_141
; %bb.140:                              ;   in Loop: Header=BB162_18 Depth=1
	v_mov_b32_e32 v18, v19
	ds_store_b64 v38, v[18:19]
.LBB162_141:                            ;   in Loop: Header=BB162_18 Depth=1
	s_or_b32 exec_lo, exec_lo, s8
	v_and_b32_e32 v3, s15, v13
	v_and_b32_e32 v4, s14, v12
	s_lshl_b64 s[8:9], 1, s24
	v_or_b32_e32 v15, s13, v15
	v_or_b32_e32 v14, s12, v14
	;; [unrolled: 1-line block ×4, first 2 shown]
	s_cmp_eq_u64 s[22:23], 0
	s_waitcnt lgkmcnt(0)
	s_barrier
	buffer_gl0_inv
	s_cbranch_scc1 .LBB162_155
; %bb.142:                              ;   in Loop: Header=BB162_18 Depth=1
	s_add_u32 s26, s86, s22
	s_addc_u32 s9, s87, s23
	s_mov_b32 s8, s71
	s_delay_alu instid0(SALU_CYCLE_1)
	s_cmp_lg_u64 s[8:9], 0
	s_cbranch_scc0 .LBB162_199
; %bb.143:                              ;   in Loop: Header=BB162_18 Depth=1
	v_cvt_f32_u32_e32 v3, s35
	s_sub_u32 s49, 0, s35
	s_subb_u32 s50, 0, 0
	s_delay_alu instid0(VALU_DEP_1) | instskip(NEXT) | instid1(VALU_DEP_1)
	v_fmac_f32_e64 v3, 0, 0x4f800000
	v_rcp_f32_e32 v3, v3
	s_waitcnt_depctr 0xfff
	v_mul_f32_e32 v3, 0x5f7ffffc, v3
	s_delay_alu instid0(VALU_DEP_1) | instskip(NEXT) | instid1(VALU_DEP_1)
	v_mul_f32_e32 v4, 0x2f800000, v3
	v_trunc_f32_e32 v4, v4
	s_delay_alu instid0(VALU_DEP_1) | instskip(SKIP_1) | instid1(VALU_DEP_2)
	v_fmac_f32_e32 v3, 0xcf800000, v4
	v_cvt_u32_f32_e32 v4, v4
	v_cvt_u32_f32_e32 v3, v3
	s_delay_alu instid0(VALU_DEP_2) | instskip(NEXT) | instid1(VALU_DEP_2)
	v_readfirstlane_b32 s8, v4
	v_readfirstlane_b32 s48, v3
	s_delay_alu instid0(VALU_DEP_2) | instskip(NEXT) | instid1(VALU_DEP_1)
	s_mul_i32 s51, s49, s8
	s_mul_hi_u32 s65, s49, s48
	s_mul_i32 s64, s50, s48
	s_add_i32 s51, s65, s51
	s_mul_i32 s68, s49, s48
	s_add_i32 s51, s51, s64
	s_mul_hi_u32 s65, s48, s68
	s_mul_hi_u32 s69, s8, s68
	s_mul_i32 s64, s8, s68
	s_mul_hi_u32 s68, s48, s51
	s_mul_i32 s48, s48, s51
	s_mul_hi_u32 s74, s8, s51
	s_add_u32 s48, s65, s48
	s_addc_u32 s65, 0, s68
	s_add_u32 s48, s48, s64
	s_mul_i32 s51, s8, s51
	s_addc_u32 s48, s65, s69
	s_addc_u32 s64, s74, 0
	s_add_u32 s48, s48, s51
	s_addc_u32 s51, 0, s64
	v_add_co_u32 v3, s48, v3, s48
	s_delay_alu instid0(VALU_DEP_1) | instskip(SKIP_1) | instid1(VALU_DEP_1)
	s_cmp_lg_u32 s48, 0
	s_addc_u32 s8, s8, s51
	v_readfirstlane_b32 s48, v3
	s_mul_i32 s51, s49, s8
	s_delay_alu instid0(VALU_DEP_1)
	s_mul_hi_u32 s64, s49, s48
	s_mul_i32 s50, s50, s48
	s_add_i32 s51, s64, s51
	s_mul_i32 s49, s49, s48
	s_add_i32 s51, s51, s50
	s_mul_hi_u32 s64, s8, s49
	s_mul_i32 s65, s8, s49
	s_mul_hi_u32 s49, s48, s49
	s_mul_hi_u32 s68, s48, s51
	s_mul_i32 s48, s48, s51
	s_mul_hi_u32 s50, s8, s51
	s_add_u32 s48, s49, s48
	s_addc_u32 s49, 0, s68
	s_add_u32 s48, s48, s65
	s_mul_i32 s51, s8, s51
	s_addc_u32 s48, s49, s64
	s_addc_u32 s49, s50, 0
	s_add_u32 s48, s48, s51
	s_addc_u32 s49, 0, s49
	v_add_co_u32 v3, s48, v3, s48
	s_delay_alu instid0(VALU_DEP_1) | instskip(SKIP_1) | instid1(VALU_DEP_1)
	s_cmp_lg_u32 s48, 0
	s_addc_u32 s8, s8, s49
	v_readfirstlane_b32 s48, v3
	s_mul_i32 s50, s26, s8
	s_mul_hi_u32 s49, s26, s8
	s_mul_hi_u32 s51, s9, s8
	s_mul_i32 s8, s9, s8
	s_mul_hi_u32 s64, s26, s48
	s_mul_hi_u32 s65, s9, s48
	s_mul_i32 s48, s9, s48
	s_add_u32 s50, s64, s50
	s_addc_u32 s49, 0, s49
	s_add_u32 s48, s50, s48
	s_addc_u32 s48, s49, s65
	s_addc_u32 s49, s51, 0
	s_add_u32 s8, s48, s8
	s_addc_u32 s48, 0, s49
	s_mul_hi_u32 s49, s35, s8
	s_mul_i32 s8, s35, s8
	s_mul_i32 s48, s35, s48
	v_sub_co_u32 v3, s8, s26, s8
	s_add_i32 s49, s49, s48
	s_cmp_lg_u32 s8, 0
	s_delay_alu instid0(VALU_DEP_1) | instskip(SKIP_3) | instid1(VALU_DEP_2)
	v_sub_co_u32 v4, s8, v3, s35
	s_subb_u32 s48, s9, s49
	s_cmp_lg_u32 s8, 0
	v_cmp_le_u32_e32 vcc_lo, s35, v3
	v_cmp_le_u32_e64 s8, s35, v4
	v_sub_co_u32 v5, s49, v4, s35
	s_subb_u32 s50, s48, 0
	s_cmp_lg_u32 s49, 0
	s_delay_alu instid0(VALU_DEP_2)
	v_cndmask_b32_e64 v8, 0, -1, s8
	s_subb_u32 s49, s50, 0
	s_cmp_eq_u32 s50, 0
	v_mov_b32_e32 v10, s49
	v_cndmask_b32_e64 v9, 0, -1, vcc_lo
	s_cselect_b32 vcc_lo, -1, 0
	s_cmp_eq_u32 s48, 0
	v_cndmask_b32_e32 v8, -1, v8, vcc_lo
	s_cselect_b32 vcc_lo, -1, 0
	v_cndmask_b32_e32 v9, -1, v9, vcc_lo
	s_delay_alu instid0(VALU_DEP_2) | instskip(NEXT) | instid1(VALU_DEP_2)
	v_cmp_ne_u32_e32 vcc_lo, 0, v8
	v_cmp_ne_u32_e64 s8, 0, v9
	v_cndmask_b32_e32 v8, s50, v10, vcc_lo
	v_cndmask_b32_e32 v5, v4, v5, vcc_lo
	s_delay_alu instid0(VALU_DEP_2) | instskip(NEXT) | instid1(VALU_DEP_2)
	v_cndmask_b32_e64 v4, s48, v8, s8
	v_cndmask_b32_e64 v3, v3, v5, s8
	s_cbranch_execnz .LBB162_145
.LBB162_144:                            ;   in Loop: Header=BB162_18 Depth=1
	v_cvt_f32_u32_e32 v3, s35
	s_sub_i32 s8, 0, s35
	s_delay_alu instid0(VALU_DEP_1) | instskip(SKIP_2) | instid1(VALU_DEP_1)
	v_rcp_iflag_f32_e32 v3, v3
	s_waitcnt_depctr 0xfff
	v_mul_f32_e32 v3, 0x4f7ffffe, v3
	v_cvt_u32_f32_e32 v3, v3
	s_delay_alu instid0(VALU_DEP_1) | instskip(NEXT) | instid1(VALU_DEP_1)
	v_mul_lo_u32 v4, s8, v3
	v_mul_hi_u32 v4, v3, v4
	s_delay_alu instid0(VALU_DEP_1) | instskip(NEXT) | instid1(VALU_DEP_1)
	v_add_nc_u32_e32 v3, v3, v4
	v_mul_hi_u32 v3, s26, v3
	s_delay_alu instid0(VALU_DEP_1) | instskip(NEXT) | instid1(VALU_DEP_1)
	v_mul_lo_u32 v3, v3, s35
	v_sub_nc_u32_e32 v3, s26, v3
	s_delay_alu instid0(VALU_DEP_1) | instskip(SKIP_1) | instid1(VALU_DEP_2)
	v_subrev_nc_u32_e32 v4, s35, v3
	v_cmp_le_u32_e32 vcc_lo, s35, v3
	v_cndmask_b32_e32 v3, v3, v4, vcc_lo
	s_delay_alu instid0(VALU_DEP_1) | instskip(SKIP_1) | instid1(VALU_DEP_2)
	v_subrev_nc_u32_e32 v4, s35, v3
	v_cmp_le_u32_e32 vcc_lo, s35, v3
	v_cndmask_b32_e32 v18, v3, v4, vcc_lo
	s_delay_alu instid0(VALU_DEP_1)
	v_dual_mov_b32 v3, v18 :: v_dual_mov_b32 v4, v19
.LBB162_145:                            ;   in Loop: Header=BB162_18 Depth=1
	s_delay_alu instid0(VALU_DEP_1) | instskip(NEXT) | instid1(VALU_DEP_2)
	v_sub_co_u32 v30, vcc_lo, s26, v3
	v_sub_co_ci_u32_e32 v31, vcc_lo, s9, v4, vcc_lo
	s_mov_b32 s26, 0
	s_mov_b32 s8, exec_lo
                                        ; implicit-def: $vgpr10_vgpr11
	s_delay_alu instid0(VALU_DEP_1)
	v_cmpx_gt_u64_e64 v[30:31], v[0:1]
	s_cbranch_execz .LBB162_157
; %bb.146:                              ;   in Loop: Header=BB162_18 Depth=1
	v_mov_b32_e32 v18, v37
	v_dual_mov_b32 v33, v1 :: v_dual_mov_b32 v32, v0
                                        ; implicit-def: $sgpr9
	s_set_inst_prefetch_distance 0x1
	s_branch .LBB162_148
	.p2align	6
.LBB162_147:                            ;   in Loop: Header=BB162_148 Depth=2
	s_or_b32 exec_lo, exec_lo, s64
	s_waitcnt lgkmcnt(0)
	s_barrier
	buffer_gl0_inv
	ds_load_b128 v[8:11], v19 offset:3072
	v_add_co_u32 v32, vcc_lo, v32, s35
	v_add_co_ci_u32_e32 v33, vcc_lo, 0, v33, vcc_lo
	v_add_nc_u32_e32 v18, s94, v18
	s_waitcnt lgkmcnt(0)
	s_barrier
	s_delay_alu instid0(VALU_DEP_2) | instskip(SKIP_3) | instid1(VALU_DEP_1)
	v_cmp_ge_u64_e32 vcc_lo, v[32:33], v[30:31]
	buffer_gl0_inv
	v_readfirstlane_b32 s49, v9
	v_readfirstlane_b32 s48, v8
	s_cmp_lg_u64 s[48:49], 0
	s_cselect_b32 s48, -1, 0
	s_delay_alu instid0(SALU_CYCLE_1) | instskip(NEXT) | instid1(SALU_CYCLE_1)
	s_or_b32 s49, vcc_lo, s48
	s_and_b32 s49, exec_lo, s49
	s_delay_alu instid0(SALU_CYCLE_1) | instskip(SKIP_2) | instid1(SALU_CYCLE_1)
	s_or_b32 s26, s49, s26
	s_and_not1_b32 s9, s9, exec_lo
	s_and_b32 s48, s48, exec_lo
	s_or_b32 s9, s9, s48
	s_and_not1_b32 exec_lo, exec_lo, s26
	s_cbranch_execz .LBB162_156
.LBB162_148:                            ;   Parent Loop BB162_18 Depth=1
                                        ; =>  This Inner Loop Header: Depth=2
	s_delay_alu instid0(VALU_DEP_1)
	v_cmp_gt_u64_e32 vcc_lo, s[22:23], v[32:33]
	v_mov_b32_e32 v4, 0
	v_mov_b32_e32 v5, 0
	s_and_saveexec_b32 s48, vcc_lo
	s_cbranch_execz .LBB162_150
; %bb.149:                              ;   in Loop: Header=BB162_148 Depth=2
	ds_load_b64 v[4:5], v18
.LBB162_150:                            ;   in Loop: Header=BB162_148 Depth=2
	s_or_b32 exec_lo, exec_lo, s48
	s_and_saveexec_b32 s64, vcc_lo
	s_cbranch_execz .LBB162_147
; %bb.151:                              ;   in Loop: Header=BB162_148 Depth=2
	s_waitcnt lgkmcnt(0)
	v_xor_b32_e32 v3, 0x80000000, v5
	v_and_b32_e32 v8, v4, v14
	s_delay_alu instid0(VALU_DEP_2) | instskip(NEXT) | instid1(VALU_DEP_1)
	v_and_b32_e32 v9, v3, v15
	v_cmp_eq_u64_e32 vcc_lo, v[8:9], v[12:13]
	s_and_b32 exec_lo, exec_lo, vcc_lo
	s_cbranch_execz .LBB162_147
; %bb.152:                              ;   in Loop: Header=BB162_148 Depth=2
	v_mov_b32_e32 v3, v19
	ds_store_b128 v19, v[2:5] offset:3072
	s_branch .LBB162_147
.LBB162_153:                            ;   in Loop: Header=BB162_18 Depth=1
                                        ; implicit-def: $vgpr3_vgpr4
	s_branch .LBB162_98
.LBB162_154:                            ;   in Loop: Header=BB162_18 Depth=1
                                        ; implicit-def: $vgpr3_vgpr4
	s_branch .LBB162_114
.LBB162_155:                            ;   in Loop: Header=BB162_18 Depth=1
	s_mov_b32 s74, -1
	s_mov_b32 s26, 0
                                        ; implicit-def: $sgpr79
                                        ; implicit-def: $vgpr10_vgpr11
	s_mov_b32 s80, s74
	s_cbranch_execnz .LBB162_158
	s_branch .LBB162_171
.LBB162_156:                            ;   in Loop: Header=BB162_18 Depth=1
	s_set_inst_prefetch_distance 0x2
	s_or_b32 exec_lo, exec_lo, s26
	s_delay_alu instid0(SALU_CYCLE_1)
	s_and_b32 s26, s9, exec_lo
.LBB162_157:                            ;   in Loop: Header=BB162_18 Depth=1
	s_or_b32 exec_lo, exec_lo, s8
	s_mov_b32 s79, -1
	s_mov_b32 s74, 0
	s_delay_alu instid0(SALU_CYCLE_1)
	s_mov_b32 s80, s74
	s_branch .LBB162_171
.LBB162_158:                            ;   in Loop: Header=BB162_18 Depth=1
	s_mov_b32 s26, s71
	s_delay_alu instid0(SALU_CYCLE_1)
	s_cmp_lg_u64 s[26:27], 0
	s_cbranch_scc0 .LBB162_200
; %bb.159:                              ;   in Loop: Header=BB162_18 Depth=1
	v_cvt_f32_u32_e32 v3, s35
	s_sub_u32 s22, 0, s35
	s_subb_u32 s23, 0, 0
	s_delay_alu instid0(VALU_DEP_1) | instskip(NEXT) | instid1(VALU_DEP_1)
	v_fmac_f32_e64 v3, 0, 0x4f800000
	v_rcp_f32_e32 v3, v3
	s_waitcnt_depctr 0xfff
	v_mul_f32_e32 v3, 0x5f7ffffc, v3
	s_delay_alu instid0(VALU_DEP_1) | instskip(NEXT) | instid1(VALU_DEP_1)
	v_mul_f32_e32 v4, 0x2f800000, v3
	v_trunc_f32_e32 v4, v4
	s_delay_alu instid0(VALU_DEP_1) | instskip(SKIP_1) | instid1(VALU_DEP_2)
	v_fmac_f32_e32 v3, 0xcf800000, v4
	v_cvt_u32_f32_e32 v4, v4
	v_cvt_u32_f32_e32 v3, v3
	s_delay_alu instid0(VALU_DEP_2) | instskip(NEXT) | instid1(VALU_DEP_2)
	v_readfirstlane_b32 s8, v4
	v_readfirstlane_b32 s9, v3
	s_delay_alu instid0(VALU_DEP_2) | instskip(NEXT) | instid1(VALU_DEP_1)
	s_mul_i32 s26, s22, s8
	s_mul_hi_u32 s49, s22, s9
	s_mul_i32 s48, s23, s9
	s_add_i32 s26, s49, s26
	s_mul_i32 s50, s22, s9
	s_add_i32 s26, s26, s48
	s_mul_hi_u32 s49, s9, s50
	s_mul_hi_u32 s51, s8, s50
	s_mul_i32 s48, s8, s50
	s_mul_hi_u32 s50, s9, s26
	s_mul_i32 s9, s9, s26
	s_mul_hi_u32 s64, s8, s26
	s_add_u32 s9, s49, s9
	s_addc_u32 s49, 0, s50
	s_add_u32 s9, s9, s48
	s_mul_i32 s26, s8, s26
	s_addc_u32 s9, s49, s51
	s_addc_u32 s48, s64, 0
	s_add_u32 s9, s9, s26
	s_addc_u32 s26, 0, s48
	v_add_co_u32 v3, s9, v3, s9
	s_delay_alu instid0(VALU_DEP_1) | instskip(SKIP_1) | instid1(VALU_DEP_1)
	s_cmp_lg_u32 s9, 0
	s_addc_u32 s8, s8, s26
	v_readfirstlane_b32 s9, v3
	s_mul_i32 s26, s22, s8
	s_delay_alu instid0(VALU_DEP_1)
	s_mul_hi_u32 s48, s22, s9
	s_mul_i32 s23, s23, s9
	s_add_i32 s26, s48, s26
	s_mul_i32 s22, s22, s9
	s_add_i32 s26, s26, s23
	s_mul_hi_u32 s48, s8, s22
	s_mul_i32 s49, s8, s22
	s_mul_hi_u32 s22, s9, s22
	s_mul_hi_u32 s50, s9, s26
	s_mul_i32 s9, s9, s26
	s_mul_hi_u32 s23, s8, s26
	s_add_u32 s9, s22, s9
	s_addc_u32 s22, 0, s50
	s_add_u32 s9, s9, s49
	s_mul_i32 s26, s8, s26
	s_addc_u32 s9, s22, s48
	s_addc_u32 s22, s23, 0
	s_add_u32 s9, s9, s26
	s_addc_u32 s22, 0, s22
	v_add_co_u32 v3, s9, v3, s9
	s_delay_alu instid0(VALU_DEP_1) | instskip(SKIP_1) | instid1(VALU_DEP_1)
	s_cmp_lg_u32 s9, 0
	s_addc_u32 s8, s8, s22
	v_readfirstlane_b32 s9, v3
	s_mul_i32 s23, s88, s8
	s_mul_hi_u32 s22, s88, s8
	s_mul_hi_u32 s26, s27, s8
	s_mul_i32 s8, s27, s8
	s_mul_hi_u32 s48, s88, s9
	s_mul_hi_u32 s49, s27, s9
	s_mul_i32 s9, s27, s9
	s_add_u32 s23, s48, s23
	s_addc_u32 s22, 0, s22
	s_add_u32 s9, s23, s9
	s_addc_u32 s9, s22, s49
	s_addc_u32 s22, s26, 0
	s_add_u32 s8, s9, s8
	s_addc_u32 s9, 0, s22
	s_mul_hi_u32 s22, s35, s8
	s_mul_i32 s8, s35, s8
	s_mul_i32 s9, s35, s9
	v_sub_co_u32 v3, s8, s88, s8
	s_add_i32 s22, s22, s9
	s_cmp_lg_u32 s8, 0
	s_delay_alu instid0(VALU_DEP_1) | instskip(SKIP_3) | instid1(VALU_DEP_2)
	v_sub_co_u32 v4, s8, v3, s35
	s_subb_u32 s9, s27, s22
	s_cmp_lg_u32 s8, 0
	v_cmp_le_u32_e32 vcc_lo, s35, v3
	v_cmp_le_u32_e64 s8, s35, v4
	v_sub_co_u32 v5, s22, v4, s35
	s_subb_u32 s23, s9, 0
	s_cmp_lg_u32 s22, 0
	s_delay_alu instid0(VALU_DEP_2)
	v_cndmask_b32_e64 v8, 0, -1, s8
	s_subb_u32 s22, s23, 0
	s_cmp_eq_u32 s23, 0
	v_mov_b32_e32 v10, s22
	v_cndmask_b32_e64 v9, 0, -1, vcc_lo
	s_cselect_b32 vcc_lo, -1, 0
	s_cmp_eq_u32 s9, 0
	v_cndmask_b32_e32 v8, -1, v8, vcc_lo
	s_cselect_b32 vcc_lo, -1, 0
	v_cndmask_b32_e32 v9, -1, v9, vcc_lo
	s_delay_alu instid0(VALU_DEP_2) | instskip(NEXT) | instid1(VALU_DEP_2)
	v_cmp_ne_u32_e32 vcc_lo, 0, v8
	v_cmp_ne_u32_e64 s8, 0, v9
	v_cndmask_b32_e32 v8, s23, v10, vcc_lo
	v_cndmask_b32_e32 v5, v4, v5, vcc_lo
	s_delay_alu instid0(VALU_DEP_2) | instskip(NEXT) | instid1(VALU_DEP_2)
	v_cndmask_b32_e64 v4, s9, v8, s8
	v_cndmask_b32_e64 v3, v3, v5, s8
	s_cbranch_execnz .LBB162_161
.LBB162_160:                            ;   in Loop: Header=BB162_18 Depth=1
	v_cvt_f32_u32_e32 v3, s35
	s_sub_i32 s8, 0, s35
	s_delay_alu instid0(VALU_DEP_1) | instskip(SKIP_2) | instid1(VALU_DEP_1)
	v_rcp_iflag_f32_e32 v3, v3
	s_waitcnt_depctr 0xfff
	v_mul_f32_e32 v3, 0x4f7ffffe, v3
	v_cvt_u32_f32_e32 v3, v3
	s_delay_alu instid0(VALU_DEP_1) | instskip(NEXT) | instid1(VALU_DEP_1)
	v_mul_lo_u32 v4, s8, v3
	v_mul_hi_u32 v4, v3, v4
	s_delay_alu instid0(VALU_DEP_1) | instskip(NEXT) | instid1(VALU_DEP_1)
	v_add_nc_u32_e32 v3, v3, v4
	v_mul_hi_u32 v3, s88, v3
	s_delay_alu instid0(VALU_DEP_1) | instskip(NEXT) | instid1(VALU_DEP_1)
	v_mul_lo_u32 v3, v3, s35
	v_sub_nc_u32_e32 v3, s88, v3
	s_delay_alu instid0(VALU_DEP_1) | instskip(SKIP_1) | instid1(VALU_DEP_2)
	v_subrev_nc_u32_e32 v4, s35, v3
	v_cmp_le_u32_e32 vcc_lo, s35, v3
	v_cndmask_b32_e32 v3, v3, v4, vcc_lo
	s_delay_alu instid0(VALU_DEP_1) | instskip(SKIP_1) | instid1(VALU_DEP_2)
	v_subrev_nc_u32_e32 v4, s35, v3
	v_cmp_le_u32_e32 vcc_lo, s35, v3
	v_cndmask_b32_e32 v18, v3, v4, vcc_lo
	s_delay_alu instid0(VALU_DEP_1)
	v_dual_mov_b32 v3, v18 :: v_dual_mov_b32 v4, v19
.LBB162_161:                            ;   in Loop: Header=BB162_18 Depth=1
	s_delay_alu instid0(VALU_DEP_1) | instskip(NEXT) | instid1(VALU_DEP_2)
	v_sub_co_u32 v30, vcc_lo, s88, v3
	v_sub_co_ci_u32_e32 v31, vcc_lo, s27, v4, vcc_lo
	s_mov_b32 s26, 0
	s_mov_b32 s9, exec_lo
                                        ; implicit-def: $vgpr10_vgpr11
	s_delay_alu instid0(VALU_DEP_1)
	v_cmpx_gt_u64_e64 v[30:31], v[0:1]
	s_cbranch_execz .LBB162_170
; %bb.162:                              ;   in Loop: Header=BB162_18 Depth=1
	v_dual_mov_b32 v33, v1 :: v_dual_mov_b32 v32, v0
	s_mov_b32 s23, 0
                                        ; implicit-def: $sgpr22
	s_branch .LBB162_164
.LBB162_163:                            ;   in Loop: Header=BB162_164 Depth=2
	s_or_b32 exec_lo, exec_lo, s8
	s_waitcnt vmcnt(0) lgkmcnt(0)
	s_barrier
	buffer_gl0_inv
	ds_load_b128 v[8:11], v19 offset:3072
	v_add_co_u32 v32, vcc_lo, v32, s35
	v_add_co_ci_u32_e32 v33, vcc_lo, 0, v33, vcc_lo
	s_waitcnt lgkmcnt(0)
	s_barrier
	buffer_gl0_inv
	v_cmp_ge_u64_e32 vcc_lo, v[32:33], v[30:31]
	v_readfirstlane_b32 s49, v9
	v_readfirstlane_b32 s48, v8
	s_delay_alu instid0(VALU_DEP_1) | instskip(SKIP_1) | instid1(SALU_CYCLE_1)
	s_cmp_lg_u64 s[48:49], 0
	s_cselect_b32 s8, -1, 0
	s_or_b32 s26, vcc_lo, s8
	s_delay_alu instid0(SALU_CYCLE_1) | instskip(NEXT) | instid1(SALU_CYCLE_1)
	s_and_b32 s26, exec_lo, s26
	s_or_b32 s23, s26, s23
	s_and_not1_b32 s22, s22, exec_lo
	s_and_b32 s8, s8, exec_lo
	s_delay_alu instid0(SALU_CYCLE_1)
	s_or_b32 s22, s22, s8
	s_and_not1_b32 exec_lo, exec_lo, s23
	s_cbranch_execz .LBB162_169
.LBB162_164:                            ;   Parent Loop BB162_18 Depth=1
                                        ; =>  This Inner Loop Header: Depth=2
	s_delay_alu instid0(VALU_DEP_1)
	v_cmp_gt_u64_e32 vcc_lo, s[36:37], v[32:33]
	v_mov_b32_e32 v4, 0
	v_mov_b32_e32 v5, 0
	s_and_saveexec_b32 s26, vcc_lo
	s_cbranch_execz .LBB162_166
; %bb.165:                              ;   in Loop: Header=BB162_164 Depth=2
	v_mul_lo_u32 v5, v33, s30
	v_mul_lo_u32 v8, v32, s31
	v_mad_u64_u32 v[3:4], null, v32, s30, 0
	s_delay_alu instid0(VALU_DEP_1) | instskip(NEXT) | instid1(VALU_DEP_1)
	v_add3_u32 v4, v4, v8, v5
	v_lshlrev_b64 v[3:4], 3, v[3:4]
	s_delay_alu instid0(VALU_DEP_1) | instskip(NEXT) | instid1(VALU_DEP_1)
	v_add_co_u32 v3, s8, s29, v3
	v_add_co_ci_u32_e64 v4, s8, s33, v4, s8
	global_load_b64 v[4:5], v[3:4], off
.LBB162_166:                            ;   in Loop: Header=BB162_164 Depth=2
	s_or_b32 exec_lo, exec_lo, s26
	s_and_saveexec_b32 s8, vcc_lo
	s_cbranch_execz .LBB162_163
; %bb.167:                              ;   in Loop: Header=BB162_164 Depth=2
	s_waitcnt vmcnt(0)
	v_xor_b32_e32 v3, 0x80000000, v5
	v_and_b32_e32 v8, v4, v14
	s_delay_alu instid0(VALU_DEP_2) | instskip(NEXT) | instid1(VALU_DEP_1)
	v_and_b32_e32 v9, v3, v15
	v_cmp_eq_u64_e32 vcc_lo, v[8:9], v[12:13]
	s_and_b32 exec_lo, exec_lo, vcc_lo
	s_cbranch_execz .LBB162_163
; %bb.168:                              ;   in Loop: Header=BB162_164 Depth=2
	v_mov_b32_e32 v3, v19
	ds_store_b128 v19, v[2:5] offset:3072
	s_branch .LBB162_163
.LBB162_169:                            ;   in Loop: Header=BB162_18 Depth=1
	s_or_b32 exec_lo, exec_lo, s23
	s_delay_alu instid0(SALU_CYCLE_1)
	s_and_b32 s26, s22, exec_lo
.LBB162_170:                            ;   in Loop: Header=BB162_18 Depth=1
	s_or_b32 exec_lo, exec_lo, s9
	s_mov_b32 s80, -1
	s_mov_b32 s74, 0
	s_mov_b32 s79, 0
.LBB162_171:                            ;   in Loop: Header=BB162_18 Depth=1
	s_or_not1_b32 s8, s26, exec_lo
.LBB162_172:                            ;   in Loop: Header=BB162_18 Depth=1
	s_or_b32 exec_lo, exec_lo, s59
	s_mov_b32 s26, 0
                                        ; implicit-def: $vgpr5
	s_and_saveexec_b32 s81, s8
	s_cbranch_execz .LBB162_285
; %bb.173:                              ;   in Loop: Header=BB162_18 Depth=1
	v_dual_mov_b32 v30, 1 :: v_dual_mov_b32 v5, 1
	v_mov_b32_e32 v31, 0
	s_xor_b32 s9, s58, -1
	s_delay_alu instid0(SALU_CYCLE_1)
	s_and_saveexec_b32 s8, s9
	s_cbranch_execz .LBB162_183
; %bb.174:                              ;   in Loop: Header=BB162_18 Depth=1
	s_mov_b32 s22, exec_lo
                                        ; implicit-def: $sgpr23
                                        ; implicit-def: $sgpr9
	v_cmpx_ge_u64_e64 s[16:17], v[28:29]
	s_xor_b32 s22, exec_lo, s22
	s_cbranch_execz .LBB162_180
; %bb.175:                              ;   in Loop: Header=BB162_18 Depth=1
	ds_load_b64 v[3:4], v19 offset:5120
	s_waitcnt lgkmcnt(0)
	v_cmp_ne_u64_e32 vcc_lo, 0, v[3:4]
	s_cbranch_vccnz .LBB162_179
; %bb.176:                              ;   in Loop: Header=BB162_18 Depth=1
	s_and_saveexec_b32 s9, s5
	s_cbranch_execz .LBB162_178
; %bb.177:                              ;   in Loop: Header=BB162_18 Depth=1
	v_dual_mov_b32 v3, s16 :: v_dual_mov_b32 v4, s17
	ds_store_b64 v19, v[3:4] offset:5128
.LBB162_178:                            ;   in Loop: Header=BB162_18 Depth=1
	s_or_b32 exec_lo, exec_lo, s9
	s_waitcnt lgkmcnt(0)
	s_barrier
	buffer_gl0_inv
.LBB162_179:                            ;   in Loop: Header=BB162_18 Depth=1
	v_and_b32_e32 v3, s15, v13
	v_and_b32_e32 v4, s14, v12
	s_lshl_b64 s[48:49], 1, s24
	v_or_b32_e32 v15, s13, v15
	v_or_b32_e32 v14, s12, v14
	;; [unrolled: 1-line block ×4, first 2 shown]
	s_mov_b32 s9, 0
	s_mov_b32 s23, 8
.LBB162_180:                            ;   in Loop: Header=BB162_18 Depth=1
	s_or_saveexec_b32 s22, s22
	v_mov_b32_e32 v5, s23
	s_xor_b32 exec_lo, exec_lo, s22
; %bb.181:                              ;   in Loop: Header=BB162_18 Depth=1
	v_sub_co_u32 v28, vcc_lo, v28, s16
	v_subrev_co_ci_u32_e32 v29, vcc_lo, s17, v29, vcc_lo
	v_mov_b32_e32 v5, 0
	s_or_b32 s9, s9, exec_lo
; %bb.182:                              ;   in Loop: Header=BB162_18 Depth=1
	s_or_b32 exec_lo, exec_lo, s22
	s_delay_alu instid0(VALU_DEP_2)
	v_dual_mov_b32 v31, v29 :: v_dual_mov_b32 v30, v28
	s_and_b32 s26, s9, exec_lo
.LBB162_183:                            ;   in Loop: Header=BB162_18 Depth=1
	s_or_b32 exec_lo, exec_lo, s8
	s_mov_b32 s8, -1
                                        ; implicit-def: $sgpr9
                                        ; implicit-def: $sgpr22
                                        ; implicit-def: $sgpr23
	s_and_saveexec_b32 s82, s26
	s_cbranch_execz .LBB162_284
; %bb.184:                              ;   in Loop: Header=BB162_18 Depth=1
	v_cmp_eq_u64_e32 vcc_lo, 1, v[30:31]
	s_cmp_eq_u64 s[18:19], 1
                                        ; implicit-def: $sgpr83
                                        ; implicit-def: $sgpr69
                                        ; implicit-def: $sgpr68
	s_cselect_b32 s8, -1, 0
	s_delay_alu instid0(SALU_CYCLE_1)
	s_and_b32 s59, s8, vcc_lo
	s_mov_b32 s8, -1
	s_and_saveexec_b32 s58, s59
	s_cbranch_execz .LBB162_218
; %bb.185:                              ;   in Loop: Header=BB162_18 Depth=1
	ds_load_b64 v[3:4], v19 offset:5120
	s_waitcnt lgkmcnt(0)
	s_barrier
	buffer_gl0_inv
	v_readfirstlane_b32 s22, v3
	v_readfirstlane_b32 s23, v4
	s_and_saveexec_b32 s8, s6
	s_cbranch_execz .LBB162_187
; %bb.186:                              ;   in Loop: Header=BB162_18 Depth=1
	v_mov_b32_e32 v18, v19
	ds_store_b64 v38, v[18:19]
.LBB162_187:                            ;   in Loop: Header=BB162_18 Depth=1
	s_or_b32 exec_lo, exec_lo, s8
	v_and_b32_e32 v3, s15, v13
	v_and_b32_e32 v4, s14, v12
	s_lshl_b64 s[8:9], 2, s24
	v_or_b32_e32 v15, s13, v15
	v_or_b32_e32 v14, s12, v14
	;; [unrolled: 1-line block ×4, first 2 shown]
	s_cmp_eq_u64 s[22:23], 0
	s_waitcnt lgkmcnt(0)
	s_barrier
	buffer_gl0_inv
	s_cbranch_scc1 .LBB162_201
; %bb.188:                              ;   in Loop: Header=BB162_18 Depth=1
	s_add_u32 s26, s86, s22
	s_addc_u32 s9, s87, s23
	s_mov_b32 s8, s71
	s_delay_alu instid0(SALU_CYCLE_1)
	s_cmp_lg_u64 s[8:9], 0
	s_cbranch_scc0 .LBB162_236
; %bb.189:                              ;   in Loop: Header=BB162_18 Depth=1
	v_cvt_f32_u32_e32 v3, s35
	s_sub_u32 s49, 0, s35
	s_subb_u32 s50, 0, 0
	s_delay_alu instid0(VALU_DEP_1) | instskip(NEXT) | instid1(VALU_DEP_1)
	v_fmac_f32_e64 v3, 0, 0x4f800000
	v_rcp_f32_e32 v3, v3
	s_waitcnt_depctr 0xfff
	v_mul_f32_e32 v3, 0x5f7ffffc, v3
	s_delay_alu instid0(VALU_DEP_1) | instskip(NEXT) | instid1(VALU_DEP_1)
	v_mul_f32_e32 v4, 0x2f800000, v3
	v_trunc_f32_e32 v4, v4
	s_delay_alu instid0(VALU_DEP_1) | instskip(SKIP_1) | instid1(VALU_DEP_2)
	v_fmac_f32_e32 v3, 0xcf800000, v4
	v_cvt_u32_f32_e32 v4, v4
	v_cvt_u32_f32_e32 v3, v3
	s_delay_alu instid0(VALU_DEP_2) | instskip(NEXT) | instid1(VALU_DEP_2)
	v_readfirstlane_b32 s8, v4
	v_readfirstlane_b32 s48, v3
	s_delay_alu instid0(VALU_DEP_2) | instskip(NEXT) | instid1(VALU_DEP_1)
	s_mul_i32 s51, s49, s8
	s_mul_hi_u32 s65, s49, s48
	s_mul_i32 s64, s50, s48
	s_add_i32 s51, s65, s51
	s_mul_i32 s68, s49, s48
	s_add_i32 s51, s51, s64
	s_mul_hi_u32 s65, s48, s68
	s_mul_hi_u32 s69, s8, s68
	s_mul_i32 s64, s8, s68
	s_mul_hi_u32 s68, s48, s51
	s_mul_i32 s48, s48, s51
	s_mul_hi_u32 s83, s8, s51
	s_add_u32 s48, s65, s48
	s_addc_u32 s65, 0, s68
	s_add_u32 s48, s48, s64
	s_mul_i32 s51, s8, s51
	s_addc_u32 s48, s65, s69
	s_addc_u32 s64, s83, 0
	s_add_u32 s48, s48, s51
	s_addc_u32 s51, 0, s64
	v_add_co_u32 v3, s48, v3, s48
	s_delay_alu instid0(VALU_DEP_1) | instskip(SKIP_1) | instid1(VALU_DEP_1)
	s_cmp_lg_u32 s48, 0
	s_addc_u32 s8, s8, s51
	v_readfirstlane_b32 s48, v3
	s_mul_i32 s51, s49, s8
	s_delay_alu instid0(VALU_DEP_1)
	s_mul_hi_u32 s64, s49, s48
	s_mul_i32 s50, s50, s48
	s_add_i32 s51, s64, s51
	s_mul_i32 s49, s49, s48
	s_add_i32 s51, s51, s50
	s_mul_hi_u32 s64, s8, s49
	s_mul_i32 s65, s8, s49
	s_mul_hi_u32 s49, s48, s49
	s_mul_hi_u32 s68, s48, s51
	s_mul_i32 s48, s48, s51
	s_mul_hi_u32 s50, s8, s51
	s_add_u32 s48, s49, s48
	s_addc_u32 s49, 0, s68
	s_add_u32 s48, s48, s65
	s_mul_i32 s51, s8, s51
	s_addc_u32 s48, s49, s64
	s_addc_u32 s49, s50, 0
	s_add_u32 s48, s48, s51
	s_addc_u32 s49, 0, s49
	v_add_co_u32 v3, s48, v3, s48
	s_delay_alu instid0(VALU_DEP_1) | instskip(SKIP_1) | instid1(VALU_DEP_1)
	s_cmp_lg_u32 s48, 0
	s_addc_u32 s8, s8, s49
	v_readfirstlane_b32 s48, v3
	s_mul_i32 s50, s26, s8
	s_mul_hi_u32 s49, s26, s8
	s_mul_hi_u32 s51, s9, s8
	s_mul_i32 s8, s9, s8
	s_mul_hi_u32 s64, s26, s48
	s_mul_hi_u32 s65, s9, s48
	s_mul_i32 s48, s9, s48
	s_add_u32 s50, s64, s50
	s_addc_u32 s49, 0, s49
	s_add_u32 s48, s50, s48
	s_addc_u32 s48, s49, s65
	s_addc_u32 s49, s51, 0
	s_add_u32 s8, s48, s8
	s_addc_u32 s48, 0, s49
	s_mul_hi_u32 s49, s35, s8
	s_mul_i32 s8, s35, s8
	s_mul_i32 s48, s35, s48
	v_sub_co_u32 v3, s8, s26, s8
	s_add_i32 s49, s49, s48
	s_cmp_lg_u32 s8, 0
	s_delay_alu instid0(VALU_DEP_1) | instskip(SKIP_3) | instid1(VALU_DEP_2)
	v_sub_co_u32 v4, s8, v3, s35
	s_subb_u32 s48, s9, s49
	s_cmp_lg_u32 s8, 0
	v_cmp_le_u32_e32 vcc_lo, s35, v3
	v_cmp_le_u32_e64 s8, s35, v4
	v_sub_co_u32 v5, s49, v4, s35
	s_subb_u32 s50, s48, 0
	s_cmp_lg_u32 s49, 0
	s_delay_alu instid0(VALU_DEP_2)
	v_cndmask_b32_e64 v8, 0, -1, s8
	s_subb_u32 s49, s50, 0
	s_cmp_eq_u32 s50, 0
	v_mov_b32_e32 v10, s49
	v_cndmask_b32_e64 v9, 0, -1, vcc_lo
	s_cselect_b32 vcc_lo, -1, 0
	s_cmp_eq_u32 s48, 0
	v_cndmask_b32_e32 v8, -1, v8, vcc_lo
	s_cselect_b32 vcc_lo, -1, 0
	v_cndmask_b32_e32 v9, -1, v9, vcc_lo
	s_delay_alu instid0(VALU_DEP_2) | instskip(NEXT) | instid1(VALU_DEP_2)
	v_cmp_ne_u32_e32 vcc_lo, 0, v8
	v_cmp_ne_u32_e64 s8, 0, v9
	v_cndmask_b32_e32 v8, s50, v10, vcc_lo
	v_cndmask_b32_e32 v5, v4, v5, vcc_lo
	s_delay_alu instid0(VALU_DEP_2) | instskip(NEXT) | instid1(VALU_DEP_2)
	v_cndmask_b32_e64 v4, s48, v8, s8
	v_cndmask_b32_e64 v3, v3, v5, s8
	s_cbranch_execnz .LBB162_191
.LBB162_190:                            ;   in Loop: Header=BB162_18 Depth=1
	v_cvt_f32_u32_e32 v3, s35
	s_sub_i32 s8, 0, s35
	s_delay_alu instid0(VALU_DEP_1) | instskip(SKIP_2) | instid1(VALU_DEP_1)
	v_rcp_iflag_f32_e32 v3, v3
	s_waitcnt_depctr 0xfff
	v_mul_f32_e32 v3, 0x4f7ffffe, v3
	v_cvt_u32_f32_e32 v3, v3
	s_delay_alu instid0(VALU_DEP_1) | instskip(NEXT) | instid1(VALU_DEP_1)
	v_mul_lo_u32 v4, s8, v3
	v_mul_hi_u32 v4, v3, v4
	s_delay_alu instid0(VALU_DEP_1) | instskip(NEXT) | instid1(VALU_DEP_1)
	v_add_nc_u32_e32 v3, v3, v4
	v_mul_hi_u32 v3, s26, v3
	s_delay_alu instid0(VALU_DEP_1) | instskip(NEXT) | instid1(VALU_DEP_1)
	v_mul_lo_u32 v3, v3, s35
	v_sub_nc_u32_e32 v3, s26, v3
	s_delay_alu instid0(VALU_DEP_1) | instskip(SKIP_1) | instid1(VALU_DEP_2)
	v_subrev_nc_u32_e32 v4, s35, v3
	v_cmp_le_u32_e32 vcc_lo, s35, v3
	v_cndmask_b32_e32 v3, v3, v4, vcc_lo
	s_delay_alu instid0(VALU_DEP_1) | instskip(SKIP_1) | instid1(VALU_DEP_2)
	v_subrev_nc_u32_e32 v4, s35, v3
	v_cmp_le_u32_e32 vcc_lo, s35, v3
	v_cndmask_b32_e32 v18, v3, v4, vcc_lo
	s_delay_alu instid0(VALU_DEP_1)
	v_dual_mov_b32 v3, v18 :: v_dual_mov_b32 v4, v19
.LBB162_191:                            ;   in Loop: Header=BB162_18 Depth=1
	s_delay_alu instid0(VALU_DEP_1) | instskip(NEXT) | instid1(VALU_DEP_2)
	v_sub_co_u32 v28, vcc_lo, s26, v3
	v_sub_co_ci_u32_e32 v29, vcc_lo, s9, v4, vcc_lo
	s_mov_b32 s26, 0
	s_mov_b32 s8, exec_lo
                                        ; implicit-def: $vgpr10_vgpr11
	s_delay_alu instid0(VALU_DEP_1)
	v_cmpx_gt_u64_e64 v[28:29], v[0:1]
	s_cbranch_execz .LBB162_203
; %bb.192:                              ;   in Loop: Header=BB162_18 Depth=1
	v_mov_b32_e32 v18, v37
	v_dual_mov_b32 v33, v1 :: v_dual_mov_b32 v32, v0
                                        ; implicit-def: $sgpr9
	s_set_inst_prefetch_distance 0x1
	s_branch .LBB162_194
	.p2align	6
.LBB162_193:                            ;   in Loop: Header=BB162_194 Depth=2
	s_or_b32 exec_lo, exec_lo, s64
	s_waitcnt lgkmcnt(0)
	s_barrier
	buffer_gl0_inv
	ds_load_b128 v[8:11], v19 offset:3072
	v_add_co_u32 v32, vcc_lo, v32, s35
	v_add_co_ci_u32_e32 v33, vcc_lo, 0, v33, vcc_lo
	v_add_nc_u32_e32 v18, s94, v18
	s_waitcnt lgkmcnt(0)
	s_barrier
	s_delay_alu instid0(VALU_DEP_2) | instskip(SKIP_3) | instid1(VALU_DEP_1)
	v_cmp_ge_u64_e32 vcc_lo, v[32:33], v[28:29]
	buffer_gl0_inv
	v_readfirstlane_b32 s49, v9
	v_readfirstlane_b32 s48, v8
	s_cmp_lg_u64 s[48:49], 0
	s_cselect_b32 s48, -1, 0
	s_delay_alu instid0(SALU_CYCLE_1) | instskip(NEXT) | instid1(SALU_CYCLE_1)
	s_or_b32 s49, vcc_lo, s48
	s_and_b32 s49, exec_lo, s49
	s_delay_alu instid0(SALU_CYCLE_1) | instskip(SKIP_2) | instid1(SALU_CYCLE_1)
	s_or_b32 s26, s49, s26
	s_and_not1_b32 s9, s9, exec_lo
	s_and_b32 s48, s48, exec_lo
	s_or_b32 s9, s9, s48
	s_and_not1_b32 exec_lo, exec_lo, s26
	s_cbranch_execz .LBB162_202
.LBB162_194:                            ;   Parent Loop BB162_18 Depth=1
                                        ; =>  This Inner Loop Header: Depth=2
	s_delay_alu instid0(VALU_DEP_1)
	v_cmp_gt_u64_e32 vcc_lo, s[22:23], v[32:33]
	v_mov_b32_e32 v4, 0
	v_mov_b32_e32 v5, 0
	s_and_saveexec_b32 s48, vcc_lo
	s_cbranch_execz .LBB162_196
; %bb.195:                              ;   in Loop: Header=BB162_194 Depth=2
	ds_load_b64 v[4:5], v18
.LBB162_196:                            ;   in Loop: Header=BB162_194 Depth=2
	s_or_b32 exec_lo, exec_lo, s48
	s_and_saveexec_b32 s64, vcc_lo
	s_cbranch_execz .LBB162_193
; %bb.197:                              ;   in Loop: Header=BB162_194 Depth=2
	s_waitcnt lgkmcnt(0)
	v_xor_b32_e32 v3, 0x80000000, v5
	v_and_b32_e32 v8, v4, v14
	s_delay_alu instid0(VALU_DEP_2) | instskip(NEXT) | instid1(VALU_DEP_1)
	v_and_b32_e32 v9, v3, v15
	v_cmp_eq_u64_e32 vcc_lo, v[8:9], v[12:13]
	s_and_b32 exec_lo, exec_lo, vcc_lo
	s_cbranch_execz .LBB162_193
; %bb.198:                              ;   in Loop: Header=BB162_194 Depth=2
	v_mov_b32_e32 v3, v19
	ds_store_b128 v19, v[2:5] offset:3072
	s_branch .LBB162_193
.LBB162_199:                            ;   in Loop: Header=BB162_18 Depth=1
                                        ; implicit-def: $vgpr3_vgpr4
	s_branch .LBB162_144
.LBB162_200:                            ;   in Loop: Header=BB162_18 Depth=1
                                        ; implicit-def: $vgpr3_vgpr4
	s_branch .LBB162_160
.LBB162_201:                            ;   in Loop: Header=BB162_18 Depth=1
	s_mov_b32 s83, -1
	s_mov_b32 s26, 0
                                        ; implicit-def: $sgpr68
                                        ; implicit-def: $vgpr10_vgpr11
	s_mov_b32 s69, s83
	s_cbranch_execnz .LBB162_204
	s_branch .LBB162_217
.LBB162_202:                            ;   in Loop: Header=BB162_18 Depth=1
	s_set_inst_prefetch_distance 0x2
	s_or_b32 exec_lo, exec_lo, s26
	s_delay_alu instid0(SALU_CYCLE_1)
	s_and_b32 s26, s9, exec_lo
.LBB162_203:                            ;   in Loop: Header=BB162_18 Depth=1
	s_or_b32 exec_lo, exec_lo, s8
	s_mov_b32 s68, -1
	s_mov_b32 s83, 0
	s_delay_alu instid0(SALU_CYCLE_1)
	s_mov_b32 s69, s83
	s_branch .LBB162_217
.LBB162_204:                            ;   in Loop: Header=BB162_18 Depth=1
	s_mov_b32 s26, s71
	s_delay_alu instid0(SALU_CYCLE_1)
	s_cmp_lg_u64 s[26:27], 0
	s_cbranch_scc0 .LBB162_237
; %bb.205:                              ;   in Loop: Header=BB162_18 Depth=1
	v_cvt_f32_u32_e32 v3, s35
	s_sub_u32 s22, 0, s35
	s_subb_u32 s23, 0, 0
	s_delay_alu instid0(VALU_DEP_1) | instskip(NEXT) | instid1(VALU_DEP_1)
	v_fmac_f32_e64 v3, 0, 0x4f800000
	v_rcp_f32_e32 v3, v3
	s_waitcnt_depctr 0xfff
	v_mul_f32_e32 v3, 0x5f7ffffc, v3
	s_delay_alu instid0(VALU_DEP_1) | instskip(NEXT) | instid1(VALU_DEP_1)
	v_mul_f32_e32 v4, 0x2f800000, v3
	v_trunc_f32_e32 v4, v4
	s_delay_alu instid0(VALU_DEP_1) | instskip(SKIP_1) | instid1(VALU_DEP_2)
	v_fmac_f32_e32 v3, 0xcf800000, v4
	v_cvt_u32_f32_e32 v4, v4
	v_cvt_u32_f32_e32 v3, v3
	s_delay_alu instid0(VALU_DEP_2) | instskip(NEXT) | instid1(VALU_DEP_2)
	v_readfirstlane_b32 s8, v4
	v_readfirstlane_b32 s9, v3
	s_delay_alu instid0(VALU_DEP_2) | instskip(NEXT) | instid1(VALU_DEP_1)
	s_mul_i32 s26, s22, s8
	s_mul_hi_u32 s49, s22, s9
	s_mul_i32 s48, s23, s9
	s_add_i32 s26, s49, s26
	s_mul_i32 s50, s22, s9
	s_add_i32 s26, s26, s48
	s_mul_hi_u32 s49, s9, s50
	s_mul_hi_u32 s51, s8, s50
	s_mul_i32 s48, s8, s50
	s_mul_hi_u32 s50, s9, s26
	s_mul_i32 s9, s9, s26
	s_mul_hi_u32 s64, s8, s26
	s_add_u32 s9, s49, s9
	s_addc_u32 s49, 0, s50
	s_add_u32 s9, s9, s48
	s_mul_i32 s26, s8, s26
	s_addc_u32 s9, s49, s51
	s_addc_u32 s48, s64, 0
	s_add_u32 s9, s9, s26
	s_addc_u32 s26, 0, s48
	v_add_co_u32 v3, s9, v3, s9
	s_delay_alu instid0(VALU_DEP_1) | instskip(SKIP_1) | instid1(VALU_DEP_1)
	s_cmp_lg_u32 s9, 0
	s_addc_u32 s8, s8, s26
	v_readfirstlane_b32 s9, v3
	s_mul_i32 s26, s22, s8
	s_delay_alu instid0(VALU_DEP_1)
	s_mul_hi_u32 s48, s22, s9
	s_mul_i32 s23, s23, s9
	s_add_i32 s26, s48, s26
	s_mul_i32 s22, s22, s9
	s_add_i32 s26, s26, s23
	s_mul_hi_u32 s48, s8, s22
	s_mul_i32 s49, s8, s22
	s_mul_hi_u32 s22, s9, s22
	s_mul_hi_u32 s50, s9, s26
	s_mul_i32 s9, s9, s26
	s_mul_hi_u32 s23, s8, s26
	s_add_u32 s9, s22, s9
	s_addc_u32 s22, 0, s50
	s_add_u32 s9, s9, s49
	s_mul_i32 s26, s8, s26
	s_addc_u32 s9, s22, s48
	s_addc_u32 s22, s23, 0
	s_add_u32 s9, s9, s26
	s_addc_u32 s22, 0, s22
	v_add_co_u32 v3, s9, v3, s9
	s_delay_alu instid0(VALU_DEP_1) | instskip(SKIP_1) | instid1(VALU_DEP_1)
	s_cmp_lg_u32 s9, 0
	s_addc_u32 s8, s8, s22
	v_readfirstlane_b32 s9, v3
	s_mul_i32 s23, s88, s8
	s_mul_hi_u32 s22, s88, s8
	s_mul_hi_u32 s26, s27, s8
	s_mul_i32 s8, s27, s8
	s_mul_hi_u32 s48, s88, s9
	s_mul_hi_u32 s49, s27, s9
	s_mul_i32 s9, s27, s9
	s_add_u32 s23, s48, s23
	s_addc_u32 s22, 0, s22
	s_add_u32 s9, s23, s9
	s_addc_u32 s9, s22, s49
	s_addc_u32 s22, s26, 0
	s_add_u32 s8, s9, s8
	s_addc_u32 s9, 0, s22
	s_mul_hi_u32 s22, s35, s8
	s_mul_i32 s8, s35, s8
	s_mul_i32 s9, s35, s9
	v_sub_co_u32 v3, s8, s88, s8
	s_add_i32 s22, s22, s9
	s_cmp_lg_u32 s8, 0
	s_delay_alu instid0(VALU_DEP_1) | instskip(SKIP_3) | instid1(VALU_DEP_2)
	v_sub_co_u32 v4, s8, v3, s35
	s_subb_u32 s9, s27, s22
	s_cmp_lg_u32 s8, 0
	v_cmp_le_u32_e32 vcc_lo, s35, v3
	v_cmp_le_u32_e64 s8, s35, v4
	v_sub_co_u32 v5, s22, v4, s35
	s_subb_u32 s23, s9, 0
	s_cmp_lg_u32 s22, 0
	s_delay_alu instid0(VALU_DEP_2)
	v_cndmask_b32_e64 v8, 0, -1, s8
	s_subb_u32 s22, s23, 0
	s_cmp_eq_u32 s23, 0
	v_mov_b32_e32 v10, s22
	v_cndmask_b32_e64 v9, 0, -1, vcc_lo
	s_cselect_b32 vcc_lo, -1, 0
	s_cmp_eq_u32 s9, 0
	v_cndmask_b32_e32 v8, -1, v8, vcc_lo
	s_cselect_b32 vcc_lo, -1, 0
	v_cndmask_b32_e32 v9, -1, v9, vcc_lo
	s_delay_alu instid0(VALU_DEP_2) | instskip(NEXT) | instid1(VALU_DEP_2)
	v_cmp_ne_u32_e32 vcc_lo, 0, v8
	v_cmp_ne_u32_e64 s8, 0, v9
	v_cndmask_b32_e32 v8, s23, v10, vcc_lo
	v_cndmask_b32_e32 v5, v4, v5, vcc_lo
	s_delay_alu instid0(VALU_DEP_2) | instskip(NEXT) | instid1(VALU_DEP_2)
	v_cndmask_b32_e64 v4, s9, v8, s8
	v_cndmask_b32_e64 v3, v3, v5, s8
	s_cbranch_execnz .LBB162_207
.LBB162_206:                            ;   in Loop: Header=BB162_18 Depth=1
	v_cvt_f32_u32_e32 v3, s35
	s_sub_i32 s8, 0, s35
	s_delay_alu instid0(VALU_DEP_1) | instskip(SKIP_2) | instid1(VALU_DEP_1)
	v_rcp_iflag_f32_e32 v3, v3
	s_waitcnt_depctr 0xfff
	v_mul_f32_e32 v3, 0x4f7ffffe, v3
	v_cvt_u32_f32_e32 v3, v3
	s_delay_alu instid0(VALU_DEP_1) | instskip(NEXT) | instid1(VALU_DEP_1)
	v_mul_lo_u32 v4, s8, v3
	v_mul_hi_u32 v4, v3, v4
	s_delay_alu instid0(VALU_DEP_1) | instskip(NEXT) | instid1(VALU_DEP_1)
	v_add_nc_u32_e32 v3, v3, v4
	v_mul_hi_u32 v3, s88, v3
	s_delay_alu instid0(VALU_DEP_1) | instskip(NEXT) | instid1(VALU_DEP_1)
	v_mul_lo_u32 v3, v3, s35
	v_sub_nc_u32_e32 v3, s88, v3
	s_delay_alu instid0(VALU_DEP_1) | instskip(SKIP_1) | instid1(VALU_DEP_2)
	v_subrev_nc_u32_e32 v4, s35, v3
	v_cmp_le_u32_e32 vcc_lo, s35, v3
	v_cndmask_b32_e32 v3, v3, v4, vcc_lo
	s_delay_alu instid0(VALU_DEP_1) | instskip(SKIP_1) | instid1(VALU_DEP_2)
	v_subrev_nc_u32_e32 v4, s35, v3
	v_cmp_le_u32_e32 vcc_lo, s35, v3
	v_cndmask_b32_e32 v18, v3, v4, vcc_lo
	s_delay_alu instid0(VALU_DEP_1)
	v_dual_mov_b32 v3, v18 :: v_dual_mov_b32 v4, v19
.LBB162_207:                            ;   in Loop: Header=BB162_18 Depth=1
	s_delay_alu instid0(VALU_DEP_1) | instskip(NEXT) | instid1(VALU_DEP_2)
	v_sub_co_u32 v28, vcc_lo, s88, v3
	v_sub_co_ci_u32_e32 v29, vcc_lo, s27, v4, vcc_lo
	s_mov_b32 s26, 0
	s_mov_b32 s9, exec_lo
                                        ; implicit-def: $vgpr10_vgpr11
	s_delay_alu instid0(VALU_DEP_1)
	v_cmpx_gt_u64_e64 v[28:29], v[0:1]
	s_cbranch_execz .LBB162_216
; %bb.208:                              ;   in Loop: Header=BB162_18 Depth=1
	v_dual_mov_b32 v33, v1 :: v_dual_mov_b32 v32, v0
	s_mov_b32 s23, 0
                                        ; implicit-def: $sgpr22
	s_branch .LBB162_210
.LBB162_209:                            ;   in Loop: Header=BB162_210 Depth=2
	s_or_b32 exec_lo, exec_lo, s8
	s_waitcnt vmcnt(0) lgkmcnt(0)
	s_barrier
	buffer_gl0_inv
	ds_load_b128 v[8:11], v19 offset:3072
	v_add_co_u32 v32, vcc_lo, v32, s35
	v_add_co_ci_u32_e32 v33, vcc_lo, 0, v33, vcc_lo
	s_waitcnt lgkmcnt(0)
	s_barrier
	buffer_gl0_inv
	v_cmp_ge_u64_e32 vcc_lo, v[32:33], v[28:29]
	v_readfirstlane_b32 s49, v9
	v_readfirstlane_b32 s48, v8
	s_delay_alu instid0(VALU_DEP_1) | instskip(SKIP_1) | instid1(SALU_CYCLE_1)
	s_cmp_lg_u64 s[48:49], 0
	s_cselect_b32 s8, -1, 0
	s_or_b32 s26, vcc_lo, s8
	s_delay_alu instid0(SALU_CYCLE_1) | instskip(NEXT) | instid1(SALU_CYCLE_1)
	s_and_b32 s26, exec_lo, s26
	s_or_b32 s23, s26, s23
	s_and_not1_b32 s22, s22, exec_lo
	s_and_b32 s8, s8, exec_lo
	s_delay_alu instid0(SALU_CYCLE_1)
	s_or_b32 s22, s22, s8
	s_and_not1_b32 exec_lo, exec_lo, s23
	s_cbranch_execz .LBB162_215
.LBB162_210:                            ;   Parent Loop BB162_18 Depth=1
                                        ; =>  This Inner Loop Header: Depth=2
	s_delay_alu instid0(VALU_DEP_1)
	v_cmp_gt_u64_e32 vcc_lo, s[36:37], v[32:33]
	v_mov_b32_e32 v4, 0
	v_mov_b32_e32 v5, 0
	s_and_saveexec_b32 s26, vcc_lo
	s_cbranch_execz .LBB162_212
; %bb.211:                              ;   in Loop: Header=BB162_210 Depth=2
	v_mul_lo_u32 v5, v33, s30
	v_mul_lo_u32 v8, v32, s31
	v_mad_u64_u32 v[3:4], null, v32, s30, 0
	s_delay_alu instid0(VALU_DEP_1) | instskip(NEXT) | instid1(VALU_DEP_1)
	v_add3_u32 v4, v4, v8, v5
	v_lshlrev_b64 v[3:4], 3, v[3:4]
	s_delay_alu instid0(VALU_DEP_1) | instskip(NEXT) | instid1(VALU_DEP_1)
	v_add_co_u32 v3, s8, s29, v3
	v_add_co_ci_u32_e64 v4, s8, s33, v4, s8
	global_load_b64 v[4:5], v[3:4], off
.LBB162_212:                            ;   in Loop: Header=BB162_210 Depth=2
	s_or_b32 exec_lo, exec_lo, s26
	s_and_saveexec_b32 s8, vcc_lo
	s_cbranch_execz .LBB162_209
; %bb.213:                              ;   in Loop: Header=BB162_210 Depth=2
	s_waitcnt vmcnt(0)
	v_xor_b32_e32 v3, 0x80000000, v5
	v_and_b32_e32 v8, v4, v14
	s_delay_alu instid0(VALU_DEP_2) | instskip(NEXT) | instid1(VALU_DEP_1)
	v_and_b32_e32 v9, v3, v15
	v_cmp_eq_u64_e32 vcc_lo, v[8:9], v[12:13]
	s_and_b32 exec_lo, exec_lo, vcc_lo
	s_cbranch_execz .LBB162_209
; %bb.214:                              ;   in Loop: Header=BB162_210 Depth=2
	v_mov_b32_e32 v3, v19
	ds_store_b128 v19, v[2:5] offset:3072
	s_branch .LBB162_209
.LBB162_215:                            ;   in Loop: Header=BB162_18 Depth=1
	s_or_b32 exec_lo, exec_lo, s23
	s_delay_alu instid0(SALU_CYCLE_1)
	s_and_b32 s26, s22, exec_lo
.LBB162_216:                            ;   in Loop: Header=BB162_18 Depth=1
	s_or_b32 exec_lo, exec_lo, s9
	s_mov_b32 s69, -1
	s_mov_b32 s83, 0
	s_mov_b32 s68, 0
.LBB162_217:                            ;   in Loop: Header=BB162_18 Depth=1
	s_or_not1_b32 s8, s26, exec_lo
.LBB162_218:                            ;   in Loop: Header=BB162_18 Depth=1
	s_or_b32 exec_lo, exec_lo, s58
	s_mov_b32 s26, 0
                                        ; implicit-def: $vgpr5
	s_and_saveexec_b32 s58, s8
	s_cbranch_execz .LBB162_283
; %bb.219:                              ;   in Loop: Header=BB162_18 Depth=1
	v_dual_mov_b32 v28, 1 :: v_dual_mov_b32 v5, 1
	v_mov_b32_e32 v29, 0
	s_xor_b32 s9, s59, -1
	s_delay_alu instid0(SALU_CYCLE_1)
	s_and_saveexec_b32 s8, s9
	s_cbranch_execz .LBB162_229
; %bb.220:                              ;   in Loop: Header=BB162_18 Depth=1
	s_mov_b32 s22, exec_lo
                                        ; implicit-def: $sgpr23
                                        ; implicit-def: $sgpr9
	v_cmpx_ge_u64_e64 s[18:19], v[30:31]
	s_xor_b32 s22, exec_lo, s22
	s_cbranch_execz .LBB162_226
; %bb.221:                              ;   in Loop: Header=BB162_18 Depth=1
	ds_load_b64 v[3:4], v19 offset:5120
	s_waitcnt lgkmcnt(0)
	v_cmp_ne_u64_e32 vcc_lo, 0, v[3:4]
	s_cbranch_vccnz .LBB162_225
; %bb.222:                              ;   in Loop: Header=BB162_18 Depth=1
	s_and_saveexec_b32 s9, s5
	s_cbranch_execz .LBB162_224
; %bb.223:                              ;   in Loop: Header=BB162_18 Depth=1
	v_dual_mov_b32 v3, s18 :: v_dual_mov_b32 v4, s19
	ds_store_b64 v19, v[3:4] offset:5128
.LBB162_224:                            ;   in Loop: Header=BB162_18 Depth=1
	s_or_b32 exec_lo, exec_lo, s9
	s_waitcnt lgkmcnt(0)
	s_barrier
	buffer_gl0_inv
.LBB162_225:                            ;   in Loop: Header=BB162_18 Depth=1
	v_and_b32_e32 v3, s15, v13
	v_and_b32_e32 v4, s14, v12
	s_lshl_b64 s[48:49], 2, s24
	v_or_b32_e32 v15, s13, v15
	v_or_b32_e32 v14, s12, v14
	;; [unrolled: 1-line block ×4, first 2 shown]
	s_mov_b32 s9, 0
	s_mov_b32 s23, 8
.LBB162_226:                            ;   in Loop: Header=BB162_18 Depth=1
	s_or_saveexec_b32 s22, s22
	v_mov_b32_e32 v5, s23
	s_xor_b32 exec_lo, exec_lo, s22
; %bb.227:                              ;   in Loop: Header=BB162_18 Depth=1
	v_sub_co_u32 v30, vcc_lo, v30, s18
	v_subrev_co_ci_u32_e32 v31, vcc_lo, s19, v31, vcc_lo
	v_mov_b32_e32 v5, 0
	s_or_b32 s9, s9, exec_lo
; %bb.228:                              ;   in Loop: Header=BB162_18 Depth=1
	s_or_b32 exec_lo, exec_lo, s22
	s_delay_alu instid0(VALU_DEP_2)
	v_dual_mov_b32 v28, v30 :: v_dual_mov_b32 v29, v31
	s_and_b32 s26, s9, exec_lo
.LBB162_229:                            ;   in Loop: Header=BB162_18 Depth=1
	s_or_b32 exec_lo, exec_lo, s8
	s_mov_b32 s23, -1
                                        ; implicit-def: $sgpr8
                                        ; implicit-def: $sgpr22
                                        ; implicit-def: $sgpr9
	s_and_saveexec_b32 s59, s26
	s_cbranch_execz .LBB162_282
; %bb.230:                              ;   in Loop: Header=BB162_18 Depth=1
	v_cmp_eq_u64_e32 vcc_lo, 1, v[28:29]
	s_cmp_eq_u64 s[20:21], 1
	s_mov_b32 s26, -1
	s_cselect_b32 s8, -1, 0
                                        ; implicit-def: $sgpr22
                                        ; implicit-def: $sgpr9
	s_delay_alu instid0(SALU_CYCLE_1) | instskip(NEXT) | instid1(SALU_CYCLE_1)
	s_and_b32 s64, s8, vcc_lo
                                        ; implicit-def: $sgpr8
	s_and_saveexec_b32 s65, s64
	s_cbranch_execz .LBB162_269
; %bb.231:                              ;   in Loop: Header=BB162_18 Depth=1
	ds_load_b64 v[3:4], v19 offset:5120
	s_waitcnt lgkmcnt(0)
	s_barrier
	buffer_gl0_inv
	v_readfirstlane_b32 s22, v3
	v_readfirstlane_b32 s23, v4
	s_and_saveexec_b32 s8, s6
	s_cbranch_execz .LBB162_233
; %bb.232:                              ;   in Loop: Header=BB162_18 Depth=1
	v_mov_b32_e32 v18, v19
	ds_store_b64 v38, v[18:19]
.LBB162_233:                            ;   in Loop: Header=BB162_18 Depth=1
	s_or_b32 exec_lo, exec_lo, s8
	v_or_b32_e32 v13, s13, v13
	v_or_b32_e32 v12, s12, v12
	;; [unrolled: 1-line block ×4, first 2 shown]
	s_cmp_eq_u64 s[22:23], 0
	s_waitcnt lgkmcnt(0)
	s_barrier
	buffer_gl0_inv
	s_cbranch_scc1 .LBB162_238
; %bb.234:                              ;   in Loop: Header=BB162_18 Depth=1
	s_add_u32 s26, s86, s22
	s_addc_u32 s9, s87, s23
	s_mov_b32 s8, s71
	s_delay_alu instid0(SALU_CYCLE_1)
	s_cmp_lg_u64 s[8:9], 0
	s_cbranch_scc0 .LBB162_239
; %bb.235:                              ;   in Loop: Header=BB162_18 Depth=1
	v_cvt_f32_u32_e32 v3, s35
	s_sub_u32 s49, 0, s35
	s_subb_u32 s50, 0, 0
	s_delay_alu instid0(VALU_DEP_1) | instskip(NEXT) | instid1(VALU_DEP_1)
	v_fmac_f32_e64 v3, 0, 0x4f800000
	v_rcp_f32_e32 v3, v3
	s_waitcnt_depctr 0xfff
	v_mul_f32_e32 v3, 0x5f7ffffc, v3
	s_delay_alu instid0(VALU_DEP_1) | instskip(NEXT) | instid1(VALU_DEP_1)
	v_mul_f32_e32 v4, 0x2f800000, v3
	v_trunc_f32_e32 v4, v4
	s_delay_alu instid0(VALU_DEP_1) | instskip(SKIP_1) | instid1(VALU_DEP_2)
	v_fmac_f32_e32 v3, 0xcf800000, v4
	v_cvt_u32_f32_e32 v4, v4
	v_cvt_u32_f32_e32 v3, v3
	s_delay_alu instid0(VALU_DEP_2) | instskip(NEXT) | instid1(VALU_DEP_2)
	v_readfirstlane_b32 s8, v4
	v_readfirstlane_b32 s48, v3
	s_delay_alu instid0(VALU_DEP_2) | instskip(NEXT) | instid1(VALU_DEP_1)
	s_mul_i32 s51, s49, s8
	s_mul_hi_u32 s52, s49, s48
	s_mul_i32 vcc_lo, s50, s48
	s_add_i32 s51, s52, s51
	s_mul_i32 s53, s49, s48
	s_add_i32 s51, s51, vcc_lo
	s_mul_hi_u32 s52, s48, s53
	s_mul_hi_u32 s55, s48, s51
	s_mul_i32 s48, s48, s51
	s_mul_hi_u32 s54, s8, s53
	s_mul_i32 s53, s8, s53
	s_add_u32 s48, s52, s48
	s_addc_u32 s52, 0, s55
	s_mul_hi_u32 vcc_lo, s8, s51
	s_add_u32 s48, s48, s53
	s_mul_i32 s51, s8, s51
	s_addc_u32 s48, s52, s54
	s_addc_u32 s52, vcc_lo, 0
	s_add_u32 s48, s48, s51
	s_addc_u32 s51, 0, s52
	v_add_co_u32 v3, s48, v3, s48
	s_delay_alu instid0(VALU_DEP_1) | instskip(SKIP_1) | instid1(VALU_DEP_1)
	s_cmp_lg_u32 s48, 0
	s_addc_u32 s8, s8, s51
	v_readfirstlane_b32 s48, v3
	s_mul_i32 s51, s49, s8
	s_delay_alu instid0(VALU_DEP_1)
	s_mul_hi_u32 s52, s49, s48
	s_mul_i32 s50, s50, s48
	s_add_i32 s51, s52, s51
	s_mul_i32 s49, s49, s48
	s_add_i32 s51, s51, s50
	s_mul_hi_u32 s52, s8, s49
	s_mul_i32 s53, s8, s49
	s_mul_hi_u32 s49, s48, s49
	s_mul_hi_u32 s54, s48, s51
	s_mul_i32 s48, s48, s51
	s_mul_hi_u32 s50, s8, s51
	s_add_u32 s48, s49, s48
	s_addc_u32 s49, 0, s54
	s_add_u32 s48, s48, s53
	s_mul_i32 s51, s8, s51
	s_addc_u32 s48, s49, s52
	s_addc_u32 s49, s50, 0
	s_add_u32 s48, s48, s51
	s_addc_u32 s49, 0, s49
	v_add_co_u32 v3, s48, v3, s48
	s_delay_alu instid0(VALU_DEP_1) | instskip(SKIP_1) | instid1(VALU_DEP_1)
	s_cmp_lg_u32 s48, 0
	s_addc_u32 s8, s8, s49
	v_readfirstlane_b32 s48, v3
	s_mul_i32 s50, s26, s8
	s_mul_hi_u32 s49, s26, s8
	s_mul_hi_u32 s51, s9, s8
	s_mul_i32 s8, s9, s8
	s_mul_hi_u32 s52, s26, s48
	s_mul_hi_u32 s53, s9, s48
	s_mul_i32 s48, s9, s48
	s_add_u32 s50, s52, s50
	s_addc_u32 s49, 0, s49
	s_add_u32 s48, s50, s48
	s_addc_u32 s48, s49, s53
	s_addc_u32 s49, s51, 0
	s_add_u32 s8, s48, s8
	s_addc_u32 s48, 0, s49
	s_mul_hi_u32 s49, s35, s8
	s_mul_i32 s8, s35, s8
	s_mul_i32 s48, s35, s48
	v_sub_co_u32 v3, s8, s26, s8
	s_add_i32 s49, s49, s48
	s_cmp_lg_u32 s8, 0
	s_delay_alu instid0(VALU_DEP_1) | instskip(SKIP_3) | instid1(VALU_DEP_2)
	v_sub_co_u32 v4, s8, v3, s35
	s_subb_u32 s48, s9, s49
	s_cmp_lg_u32 s8, 0
	v_cmp_le_u32_e32 vcc_lo, s35, v3
	v_cmp_le_u32_e64 s8, s35, v4
	v_sub_co_u32 v5, s49, v4, s35
	s_subb_u32 s50, s48, 0
	s_cmp_lg_u32 s49, 0
	s_delay_alu instid0(VALU_DEP_2)
	v_cndmask_b32_e64 v8, 0, -1, s8
	s_subb_u32 s49, s50, 0
	s_cmp_eq_u32 s50, 0
	v_mov_b32_e32 v10, s49
	v_cndmask_b32_e64 v9, 0, -1, vcc_lo
	s_cselect_b32 vcc_lo, -1, 0
	s_cmp_eq_u32 s48, 0
	v_cndmask_b32_e32 v8, -1, v8, vcc_lo
	s_cselect_b32 vcc_lo, -1, 0
	v_cndmask_b32_e32 v9, -1, v9, vcc_lo
	s_delay_alu instid0(VALU_DEP_2) | instskip(NEXT) | instid1(VALU_DEP_2)
	v_cmp_ne_u32_e32 vcc_lo, 0, v8
	v_cmp_ne_u32_e64 s8, 0, v9
	v_cndmask_b32_e32 v8, s50, v10, vcc_lo
	v_cndmask_b32_e32 v5, v4, v5, vcc_lo
	s_delay_alu instid0(VALU_DEP_2) | instskip(NEXT) | instid1(VALU_DEP_2)
	v_cndmask_b32_e64 v4, s48, v8, s8
	v_cndmask_b32_e64 v3, v3, v5, s8
	s_mov_b32 s8, 0
	s_branch .LBB162_240
.LBB162_236:                            ;   in Loop: Header=BB162_18 Depth=1
                                        ; implicit-def: $vgpr3_vgpr4
	s_branch .LBB162_190
.LBB162_237:                            ;   in Loop: Header=BB162_18 Depth=1
                                        ; implicit-def: $vgpr3_vgpr4
	s_branch .LBB162_206
.LBB162_238:                            ;   in Loop: Header=BB162_18 Depth=1
	s_mov_b32 s8, -1
	s_mov_b32 s26, 0
                                        ; implicit-def: $sgpr9
                                        ; implicit-def: $vgpr10_vgpr11
	s_branch .LBB162_252
.LBB162_239:                            ;   in Loop: Header=BB162_18 Depth=1
	s_mov_b32 s8, -1
                                        ; implicit-def: $vgpr3_vgpr4
.LBB162_240:                            ;   in Loop: Header=BB162_18 Depth=1
	s_delay_alu instid0(SALU_CYCLE_1)
	s_and_not1_b32 vcc_lo, exec_lo, s8
	s_cbranch_vccnz .LBB162_242
; %bb.241:                              ;   in Loop: Header=BB162_18 Depth=1
	v_cvt_f32_u32_e32 v3, s35
	s_sub_i32 s8, 0, s35
	s_delay_alu instid0(VALU_DEP_1) | instskip(SKIP_2) | instid1(VALU_DEP_1)
	v_rcp_iflag_f32_e32 v3, v3
	s_waitcnt_depctr 0xfff
	v_mul_f32_e32 v3, 0x4f7ffffe, v3
	v_cvt_u32_f32_e32 v3, v3
	s_delay_alu instid0(VALU_DEP_1) | instskip(NEXT) | instid1(VALU_DEP_1)
	v_mul_lo_u32 v4, s8, v3
	v_mul_hi_u32 v4, v3, v4
	s_delay_alu instid0(VALU_DEP_1) | instskip(NEXT) | instid1(VALU_DEP_1)
	v_add_nc_u32_e32 v3, v3, v4
	v_mul_hi_u32 v3, s26, v3
	s_delay_alu instid0(VALU_DEP_1) | instskip(NEXT) | instid1(VALU_DEP_1)
	v_mul_lo_u32 v3, v3, s35
	v_sub_nc_u32_e32 v3, s26, v3
	s_delay_alu instid0(VALU_DEP_1) | instskip(SKIP_1) | instid1(VALU_DEP_2)
	v_subrev_nc_u32_e32 v4, s35, v3
	v_cmp_le_u32_e32 vcc_lo, s35, v3
	v_cndmask_b32_e32 v3, v3, v4, vcc_lo
	s_delay_alu instid0(VALU_DEP_1) | instskip(SKIP_1) | instid1(VALU_DEP_2)
	v_subrev_nc_u32_e32 v4, s35, v3
	v_cmp_le_u32_e32 vcc_lo, s35, v3
	v_cndmask_b32_e32 v18, v3, v4, vcc_lo
	s_delay_alu instid0(VALU_DEP_1)
	v_dual_mov_b32 v3, v18 :: v_dual_mov_b32 v4, v19
.LBB162_242:                            ;   in Loop: Header=BB162_18 Depth=1
	s_delay_alu instid0(VALU_DEP_1) | instskip(NEXT) | instid1(VALU_DEP_2)
	v_sub_co_u32 v30, vcc_lo, s26, v3
	v_sub_co_ci_u32_e32 v31, vcc_lo, s9, v4, vcc_lo
	s_mov_b32 s26, 0
	s_mov_b32 s8, exec_lo
                                        ; implicit-def: $vgpr10_vgpr11
	s_delay_alu instid0(VALU_DEP_1)
	v_cmpx_gt_u64_e64 v[30:31], v[0:1]
	s_cbranch_execz .LBB162_251
; %bb.243:                              ;   in Loop: Header=BB162_18 Depth=1
	v_mov_b32_e32 v18, v37
	v_dual_mov_b32 v33, v1 :: v_dual_mov_b32 v32, v0
                                        ; implicit-def: $sgpr9
	s_set_inst_prefetch_distance 0x1
	s_branch .LBB162_245
	.p2align	6
.LBB162_244:                            ;   in Loop: Header=BB162_245 Depth=2
	s_or_b32 exec_lo, exec_lo, s48
	s_waitcnt lgkmcnt(0)
	s_barrier
	buffer_gl0_inv
	ds_load_b128 v[8:11], v19 offset:3072
	v_add_co_u32 v32, vcc_lo, v32, s35
	v_add_co_ci_u32_e32 v33, vcc_lo, 0, v33, vcc_lo
	v_add_nc_u32_e32 v18, s94, v18
	s_waitcnt lgkmcnt(0)
	s_barrier
	s_delay_alu instid0(VALU_DEP_2) | instskip(SKIP_3) | instid1(VALU_DEP_1)
	v_cmp_ge_u64_e32 vcc_lo, v[32:33], v[30:31]
	buffer_gl0_inv
	v_readfirstlane_b32 s49, v9
	v_readfirstlane_b32 s48, v8
	s_cmp_lg_u64 s[48:49], 0
	s_cselect_b32 s48, -1, 0
	s_delay_alu instid0(SALU_CYCLE_1) | instskip(NEXT) | instid1(SALU_CYCLE_1)
	s_or_b32 s49, vcc_lo, s48
	s_and_b32 s49, exec_lo, s49
	s_delay_alu instid0(SALU_CYCLE_1) | instskip(SKIP_2) | instid1(SALU_CYCLE_1)
	s_or_b32 s26, s49, s26
	s_and_not1_b32 s9, s9, exec_lo
	s_and_b32 s48, s48, exec_lo
	s_or_b32 s9, s9, s48
	s_and_not1_b32 exec_lo, exec_lo, s26
	s_cbranch_execz .LBB162_250
.LBB162_245:                            ;   Parent Loop BB162_18 Depth=1
                                        ; =>  This Inner Loop Header: Depth=2
	s_delay_alu instid0(VALU_DEP_1)
	v_cmp_gt_u64_e32 vcc_lo, s[22:23], v[32:33]
	v_mov_b32_e32 v4, 0
	v_mov_b32_e32 v5, 0
	s_and_saveexec_b32 s48, vcc_lo
	s_cbranch_execz .LBB162_247
; %bb.246:                              ;   in Loop: Header=BB162_245 Depth=2
	ds_load_b64 v[4:5], v18
.LBB162_247:                            ;   in Loop: Header=BB162_245 Depth=2
	s_or_b32 exec_lo, exec_lo, s48
	s_and_saveexec_b32 s48, vcc_lo
	s_cbranch_execz .LBB162_244
; %bb.248:                              ;   in Loop: Header=BB162_245 Depth=2
	s_waitcnt lgkmcnt(0)
	v_xor_b32_e32 v3, 0x80000000, v5
	v_and_b32_e32 v8, v4, v14
	s_delay_alu instid0(VALU_DEP_2) | instskip(NEXT) | instid1(VALU_DEP_1)
	v_and_b32_e32 v9, v3, v15
	v_cmp_eq_u64_e32 vcc_lo, v[8:9], v[12:13]
	s_and_b32 exec_lo, exec_lo, vcc_lo
	s_cbranch_execz .LBB162_244
; %bb.249:                              ;   in Loop: Header=BB162_245 Depth=2
	v_mov_b32_e32 v3, v19
	ds_store_b128 v19, v[2:5] offset:3072
	s_branch .LBB162_244
.LBB162_250:                            ;   in Loop: Header=BB162_18 Depth=1
	s_set_inst_prefetch_distance 0x2
	s_or_b32 exec_lo, exec_lo, s26
	s_delay_alu instid0(SALU_CYCLE_1)
	s_and_b32 s26, s9, exec_lo
.LBB162_251:                            ;   in Loop: Header=BB162_18 Depth=1
	s_or_b32 exec_lo, exec_lo, s8
	s_mov_b32 s9, -1
	s_mov_b32 s8, 0
.LBB162_252:                            ;   in Loop: Header=BB162_18 Depth=1
	s_delay_alu instid0(SALU_CYCLE_1)
	s_and_b32 vcc_lo, exec_lo, s8
	s_mov_b32 s22, s8
	s_cbranch_vccz .LBB162_268
; %bb.253:                              ;   in Loop: Header=BB162_18 Depth=1
	s_mov_b32 s26, s71
	s_delay_alu instid0(SALU_CYCLE_1)
	s_cmp_lg_u64 s[26:27], 0
	s_cbranch_scc0 .LBB162_255
; %bb.254:                              ;   in Loop: Header=BB162_18 Depth=1
	v_cvt_f32_u32_e32 v3, s35
	s_sub_u32 s22, 0, s35
	s_subb_u32 s23, 0, 0
	s_delay_alu instid0(VALU_DEP_1) | instskip(NEXT) | instid1(VALU_DEP_1)
	v_fmac_f32_e64 v3, 0, 0x4f800000
	v_rcp_f32_e32 v3, v3
	s_waitcnt_depctr 0xfff
	v_mul_f32_e32 v3, 0x5f7ffffc, v3
	s_delay_alu instid0(VALU_DEP_1) | instskip(NEXT) | instid1(VALU_DEP_1)
	v_mul_f32_e32 v4, 0x2f800000, v3
	v_trunc_f32_e32 v4, v4
	s_delay_alu instid0(VALU_DEP_1) | instskip(SKIP_1) | instid1(VALU_DEP_2)
	v_fmac_f32_e32 v3, 0xcf800000, v4
	v_cvt_u32_f32_e32 v4, v4
	v_cvt_u32_f32_e32 v3, v3
	s_delay_alu instid0(VALU_DEP_2) | instskip(NEXT) | instid1(VALU_DEP_2)
	v_readfirstlane_b32 s8, v4
	v_readfirstlane_b32 s9, v3
	s_delay_alu instid0(VALU_DEP_2) | instskip(NEXT) | instid1(VALU_DEP_1)
	s_mul_i32 s26, s22, s8
	s_mul_hi_u32 s49, s22, s9
	s_mul_i32 s48, s23, s9
	s_add_i32 s26, s49, s26
	s_mul_i32 s50, s22, s9
	s_add_i32 s26, s26, s48
	s_mul_hi_u32 s49, s9, s50
	s_mul_hi_u32 s51, s8, s50
	s_mul_i32 s48, s8, s50
	s_mul_hi_u32 s50, s9, s26
	s_mul_i32 s9, s9, s26
	s_mul_hi_u32 s52, s8, s26
	s_add_u32 s9, s49, s9
	s_addc_u32 s49, 0, s50
	s_add_u32 s9, s9, s48
	s_mul_i32 s26, s8, s26
	s_addc_u32 s9, s49, s51
	s_addc_u32 s48, s52, 0
	s_add_u32 s9, s9, s26
	s_addc_u32 s26, 0, s48
	v_add_co_u32 v3, s9, v3, s9
	s_delay_alu instid0(VALU_DEP_1) | instskip(SKIP_1) | instid1(VALU_DEP_1)
	s_cmp_lg_u32 s9, 0
	s_addc_u32 s8, s8, s26
	v_readfirstlane_b32 s9, v3
	s_mul_i32 s26, s22, s8
	s_delay_alu instid0(VALU_DEP_1)
	s_mul_hi_u32 s48, s22, s9
	s_mul_i32 s23, s23, s9
	s_add_i32 s26, s48, s26
	s_mul_i32 s22, s22, s9
	s_add_i32 s26, s26, s23
	s_mul_hi_u32 s48, s8, s22
	s_mul_i32 s49, s8, s22
	s_mul_hi_u32 s22, s9, s22
	s_mul_hi_u32 s50, s9, s26
	s_mul_i32 s9, s9, s26
	s_mul_hi_u32 s23, s8, s26
	s_add_u32 s9, s22, s9
	s_addc_u32 s22, 0, s50
	s_add_u32 s9, s9, s49
	s_mul_i32 s26, s8, s26
	s_addc_u32 s9, s22, s48
	s_addc_u32 s22, s23, 0
	s_add_u32 s9, s9, s26
	s_addc_u32 s22, 0, s22
	v_add_co_u32 v3, s9, v3, s9
	s_delay_alu instid0(VALU_DEP_1) | instskip(SKIP_1) | instid1(VALU_DEP_1)
	s_cmp_lg_u32 s9, 0
	s_addc_u32 s8, s8, s22
	v_readfirstlane_b32 s9, v3
	s_mul_i32 s23, s88, s8
	s_mul_hi_u32 s22, s88, s8
	s_mul_hi_u32 s26, s27, s8
	s_mul_i32 s8, s27, s8
	s_mul_hi_u32 s48, s88, s9
	s_mul_hi_u32 s49, s27, s9
	s_mul_i32 s9, s27, s9
	s_add_u32 s23, s48, s23
	s_addc_u32 s22, 0, s22
	s_add_u32 s9, s23, s9
	s_addc_u32 s9, s22, s49
	s_addc_u32 s22, s26, 0
	s_add_u32 s8, s9, s8
	s_addc_u32 s9, 0, s22
	s_mul_hi_u32 s22, s35, s8
	s_mul_i32 s8, s35, s8
	s_mul_i32 s9, s35, s9
	v_sub_co_u32 v3, s8, s88, s8
	s_add_i32 s22, s22, s9
	s_cmp_lg_u32 s8, 0
	s_delay_alu instid0(VALU_DEP_1) | instskip(SKIP_3) | instid1(VALU_DEP_2)
	v_sub_co_u32 v4, s8, v3, s35
	s_subb_u32 s9, s27, s22
	s_cmp_lg_u32 s8, 0
	v_cmp_le_u32_e32 vcc_lo, s35, v3
	v_cmp_le_u32_e64 s8, s35, v4
	v_sub_co_u32 v5, s22, v4, s35
	s_subb_u32 s23, s9, 0
	s_cmp_lg_u32 s22, 0
	s_delay_alu instid0(VALU_DEP_2)
	v_cndmask_b32_e64 v8, 0, -1, s8
	s_subb_u32 s22, s23, 0
	s_cmp_eq_u32 s23, 0
	v_mov_b32_e32 v10, s22
	v_cndmask_b32_e64 v9, 0, -1, vcc_lo
	s_cselect_b32 vcc_lo, -1, 0
	s_cmp_eq_u32 s9, 0
	v_cndmask_b32_e32 v8, -1, v8, vcc_lo
	s_cselect_b32 vcc_lo, -1, 0
	v_cndmask_b32_e32 v9, -1, v9, vcc_lo
	s_delay_alu instid0(VALU_DEP_2) | instskip(NEXT) | instid1(VALU_DEP_2)
	v_cmp_ne_u32_e32 vcc_lo, 0, v8
	v_cmp_ne_u32_e64 s8, 0, v9
	v_cndmask_b32_e32 v8, s23, v10, vcc_lo
	v_cndmask_b32_e32 v5, v4, v5, vcc_lo
	s_delay_alu instid0(VALU_DEP_2) | instskip(NEXT) | instid1(VALU_DEP_2)
	v_cndmask_b32_e64 v4, s9, v8, s8
	v_cndmask_b32_e64 v3, v3, v5, s8
	s_mov_b32 s8, 0
	s_branch .LBB162_256
.LBB162_255:                            ;   in Loop: Header=BB162_18 Depth=1
	s_mov_b32 s8, -1
                                        ; implicit-def: $vgpr3_vgpr4
.LBB162_256:                            ;   in Loop: Header=BB162_18 Depth=1
	s_delay_alu instid0(SALU_CYCLE_1)
	s_and_not1_b32 vcc_lo, exec_lo, s8
	s_cbranch_vccnz .LBB162_258
; %bb.257:                              ;   in Loop: Header=BB162_18 Depth=1
	v_cvt_f32_u32_e32 v3, s35
	s_sub_i32 s8, 0, s35
	s_delay_alu instid0(VALU_DEP_1) | instskip(SKIP_2) | instid1(VALU_DEP_1)
	v_rcp_iflag_f32_e32 v3, v3
	s_waitcnt_depctr 0xfff
	v_mul_f32_e32 v3, 0x4f7ffffe, v3
	v_cvt_u32_f32_e32 v3, v3
	s_delay_alu instid0(VALU_DEP_1) | instskip(NEXT) | instid1(VALU_DEP_1)
	v_mul_lo_u32 v4, s8, v3
	v_mul_hi_u32 v4, v3, v4
	s_delay_alu instid0(VALU_DEP_1) | instskip(NEXT) | instid1(VALU_DEP_1)
	v_add_nc_u32_e32 v3, v3, v4
	v_mul_hi_u32 v3, s88, v3
	s_delay_alu instid0(VALU_DEP_1) | instskip(NEXT) | instid1(VALU_DEP_1)
	v_mul_lo_u32 v3, v3, s35
	v_sub_nc_u32_e32 v3, s88, v3
	s_delay_alu instid0(VALU_DEP_1) | instskip(SKIP_1) | instid1(VALU_DEP_2)
	v_subrev_nc_u32_e32 v4, s35, v3
	v_cmp_le_u32_e32 vcc_lo, s35, v3
	v_cndmask_b32_e32 v3, v3, v4, vcc_lo
	s_delay_alu instid0(VALU_DEP_1) | instskip(SKIP_1) | instid1(VALU_DEP_2)
	v_subrev_nc_u32_e32 v4, s35, v3
	v_cmp_le_u32_e32 vcc_lo, s35, v3
	v_cndmask_b32_e32 v18, v3, v4, vcc_lo
	s_delay_alu instid0(VALU_DEP_1)
	v_dual_mov_b32 v3, v18 :: v_dual_mov_b32 v4, v19
.LBB162_258:                            ;   in Loop: Header=BB162_18 Depth=1
	s_delay_alu instid0(VALU_DEP_1) | instskip(NEXT) | instid1(VALU_DEP_2)
	v_sub_co_u32 v30, vcc_lo, s88, v3
	v_sub_co_ci_u32_e32 v31, vcc_lo, s27, v4, vcc_lo
	s_mov_b32 s26, 0
	s_mov_b32 s9, exec_lo
                                        ; implicit-def: $vgpr10_vgpr11
	s_delay_alu instid0(VALU_DEP_1)
	v_cmpx_gt_u64_e64 v[30:31], v[0:1]
	s_cbranch_execz .LBB162_267
; %bb.259:                              ;   in Loop: Header=BB162_18 Depth=1
	v_dual_mov_b32 v33, v1 :: v_dual_mov_b32 v32, v0
	s_mov_b32 s23, 0
                                        ; implicit-def: $sgpr22
	s_branch .LBB162_261
.LBB162_260:                            ;   in Loop: Header=BB162_261 Depth=2
	s_or_b32 exec_lo, exec_lo, s8
	s_waitcnt vmcnt(0) lgkmcnt(0)
	s_barrier
	buffer_gl0_inv
	ds_load_b128 v[8:11], v19 offset:3072
	v_add_co_u32 v32, vcc_lo, v32, s35
	v_add_co_ci_u32_e32 v33, vcc_lo, 0, v33, vcc_lo
	s_waitcnt lgkmcnt(0)
	s_barrier
	buffer_gl0_inv
	v_cmp_ge_u64_e32 vcc_lo, v[32:33], v[30:31]
	v_readfirstlane_b32 s49, v9
	v_readfirstlane_b32 s48, v8
	s_delay_alu instid0(VALU_DEP_1) | instskip(SKIP_1) | instid1(SALU_CYCLE_1)
	s_cmp_lg_u64 s[48:49], 0
	s_cselect_b32 s8, -1, 0
	s_or_b32 s26, vcc_lo, s8
	s_delay_alu instid0(SALU_CYCLE_1) | instskip(NEXT) | instid1(SALU_CYCLE_1)
	s_and_b32 s26, exec_lo, s26
	s_or_b32 s23, s26, s23
	s_and_not1_b32 s22, s22, exec_lo
	s_and_b32 s8, s8, exec_lo
	s_delay_alu instid0(SALU_CYCLE_1)
	s_or_b32 s22, s22, s8
	s_and_not1_b32 exec_lo, exec_lo, s23
	s_cbranch_execz .LBB162_266
.LBB162_261:                            ;   Parent Loop BB162_18 Depth=1
                                        ; =>  This Inner Loop Header: Depth=2
	s_delay_alu instid0(VALU_DEP_1)
	v_cmp_gt_u64_e32 vcc_lo, s[36:37], v[32:33]
	v_mov_b32_e32 v4, 0
	v_mov_b32_e32 v5, 0
	s_and_saveexec_b32 s26, vcc_lo
	s_cbranch_execz .LBB162_263
; %bb.262:                              ;   in Loop: Header=BB162_261 Depth=2
	v_mul_lo_u32 v5, v33, s30
	v_mul_lo_u32 v8, v32, s31
	v_mad_u64_u32 v[3:4], null, v32, s30, 0
	s_delay_alu instid0(VALU_DEP_1) | instskip(NEXT) | instid1(VALU_DEP_1)
	v_add3_u32 v4, v4, v8, v5
	v_lshlrev_b64 v[3:4], 3, v[3:4]
	s_delay_alu instid0(VALU_DEP_1) | instskip(NEXT) | instid1(VALU_DEP_1)
	v_add_co_u32 v3, s8, s29, v3
	v_add_co_ci_u32_e64 v4, s8, s33, v4, s8
	global_load_b64 v[4:5], v[3:4], off
.LBB162_263:                            ;   in Loop: Header=BB162_261 Depth=2
	s_or_b32 exec_lo, exec_lo, s26
	s_and_saveexec_b32 s8, vcc_lo
	s_cbranch_execz .LBB162_260
; %bb.264:                              ;   in Loop: Header=BB162_261 Depth=2
	s_waitcnt vmcnt(0)
	v_xor_b32_e32 v3, 0x80000000, v5
	v_and_b32_e32 v8, v4, v14
	s_delay_alu instid0(VALU_DEP_2) | instskip(NEXT) | instid1(VALU_DEP_1)
	v_and_b32_e32 v9, v3, v15
	v_cmp_eq_u64_e32 vcc_lo, v[8:9], v[12:13]
	s_and_b32 exec_lo, exec_lo, vcc_lo
	s_cbranch_execz .LBB162_260
; %bb.265:                              ;   in Loop: Header=BB162_261 Depth=2
	v_mov_b32_e32 v3, v19
	ds_store_b128 v19, v[2:5] offset:3072
	s_branch .LBB162_260
.LBB162_266:                            ;   in Loop: Header=BB162_18 Depth=1
	s_or_b32 exec_lo, exec_lo, s23
	s_delay_alu instid0(SALU_CYCLE_1)
	s_and_b32 s26, s22, exec_lo
.LBB162_267:                            ;   in Loop: Header=BB162_18 Depth=1
	s_or_b32 exec_lo, exec_lo, s9
	s_mov_b32 s22, -1
	s_mov_b32 s8, 0
	s_mov_b32 s9, 0
.LBB162_268:                            ;   in Loop: Header=BB162_18 Depth=1
	s_or_not1_b32 s26, s26, exec_lo
.LBB162_269:                            ;   in Loop: Header=BB162_18 Depth=1
	s_or_b32 exec_lo, exec_lo, s65
	s_mov_b32 s65, 0
                                        ; implicit-def: $vgpr5
                                        ; implicit-def: $vgpr3_vgpr4
	s_and_saveexec_b32 s23, s26
	s_cbranch_execz .LBB162_281
; %bb.270:                              ;   in Loop: Header=BB162_18 Depth=1
	v_mov_b32_e32 v3, 1
	v_dual_mov_b32 v4, 0 :: v_dual_mov_b32 v5, 1
	s_xor_b32 s48, s64, -1
	s_delay_alu instid0(SALU_CYCLE_1)
	s_and_saveexec_b32 s26, s48
	s_cbranch_execz .LBB162_280
; %bb.271:                              ;   in Loop: Header=BB162_18 Depth=1
                                        ; implicit-def: $sgpr65
	s_mov_b32 s48, exec_lo
	v_cmpx_ge_u64_e64 s[20:21], v[28:29]
	s_xor_b32 s64, exec_lo, s48
	s_cbranch_execz .LBB162_277
; %bb.272:                              ;   in Loop: Header=BB162_18 Depth=1
	ds_load_b64 v[3:4], v19 offset:5120
	s_waitcnt lgkmcnt(0)
	v_cmp_ne_u64_e32 vcc_lo, 0, v[3:4]
	s_cbranch_vccnz .LBB162_276
; %bb.273:                              ;   in Loop: Header=BB162_18 Depth=1
	s_and_saveexec_b32 s48, s5
	s_cbranch_execz .LBB162_275
; %bb.274:                              ;   in Loop: Header=BB162_18 Depth=1
	v_dual_mov_b32 v3, s20 :: v_dual_mov_b32 v4, s21
	ds_store_b64 v19, v[3:4] offset:5128
.LBB162_275:                            ;   in Loop: Header=BB162_18 Depth=1
	s_or_b32 exec_lo, exec_lo, s48
	s_waitcnt lgkmcnt(0)
	s_barrier
	buffer_gl0_inv
.LBB162_276:                            ;   in Loop: Header=BB162_18 Depth=1
	v_or_b32_e32 v13, s13, v13
	v_or_b32_e32 v12, s12, v12
	;; [unrolled: 1-line block ×4, first 2 shown]
	s_mov_b32 s65, 8
.LBB162_277:                            ;   in Loop: Header=BB162_18 Depth=1
	s_or_saveexec_b32 s64, s64
	v_mov_b32_e32 v5, s65
	s_xor_b32 exec_lo, exec_lo, s64
; %bb.278:                              ;   in Loop: Header=BB162_18 Depth=1
	v_sub_co_u32 v28, vcc_lo, v28, s20
	v_subrev_co_ci_u32_e32 v29, vcc_lo, s21, v29, vcc_lo
	v_mov_b32_e32 v5, 8
; %bb.279:                              ;   in Loop: Header=BB162_18 Depth=1
	s_or_b32 exec_lo, exec_lo, s64
	s_delay_alu instid0(VALU_DEP_2)
	v_dual_mov_b32 v3, v28 :: v_dual_mov_b32 v4, v29
.LBB162_280:                            ;   in Loop: Header=BB162_18 Depth=1
	s_or_b32 exec_lo, exec_lo, s26
	s_delay_alu instid0(SALU_CYCLE_1)
	s_mov_b32 s65, exec_lo
.LBB162_281:                            ;   in Loop: Header=BB162_18 Depth=1
	s_or_b32 exec_lo, exec_lo, s23
	s_delay_alu instid0(VALU_DEP_1)
	v_dual_mov_b32 v29, v4 :: v_dual_mov_b32 v28, v3
	s_or_not1_b32 s23, s65, exec_lo
.LBB162_282:                            ;   in Loop: Header=BB162_18 Depth=1
	s_or_b32 exec_lo, exec_lo, s59
	s_delay_alu instid0(SALU_CYCLE_1)
	s_and_not1_b32 s26, s83, exec_lo
	s_and_b32 s8, s8, exec_lo
	v_dual_mov_b32 v31, v29 :: v_dual_mov_b32 v30, v28
	s_or_b32 s83, s26, s8
	s_and_not1_b32 s8, s69, exec_lo
	s_and_b32 s22, s22, exec_lo
	s_and_not1_b32 s26, s68, exec_lo
	s_and_b32 s9, s9, exec_lo
	s_or_b32 s69, s8, s22
	s_or_b32 s68, s26, s9
	s_and_b32 s26, s23, exec_lo
.LBB162_283:                            ;   in Loop: Header=BB162_18 Depth=1
	s_or_b32 exec_lo, exec_lo, s58
	s_delay_alu instid0(SALU_CYCLE_1)
	s_and_b32 s23, s83, exec_lo
	s_and_b32 s22, s69, exec_lo
	;; [unrolled: 1-line block ×3, first 2 shown]
	s_or_not1_b32 s8, s26, exec_lo
.LBB162_284:                            ;   in Loop: Header=BB162_18 Depth=1
	s_or_b32 exec_lo, exec_lo, s82
	s_delay_alu instid0(SALU_CYCLE_1)
	s_and_not1_b32 s26, s74, exec_lo
	s_and_b32 s23, s23, exec_lo
	v_dual_mov_b32 v28, v30 :: v_dual_mov_b32 v29, v31
	s_or_b32 s74, s26, s23
	s_and_not1_b32 s23, s80, exec_lo
	s_and_b32 s22, s22, exec_lo
	s_and_not1_b32 s26, s79, exec_lo
	s_and_b32 s9, s9, exec_lo
	s_or_b32 s80, s23, s22
	s_or_b32 s79, s26, s9
	s_and_b32 s26, s8, exec_lo
.LBB162_285:                            ;   in Loop: Header=BB162_18 Depth=1
	s_or_b32 exec_lo, exec_lo, s81
	s_delay_alu instid0(SALU_CYCLE_1)
	s_and_b32 s23, s74, exec_lo
	s_and_b32 s22, s80, exec_lo
	;; [unrolled: 1-line block ×3, first 2 shown]
	s_or_not1_b32 s58, s26, exec_lo
.LBB162_286:                            ;   in Loop: Header=BB162_18 Depth=1
	s_or_b32 exec_lo, exec_lo, s70
	s_mov_b32 s8, 0
	s_mov_b32 s26, 0
	s_and_saveexec_b32 s48, s58
	s_delay_alu instid0(SALU_CYCLE_1)
	s_xor_b32 s58, exec_lo, s48
; %bb.287:                              ;   in Loop: Header=BB162_18 Depth=1
	v_cmp_ne_u32_e32 vcc_lo, 8, v5
	v_cmp_eq_u32_e64 s8, 8, v5
	s_and_not1_b32 s23, s23, exec_lo
	s_and_not1_b32 s22, s22, exec_lo
	;; [unrolled: 1-line block ×3, first 2 shown]
	s_and_b32 s26, vcc_lo, exec_lo
	s_and_b32 s8, s8, exec_lo
; %bb.288:                              ;   in Loop: Header=BB162_18 Depth=1
	s_or_b32 exec_lo, exec_lo, s58
	s_delay_alu instid0(SALU_CYCLE_1)
	s_and_not1_b32 s25, s25, exec_lo
	s_and_b32 s23, s23, exec_lo
	s_and_b32 s22, s22, exec_lo
	s_or_b32 s25, s25, s23
	s_and_not1_b32 s23, s76, exec_lo
	s_and_not1_b32 s48, s75, exec_lo
	s_and_b32 s9, s9, exec_lo
	s_or_b32 s76, s23, s22
	s_or_b32 s75, s48, s9
	s_and_b32 s70, s26, exec_lo
	s_and_b32 s74, s8, exec_lo
.LBB162_289:                            ;   in Loop: Header=BB162_18 Depth=1
	s_or_b32 exec_lo, exec_lo, s78
	s_delay_alu instid0(SALU_CYCLE_1)
	s_and_b32 vcc_lo, exec_lo, s77
	s_cbranch_vccz .LBB162_108
.LBB162_290:                            ;   in Loop: Header=BB162_18 Depth=1
	s_delay_alu instid0(VALU_DEP_1) | instskip(SKIP_1) | instid1(SALU_CYCLE_1)
	s_cmp_eq_u64 s[20:21], 1
                                        ; implicit-def: $sgpr22
                                        ; implicit-def: $sgpr23
                                        ; implicit-def: $sgpr25
	s_cselect_b32 s8, -1, 0
	s_and_b32 s58, s8, s7
	s_mov_b32 s7, -1
	s_and_saveexec_b32 s59, s58
	s_cbranch_execz .LBB162_322
; %bb.291:                              ;   in Loop: Header=BB162_18 Depth=1
	ds_load_b64 v[3:4], v19 offset:5120
	s_waitcnt lgkmcnt(0)
	s_barrier
	buffer_gl0_inv
	v_readfirstlane_b32 s8, v3
	v_readfirstlane_b32 s9, v4
	s_and_saveexec_b32 s7, s6
	s_cbranch_execz .LBB162_293
; %bb.292:                              ;   in Loop: Header=BB162_18 Depth=1
	v_mov_b32_e32 v18, v19
	ds_store_b64 v38, v[18:19]
.LBB162_293:                            ;   in Loop: Header=BB162_18 Depth=1
	s_or_b32 exec_lo, exec_lo, s7
	v_or_b32_e32 v25, s13, v25
	v_or_b32_e32 v24, s12, v24
	;; [unrolled: 1-line block ×4, first 2 shown]
	s_cmp_eq_u64 s[8:9], 0
	s_waitcnt lgkmcnt(0)
	s_barrier
	buffer_gl0_inv
	s_cbranch_scc1 .LBB162_305
; %bb.294:                              ;   in Loop: Header=BB162_18 Depth=1
	s_add_u32 s25, s86, s8
	s_addc_u32 s23, s87, s9
	s_mov_b32 s22, s71
	s_delay_alu instid0(SALU_CYCLE_1)
	s_cmp_lg_u64 s[22:23], 0
	s_cbranch_scc0 .LBB162_349
; %bb.295:                              ;   in Loop: Header=BB162_18 Depth=1
	v_cvt_f32_u32_e32 v3, s35
	s_sub_u32 s26, 0, s35
	s_subb_u32 s48, 0, 0
	s_delay_alu instid0(VALU_DEP_1) | instskip(NEXT) | instid1(VALU_DEP_1)
	v_fmac_f32_e64 v3, 0, 0x4f800000
	v_rcp_f32_e32 v3, v3
	s_waitcnt_depctr 0xfff
	v_mul_f32_e32 v3, 0x5f7ffffc, v3
	s_delay_alu instid0(VALU_DEP_1) | instskip(NEXT) | instid1(VALU_DEP_1)
	v_mul_f32_e32 v4, 0x2f800000, v3
	v_trunc_f32_e32 v4, v4
	s_delay_alu instid0(VALU_DEP_1) | instskip(SKIP_1) | instid1(VALU_DEP_2)
	v_fmac_f32_e32 v3, 0xcf800000, v4
	v_cvt_u32_f32_e32 v4, v4
	v_cvt_u32_f32_e32 v3, v3
	s_delay_alu instid0(VALU_DEP_2) | instskip(NEXT) | instid1(VALU_DEP_2)
	v_readfirstlane_b32 s7, v4
	v_readfirstlane_b32 s22, v3
	s_delay_alu instid0(VALU_DEP_2) | instskip(NEXT) | instid1(VALU_DEP_1)
	s_mul_i32 s49, s26, s7
	s_mul_hi_u32 s51, s26, s22
	s_mul_i32 s50, s48, s22
	s_add_i32 s49, s51, s49
	s_mul_i32 s64, s26, s22
	s_add_i32 s49, s49, s50
	s_mul_hi_u32 s51, s22, s64
	s_mul_hi_u32 s65, s7, s64
	s_mul_i32 s50, s7, s64
	s_mul_hi_u32 s64, s22, s49
	s_mul_i32 s22, s22, s49
	s_mul_hi_u32 s68, s7, s49
	s_add_u32 s22, s51, s22
	s_addc_u32 s51, 0, s64
	s_add_u32 s22, s22, s50
	s_mul_i32 s49, s7, s49
	s_addc_u32 s22, s51, s65
	s_addc_u32 s50, s68, 0
	s_add_u32 s22, s22, s49
	s_addc_u32 s49, 0, s50
	v_add_co_u32 v3, s22, v3, s22
	s_delay_alu instid0(VALU_DEP_1) | instskip(SKIP_1) | instid1(VALU_DEP_1)
	s_cmp_lg_u32 s22, 0
	s_addc_u32 s7, s7, s49
	v_readfirstlane_b32 s22, v3
	s_mul_i32 s49, s26, s7
	s_delay_alu instid0(VALU_DEP_1)
	s_mul_hi_u32 s50, s26, s22
	s_mul_i32 s48, s48, s22
	s_add_i32 s49, s50, s49
	s_mul_i32 s26, s26, s22
	s_add_i32 s49, s49, s48
	s_mul_hi_u32 s50, s7, s26
	s_mul_i32 s51, s7, s26
	s_mul_hi_u32 s26, s22, s26
	s_mul_hi_u32 s64, s22, s49
	s_mul_i32 s22, s22, s49
	s_mul_hi_u32 s48, s7, s49
	s_add_u32 s22, s26, s22
	s_addc_u32 s26, 0, s64
	s_add_u32 s22, s22, s51
	s_mul_i32 s49, s7, s49
	s_addc_u32 s22, s26, s50
	s_addc_u32 s26, s48, 0
	s_add_u32 s22, s22, s49
	s_addc_u32 s26, 0, s26
	v_add_co_u32 v3, s22, v3, s22
	s_delay_alu instid0(VALU_DEP_1) | instskip(SKIP_1) | instid1(VALU_DEP_1)
	s_cmp_lg_u32 s22, 0
	s_addc_u32 s7, s7, s26
	v_readfirstlane_b32 s22, v3
	s_mul_i32 s48, s25, s7
	s_mul_hi_u32 s26, s25, s7
	s_mul_hi_u32 s49, s23, s7
	s_mul_i32 s7, s23, s7
	s_mul_hi_u32 s50, s25, s22
	s_mul_hi_u32 s51, s23, s22
	s_mul_i32 s22, s23, s22
	s_add_u32 s48, s50, s48
	s_addc_u32 s26, 0, s26
	s_add_u32 s22, s48, s22
	s_addc_u32 s22, s26, s51
	s_addc_u32 s26, s49, 0
	s_add_u32 s7, s22, s7
	s_addc_u32 s22, 0, s26
	s_mul_hi_u32 s26, s35, s7
	s_mul_i32 s7, s35, s7
	s_mul_i32 s22, s35, s22
	v_sub_co_u32 v3, s7, s25, s7
	s_add_i32 s26, s26, s22
	s_cmp_lg_u32 s7, 0
	s_delay_alu instid0(VALU_DEP_1) | instskip(SKIP_3) | instid1(VALU_DEP_2)
	v_sub_co_u32 v4, s7, v3, s35
	s_subb_u32 s22, s23, s26
	s_cmp_lg_u32 s7, 0
	v_cmp_le_u32_e32 vcc_lo, s35, v3
	v_cmp_le_u32_e64 s7, s35, v4
	v_sub_co_u32 v5, s26, v4, s35
	s_subb_u32 s48, s22, 0
	s_cmp_lg_u32 s26, 0
	s_delay_alu instid0(VALU_DEP_2)
	v_cndmask_b32_e64 v6, 0, -1, s7
	s_subb_u32 s26, s48, 0
	s_cmp_eq_u32 s48, 0
	v_mov_b32_e32 v8, s26
	v_cndmask_b32_e64 v7, 0, -1, vcc_lo
	s_cselect_b32 vcc_lo, -1, 0
	s_cmp_eq_u32 s22, 0
	v_cndmask_b32_e32 v6, -1, v6, vcc_lo
	s_cselect_b32 vcc_lo, -1, 0
	v_cndmask_b32_e32 v7, -1, v7, vcc_lo
	s_delay_alu instid0(VALU_DEP_2) | instskip(NEXT) | instid1(VALU_DEP_2)
	v_cmp_ne_u32_e32 vcc_lo, 0, v6
	v_cmp_ne_u32_e64 s7, 0, v7
	v_cndmask_b32_e32 v6, s48, v8, vcc_lo
	v_cndmask_b32_e32 v5, v4, v5, vcc_lo
	s_delay_alu instid0(VALU_DEP_2) | instskip(NEXT) | instid1(VALU_DEP_2)
	v_cndmask_b32_e64 v4, s22, v6, s7
	v_cndmask_b32_e64 v3, v3, v5, s7
	s_cbranch_execnz .LBB162_297
.LBB162_296:                            ;   in Loop: Header=BB162_18 Depth=1
	v_cvt_f32_u32_e32 v3, s35
	s_sub_i32 s7, 0, s35
	s_delay_alu instid0(VALU_DEP_1) | instskip(SKIP_2) | instid1(VALU_DEP_1)
	v_rcp_iflag_f32_e32 v3, v3
	s_waitcnt_depctr 0xfff
	v_mul_f32_e32 v3, 0x4f7ffffe, v3
	v_cvt_u32_f32_e32 v3, v3
	s_delay_alu instid0(VALU_DEP_1) | instskip(NEXT) | instid1(VALU_DEP_1)
	v_mul_lo_u32 v4, s7, v3
	v_mul_hi_u32 v4, v3, v4
	s_delay_alu instid0(VALU_DEP_1) | instskip(NEXT) | instid1(VALU_DEP_1)
	v_add_nc_u32_e32 v3, v3, v4
	v_mul_hi_u32 v3, s25, v3
	s_delay_alu instid0(VALU_DEP_1) | instskip(NEXT) | instid1(VALU_DEP_1)
	v_mul_lo_u32 v3, v3, s35
	v_sub_nc_u32_e32 v3, s25, v3
	s_delay_alu instid0(VALU_DEP_1) | instskip(SKIP_1) | instid1(VALU_DEP_2)
	v_subrev_nc_u32_e32 v4, s35, v3
	v_cmp_le_u32_e32 vcc_lo, s35, v3
	v_cndmask_b32_e32 v3, v3, v4, vcc_lo
	s_delay_alu instid0(VALU_DEP_1) | instskip(SKIP_1) | instid1(VALU_DEP_2)
	v_subrev_nc_u32_e32 v4, s35, v3
	v_cmp_le_u32_e32 vcc_lo, s35, v3
	v_cndmask_b32_e32 v18, v3, v4, vcc_lo
	s_delay_alu instid0(VALU_DEP_1)
	v_dual_mov_b32 v3, v18 :: v_dual_mov_b32 v4, v19
.LBB162_297:                            ;   in Loop: Header=BB162_18 Depth=1
	s_delay_alu instid0(VALU_DEP_1) | instskip(NEXT) | instid1(VALU_DEP_2)
	v_sub_co_u32 v8, vcc_lo, s25, v3
	v_sub_co_ci_u32_e32 v9, vcc_lo, s23, v4, vcc_lo
	s_mov_b32 s26, 0
	s_mov_b32 s7, exec_lo
                                        ; implicit-def: $vgpr6_vgpr7
	s_delay_alu instid0(VALU_DEP_1)
	v_cmpx_gt_u64_e64 v[8:9], v[0:1]
	s_cbranch_execz .LBB162_307
; %bb.298:                              ;   in Loop: Header=BB162_18 Depth=1
	v_mov_b32_e32 v12, v37
	v_dual_mov_b32 v11, v1 :: v_dual_mov_b32 v10, v0
	s_mov_b32 s23, 0
                                        ; implicit-def: $sgpr22
	s_set_inst_prefetch_distance 0x1
	s_branch .LBB162_300
	.p2align	6
.LBB162_299:                            ;   in Loop: Header=BB162_300 Depth=2
	s_or_b32 exec_lo, exec_lo, s25
	s_waitcnt lgkmcnt(0)
	s_barrier
	buffer_gl0_inv
	ds_load_b128 v[4:7], v19 offset:3072
	v_add_co_u32 v10, vcc_lo, v10, s35
	v_add_co_ci_u32_e32 v11, vcc_lo, 0, v11, vcc_lo
	v_add_nc_u32_e32 v12, s94, v12
	s_waitcnt lgkmcnt(0)
	s_barrier
	s_delay_alu instid0(VALU_DEP_2) | instskip(SKIP_3) | instid1(VALU_DEP_1)
	v_cmp_ge_u64_e32 vcc_lo, v[10:11], v[8:9]
	buffer_gl0_inv
	v_readfirstlane_b32 s49, v5
	v_readfirstlane_b32 s48, v4
	s_cmp_lg_u64 s[48:49], 0
	s_cselect_b32 s25, -1, 0
	s_delay_alu instid0(SALU_CYCLE_1) | instskip(NEXT) | instid1(SALU_CYCLE_1)
	s_or_b32 s26, vcc_lo, s25
	s_and_b32 s26, exec_lo, s26
	s_delay_alu instid0(SALU_CYCLE_1) | instskip(SKIP_2) | instid1(SALU_CYCLE_1)
	s_or_b32 s23, s26, s23
	s_and_not1_b32 s22, s22, exec_lo
	s_and_b32 s25, s25, exec_lo
	s_or_b32 s22, s22, s25
	s_and_not1_b32 exec_lo, exec_lo, s23
	s_cbranch_execz .LBB162_306
.LBB162_300:                            ;   Parent Loop BB162_18 Depth=1
                                        ; =>  This Inner Loop Header: Depth=2
	s_delay_alu instid0(VALU_DEP_1)
	v_cmp_gt_u64_e32 vcc_lo, s[8:9], v[10:11]
	v_mov_b32_e32 v4, 0
	v_mov_b32_e32 v5, 0
	s_and_saveexec_b32 s25, vcc_lo
	s_cbranch_execz .LBB162_302
; %bb.301:                              ;   in Loop: Header=BB162_300 Depth=2
	ds_load_b64 v[4:5], v12
.LBB162_302:                            ;   in Loop: Header=BB162_300 Depth=2
	s_or_b32 exec_lo, exec_lo, s25
	s_and_saveexec_b32 s25, vcc_lo
	s_cbranch_execz .LBB162_299
; %bb.303:                              ;   in Loop: Header=BB162_300 Depth=2
	s_waitcnt lgkmcnt(0)
	v_xor_b32_e32 v3, 0x80000000, v5
	v_and_b32_e32 v6, v4, v22
	s_delay_alu instid0(VALU_DEP_2) | instskip(NEXT) | instid1(VALU_DEP_1)
	v_and_b32_e32 v7, v3, v23
	v_cmp_eq_u64_e32 vcc_lo, v[6:7], v[24:25]
	s_and_b32 exec_lo, exec_lo, vcc_lo
	s_cbranch_execz .LBB162_299
; %bb.304:                              ;   in Loop: Header=BB162_300 Depth=2
	v_mov_b32_e32 v3, v19
	ds_store_b128 v19, v[2:5] offset:3072
	s_branch .LBB162_299
.LBB162_305:                            ;   in Loop: Header=BB162_18 Depth=1
	s_mov_b32 s22, -1
	s_mov_b32 s26, 0
                                        ; implicit-def: $sgpr23
                                        ; implicit-def: $vgpr6_vgpr7
	s_mov_b32 s25, s22
	s_cbranch_execnz .LBB162_308
	s_branch .LBB162_321
.LBB162_306:                            ;   in Loop: Header=BB162_18 Depth=1
	s_set_inst_prefetch_distance 0x2
	s_or_b32 exec_lo, exec_lo, s23
	s_delay_alu instid0(SALU_CYCLE_1)
	s_and_b32 s26, s22, exec_lo
.LBB162_307:                            ;   in Loop: Header=BB162_18 Depth=1
	s_or_b32 exec_lo, exec_lo, s7
	s_mov_b32 s22, 0
	s_mov_b32 s23, -1
	s_mov_b32 s25, s22
	s_branch .LBB162_321
.LBB162_308:                            ;   in Loop: Header=BB162_18 Depth=1
	s_mov_b32 s26, s71
	s_delay_alu instid0(SALU_CYCLE_1)
	s_cmp_lg_u64 s[26:27], 0
	s_cbranch_scc0 .LBB162_350
; %bb.309:                              ;   in Loop: Header=BB162_18 Depth=1
	v_cvt_f32_u32_e32 v3, s35
	s_sub_u32 s9, 0, s35
	s_subb_u32 s22, 0, 0
	s_delay_alu instid0(VALU_DEP_1) | instskip(NEXT) | instid1(VALU_DEP_1)
	v_fmac_f32_e64 v3, 0, 0x4f800000
	v_rcp_f32_e32 v3, v3
	s_waitcnt_depctr 0xfff
	v_mul_f32_e32 v3, 0x5f7ffffc, v3
	s_delay_alu instid0(VALU_DEP_1) | instskip(NEXT) | instid1(VALU_DEP_1)
	v_mul_f32_e32 v4, 0x2f800000, v3
	v_trunc_f32_e32 v4, v4
	s_delay_alu instid0(VALU_DEP_1) | instskip(SKIP_1) | instid1(VALU_DEP_2)
	v_fmac_f32_e32 v3, 0xcf800000, v4
	v_cvt_u32_f32_e32 v4, v4
	v_cvt_u32_f32_e32 v3, v3
	s_delay_alu instid0(VALU_DEP_2) | instskip(NEXT) | instid1(VALU_DEP_2)
	v_readfirstlane_b32 s7, v4
	v_readfirstlane_b32 s8, v3
	s_delay_alu instid0(VALU_DEP_2) | instskip(NEXT) | instid1(VALU_DEP_1)
	s_mul_i32 s23, s9, s7
	s_mul_hi_u32 s26, s9, s8
	s_mul_i32 s25, s22, s8
	s_add_i32 s23, s26, s23
	s_mul_i32 s48, s9, s8
	s_add_i32 s23, s23, s25
	s_mul_hi_u32 s26, s8, s48
	s_mul_hi_u32 s49, s7, s48
	s_mul_i32 s25, s7, s48
	s_mul_hi_u32 s48, s8, s23
	s_mul_i32 s8, s8, s23
	s_mul_hi_u32 s50, s7, s23
	s_add_u32 s8, s26, s8
	s_addc_u32 s26, 0, s48
	s_add_u32 s8, s8, s25
	s_mul_i32 s23, s7, s23
	s_addc_u32 s8, s26, s49
	s_addc_u32 s25, s50, 0
	s_add_u32 s8, s8, s23
	s_addc_u32 s23, 0, s25
	v_add_co_u32 v3, s8, v3, s8
	s_delay_alu instid0(VALU_DEP_1) | instskip(SKIP_1) | instid1(VALU_DEP_1)
	s_cmp_lg_u32 s8, 0
	s_addc_u32 s7, s7, s23
	v_readfirstlane_b32 s8, v3
	s_mul_i32 s23, s9, s7
	s_delay_alu instid0(VALU_DEP_1)
	s_mul_hi_u32 s25, s9, s8
	s_mul_i32 s22, s22, s8
	s_add_i32 s23, s25, s23
	s_mul_i32 s9, s9, s8
	s_add_i32 s23, s23, s22
	s_mul_hi_u32 s25, s7, s9
	s_mul_i32 s26, s7, s9
	s_mul_hi_u32 s9, s8, s9
	s_mul_hi_u32 s48, s8, s23
	s_mul_i32 s8, s8, s23
	s_mul_hi_u32 s22, s7, s23
	s_add_u32 s8, s9, s8
	s_addc_u32 s9, 0, s48
	s_add_u32 s8, s8, s26
	s_mul_i32 s23, s7, s23
	s_addc_u32 s8, s9, s25
	s_addc_u32 s9, s22, 0
	s_add_u32 s8, s8, s23
	s_addc_u32 s9, 0, s9
	v_add_co_u32 v3, s8, v3, s8
	s_delay_alu instid0(VALU_DEP_1) | instskip(SKIP_1) | instid1(VALU_DEP_1)
	s_cmp_lg_u32 s8, 0
	s_addc_u32 s7, s7, s9
	v_readfirstlane_b32 s8, v3
	s_mul_i32 s22, s88, s7
	s_mul_hi_u32 s9, s88, s7
	s_mul_hi_u32 s23, s27, s7
	s_mul_i32 s7, s27, s7
	s_mul_hi_u32 s25, s88, s8
	s_mul_hi_u32 s26, s27, s8
	s_mul_i32 s8, s27, s8
	s_add_u32 s22, s25, s22
	s_addc_u32 s9, 0, s9
	s_add_u32 s8, s22, s8
	s_addc_u32 s8, s9, s26
	s_addc_u32 s9, s23, 0
	s_add_u32 s7, s8, s7
	s_addc_u32 s8, 0, s9
	s_mul_hi_u32 s9, s35, s7
	s_mul_i32 s7, s35, s7
	s_mul_i32 s8, s35, s8
	v_sub_co_u32 v3, s7, s88, s7
	s_add_i32 s9, s9, s8
	s_cmp_lg_u32 s7, 0
	s_delay_alu instid0(VALU_DEP_1) | instskip(SKIP_2) | instid1(VALU_DEP_1)
	v_sub_co_u32 v4, s7, v3, s35
	s_subb_u32 s8, s27, s9
	s_cmp_lg_u32 s7, 0
	v_cmp_le_u32_e32 vcc_lo, s35, v4
	v_sub_co_u32 v5, s7, v4, s35
	s_subb_u32 s9, s8, 0
	s_cmp_lg_u32 s7, 0
	v_cndmask_b32_e64 v6, 0, -1, vcc_lo
	s_subb_u32 s7, s9, 0
	s_cmp_eq_u32 s9, 0
	v_mov_b32_e32 v8, s7
	s_cselect_b32 vcc_lo, -1, 0
	s_cmp_eq_u32 s8, 0
	v_cndmask_b32_e32 v6, -1, v6, vcc_lo
	v_cmp_le_u32_e32 vcc_lo, s35, v3
	s_cselect_b32 s7, -1, 0
	v_cndmask_b32_e64 v7, 0, -1, vcc_lo
	s_delay_alu instid0(VALU_DEP_3) | instskip(NEXT) | instid1(VALU_DEP_2)
	v_cmp_ne_u32_e32 vcc_lo, 0, v6
	v_cndmask_b32_e64 v6, -1, v7, s7
	v_cndmask_b32_e32 v7, s9, v8, vcc_lo
	v_cndmask_b32_e32 v5, v4, v5, vcc_lo
	s_delay_alu instid0(VALU_DEP_3) | instskip(NEXT) | instid1(VALU_DEP_3)
	v_cmp_ne_u32_e32 vcc_lo, 0, v6
	v_cndmask_b32_e32 v4, s8, v7, vcc_lo
	s_delay_alu instid0(VALU_DEP_3)
	v_cndmask_b32_e32 v3, v3, v5, vcc_lo
	s_cbranch_execnz .LBB162_311
.LBB162_310:                            ;   in Loop: Header=BB162_18 Depth=1
	v_cvt_f32_u32_e32 v3, s35
	s_sub_i32 s7, 0, s35
	s_delay_alu instid0(VALU_DEP_1) | instskip(SKIP_2) | instid1(VALU_DEP_1)
	v_rcp_iflag_f32_e32 v3, v3
	s_waitcnt_depctr 0xfff
	v_mul_f32_e32 v3, 0x4f7ffffe, v3
	v_cvt_u32_f32_e32 v3, v3
	s_delay_alu instid0(VALU_DEP_1) | instskip(NEXT) | instid1(VALU_DEP_1)
	v_mul_lo_u32 v4, s7, v3
	v_mul_hi_u32 v4, v3, v4
	s_delay_alu instid0(VALU_DEP_1) | instskip(NEXT) | instid1(VALU_DEP_1)
	v_add_nc_u32_e32 v3, v3, v4
	v_mul_hi_u32 v3, s88, v3
	s_delay_alu instid0(VALU_DEP_1) | instskip(NEXT) | instid1(VALU_DEP_1)
	v_mul_lo_u32 v3, v3, s35
	v_sub_nc_u32_e32 v3, s88, v3
	s_delay_alu instid0(VALU_DEP_1) | instskip(SKIP_1) | instid1(VALU_DEP_2)
	v_subrev_nc_u32_e32 v4, s35, v3
	v_cmp_le_u32_e32 vcc_lo, s35, v3
	v_cndmask_b32_e32 v3, v3, v4, vcc_lo
	s_delay_alu instid0(VALU_DEP_1) | instskip(SKIP_1) | instid1(VALU_DEP_2)
	v_subrev_nc_u32_e32 v4, s35, v3
	v_cmp_le_u32_e32 vcc_lo, s35, v3
	v_cndmask_b32_e32 v18, v3, v4, vcc_lo
	s_delay_alu instid0(VALU_DEP_1)
	v_dual_mov_b32 v3, v18 :: v_dual_mov_b32 v4, v19
.LBB162_311:                            ;   in Loop: Header=BB162_18 Depth=1
	s_delay_alu instid0(VALU_DEP_1) | instskip(NEXT) | instid1(VALU_DEP_2)
	v_sub_co_u32 v8, vcc_lo, s88, v3
	v_sub_co_ci_u32_e32 v9, vcc_lo, s27, v4, vcc_lo
	s_mov_b32 s26, 0
	s_mov_b32 s8, exec_lo
                                        ; implicit-def: $vgpr6_vgpr7
	s_delay_alu instid0(VALU_DEP_1)
	v_cmpx_gt_u64_e64 v[8:9], v[0:1]
	s_cbranch_execz .LBB162_320
; %bb.312:                              ;   in Loop: Header=BB162_18 Depth=1
	v_dual_mov_b32 v11, v1 :: v_dual_mov_b32 v10, v0
	s_mov_b32 s22, 0
                                        ; implicit-def: $sgpr9
	s_branch .LBB162_314
.LBB162_313:                            ;   in Loop: Header=BB162_314 Depth=2
	s_or_b32 exec_lo, exec_lo, s7
	s_waitcnt vmcnt(0) lgkmcnt(0)
	s_barrier
	buffer_gl0_inv
	ds_load_b128 v[4:7], v19 offset:3072
	v_add_co_u32 v10, vcc_lo, v10, s35
	v_add_co_ci_u32_e32 v11, vcc_lo, 0, v11, vcc_lo
	s_waitcnt lgkmcnt(0)
	s_barrier
	buffer_gl0_inv
	v_cmp_ge_u64_e32 vcc_lo, v[10:11], v[8:9]
	v_readfirstlane_b32 s49, v5
	v_readfirstlane_b32 s48, v4
	s_delay_alu instid0(VALU_DEP_1) | instskip(SKIP_1) | instid1(SALU_CYCLE_1)
	s_cmp_lg_u64 s[48:49], 0
	s_cselect_b32 s7, -1, 0
	s_or_b32 s23, vcc_lo, s7
	s_delay_alu instid0(SALU_CYCLE_1) | instskip(NEXT) | instid1(SALU_CYCLE_1)
	s_and_b32 s23, exec_lo, s23
	s_or_b32 s22, s23, s22
	s_and_not1_b32 s9, s9, exec_lo
	s_and_b32 s7, s7, exec_lo
	s_delay_alu instid0(SALU_CYCLE_1)
	s_or_b32 s9, s9, s7
	s_and_not1_b32 exec_lo, exec_lo, s22
	s_cbranch_execz .LBB162_319
.LBB162_314:                            ;   Parent Loop BB162_18 Depth=1
                                        ; =>  This Inner Loop Header: Depth=2
	s_delay_alu instid0(VALU_DEP_1)
	v_cmp_gt_u64_e32 vcc_lo, s[36:37], v[10:11]
	v_mov_b32_e32 v4, 0
	v_mov_b32_e32 v5, 0
	s_and_saveexec_b32 s23, vcc_lo
	s_cbranch_execz .LBB162_316
; %bb.315:                              ;   in Loop: Header=BB162_314 Depth=2
	v_mul_lo_u32 v5, v11, s30
	v_mul_lo_u32 v6, v10, s31
	v_mad_u64_u32 v[3:4], null, v10, s30, 0
	s_delay_alu instid0(VALU_DEP_1) | instskip(NEXT) | instid1(VALU_DEP_1)
	v_add3_u32 v4, v4, v6, v5
	v_lshlrev_b64 v[3:4], 3, v[3:4]
	s_delay_alu instid0(VALU_DEP_1) | instskip(NEXT) | instid1(VALU_DEP_1)
	v_add_co_u32 v3, s7, s29, v3
	v_add_co_ci_u32_e64 v4, s7, s33, v4, s7
	global_load_b64 v[4:5], v[3:4], off
.LBB162_316:                            ;   in Loop: Header=BB162_314 Depth=2
	s_or_b32 exec_lo, exec_lo, s23
	s_and_saveexec_b32 s7, vcc_lo
	s_cbranch_execz .LBB162_313
; %bb.317:                              ;   in Loop: Header=BB162_314 Depth=2
	s_waitcnt vmcnt(0)
	v_xor_b32_e32 v3, 0x80000000, v5
	v_and_b32_e32 v6, v4, v22
	s_delay_alu instid0(VALU_DEP_2) | instskip(NEXT) | instid1(VALU_DEP_1)
	v_and_b32_e32 v7, v3, v23
	v_cmp_eq_u64_e32 vcc_lo, v[6:7], v[24:25]
	s_and_b32 exec_lo, exec_lo, vcc_lo
	s_cbranch_execz .LBB162_313
; %bb.318:                              ;   in Loop: Header=BB162_314 Depth=2
	v_mov_b32_e32 v3, v19
	ds_store_b128 v19, v[2:5] offset:3072
	s_branch .LBB162_313
.LBB162_319:                            ;   in Loop: Header=BB162_18 Depth=1
	s_or_b32 exec_lo, exec_lo, s22
	s_delay_alu instid0(SALU_CYCLE_1)
	s_and_b32 s26, s9, exec_lo
.LBB162_320:                            ;   in Loop: Header=BB162_18 Depth=1
	s_or_b32 exec_lo, exec_lo, s8
	s_mov_b32 s23, 0
	s_mov_b32 s22, -1
	s_mov_b32 s25, 0
.LBB162_321:                            ;   in Loop: Header=BB162_18 Depth=1
	s_or_not1_b32 s7, s26, exec_lo
.LBB162_322:                            ;   in Loop: Header=BB162_18 Depth=1
	s_or_b32 exec_lo, exec_lo, s59
                                        ; implicit-def: $vgpr5
                                        ; implicit-def: $vgpr28_vgpr29
                                        ; implicit-def: $vgpr12_vgpr13
                                        ; implicit-def: $vgpr14_vgpr15
                                        ; implicit-def: $vgpr10_vgpr11
	s_and_saveexec_b32 s75, s7
	s_cbranch_execz .LBB162_485
; %bb.323:                              ;   in Loop: Header=BB162_18 Depth=1
	v_dual_mov_b32 v28, 1 :: v_dual_mov_b32 v5, 1
	v_mov_b32_e32 v29, 0
	s_xor_b32 s8, s58, -1
	s_mov_b32 s26, 0
	s_and_saveexec_b32 s7, s8
	s_cbranch_execz .LBB162_333
; %bb.324:                              ;   in Loop: Header=BB162_18 Depth=1
	s_mov_b32 s9, exec_lo
                                        ; implicit-def: $sgpr26
                                        ; implicit-def: $sgpr8
	v_cmpx_ge_u64_e64 s[20:21], v[26:27]
	s_xor_b32 s9, exec_lo, s9
	s_cbranch_execz .LBB162_330
; %bb.325:                              ;   in Loop: Header=BB162_18 Depth=1
	ds_load_b64 v[3:4], v19 offset:5120
	s_waitcnt lgkmcnt(0)
	v_cmp_ne_u64_e32 vcc_lo, 0, v[3:4]
	s_cbranch_vccnz .LBB162_329
; %bb.326:                              ;   in Loop: Header=BB162_18 Depth=1
	s_and_saveexec_b32 s8, s5
	s_cbranch_execz .LBB162_328
; %bb.327:                              ;   in Loop: Header=BB162_18 Depth=1
	v_dual_mov_b32 v3, s20 :: v_dual_mov_b32 v4, s21
	ds_store_b64 v19, v[3:4] offset:5128
.LBB162_328:                            ;   in Loop: Header=BB162_18 Depth=1
	s_or_b32 exec_lo, exec_lo, s8
	s_waitcnt lgkmcnt(0)
	s_barrier
	buffer_gl0_inv
.LBB162_329:                            ;   in Loop: Header=BB162_18 Depth=1
	v_or_b32_e32 v25, s13, v25
	v_or_b32_e32 v24, s12, v24
	;; [unrolled: 1-line block ×4, first 2 shown]
	s_mov_b32 s8, 0
	s_mov_b32 s26, 5
.LBB162_330:                            ;   in Loop: Header=BB162_18 Depth=1
	s_or_saveexec_b32 s9, s9
	v_mov_b32_e32 v5, s26
	s_xor_b32 exec_lo, exec_lo, s9
; %bb.331:                              ;   in Loop: Header=BB162_18 Depth=1
	v_sub_co_u32 v26, vcc_lo, v26, s20
	v_subrev_co_ci_u32_e32 v27, vcc_lo, s21, v27, vcc_lo
	v_mov_b32_e32 v5, 0
	s_or_b32 s8, s8, exec_lo
; %bb.332:                              ;   in Loop: Header=BB162_18 Depth=1
	s_or_b32 exec_lo, exec_lo, s9
	s_delay_alu instid0(VALU_DEP_2)
	v_dual_mov_b32 v29, v27 :: v_dual_mov_b32 v28, v26
	s_and_b32 s26, s8, exec_lo
.LBB162_333:                            ;   in Loop: Header=BB162_18 Depth=1
	s_or_b32 exec_lo, exec_lo, s7
	s_mov_b32 s21, -1
                                        ; implicit-def: $sgpr8
                                        ; implicit-def: $sgpr9
                                        ; implicit-def: $sgpr20
	s_and_saveexec_b32 s7, s26
	s_delay_alu instid0(SALU_CYCLE_1)
	s_xor_b32 s76, exec_lo, s7
	s_cbranch_execz .LBB162_482
; %bb.334:                              ;   in Loop: Header=BB162_18 Depth=1
	v_cmp_eq_u64_e32 vcc_lo, 1, v[28:29]
	s_cmp_eq_u64 s[18:19], 1
                                        ; implicit-def: $sgpr20
                                        ; implicit-def: $sgpr21
                                        ; implicit-def: $sgpr77
	s_cselect_b32 s7, -1, 0
	s_delay_alu instid0(SALU_CYCLE_1)
	s_and_b32 s58, s7, vcc_lo
	s_mov_b32 s7, -1
	s_and_saveexec_b32 s59, s58
	s_cbranch_execz .LBB162_368
; %bb.335:                              ;   in Loop: Header=BB162_18 Depth=1
	ds_load_b64 v[3:4], v19 offset:5120
	s_waitcnt lgkmcnt(0)
	s_barrier
	buffer_gl0_inv
	v_readfirstlane_b32 s8, v3
	v_readfirstlane_b32 s9, v4
	s_and_saveexec_b32 s7, s6
	s_cbranch_execz .LBB162_337
; %bb.336:                              ;   in Loop: Header=BB162_18 Depth=1
	v_mov_b32_e32 v18, v19
	ds_store_b64 v38, v[18:19]
.LBB162_337:                            ;   in Loop: Header=BB162_18 Depth=1
	s_or_b32 exec_lo, exec_lo, s7
	v_and_b32_e32 v3, s15, v25
	v_and_b32_e32 v4, s14, v24
	s_lshl_b64 s[20:21], 2, s24
	v_or_b32_e32 v23, s13, v23
	v_or_b32_e32 v22, s12, v22
	;; [unrolled: 1-line block ×4, first 2 shown]
	s_cmp_eq_u64 s[8:9], 0
	s_waitcnt lgkmcnt(0)
	s_barrier
	buffer_gl0_inv
	s_cbranch_scc1 .LBB162_351
; %bb.338:                              ;   in Loop: Header=BB162_18 Depth=1
	s_add_u32 s26, s86, s8
	s_addc_u32 s21, s87, s9
	s_mov_b32 s20, s71
	s_delay_alu instid0(SALU_CYCLE_1)
	s_cmp_lg_u64 s[20:21], 0
	s_cbranch_scc0 .LBB162_395
; %bb.339:                              ;   in Loop: Header=BB162_18 Depth=1
	v_cvt_f32_u32_e32 v3, s35
	s_sub_u32 s48, 0, s35
	s_subb_u32 s49, 0, 0
	s_delay_alu instid0(VALU_DEP_1) | instskip(NEXT) | instid1(VALU_DEP_1)
	v_fmac_f32_e64 v3, 0, 0x4f800000
	v_rcp_f32_e32 v3, v3
	s_waitcnt_depctr 0xfff
	v_mul_f32_e32 v3, 0x5f7ffffc, v3
	s_delay_alu instid0(VALU_DEP_1) | instskip(NEXT) | instid1(VALU_DEP_1)
	v_mul_f32_e32 v4, 0x2f800000, v3
	v_trunc_f32_e32 v4, v4
	s_delay_alu instid0(VALU_DEP_1) | instskip(SKIP_1) | instid1(VALU_DEP_2)
	v_fmac_f32_e32 v3, 0xcf800000, v4
	v_cvt_u32_f32_e32 v4, v4
	v_cvt_u32_f32_e32 v3, v3
	s_delay_alu instid0(VALU_DEP_2) | instskip(NEXT) | instid1(VALU_DEP_2)
	v_readfirstlane_b32 s7, v4
	v_readfirstlane_b32 s20, v3
	s_delay_alu instid0(VALU_DEP_2) | instskip(NEXT) | instid1(VALU_DEP_1)
	s_mul_i32 s50, s48, s7
	s_mul_hi_u32 s64, s48, s20
	s_mul_i32 s51, s49, s20
	s_add_i32 s50, s64, s50
	s_mul_i32 s65, s48, s20
	s_add_i32 s50, s50, s51
	s_mul_hi_u32 s64, s20, s65
	s_mul_hi_u32 s68, s7, s65
	s_mul_i32 s51, s7, s65
	s_mul_hi_u32 s65, s20, s50
	s_mul_i32 s20, s20, s50
	s_mul_hi_u32 s69, s7, s50
	s_add_u32 s20, s64, s20
	s_addc_u32 s64, 0, s65
	s_add_u32 s20, s20, s51
	s_mul_i32 s50, s7, s50
	s_addc_u32 s20, s64, s68
	s_addc_u32 s51, s69, 0
	s_add_u32 s20, s20, s50
	s_addc_u32 s50, 0, s51
	v_add_co_u32 v3, s20, v3, s20
	s_delay_alu instid0(VALU_DEP_1) | instskip(SKIP_1) | instid1(VALU_DEP_1)
	s_cmp_lg_u32 s20, 0
	s_addc_u32 s7, s7, s50
	v_readfirstlane_b32 s20, v3
	s_mul_i32 s50, s48, s7
	s_delay_alu instid0(VALU_DEP_1)
	s_mul_hi_u32 s51, s48, s20
	s_mul_i32 s49, s49, s20
	s_add_i32 s50, s51, s50
	s_mul_i32 s48, s48, s20
	s_add_i32 s50, s50, s49
	s_mul_hi_u32 s51, s7, s48
	s_mul_i32 s64, s7, s48
	s_mul_hi_u32 s48, s20, s48
	s_mul_hi_u32 s65, s20, s50
	s_mul_i32 s20, s20, s50
	s_mul_hi_u32 s49, s7, s50
	s_add_u32 s20, s48, s20
	s_addc_u32 s48, 0, s65
	s_add_u32 s20, s20, s64
	s_mul_i32 s50, s7, s50
	s_addc_u32 s20, s48, s51
	s_addc_u32 s48, s49, 0
	s_add_u32 s20, s20, s50
	s_addc_u32 s48, 0, s48
	v_add_co_u32 v3, s20, v3, s20
	s_delay_alu instid0(VALU_DEP_1) | instskip(SKIP_1) | instid1(VALU_DEP_1)
	s_cmp_lg_u32 s20, 0
	s_addc_u32 s7, s7, s48
	v_readfirstlane_b32 s20, v3
	s_mul_i32 s49, s26, s7
	s_mul_hi_u32 s48, s26, s7
	s_mul_hi_u32 s50, s21, s7
	s_mul_i32 s7, s21, s7
	s_mul_hi_u32 s51, s26, s20
	s_mul_hi_u32 s64, s21, s20
	s_mul_i32 s20, s21, s20
	s_add_u32 s49, s51, s49
	s_addc_u32 s48, 0, s48
	s_add_u32 s20, s49, s20
	s_addc_u32 s20, s48, s64
	s_addc_u32 s48, s50, 0
	s_add_u32 s7, s20, s7
	s_addc_u32 s20, 0, s48
	s_mul_hi_u32 s48, s35, s7
	s_mul_i32 s7, s35, s7
	s_mul_i32 s20, s35, s20
	v_sub_co_u32 v3, s7, s26, s7
	s_add_i32 s48, s48, s20
	s_cmp_lg_u32 s7, 0
	s_delay_alu instid0(VALU_DEP_1) | instskip(SKIP_3) | instid1(VALU_DEP_2)
	v_sub_co_u32 v4, s7, v3, s35
	s_subb_u32 s20, s21, s48
	s_cmp_lg_u32 s7, 0
	v_cmp_le_u32_e32 vcc_lo, s35, v3
	v_cmp_le_u32_e64 s7, s35, v4
	v_sub_co_u32 v5, s48, v4, s35
	s_subb_u32 s49, s20, 0
	s_cmp_lg_u32 s48, 0
	s_delay_alu instid0(VALU_DEP_2)
	v_cndmask_b32_e64 v6, 0, -1, s7
	s_subb_u32 s48, s49, 0
	s_cmp_eq_u32 s49, 0
	v_mov_b32_e32 v8, s48
	v_cndmask_b32_e64 v7, 0, -1, vcc_lo
	s_cselect_b32 vcc_lo, -1, 0
	s_cmp_eq_u32 s20, 0
	v_cndmask_b32_e32 v6, -1, v6, vcc_lo
	s_cselect_b32 vcc_lo, -1, 0
	v_cndmask_b32_e32 v7, -1, v7, vcc_lo
	s_delay_alu instid0(VALU_DEP_2) | instskip(NEXT) | instid1(VALU_DEP_2)
	v_cmp_ne_u32_e32 vcc_lo, 0, v6
	v_cmp_ne_u32_e64 s7, 0, v7
	v_cndmask_b32_e32 v6, s49, v8, vcc_lo
	v_cndmask_b32_e32 v5, v4, v5, vcc_lo
	s_delay_alu instid0(VALU_DEP_2) | instskip(NEXT) | instid1(VALU_DEP_2)
	v_cndmask_b32_e64 v4, s20, v6, s7
	v_cndmask_b32_e64 v3, v3, v5, s7
	s_cbranch_execnz .LBB162_341
.LBB162_340:                            ;   in Loop: Header=BB162_18 Depth=1
	v_cvt_f32_u32_e32 v3, s35
	s_sub_i32 s7, 0, s35
	s_delay_alu instid0(VALU_DEP_1) | instskip(SKIP_2) | instid1(VALU_DEP_1)
	v_rcp_iflag_f32_e32 v3, v3
	s_waitcnt_depctr 0xfff
	v_mul_f32_e32 v3, 0x4f7ffffe, v3
	v_cvt_u32_f32_e32 v3, v3
	s_delay_alu instid0(VALU_DEP_1) | instskip(NEXT) | instid1(VALU_DEP_1)
	v_mul_lo_u32 v4, s7, v3
	v_mul_hi_u32 v4, v3, v4
	s_delay_alu instid0(VALU_DEP_1) | instskip(NEXT) | instid1(VALU_DEP_1)
	v_add_nc_u32_e32 v3, v3, v4
	v_mul_hi_u32 v3, s26, v3
	s_delay_alu instid0(VALU_DEP_1) | instskip(NEXT) | instid1(VALU_DEP_1)
	v_mul_lo_u32 v3, v3, s35
	v_sub_nc_u32_e32 v3, s26, v3
	s_delay_alu instid0(VALU_DEP_1) | instskip(SKIP_1) | instid1(VALU_DEP_2)
	v_subrev_nc_u32_e32 v4, s35, v3
	v_cmp_le_u32_e32 vcc_lo, s35, v3
	v_cndmask_b32_e32 v3, v3, v4, vcc_lo
	s_delay_alu instid0(VALU_DEP_1) | instskip(SKIP_1) | instid1(VALU_DEP_2)
	v_subrev_nc_u32_e32 v4, s35, v3
	v_cmp_le_u32_e32 vcc_lo, s35, v3
	v_cndmask_b32_e32 v18, v3, v4, vcc_lo
	s_delay_alu instid0(VALU_DEP_1)
	v_dual_mov_b32 v3, v18 :: v_dual_mov_b32 v4, v19
.LBB162_341:                            ;   in Loop: Header=BB162_18 Depth=1
	s_delay_alu instid0(VALU_DEP_1) | instskip(NEXT) | instid1(VALU_DEP_2)
	v_sub_co_u32 v8, vcc_lo, s26, v3
	v_sub_co_ci_u32_e32 v9, vcc_lo, s21, v4, vcc_lo
	s_mov_b32 s26, 0
	s_mov_b32 s7, exec_lo
                                        ; implicit-def: $vgpr6_vgpr7
	s_delay_alu instid0(VALU_DEP_1)
	v_cmpx_gt_u64_e64 v[8:9], v[0:1]
	s_cbranch_execz .LBB162_353
; %bb.342:                              ;   in Loop: Header=BB162_18 Depth=1
	v_mov_b32_e32 v12, v37
	v_dual_mov_b32 v11, v1 :: v_dual_mov_b32 v10, v0
	s_mov_b32 s21, 0
                                        ; implicit-def: $sgpr20
	s_set_inst_prefetch_distance 0x1
	s_branch .LBB162_344
	.p2align	6
.LBB162_343:                            ;   in Loop: Header=BB162_344 Depth=2
	s_or_b32 exec_lo, exec_lo, s26
	s_waitcnt lgkmcnt(0)
	s_barrier
	buffer_gl0_inv
	ds_load_b128 v[4:7], v19 offset:3072
	v_add_co_u32 v10, vcc_lo, v10, s35
	v_add_co_ci_u32_e32 v11, vcc_lo, 0, v11, vcc_lo
	v_add_nc_u32_e32 v12, s94, v12
	s_waitcnt lgkmcnt(0)
	s_barrier
	s_delay_alu instid0(VALU_DEP_2) | instskip(SKIP_3) | instid1(VALU_DEP_1)
	v_cmp_ge_u64_e32 vcc_lo, v[10:11], v[8:9]
	buffer_gl0_inv
	v_readfirstlane_b32 s49, v5
	v_readfirstlane_b32 s48, v4
	s_cmp_lg_u64 s[48:49], 0
	s_cselect_b32 s26, -1, 0
	s_delay_alu instid0(SALU_CYCLE_1) | instskip(NEXT) | instid1(SALU_CYCLE_1)
	s_or_b32 s48, vcc_lo, s26
	s_and_b32 s48, exec_lo, s48
	s_delay_alu instid0(SALU_CYCLE_1) | instskip(SKIP_2) | instid1(SALU_CYCLE_1)
	s_or_b32 s21, s48, s21
	s_and_not1_b32 s20, s20, exec_lo
	s_and_b32 s26, s26, exec_lo
	s_or_b32 s20, s20, s26
	s_and_not1_b32 exec_lo, exec_lo, s21
	s_cbranch_execz .LBB162_352
.LBB162_344:                            ;   Parent Loop BB162_18 Depth=1
                                        ; =>  This Inner Loop Header: Depth=2
	s_delay_alu instid0(VALU_DEP_1)
	v_cmp_gt_u64_e32 vcc_lo, s[8:9], v[10:11]
	v_mov_b32_e32 v4, 0
	v_mov_b32_e32 v5, 0
	s_and_saveexec_b32 s26, vcc_lo
	s_cbranch_execz .LBB162_346
; %bb.345:                              ;   in Loop: Header=BB162_344 Depth=2
	ds_load_b64 v[4:5], v12
.LBB162_346:                            ;   in Loop: Header=BB162_344 Depth=2
	s_or_b32 exec_lo, exec_lo, s26
	s_and_saveexec_b32 s26, vcc_lo
	s_cbranch_execz .LBB162_343
; %bb.347:                              ;   in Loop: Header=BB162_344 Depth=2
	s_waitcnt lgkmcnt(0)
	v_xor_b32_e32 v3, 0x80000000, v5
	v_and_b32_e32 v6, v4, v22
	s_delay_alu instid0(VALU_DEP_2) | instskip(NEXT) | instid1(VALU_DEP_1)
	v_and_b32_e32 v7, v3, v23
	v_cmp_eq_u64_e32 vcc_lo, v[6:7], v[24:25]
	s_and_b32 exec_lo, exec_lo, vcc_lo
	s_cbranch_execz .LBB162_343
; %bb.348:                              ;   in Loop: Header=BB162_344 Depth=2
	v_mov_b32_e32 v3, v19
	ds_store_b128 v19, v[2:5] offset:3072
	s_branch .LBB162_343
.LBB162_349:                            ;   in Loop: Header=BB162_18 Depth=1
                                        ; implicit-def: $vgpr3_vgpr4
	s_branch .LBB162_296
.LBB162_350:                            ;   in Loop: Header=BB162_18 Depth=1
                                        ; implicit-def: $vgpr3_vgpr4
	s_branch .LBB162_310
.LBB162_351:                            ;   in Loop: Header=BB162_18 Depth=1
	s_mov_b32 s20, -1
	s_mov_b32 s26, 0
                                        ; implicit-def: $sgpr21
                                        ; implicit-def: $vgpr6_vgpr7
	s_mov_b32 s77, s20
	s_cbranch_execnz .LBB162_354
	s_branch .LBB162_367
.LBB162_352:                            ;   in Loop: Header=BB162_18 Depth=1
	s_set_inst_prefetch_distance 0x2
	s_or_b32 exec_lo, exec_lo, s21
	s_delay_alu instid0(SALU_CYCLE_1)
	s_and_b32 s26, s20, exec_lo
.LBB162_353:                            ;   in Loop: Header=BB162_18 Depth=1
	s_or_b32 exec_lo, exec_lo, s7
	s_mov_b32 s20, 0
	s_mov_b32 s21, -1
	s_mov_b32 s77, s20
	s_branch .LBB162_367
.LBB162_354:                            ;   in Loop: Header=BB162_18 Depth=1
	s_mov_b32 s26, s71
	s_delay_alu instid0(SALU_CYCLE_1)
	s_cmp_lg_u64 s[26:27], 0
	s_cbranch_scc0 .LBB162_396
; %bb.355:                              ;   in Loop: Header=BB162_18 Depth=1
	v_cvt_f32_u32_e32 v3, s35
	s_sub_u32 s9, 0, s35
	s_subb_u32 s20, 0, 0
	s_delay_alu instid0(VALU_DEP_1) | instskip(NEXT) | instid1(VALU_DEP_1)
	v_fmac_f32_e64 v3, 0, 0x4f800000
	v_rcp_f32_e32 v3, v3
	s_waitcnt_depctr 0xfff
	v_mul_f32_e32 v3, 0x5f7ffffc, v3
	s_delay_alu instid0(VALU_DEP_1) | instskip(NEXT) | instid1(VALU_DEP_1)
	v_mul_f32_e32 v4, 0x2f800000, v3
	v_trunc_f32_e32 v4, v4
	s_delay_alu instid0(VALU_DEP_1) | instskip(SKIP_1) | instid1(VALU_DEP_2)
	v_fmac_f32_e32 v3, 0xcf800000, v4
	v_cvt_u32_f32_e32 v4, v4
	v_cvt_u32_f32_e32 v3, v3
	s_delay_alu instid0(VALU_DEP_2) | instskip(NEXT) | instid1(VALU_DEP_2)
	v_readfirstlane_b32 s7, v4
	v_readfirstlane_b32 s8, v3
	s_delay_alu instid0(VALU_DEP_2) | instskip(NEXT) | instid1(VALU_DEP_1)
	s_mul_i32 s21, s9, s7
	s_mul_hi_u32 s48, s9, s8
	s_mul_i32 s26, s20, s8
	s_add_i32 s21, s48, s21
	s_mul_i32 s49, s9, s8
	s_add_i32 s21, s21, s26
	s_mul_hi_u32 s48, s8, s49
	s_mul_hi_u32 s50, s7, s49
	s_mul_i32 s26, s7, s49
	s_mul_hi_u32 s49, s8, s21
	s_mul_i32 s8, s8, s21
	s_mul_hi_u32 s51, s7, s21
	s_add_u32 s8, s48, s8
	s_addc_u32 s48, 0, s49
	s_add_u32 s8, s8, s26
	s_mul_i32 s21, s7, s21
	s_addc_u32 s8, s48, s50
	s_addc_u32 s26, s51, 0
	s_add_u32 s8, s8, s21
	s_addc_u32 s21, 0, s26
	v_add_co_u32 v3, s8, v3, s8
	s_delay_alu instid0(VALU_DEP_1) | instskip(SKIP_1) | instid1(VALU_DEP_1)
	s_cmp_lg_u32 s8, 0
	s_addc_u32 s7, s7, s21
	v_readfirstlane_b32 s8, v3
	s_mul_i32 s21, s9, s7
	s_delay_alu instid0(VALU_DEP_1)
	s_mul_hi_u32 s26, s9, s8
	s_mul_i32 s20, s20, s8
	s_add_i32 s21, s26, s21
	s_mul_i32 s9, s9, s8
	s_add_i32 s21, s21, s20
	s_mul_hi_u32 s26, s7, s9
	s_mul_i32 s48, s7, s9
	s_mul_hi_u32 s9, s8, s9
	s_mul_hi_u32 s49, s8, s21
	s_mul_i32 s8, s8, s21
	s_mul_hi_u32 s20, s7, s21
	s_add_u32 s8, s9, s8
	s_addc_u32 s9, 0, s49
	s_add_u32 s8, s8, s48
	s_mul_i32 s21, s7, s21
	s_addc_u32 s8, s9, s26
	s_addc_u32 s9, s20, 0
	s_add_u32 s8, s8, s21
	s_addc_u32 s9, 0, s9
	v_add_co_u32 v3, s8, v3, s8
	s_delay_alu instid0(VALU_DEP_1) | instskip(SKIP_1) | instid1(VALU_DEP_1)
	s_cmp_lg_u32 s8, 0
	s_addc_u32 s7, s7, s9
	v_readfirstlane_b32 s8, v3
	s_mul_i32 s20, s88, s7
	s_mul_hi_u32 s9, s88, s7
	s_mul_hi_u32 s21, s27, s7
	s_mul_i32 s7, s27, s7
	s_mul_hi_u32 s26, s88, s8
	s_mul_hi_u32 s48, s27, s8
	s_mul_i32 s8, s27, s8
	s_add_u32 s20, s26, s20
	s_addc_u32 s9, 0, s9
	s_add_u32 s8, s20, s8
	s_addc_u32 s8, s9, s48
	s_addc_u32 s9, s21, 0
	s_add_u32 s7, s8, s7
	s_addc_u32 s8, 0, s9
	s_mul_hi_u32 s9, s35, s7
	s_mul_i32 s7, s35, s7
	s_mul_i32 s8, s35, s8
	v_sub_co_u32 v3, s7, s88, s7
	s_add_i32 s9, s9, s8
	s_cmp_lg_u32 s7, 0
	s_delay_alu instid0(VALU_DEP_1) | instskip(SKIP_3) | instid1(VALU_DEP_2)
	v_sub_co_u32 v4, s7, v3, s35
	s_subb_u32 s8, s27, s9
	s_cmp_lg_u32 s7, 0
	v_cmp_le_u32_e32 vcc_lo, s35, v3
	v_cmp_le_u32_e64 s7, s35, v4
	v_sub_co_u32 v5, s9, v4, s35
	s_subb_u32 s20, s8, 0
	s_cmp_lg_u32 s9, 0
	s_delay_alu instid0(VALU_DEP_2)
	v_cndmask_b32_e64 v6, 0, -1, s7
	s_subb_u32 s9, s20, 0
	s_cmp_eq_u32 s20, 0
	v_mov_b32_e32 v8, s9
	v_cndmask_b32_e64 v7, 0, -1, vcc_lo
	s_cselect_b32 vcc_lo, -1, 0
	s_cmp_eq_u32 s8, 0
	v_cndmask_b32_e32 v6, -1, v6, vcc_lo
	s_cselect_b32 vcc_lo, -1, 0
	v_cndmask_b32_e32 v7, -1, v7, vcc_lo
	s_delay_alu instid0(VALU_DEP_2) | instskip(NEXT) | instid1(VALU_DEP_2)
	v_cmp_ne_u32_e32 vcc_lo, 0, v6
	v_cmp_ne_u32_e64 s7, 0, v7
	v_cndmask_b32_e32 v6, s20, v8, vcc_lo
	v_cndmask_b32_e32 v5, v4, v5, vcc_lo
	s_delay_alu instid0(VALU_DEP_2) | instskip(NEXT) | instid1(VALU_DEP_2)
	v_cndmask_b32_e64 v4, s8, v6, s7
	v_cndmask_b32_e64 v3, v3, v5, s7
	s_cbranch_execnz .LBB162_357
.LBB162_356:                            ;   in Loop: Header=BB162_18 Depth=1
	v_cvt_f32_u32_e32 v3, s35
	s_sub_i32 s7, 0, s35
	s_delay_alu instid0(VALU_DEP_1) | instskip(SKIP_2) | instid1(VALU_DEP_1)
	v_rcp_iflag_f32_e32 v3, v3
	s_waitcnt_depctr 0xfff
	v_mul_f32_e32 v3, 0x4f7ffffe, v3
	v_cvt_u32_f32_e32 v3, v3
	s_delay_alu instid0(VALU_DEP_1) | instskip(NEXT) | instid1(VALU_DEP_1)
	v_mul_lo_u32 v4, s7, v3
	v_mul_hi_u32 v4, v3, v4
	s_delay_alu instid0(VALU_DEP_1) | instskip(NEXT) | instid1(VALU_DEP_1)
	v_add_nc_u32_e32 v3, v3, v4
	v_mul_hi_u32 v3, s88, v3
	s_delay_alu instid0(VALU_DEP_1) | instskip(NEXT) | instid1(VALU_DEP_1)
	v_mul_lo_u32 v3, v3, s35
	v_sub_nc_u32_e32 v3, s88, v3
	s_delay_alu instid0(VALU_DEP_1) | instskip(SKIP_1) | instid1(VALU_DEP_2)
	v_subrev_nc_u32_e32 v4, s35, v3
	v_cmp_le_u32_e32 vcc_lo, s35, v3
	v_cndmask_b32_e32 v3, v3, v4, vcc_lo
	s_delay_alu instid0(VALU_DEP_1) | instskip(SKIP_1) | instid1(VALU_DEP_2)
	v_subrev_nc_u32_e32 v4, s35, v3
	v_cmp_le_u32_e32 vcc_lo, s35, v3
	v_cndmask_b32_e32 v18, v3, v4, vcc_lo
	s_delay_alu instid0(VALU_DEP_1)
	v_dual_mov_b32 v3, v18 :: v_dual_mov_b32 v4, v19
.LBB162_357:                            ;   in Loop: Header=BB162_18 Depth=1
	s_delay_alu instid0(VALU_DEP_1) | instskip(NEXT) | instid1(VALU_DEP_2)
	v_sub_co_u32 v8, vcc_lo, s88, v3
	v_sub_co_ci_u32_e32 v9, vcc_lo, s27, v4, vcc_lo
	s_mov_b32 s26, 0
	s_mov_b32 s8, exec_lo
                                        ; implicit-def: $vgpr6_vgpr7
	s_delay_alu instid0(VALU_DEP_1)
	v_cmpx_gt_u64_e64 v[8:9], v[0:1]
	s_cbranch_execz .LBB162_366
; %bb.358:                              ;   in Loop: Header=BB162_18 Depth=1
	v_dual_mov_b32 v11, v1 :: v_dual_mov_b32 v10, v0
	s_mov_b32 s20, 0
                                        ; implicit-def: $sgpr9
	s_branch .LBB162_360
.LBB162_359:                            ;   in Loop: Header=BB162_360 Depth=2
	s_or_b32 exec_lo, exec_lo, s7
	s_waitcnt vmcnt(0) lgkmcnt(0)
	s_barrier
	buffer_gl0_inv
	ds_load_b128 v[4:7], v19 offset:3072
	v_add_co_u32 v10, vcc_lo, v10, s35
	v_add_co_ci_u32_e32 v11, vcc_lo, 0, v11, vcc_lo
	s_waitcnt lgkmcnt(0)
	s_barrier
	buffer_gl0_inv
	v_cmp_ge_u64_e32 vcc_lo, v[10:11], v[8:9]
	v_readfirstlane_b32 s49, v5
	v_readfirstlane_b32 s48, v4
	s_delay_alu instid0(VALU_DEP_1) | instskip(SKIP_1) | instid1(SALU_CYCLE_1)
	s_cmp_lg_u64 s[48:49], 0
	s_cselect_b32 s7, -1, 0
	s_or_b32 s21, vcc_lo, s7
	s_delay_alu instid0(SALU_CYCLE_1) | instskip(NEXT) | instid1(SALU_CYCLE_1)
	s_and_b32 s21, exec_lo, s21
	s_or_b32 s20, s21, s20
	s_and_not1_b32 s9, s9, exec_lo
	s_and_b32 s7, s7, exec_lo
	s_delay_alu instid0(SALU_CYCLE_1)
	s_or_b32 s9, s9, s7
	s_and_not1_b32 exec_lo, exec_lo, s20
	s_cbranch_execz .LBB162_365
.LBB162_360:                            ;   Parent Loop BB162_18 Depth=1
                                        ; =>  This Inner Loop Header: Depth=2
	s_delay_alu instid0(VALU_DEP_1)
	v_cmp_gt_u64_e32 vcc_lo, s[36:37], v[10:11]
	v_mov_b32_e32 v4, 0
	v_mov_b32_e32 v5, 0
	s_and_saveexec_b32 s21, vcc_lo
	s_cbranch_execz .LBB162_362
; %bb.361:                              ;   in Loop: Header=BB162_360 Depth=2
	v_mul_lo_u32 v5, v11, s30
	v_mul_lo_u32 v6, v10, s31
	v_mad_u64_u32 v[3:4], null, v10, s30, 0
	s_delay_alu instid0(VALU_DEP_1) | instskip(NEXT) | instid1(VALU_DEP_1)
	v_add3_u32 v4, v4, v6, v5
	v_lshlrev_b64 v[3:4], 3, v[3:4]
	s_delay_alu instid0(VALU_DEP_1) | instskip(NEXT) | instid1(VALU_DEP_1)
	v_add_co_u32 v3, s7, s29, v3
	v_add_co_ci_u32_e64 v4, s7, s33, v4, s7
	global_load_b64 v[4:5], v[3:4], off
.LBB162_362:                            ;   in Loop: Header=BB162_360 Depth=2
	s_or_b32 exec_lo, exec_lo, s21
	s_and_saveexec_b32 s7, vcc_lo
	s_cbranch_execz .LBB162_359
; %bb.363:                              ;   in Loop: Header=BB162_360 Depth=2
	s_waitcnt vmcnt(0)
	v_xor_b32_e32 v3, 0x80000000, v5
	v_and_b32_e32 v6, v4, v22
	s_delay_alu instid0(VALU_DEP_2) | instskip(NEXT) | instid1(VALU_DEP_1)
	v_and_b32_e32 v7, v3, v23
	v_cmp_eq_u64_e32 vcc_lo, v[6:7], v[24:25]
	s_and_b32 exec_lo, exec_lo, vcc_lo
	s_cbranch_execz .LBB162_359
; %bb.364:                              ;   in Loop: Header=BB162_360 Depth=2
	v_mov_b32_e32 v3, v19
	ds_store_b128 v19, v[2:5] offset:3072
	s_branch .LBB162_359
.LBB162_365:                            ;   in Loop: Header=BB162_18 Depth=1
	s_or_b32 exec_lo, exec_lo, s20
	s_delay_alu instid0(SALU_CYCLE_1)
	s_and_b32 s26, s9, exec_lo
.LBB162_366:                            ;   in Loop: Header=BB162_18 Depth=1
	s_or_b32 exec_lo, exec_lo, s8
	s_mov_b32 s21, 0
	s_mov_b32 s20, -1
	s_mov_b32 s77, 0
.LBB162_367:                            ;   in Loop: Header=BB162_18 Depth=1
	s_or_not1_b32 s7, s26, exec_lo
.LBB162_368:                            ;   in Loop: Header=BB162_18 Depth=1
	s_or_b32 exec_lo, exec_lo, s59
	s_mov_b32 s26, 0
                                        ; implicit-def: $vgpr5
	s_and_saveexec_b32 s78, s7
	s_cbranch_execz .LBB162_481
; %bb.369:                              ;   in Loop: Header=BB162_18 Depth=1
	v_dual_mov_b32 v8, 1 :: v_dual_mov_b32 v5, 1
	v_mov_b32_e32 v9, 0
	s_xor_b32 s8, s58, -1
	s_delay_alu instid0(SALU_CYCLE_1)
	s_and_saveexec_b32 s7, s8
	s_cbranch_execz .LBB162_379
; %bb.370:                              ;   in Loop: Header=BB162_18 Depth=1
	s_mov_b32 s9, exec_lo
                                        ; implicit-def: $sgpr26
                                        ; implicit-def: $sgpr8
	v_cmpx_ge_u64_e64 s[18:19], v[28:29]
	s_xor_b32 s9, exec_lo, s9
	s_cbranch_execz .LBB162_376
; %bb.371:                              ;   in Loop: Header=BB162_18 Depth=1
	ds_load_b64 v[3:4], v19 offset:5120
	s_waitcnt lgkmcnt(0)
	v_cmp_ne_u64_e32 vcc_lo, 0, v[3:4]
	s_cbranch_vccnz .LBB162_375
; %bb.372:                              ;   in Loop: Header=BB162_18 Depth=1
	s_and_saveexec_b32 s8, s5
	s_cbranch_execz .LBB162_374
; %bb.373:                              ;   in Loop: Header=BB162_18 Depth=1
	v_dual_mov_b32 v3, s18 :: v_dual_mov_b32 v4, s19
	ds_store_b64 v19, v[3:4] offset:5128
.LBB162_374:                            ;   in Loop: Header=BB162_18 Depth=1
	s_or_b32 exec_lo, exec_lo, s8
	s_waitcnt lgkmcnt(0)
	s_barrier
	buffer_gl0_inv
.LBB162_375:                            ;   in Loop: Header=BB162_18 Depth=1
	v_and_b32_e32 v3, s15, v25
	v_and_b32_e32 v4, s14, v24
	s_lshl_b64 s[48:49], 2, s24
	v_or_b32_e32 v23, s13, v23
	v_or_b32_e32 v22, s12, v22
	v_or_b32_e32 v25, s49, v3
	v_or_b32_e32 v24, s48, v4
	s_mov_b32 s8, 0
	s_mov_b32 s26, 5
.LBB162_376:                            ;   in Loop: Header=BB162_18 Depth=1
	s_or_saveexec_b32 s9, s9
	v_mov_b32_e32 v5, s26
	s_xor_b32 exec_lo, exec_lo, s9
; %bb.377:                              ;   in Loop: Header=BB162_18 Depth=1
	v_sub_co_u32 v28, vcc_lo, v28, s18
	v_subrev_co_ci_u32_e32 v29, vcc_lo, s19, v29, vcc_lo
	v_mov_b32_e32 v5, 0
	s_or_b32 s8, s8, exec_lo
; %bb.378:                              ;   in Loop: Header=BB162_18 Depth=1
	s_or_b32 exec_lo, exec_lo, s9
	s_delay_alu instid0(VALU_DEP_2)
	v_dual_mov_b32 v8, v28 :: v_dual_mov_b32 v9, v29
	s_and_b32 s26, s8, exec_lo
.LBB162_379:                            ;   in Loop: Header=BB162_18 Depth=1
	s_or_b32 exec_lo, exec_lo, s7
	s_mov_b32 s7, -1
                                        ; implicit-def: $sgpr8
                                        ; implicit-def: $sgpr9
                                        ; implicit-def: $sgpr18
	s_and_saveexec_b32 s79, s26
	s_cbranch_execz .LBB162_480
; %bb.380:                              ;   in Loop: Header=BB162_18 Depth=1
	v_cmp_eq_u64_e32 vcc_lo, 1, v[8:9]
	s_cmp_eq_u64 s[16:17], 1
                                        ; implicit-def: $sgpr18
                                        ; implicit-def: $sgpr19
                                        ; implicit-def: $sgpr68
	s_cselect_b32 s7, -1, 0
	s_delay_alu instid0(SALU_CYCLE_1)
	s_and_b32 s58, s7, vcc_lo
	s_mov_b32 s7, -1
	s_and_saveexec_b32 s59, s58
	s_cbranch_execz .LBB162_414
; %bb.381:                              ;   in Loop: Header=BB162_18 Depth=1
	ds_load_b64 v[3:4], v19 offset:5120
	s_waitcnt lgkmcnt(0)
	s_barrier
	buffer_gl0_inv
	v_readfirstlane_b32 s8, v3
	v_readfirstlane_b32 s9, v4
	s_and_saveexec_b32 s7, s6
	s_cbranch_execz .LBB162_383
; %bb.382:                              ;   in Loop: Header=BB162_18 Depth=1
	v_mov_b32_e32 v18, v19
	ds_store_b64 v38, v[18:19]
.LBB162_383:                            ;   in Loop: Header=BB162_18 Depth=1
	s_or_b32 exec_lo, exec_lo, s7
	v_and_b32_e32 v3, s15, v25
	v_and_b32_e32 v4, s14, v24
	s_lshl_b64 s[18:19], 1, s24
	v_or_b32_e32 v23, s13, v23
	v_or_b32_e32 v22, s12, v22
	;; [unrolled: 1-line block ×4, first 2 shown]
	s_cmp_eq_u64 s[8:9], 0
	s_waitcnt lgkmcnt(0)
	s_barrier
	buffer_gl0_inv
	s_cbranch_scc1 .LBB162_397
; %bb.384:                              ;   in Loop: Header=BB162_18 Depth=1
	s_add_u32 s26, s86, s8
	s_addc_u32 s19, s87, s9
	s_mov_b32 s18, s71
	s_delay_alu instid0(SALU_CYCLE_1)
	s_cmp_lg_u64 s[18:19], 0
	s_cbranch_scc0 .LBB162_432
; %bb.385:                              ;   in Loop: Header=BB162_18 Depth=1
	v_cvt_f32_u32_e32 v3, s35
	s_sub_u32 s48, 0, s35
	s_subb_u32 s49, 0, 0
	s_delay_alu instid0(VALU_DEP_1) | instskip(NEXT) | instid1(VALU_DEP_1)
	v_fmac_f32_e64 v3, 0, 0x4f800000
	v_rcp_f32_e32 v3, v3
	s_waitcnt_depctr 0xfff
	v_mul_f32_e32 v3, 0x5f7ffffc, v3
	s_delay_alu instid0(VALU_DEP_1) | instskip(NEXT) | instid1(VALU_DEP_1)
	v_mul_f32_e32 v4, 0x2f800000, v3
	v_trunc_f32_e32 v4, v4
	s_delay_alu instid0(VALU_DEP_1) | instskip(SKIP_1) | instid1(VALU_DEP_2)
	v_fmac_f32_e32 v3, 0xcf800000, v4
	v_cvt_u32_f32_e32 v4, v4
	v_cvt_u32_f32_e32 v3, v3
	s_delay_alu instid0(VALU_DEP_2) | instskip(NEXT) | instid1(VALU_DEP_2)
	v_readfirstlane_b32 s7, v4
	v_readfirstlane_b32 s18, v3
	s_delay_alu instid0(VALU_DEP_2) | instskip(NEXT) | instid1(VALU_DEP_1)
	s_mul_i32 s50, s48, s7
	s_mul_hi_u32 s64, s48, s18
	s_mul_i32 s51, s49, s18
	s_add_i32 s50, s64, s50
	s_mul_i32 s65, s48, s18
	s_add_i32 s50, s50, s51
	s_mul_hi_u32 s64, s18, s65
	s_mul_hi_u32 s68, s7, s65
	s_mul_i32 s51, s7, s65
	s_mul_hi_u32 s65, s18, s50
	s_mul_i32 s18, s18, s50
	s_mul_hi_u32 s69, s7, s50
	s_add_u32 s18, s64, s18
	s_addc_u32 s64, 0, s65
	s_add_u32 s18, s18, s51
	s_mul_i32 s50, s7, s50
	s_addc_u32 s18, s64, s68
	s_addc_u32 s51, s69, 0
	s_add_u32 s18, s18, s50
	s_addc_u32 s50, 0, s51
	v_add_co_u32 v3, s18, v3, s18
	s_delay_alu instid0(VALU_DEP_1) | instskip(SKIP_1) | instid1(VALU_DEP_1)
	s_cmp_lg_u32 s18, 0
	s_addc_u32 s7, s7, s50
	v_readfirstlane_b32 s18, v3
	s_mul_i32 s50, s48, s7
	s_delay_alu instid0(VALU_DEP_1)
	s_mul_hi_u32 s51, s48, s18
	s_mul_i32 s49, s49, s18
	s_add_i32 s50, s51, s50
	s_mul_i32 s48, s48, s18
	s_add_i32 s50, s50, s49
	s_mul_hi_u32 s51, s7, s48
	s_mul_i32 s64, s7, s48
	s_mul_hi_u32 s48, s18, s48
	s_mul_hi_u32 s65, s18, s50
	s_mul_i32 s18, s18, s50
	s_mul_hi_u32 s49, s7, s50
	s_add_u32 s18, s48, s18
	s_addc_u32 s48, 0, s65
	s_add_u32 s18, s18, s64
	s_mul_i32 s50, s7, s50
	s_addc_u32 s18, s48, s51
	s_addc_u32 s48, s49, 0
	s_add_u32 s18, s18, s50
	s_addc_u32 s48, 0, s48
	v_add_co_u32 v3, s18, v3, s18
	s_delay_alu instid0(VALU_DEP_1) | instskip(SKIP_1) | instid1(VALU_DEP_1)
	s_cmp_lg_u32 s18, 0
	s_addc_u32 s7, s7, s48
	v_readfirstlane_b32 s18, v3
	s_mul_i32 s49, s26, s7
	s_mul_hi_u32 s48, s26, s7
	s_mul_hi_u32 s50, s19, s7
	s_mul_i32 s7, s19, s7
	s_mul_hi_u32 s51, s26, s18
	s_mul_hi_u32 s64, s19, s18
	s_mul_i32 s18, s19, s18
	s_add_u32 s49, s51, s49
	s_addc_u32 s48, 0, s48
	s_add_u32 s18, s49, s18
	s_addc_u32 s18, s48, s64
	s_addc_u32 s48, s50, 0
	s_add_u32 s7, s18, s7
	s_addc_u32 s18, 0, s48
	s_mul_hi_u32 s48, s35, s7
	s_mul_i32 s7, s35, s7
	s_mul_i32 s18, s35, s18
	v_sub_co_u32 v3, s7, s26, s7
	s_add_i32 s48, s48, s18
	s_cmp_lg_u32 s7, 0
	s_delay_alu instid0(VALU_DEP_1) | instskip(SKIP_3) | instid1(VALU_DEP_2)
	v_sub_co_u32 v4, s7, v3, s35
	s_subb_u32 s18, s19, s48
	s_cmp_lg_u32 s7, 0
	v_cmp_le_u32_e32 vcc_lo, s35, v3
	v_cmp_le_u32_e64 s7, s35, v4
	v_sub_co_u32 v5, s48, v4, s35
	s_subb_u32 s49, s18, 0
	s_cmp_lg_u32 s48, 0
	s_delay_alu instid0(VALU_DEP_2)
	v_cndmask_b32_e64 v6, 0, -1, s7
	s_subb_u32 s48, s49, 0
	s_cmp_eq_u32 s49, 0
	v_mov_b32_e32 v10, s48
	v_cndmask_b32_e64 v7, 0, -1, vcc_lo
	s_cselect_b32 vcc_lo, -1, 0
	s_cmp_eq_u32 s18, 0
	v_cndmask_b32_e32 v6, -1, v6, vcc_lo
	s_cselect_b32 vcc_lo, -1, 0
	v_cndmask_b32_e32 v7, -1, v7, vcc_lo
	s_delay_alu instid0(VALU_DEP_2) | instskip(NEXT) | instid1(VALU_DEP_2)
	v_cmp_ne_u32_e32 vcc_lo, 0, v6
	v_cmp_ne_u32_e64 s7, 0, v7
	v_cndmask_b32_e32 v6, s49, v10, vcc_lo
	v_cndmask_b32_e32 v5, v4, v5, vcc_lo
	s_delay_alu instid0(VALU_DEP_2) | instskip(NEXT) | instid1(VALU_DEP_2)
	v_cndmask_b32_e64 v4, s18, v6, s7
	v_cndmask_b32_e64 v3, v3, v5, s7
	s_cbranch_execnz .LBB162_387
.LBB162_386:                            ;   in Loop: Header=BB162_18 Depth=1
	v_cvt_f32_u32_e32 v3, s35
	s_sub_i32 s7, 0, s35
	s_delay_alu instid0(VALU_DEP_1) | instskip(SKIP_2) | instid1(VALU_DEP_1)
	v_rcp_iflag_f32_e32 v3, v3
	s_waitcnt_depctr 0xfff
	v_mul_f32_e32 v3, 0x4f7ffffe, v3
	v_cvt_u32_f32_e32 v3, v3
	s_delay_alu instid0(VALU_DEP_1) | instskip(NEXT) | instid1(VALU_DEP_1)
	v_mul_lo_u32 v4, s7, v3
	v_mul_hi_u32 v4, v3, v4
	s_delay_alu instid0(VALU_DEP_1) | instskip(NEXT) | instid1(VALU_DEP_1)
	v_add_nc_u32_e32 v3, v3, v4
	v_mul_hi_u32 v3, s26, v3
	s_delay_alu instid0(VALU_DEP_1) | instskip(NEXT) | instid1(VALU_DEP_1)
	v_mul_lo_u32 v3, v3, s35
	v_sub_nc_u32_e32 v3, s26, v3
	s_delay_alu instid0(VALU_DEP_1) | instskip(SKIP_1) | instid1(VALU_DEP_2)
	v_subrev_nc_u32_e32 v4, s35, v3
	v_cmp_le_u32_e32 vcc_lo, s35, v3
	v_cndmask_b32_e32 v3, v3, v4, vcc_lo
	s_delay_alu instid0(VALU_DEP_1) | instskip(SKIP_1) | instid1(VALU_DEP_2)
	v_subrev_nc_u32_e32 v4, s35, v3
	v_cmp_le_u32_e32 vcc_lo, s35, v3
	v_cndmask_b32_e32 v18, v3, v4, vcc_lo
	s_delay_alu instid0(VALU_DEP_1)
	v_dual_mov_b32 v3, v18 :: v_dual_mov_b32 v4, v19
.LBB162_387:                            ;   in Loop: Header=BB162_18 Depth=1
	s_delay_alu instid0(VALU_DEP_1) | instskip(NEXT) | instid1(VALU_DEP_2)
	v_sub_co_u32 v10, vcc_lo, s26, v3
	v_sub_co_ci_u32_e32 v11, vcc_lo, s19, v4, vcc_lo
	s_mov_b32 s26, 0
	s_mov_b32 s7, exec_lo
                                        ; implicit-def: $vgpr6_vgpr7
	s_delay_alu instid0(VALU_DEP_1)
	v_cmpx_gt_u64_e64 v[10:11], v[0:1]
	s_cbranch_execz .LBB162_399
; %bb.388:                              ;   in Loop: Header=BB162_18 Depth=1
	v_mov_b32_e32 v14, v37
	v_dual_mov_b32 v13, v1 :: v_dual_mov_b32 v12, v0
	s_mov_b32 s19, 0
                                        ; implicit-def: $sgpr18
	s_set_inst_prefetch_distance 0x1
	s_branch .LBB162_390
	.p2align	6
.LBB162_389:                            ;   in Loop: Header=BB162_390 Depth=2
	s_or_b32 exec_lo, exec_lo, s26
	s_waitcnt lgkmcnt(0)
	s_barrier
	buffer_gl0_inv
	ds_load_b128 v[4:7], v19 offset:3072
	v_add_co_u32 v12, vcc_lo, v12, s35
	v_add_co_ci_u32_e32 v13, vcc_lo, 0, v13, vcc_lo
	v_add_nc_u32_e32 v14, s94, v14
	s_waitcnt lgkmcnt(0)
	s_barrier
	s_delay_alu instid0(VALU_DEP_2) | instskip(SKIP_3) | instid1(VALU_DEP_1)
	v_cmp_ge_u64_e32 vcc_lo, v[12:13], v[10:11]
	buffer_gl0_inv
	v_readfirstlane_b32 s49, v5
	v_readfirstlane_b32 s48, v4
	s_cmp_lg_u64 s[48:49], 0
	s_cselect_b32 s26, -1, 0
	s_delay_alu instid0(SALU_CYCLE_1) | instskip(NEXT) | instid1(SALU_CYCLE_1)
	s_or_b32 s48, vcc_lo, s26
	s_and_b32 s48, exec_lo, s48
	s_delay_alu instid0(SALU_CYCLE_1) | instskip(SKIP_2) | instid1(SALU_CYCLE_1)
	s_or_b32 s19, s48, s19
	s_and_not1_b32 s18, s18, exec_lo
	s_and_b32 s26, s26, exec_lo
	s_or_b32 s18, s18, s26
	s_and_not1_b32 exec_lo, exec_lo, s19
	s_cbranch_execz .LBB162_398
.LBB162_390:                            ;   Parent Loop BB162_18 Depth=1
                                        ; =>  This Inner Loop Header: Depth=2
	s_delay_alu instid0(VALU_DEP_1)
	v_cmp_gt_u64_e32 vcc_lo, s[8:9], v[12:13]
	v_mov_b32_e32 v4, 0
	v_mov_b32_e32 v5, 0
	s_and_saveexec_b32 s26, vcc_lo
	s_cbranch_execz .LBB162_392
; %bb.391:                              ;   in Loop: Header=BB162_390 Depth=2
	ds_load_b64 v[4:5], v14
.LBB162_392:                            ;   in Loop: Header=BB162_390 Depth=2
	s_or_b32 exec_lo, exec_lo, s26
	s_and_saveexec_b32 s26, vcc_lo
	s_cbranch_execz .LBB162_389
; %bb.393:                              ;   in Loop: Header=BB162_390 Depth=2
	s_waitcnt lgkmcnt(0)
	v_xor_b32_e32 v3, 0x80000000, v5
	v_and_b32_e32 v6, v4, v22
	s_delay_alu instid0(VALU_DEP_2) | instskip(NEXT) | instid1(VALU_DEP_1)
	v_and_b32_e32 v7, v3, v23
	v_cmp_eq_u64_e32 vcc_lo, v[6:7], v[24:25]
	s_and_b32 exec_lo, exec_lo, vcc_lo
	s_cbranch_execz .LBB162_389
; %bb.394:                              ;   in Loop: Header=BB162_390 Depth=2
	v_mov_b32_e32 v3, v19
	ds_store_b128 v19, v[2:5] offset:3072
	s_branch .LBB162_389
.LBB162_395:                            ;   in Loop: Header=BB162_18 Depth=1
                                        ; implicit-def: $vgpr3_vgpr4
	s_branch .LBB162_340
.LBB162_396:                            ;   in Loop: Header=BB162_18 Depth=1
                                        ; implicit-def: $vgpr3_vgpr4
	s_branch .LBB162_356
.LBB162_397:                            ;   in Loop: Header=BB162_18 Depth=1
	s_mov_b32 s18, -1
	s_mov_b32 s26, 0
                                        ; implicit-def: $sgpr19
                                        ; implicit-def: $vgpr6_vgpr7
	s_mov_b32 s68, s18
	s_cbranch_execnz .LBB162_400
	s_branch .LBB162_413
.LBB162_398:                            ;   in Loop: Header=BB162_18 Depth=1
	s_set_inst_prefetch_distance 0x2
	s_or_b32 exec_lo, exec_lo, s19
	s_delay_alu instid0(SALU_CYCLE_1)
	s_and_b32 s26, s18, exec_lo
.LBB162_399:                            ;   in Loop: Header=BB162_18 Depth=1
	s_or_b32 exec_lo, exec_lo, s7
	s_mov_b32 s18, 0
	s_mov_b32 s19, -1
	s_mov_b32 s68, s18
	s_branch .LBB162_413
.LBB162_400:                            ;   in Loop: Header=BB162_18 Depth=1
	s_mov_b32 s26, s71
	s_delay_alu instid0(SALU_CYCLE_1)
	s_cmp_lg_u64 s[26:27], 0
	s_cbranch_scc0 .LBB162_433
; %bb.401:                              ;   in Loop: Header=BB162_18 Depth=1
	v_cvt_f32_u32_e32 v3, s35
	s_sub_u32 s9, 0, s35
	s_subb_u32 s18, 0, 0
	s_delay_alu instid0(VALU_DEP_1) | instskip(NEXT) | instid1(VALU_DEP_1)
	v_fmac_f32_e64 v3, 0, 0x4f800000
	v_rcp_f32_e32 v3, v3
	s_waitcnt_depctr 0xfff
	v_mul_f32_e32 v3, 0x5f7ffffc, v3
	s_delay_alu instid0(VALU_DEP_1) | instskip(NEXT) | instid1(VALU_DEP_1)
	v_mul_f32_e32 v4, 0x2f800000, v3
	v_trunc_f32_e32 v4, v4
	s_delay_alu instid0(VALU_DEP_1) | instskip(SKIP_1) | instid1(VALU_DEP_2)
	v_fmac_f32_e32 v3, 0xcf800000, v4
	v_cvt_u32_f32_e32 v4, v4
	v_cvt_u32_f32_e32 v3, v3
	s_delay_alu instid0(VALU_DEP_2) | instskip(NEXT) | instid1(VALU_DEP_2)
	v_readfirstlane_b32 s7, v4
	v_readfirstlane_b32 s8, v3
	s_delay_alu instid0(VALU_DEP_2) | instskip(NEXT) | instid1(VALU_DEP_1)
	s_mul_i32 s19, s9, s7
	s_mul_hi_u32 s48, s9, s8
	s_mul_i32 s26, s18, s8
	s_add_i32 s19, s48, s19
	s_mul_i32 s49, s9, s8
	s_add_i32 s19, s19, s26
	s_mul_hi_u32 s48, s8, s49
	s_mul_hi_u32 s50, s7, s49
	s_mul_i32 s26, s7, s49
	s_mul_hi_u32 s49, s8, s19
	s_mul_i32 s8, s8, s19
	s_mul_hi_u32 s51, s7, s19
	s_add_u32 s8, s48, s8
	s_addc_u32 s48, 0, s49
	s_add_u32 s8, s8, s26
	s_mul_i32 s19, s7, s19
	s_addc_u32 s8, s48, s50
	s_addc_u32 s26, s51, 0
	s_add_u32 s8, s8, s19
	s_addc_u32 s19, 0, s26
	v_add_co_u32 v3, s8, v3, s8
	s_delay_alu instid0(VALU_DEP_1) | instskip(SKIP_1) | instid1(VALU_DEP_1)
	s_cmp_lg_u32 s8, 0
	s_addc_u32 s7, s7, s19
	v_readfirstlane_b32 s8, v3
	s_mul_i32 s19, s9, s7
	s_delay_alu instid0(VALU_DEP_1)
	s_mul_hi_u32 s26, s9, s8
	s_mul_i32 s18, s18, s8
	s_add_i32 s19, s26, s19
	s_mul_i32 s9, s9, s8
	s_add_i32 s19, s19, s18
	s_mul_hi_u32 s26, s7, s9
	s_mul_i32 s48, s7, s9
	s_mul_hi_u32 s9, s8, s9
	s_mul_hi_u32 s49, s8, s19
	s_mul_i32 s8, s8, s19
	s_mul_hi_u32 s18, s7, s19
	s_add_u32 s8, s9, s8
	s_addc_u32 s9, 0, s49
	s_add_u32 s8, s8, s48
	s_mul_i32 s19, s7, s19
	s_addc_u32 s8, s9, s26
	s_addc_u32 s9, s18, 0
	s_add_u32 s8, s8, s19
	s_addc_u32 s9, 0, s9
	v_add_co_u32 v3, s8, v3, s8
	s_delay_alu instid0(VALU_DEP_1) | instskip(SKIP_1) | instid1(VALU_DEP_1)
	s_cmp_lg_u32 s8, 0
	s_addc_u32 s7, s7, s9
	v_readfirstlane_b32 s8, v3
	s_mul_i32 s18, s88, s7
	s_mul_hi_u32 s9, s88, s7
	s_mul_hi_u32 s19, s27, s7
	s_mul_i32 s7, s27, s7
	s_mul_hi_u32 s26, s88, s8
	s_mul_hi_u32 s48, s27, s8
	s_mul_i32 s8, s27, s8
	s_add_u32 s18, s26, s18
	s_addc_u32 s9, 0, s9
	s_add_u32 s8, s18, s8
	s_addc_u32 s8, s9, s48
	s_addc_u32 s9, s19, 0
	s_add_u32 s7, s8, s7
	s_addc_u32 s8, 0, s9
	s_mul_hi_u32 s9, s35, s7
	s_mul_i32 s7, s35, s7
	s_mul_i32 s8, s35, s8
	v_sub_co_u32 v3, s7, s88, s7
	s_add_i32 s9, s9, s8
	s_cmp_lg_u32 s7, 0
	s_delay_alu instid0(VALU_DEP_1) | instskip(SKIP_3) | instid1(VALU_DEP_2)
	v_sub_co_u32 v4, s7, v3, s35
	s_subb_u32 s8, s27, s9
	s_cmp_lg_u32 s7, 0
	v_cmp_le_u32_e32 vcc_lo, s35, v3
	v_cmp_le_u32_e64 s7, s35, v4
	v_sub_co_u32 v5, s9, v4, s35
	s_subb_u32 s18, s8, 0
	s_cmp_lg_u32 s9, 0
	s_delay_alu instid0(VALU_DEP_2)
	v_cndmask_b32_e64 v6, 0, -1, s7
	s_subb_u32 s9, s18, 0
	s_cmp_eq_u32 s18, 0
	v_mov_b32_e32 v10, s9
	v_cndmask_b32_e64 v7, 0, -1, vcc_lo
	s_cselect_b32 vcc_lo, -1, 0
	s_cmp_eq_u32 s8, 0
	v_cndmask_b32_e32 v6, -1, v6, vcc_lo
	s_cselect_b32 vcc_lo, -1, 0
	v_cndmask_b32_e32 v7, -1, v7, vcc_lo
	s_delay_alu instid0(VALU_DEP_2) | instskip(NEXT) | instid1(VALU_DEP_2)
	v_cmp_ne_u32_e32 vcc_lo, 0, v6
	v_cmp_ne_u32_e64 s7, 0, v7
	v_cndmask_b32_e32 v6, s18, v10, vcc_lo
	v_cndmask_b32_e32 v5, v4, v5, vcc_lo
	s_delay_alu instid0(VALU_DEP_2) | instskip(NEXT) | instid1(VALU_DEP_2)
	v_cndmask_b32_e64 v4, s8, v6, s7
	v_cndmask_b32_e64 v3, v3, v5, s7
	s_cbranch_execnz .LBB162_403
.LBB162_402:                            ;   in Loop: Header=BB162_18 Depth=1
	v_cvt_f32_u32_e32 v3, s35
	s_sub_i32 s7, 0, s35
	s_delay_alu instid0(VALU_DEP_1) | instskip(SKIP_2) | instid1(VALU_DEP_1)
	v_rcp_iflag_f32_e32 v3, v3
	s_waitcnt_depctr 0xfff
	v_mul_f32_e32 v3, 0x4f7ffffe, v3
	v_cvt_u32_f32_e32 v3, v3
	s_delay_alu instid0(VALU_DEP_1) | instskip(NEXT) | instid1(VALU_DEP_1)
	v_mul_lo_u32 v4, s7, v3
	v_mul_hi_u32 v4, v3, v4
	s_delay_alu instid0(VALU_DEP_1) | instskip(NEXT) | instid1(VALU_DEP_1)
	v_add_nc_u32_e32 v3, v3, v4
	v_mul_hi_u32 v3, s88, v3
	s_delay_alu instid0(VALU_DEP_1) | instskip(NEXT) | instid1(VALU_DEP_1)
	v_mul_lo_u32 v3, v3, s35
	v_sub_nc_u32_e32 v3, s88, v3
	s_delay_alu instid0(VALU_DEP_1) | instskip(SKIP_1) | instid1(VALU_DEP_2)
	v_subrev_nc_u32_e32 v4, s35, v3
	v_cmp_le_u32_e32 vcc_lo, s35, v3
	v_cndmask_b32_e32 v3, v3, v4, vcc_lo
	s_delay_alu instid0(VALU_DEP_1) | instskip(SKIP_1) | instid1(VALU_DEP_2)
	v_subrev_nc_u32_e32 v4, s35, v3
	v_cmp_le_u32_e32 vcc_lo, s35, v3
	v_cndmask_b32_e32 v18, v3, v4, vcc_lo
	s_delay_alu instid0(VALU_DEP_1)
	v_dual_mov_b32 v3, v18 :: v_dual_mov_b32 v4, v19
.LBB162_403:                            ;   in Loop: Header=BB162_18 Depth=1
	s_delay_alu instid0(VALU_DEP_1) | instskip(NEXT) | instid1(VALU_DEP_2)
	v_sub_co_u32 v10, vcc_lo, s88, v3
	v_sub_co_ci_u32_e32 v11, vcc_lo, s27, v4, vcc_lo
	s_mov_b32 s26, 0
	s_mov_b32 s8, exec_lo
                                        ; implicit-def: $vgpr6_vgpr7
	s_delay_alu instid0(VALU_DEP_1)
	v_cmpx_gt_u64_e64 v[10:11], v[0:1]
	s_cbranch_execz .LBB162_412
; %bb.404:                              ;   in Loop: Header=BB162_18 Depth=1
	v_dual_mov_b32 v13, v1 :: v_dual_mov_b32 v12, v0
	s_mov_b32 s18, 0
                                        ; implicit-def: $sgpr9
	s_branch .LBB162_406
.LBB162_405:                            ;   in Loop: Header=BB162_406 Depth=2
	s_or_b32 exec_lo, exec_lo, s7
	s_waitcnt vmcnt(0) lgkmcnt(0)
	s_barrier
	buffer_gl0_inv
	ds_load_b128 v[4:7], v19 offset:3072
	v_add_co_u32 v12, vcc_lo, v12, s35
	v_add_co_ci_u32_e32 v13, vcc_lo, 0, v13, vcc_lo
	s_waitcnt lgkmcnt(0)
	s_barrier
	buffer_gl0_inv
	v_cmp_ge_u64_e32 vcc_lo, v[12:13], v[10:11]
	v_readfirstlane_b32 s49, v5
	v_readfirstlane_b32 s48, v4
	s_delay_alu instid0(VALU_DEP_1) | instskip(SKIP_1) | instid1(SALU_CYCLE_1)
	s_cmp_lg_u64 s[48:49], 0
	s_cselect_b32 s7, -1, 0
	s_or_b32 s19, vcc_lo, s7
	s_delay_alu instid0(SALU_CYCLE_1) | instskip(NEXT) | instid1(SALU_CYCLE_1)
	s_and_b32 s19, exec_lo, s19
	s_or_b32 s18, s19, s18
	s_and_not1_b32 s9, s9, exec_lo
	s_and_b32 s7, s7, exec_lo
	s_delay_alu instid0(SALU_CYCLE_1)
	s_or_b32 s9, s9, s7
	s_and_not1_b32 exec_lo, exec_lo, s18
	s_cbranch_execz .LBB162_411
.LBB162_406:                            ;   Parent Loop BB162_18 Depth=1
                                        ; =>  This Inner Loop Header: Depth=2
	s_delay_alu instid0(VALU_DEP_1)
	v_cmp_gt_u64_e32 vcc_lo, s[36:37], v[12:13]
	v_mov_b32_e32 v4, 0
	v_mov_b32_e32 v5, 0
	s_and_saveexec_b32 s19, vcc_lo
	s_cbranch_execz .LBB162_408
; %bb.407:                              ;   in Loop: Header=BB162_406 Depth=2
	v_mul_lo_u32 v5, v13, s30
	v_mul_lo_u32 v6, v12, s31
	v_mad_u64_u32 v[3:4], null, v12, s30, 0
	s_delay_alu instid0(VALU_DEP_1) | instskip(NEXT) | instid1(VALU_DEP_1)
	v_add3_u32 v4, v4, v6, v5
	v_lshlrev_b64 v[3:4], 3, v[3:4]
	s_delay_alu instid0(VALU_DEP_1) | instskip(NEXT) | instid1(VALU_DEP_1)
	v_add_co_u32 v3, s7, s29, v3
	v_add_co_ci_u32_e64 v4, s7, s33, v4, s7
	global_load_b64 v[4:5], v[3:4], off
.LBB162_408:                            ;   in Loop: Header=BB162_406 Depth=2
	s_or_b32 exec_lo, exec_lo, s19
	s_and_saveexec_b32 s7, vcc_lo
	s_cbranch_execz .LBB162_405
; %bb.409:                              ;   in Loop: Header=BB162_406 Depth=2
	s_waitcnt vmcnt(0)
	v_xor_b32_e32 v3, 0x80000000, v5
	v_and_b32_e32 v6, v4, v22
	s_delay_alu instid0(VALU_DEP_2) | instskip(NEXT) | instid1(VALU_DEP_1)
	v_and_b32_e32 v7, v3, v23
	v_cmp_eq_u64_e32 vcc_lo, v[6:7], v[24:25]
	s_and_b32 exec_lo, exec_lo, vcc_lo
	s_cbranch_execz .LBB162_405
; %bb.410:                              ;   in Loop: Header=BB162_406 Depth=2
	v_mov_b32_e32 v3, v19
	ds_store_b128 v19, v[2:5] offset:3072
	s_branch .LBB162_405
.LBB162_411:                            ;   in Loop: Header=BB162_18 Depth=1
	s_or_b32 exec_lo, exec_lo, s18
	s_delay_alu instid0(SALU_CYCLE_1)
	s_and_b32 s26, s9, exec_lo
.LBB162_412:                            ;   in Loop: Header=BB162_18 Depth=1
	s_or_b32 exec_lo, exec_lo, s8
	s_mov_b32 s19, 0
	s_mov_b32 s18, -1
	s_mov_b32 s68, 0
.LBB162_413:                            ;   in Loop: Header=BB162_18 Depth=1
	s_or_not1_b32 s7, s26, exec_lo
.LBB162_414:                            ;   in Loop: Header=BB162_18 Depth=1
	s_or_b32 exec_lo, exec_lo, s59
	s_mov_b32 s26, 0
                                        ; implicit-def: $vgpr5
	s_and_saveexec_b32 s69, s7
	s_cbranch_execz .LBB162_479
; %bb.415:                              ;   in Loop: Header=BB162_18 Depth=1
	v_dual_mov_b32 v10, 1 :: v_dual_mov_b32 v5, 1
	v_mov_b32_e32 v11, 0
	s_xor_b32 s8, s58, -1
	s_delay_alu instid0(SALU_CYCLE_1)
	s_and_saveexec_b32 s7, s8
	s_cbranch_execz .LBB162_425
; %bb.416:                              ;   in Loop: Header=BB162_18 Depth=1
	s_mov_b32 s9, exec_lo
                                        ; implicit-def: $sgpr26
                                        ; implicit-def: $sgpr8
	v_cmpx_ge_u64_e64 s[16:17], v[8:9]
	s_xor_b32 s9, exec_lo, s9
	s_cbranch_execz .LBB162_422
; %bb.417:                              ;   in Loop: Header=BB162_18 Depth=1
	ds_load_b64 v[3:4], v19 offset:5120
	s_waitcnt lgkmcnt(0)
	v_cmp_ne_u64_e32 vcc_lo, 0, v[3:4]
	s_cbranch_vccnz .LBB162_421
; %bb.418:                              ;   in Loop: Header=BB162_18 Depth=1
	s_and_saveexec_b32 s8, s5
	s_cbranch_execz .LBB162_420
; %bb.419:                              ;   in Loop: Header=BB162_18 Depth=1
	v_dual_mov_b32 v3, s16 :: v_dual_mov_b32 v4, s17
	ds_store_b64 v19, v[3:4] offset:5128
.LBB162_420:                            ;   in Loop: Header=BB162_18 Depth=1
	s_or_b32 exec_lo, exec_lo, s8
	s_waitcnt lgkmcnt(0)
	s_barrier
	buffer_gl0_inv
.LBB162_421:                            ;   in Loop: Header=BB162_18 Depth=1
	v_and_b32_e32 v3, s15, v25
	v_and_b32_e32 v4, s14, v24
	s_lshl_b64 s[48:49], 1, s24
	v_or_b32_e32 v23, s13, v23
	v_or_b32_e32 v22, s12, v22
	;; [unrolled: 1-line block ×4, first 2 shown]
	s_mov_b32 s8, 0
	s_mov_b32 s26, 5
.LBB162_422:                            ;   in Loop: Header=BB162_18 Depth=1
	s_or_saveexec_b32 s9, s9
	v_mov_b32_e32 v5, s26
	s_xor_b32 exec_lo, exec_lo, s9
; %bb.423:                              ;   in Loop: Header=BB162_18 Depth=1
	v_sub_co_u32 v8, vcc_lo, v8, s16
	v_subrev_co_ci_u32_e32 v9, vcc_lo, s17, v9, vcc_lo
	v_mov_b32_e32 v5, 0
	s_or_b32 s8, s8, exec_lo
; %bb.424:                              ;   in Loop: Header=BB162_18 Depth=1
	s_or_b32 exec_lo, exec_lo, s9
	s_delay_alu instid0(VALU_DEP_2)
	v_dual_mov_b32 v11, v9 :: v_dual_mov_b32 v10, v8
	s_and_b32 s26, s8, exec_lo
.LBB162_425:                            ;   in Loop: Header=BB162_18 Depth=1
	s_or_b32 exec_lo, exec_lo, s7
	s_mov_b32 s16, -1
                                        ; implicit-def: $sgpr7
                                        ; implicit-def: $sgpr8
                                        ; implicit-def: $sgpr9
	s_and_saveexec_b32 s24, s26
	s_cbranch_execz .LBB162_478
; %bb.426:                              ;   in Loop: Header=BB162_18 Depth=1
	v_cmp_eq_u64_e32 vcc_lo, 1, v[10:11]
	s_cmp_eq_u64 s[10:11], 1
	s_mov_b32 s17, -1
	s_cselect_b32 s7, -1, 0
                                        ; implicit-def: $sgpr8
                                        ; implicit-def: $sgpr9
	s_delay_alu instid0(SALU_CYCLE_1) | instskip(NEXT) | instid1(SALU_CYCLE_1)
	s_and_b32 s58, s7, vcc_lo
                                        ; implicit-def: $sgpr7
	s_and_saveexec_b32 s59, s58
	s_cbranch_execz .LBB162_465
; %bb.427:                              ;   in Loop: Header=BB162_18 Depth=1
	ds_load_b64 v[3:4], v19 offset:5120
	s_waitcnt lgkmcnt(0)
	s_barrier
	buffer_gl0_inv
	v_readfirstlane_b32 s8, v3
	v_readfirstlane_b32 s9, v4
	s_and_saveexec_b32 s7, s6
	s_cbranch_execz .LBB162_429
; %bb.428:                              ;   in Loop: Header=BB162_18 Depth=1
	v_mov_b32_e32 v18, v19
	ds_store_b64 v38, v[18:19]
.LBB162_429:                            ;   in Loop: Header=BB162_18 Depth=1
	s_or_b32 exec_lo, exec_lo, s7
	v_and_b32_e32 v25, s15, v25
	v_and_b32_e32 v24, s14, v24
	v_or_b32_e32 v23, s13, v23
	v_or_b32_e32 v22, s12, v22
	s_cmp_eq_u64 s[8:9], 0
	s_waitcnt lgkmcnt(0)
	s_barrier
	buffer_gl0_inv
	s_cbranch_scc1 .LBB162_434
; %bb.430:                              ;   in Loop: Header=BB162_18 Depth=1
	s_add_u32 s26, s86, s8
	s_addc_u32 s17, s87, s9
	s_mov_b32 s16, s71
	s_delay_alu instid0(SALU_CYCLE_1)
	s_cmp_lg_u64 s[16:17], 0
	s_cbranch_scc0 .LBB162_435
; %bb.431:                              ;   in Loop: Header=BB162_18 Depth=1
	v_cvt_f32_u32_e32 v3, s35
	s_sub_u32 s48, 0, s35
	s_subb_u32 s49, 0, 0
	s_delay_alu instid0(VALU_DEP_1) | instskip(NEXT) | instid1(VALU_DEP_1)
	v_fmac_f32_e64 v3, 0, 0x4f800000
	v_rcp_f32_e32 v3, v3
	s_waitcnt_depctr 0xfff
	v_mul_f32_e32 v3, 0x5f7ffffc, v3
	s_delay_alu instid0(VALU_DEP_1) | instskip(NEXT) | instid1(VALU_DEP_1)
	v_mul_f32_e32 v4, 0x2f800000, v3
	v_trunc_f32_e32 v4, v4
	s_delay_alu instid0(VALU_DEP_1) | instskip(SKIP_1) | instid1(VALU_DEP_2)
	v_fmac_f32_e32 v3, 0xcf800000, v4
	v_cvt_u32_f32_e32 v4, v4
	v_cvt_u32_f32_e32 v3, v3
	s_delay_alu instid0(VALU_DEP_2) | instskip(NEXT) | instid1(VALU_DEP_2)
	v_readfirstlane_b32 s7, v4
	v_readfirstlane_b32 s16, v3
	s_delay_alu instid0(VALU_DEP_2) | instskip(NEXT) | instid1(VALU_DEP_1)
	s_mul_i32 s50, s48, s7
	s_mul_hi_u32 s64, s48, s16
	s_mul_i32 s51, s49, s16
	s_add_i32 s50, s64, s50
	s_mul_i32 s65, s48, s16
	s_add_i32 s50, s50, s51
	s_mul_hi_u32 s64, s16, s65
	s_mul_hi_u32 s80, s7, s65
	s_mul_i32 s51, s7, s65
	s_mul_hi_u32 s65, s16, s50
	s_mul_i32 s16, s16, s50
	s_mul_hi_u32 s81, s7, s50
	s_add_u32 s16, s64, s16
	s_addc_u32 s64, 0, s65
	s_add_u32 s16, s16, s51
	s_mul_i32 s50, s7, s50
	s_addc_u32 s16, s64, s80
	s_addc_u32 s51, s81, 0
	s_add_u32 s16, s16, s50
	s_addc_u32 s50, 0, s51
	v_add_co_u32 v3, s16, v3, s16
	s_delay_alu instid0(VALU_DEP_1) | instskip(SKIP_1) | instid1(VALU_DEP_1)
	s_cmp_lg_u32 s16, 0
	s_addc_u32 s7, s7, s50
	v_readfirstlane_b32 s16, v3
	s_mul_i32 s50, s48, s7
	s_delay_alu instid0(VALU_DEP_1)
	s_mul_hi_u32 s51, s48, s16
	s_mul_i32 s49, s49, s16
	s_add_i32 s50, s51, s50
	s_mul_i32 s48, s48, s16
	s_add_i32 s50, s50, s49
	s_mul_hi_u32 s51, s7, s48
	s_mul_i32 s64, s7, s48
	s_mul_hi_u32 s48, s16, s48
	s_mul_hi_u32 s65, s16, s50
	s_mul_i32 s16, s16, s50
	s_mul_hi_u32 s49, s7, s50
	s_add_u32 s16, s48, s16
	s_addc_u32 s48, 0, s65
	s_add_u32 s16, s16, s64
	s_mul_i32 s50, s7, s50
	s_addc_u32 s16, s48, s51
	s_addc_u32 s48, s49, 0
	s_add_u32 s16, s16, s50
	s_addc_u32 s48, 0, s48
	v_add_co_u32 v3, s16, v3, s16
	s_delay_alu instid0(VALU_DEP_1) | instskip(SKIP_1) | instid1(VALU_DEP_1)
	s_cmp_lg_u32 s16, 0
	s_addc_u32 s7, s7, s48
	v_readfirstlane_b32 s16, v3
	s_mul_i32 s49, s26, s7
	s_mul_hi_u32 s48, s26, s7
	s_mul_hi_u32 s50, s17, s7
	s_mul_i32 s7, s17, s7
	s_mul_hi_u32 s51, s26, s16
	s_mul_hi_u32 s64, s17, s16
	s_mul_i32 s16, s17, s16
	s_add_u32 s49, s51, s49
	s_addc_u32 s48, 0, s48
	s_add_u32 s16, s49, s16
	s_addc_u32 s16, s48, s64
	s_addc_u32 s48, s50, 0
	s_add_u32 s7, s16, s7
	s_addc_u32 s16, 0, s48
	s_mul_hi_u32 s48, s35, s7
	s_mul_i32 s7, s35, s7
	s_mul_i32 s16, s35, s16
	v_sub_co_u32 v3, s7, s26, s7
	s_add_i32 s48, s48, s16
	s_cmp_lg_u32 s7, 0
	s_delay_alu instid0(VALU_DEP_1) | instskip(SKIP_3) | instid1(VALU_DEP_2)
	v_sub_co_u32 v4, s7, v3, s35
	s_subb_u32 s16, s17, s48
	s_cmp_lg_u32 s7, 0
	v_cmp_le_u32_e32 vcc_lo, s35, v3
	v_cmp_le_u32_e64 s7, s35, v4
	v_sub_co_u32 v5, s48, v4, s35
	s_subb_u32 s49, s16, 0
	s_cmp_lg_u32 s48, 0
	s_delay_alu instid0(VALU_DEP_2)
	v_cndmask_b32_e64 v6, 0, -1, s7
	s_subb_u32 s48, s49, 0
	s_cmp_eq_u32 s49, 0
	v_mov_b32_e32 v8, s48
	v_cndmask_b32_e64 v7, 0, -1, vcc_lo
	s_cselect_b32 vcc_lo, -1, 0
	s_cmp_eq_u32 s16, 0
	v_cndmask_b32_e32 v6, -1, v6, vcc_lo
	s_cselect_b32 vcc_lo, -1, 0
	v_cndmask_b32_e32 v7, -1, v7, vcc_lo
	s_delay_alu instid0(VALU_DEP_2) | instskip(NEXT) | instid1(VALU_DEP_2)
	v_cmp_ne_u32_e32 vcc_lo, 0, v6
	v_cmp_ne_u32_e64 s7, 0, v7
	v_cndmask_b32_e32 v6, s49, v8, vcc_lo
	v_cndmask_b32_e32 v5, v4, v5, vcc_lo
	s_delay_alu instid0(VALU_DEP_2) | instskip(NEXT) | instid1(VALU_DEP_2)
	v_cndmask_b32_e64 v4, s16, v6, s7
	v_cndmask_b32_e64 v3, v3, v5, s7
	s_mov_b32 s7, 0
	s_branch .LBB162_436
.LBB162_432:                            ;   in Loop: Header=BB162_18 Depth=1
                                        ; implicit-def: $vgpr3_vgpr4
	s_branch .LBB162_386
.LBB162_433:                            ;   in Loop: Header=BB162_18 Depth=1
                                        ; implicit-def: $vgpr3_vgpr4
	s_branch .LBB162_402
.LBB162_434:                            ;   in Loop: Header=BB162_18 Depth=1
	s_mov_b32 s7, -1
	s_mov_b32 s16, 0
                                        ; implicit-def: $sgpr8
                                        ; implicit-def: $vgpr6_vgpr7
	s_branch .LBB162_448
.LBB162_435:                            ;   in Loop: Header=BB162_18 Depth=1
	s_mov_b32 s7, -1
                                        ; implicit-def: $vgpr3_vgpr4
.LBB162_436:                            ;   in Loop: Header=BB162_18 Depth=1
	s_delay_alu instid0(SALU_CYCLE_1)
	s_and_not1_b32 vcc_lo, exec_lo, s7
	s_cbranch_vccnz .LBB162_438
; %bb.437:                              ;   in Loop: Header=BB162_18 Depth=1
	v_cvt_f32_u32_e32 v3, s35
	s_sub_i32 s7, 0, s35
	s_delay_alu instid0(VALU_DEP_1) | instskip(SKIP_2) | instid1(VALU_DEP_1)
	v_rcp_iflag_f32_e32 v3, v3
	s_waitcnt_depctr 0xfff
	v_mul_f32_e32 v3, 0x4f7ffffe, v3
	v_cvt_u32_f32_e32 v3, v3
	s_delay_alu instid0(VALU_DEP_1) | instskip(NEXT) | instid1(VALU_DEP_1)
	v_mul_lo_u32 v4, s7, v3
	v_mul_hi_u32 v4, v3, v4
	s_delay_alu instid0(VALU_DEP_1) | instskip(NEXT) | instid1(VALU_DEP_1)
	v_add_nc_u32_e32 v3, v3, v4
	v_mul_hi_u32 v3, s26, v3
	s_delay_alu instid0(VALU_DEP_1) | instskip(NEXT) | instid1(VALU_DEP_1)
	v_mul_lo_u32 v3, v3, s35
	v_sub_nc_u32_e32 v3, s26, v3
	s_delay_alu instid0(VALU_DEP_1) | instskip(SKIP_1) | instid1(VALU_DEP_2)
	v_subrev_nc_u32_e32 v4, s35, v3
	v_cmp_le_u32_e32 vcc_lo, s35, v3
	v_cndmask_b32_e32 v3, v3, v4, vcc_lo
	s_delay_alu instid0(VALU_DEP_1) | instskip(SKIP_1) | instid1(VALU_DEP_2)
	v_subrev_nc_u32_e32 v4, s35, v3
	v_cmp_le_u32_e32 vcc_lo, s35, v3
	v_cndmask_b32_e32 v18, v3, v4, vcc_lo
	s_delay_alu instid0(VALU_DEP_1)
	v_dual_mov_b32 v3, v18 :: v_dual_mov_b32 v4, v19
.LBB162_438:                            ;   in Loop: Header=BB162_18 Depth=1
	s_delay_alu instid0(VALU_DEP_1) | instskip(NEXT) | instid1(VALU_DEP_2)
	v_sub_co_u32 v8, vcc_lo, s26, v3
	v_sub_co_ci_u32_e32 v9, vcc_lo, s17, v4, vcc_lo
	s_mov_b32 s16, 0
	s_mov_b32 s7, exec_lo
                                        ; implicit-def: $vgpr6_vgpr7
	s_delay_alu instid0(VALU_DEP_1)
	v_cmpx_gt_u64_e64 v[8:9], v[0:1]
	s_cbranch_execz .LBB162_447
; %bb.439:                              ;   in Loop: Header=BB162_18 Depth=1
	v_mov_b32_e32 v14, v37
	v_dual_mov_b32 v13, v1 :: v_dual_mov_b32 v12, v0
	s_mov_b32 s17, 0
                                        ; implicit-def: $sgpr16
	s_set_inst_prefetch_distance 0x1
	s_branch .LBB162_441
	.p2align	6
.LBB162_440:                            ;   in Loop: Header=BB162_441 Depth=2
	s_or_b32 exec_lo, exec_lo, s26
	s_waitcnt lgkmcnt(0)
	s_barrier
	buffer_gl0_inv
	ds_load_b128 v[4:7], v19 offset:3072
	v_add_co_u32 v12, vcc_lo, v12, s35
	v_add_co_ci_u32_e32 v13, vcc_lo, 0, v13, vcc_lo
	v_add_nc_u32_e32 v14, s94, v14
	s_waitcnt lgkmcnt(0)
	s_barrier
	s_delay_alu instid0(VALU_DEP_2) | instskip(SKIP_3) | instid1(VALU_DEP_1)
	v_cmp_ge_u64_e32 vcc_lo, v[12:13], v[8:9]
	buffer_gl0_inv
	v_readfirstlane_b32 s49, v5
	v_readfirstlane_b32 s48, v4
	s_cmp_lg_u64 s[48:49], 0
	s_cselect_b32 s26, -1, 0
	s_delay_alu instid0(SALU_CYCLE_1) | instskip(NEXT) | instid1(SALU_CYCLE_1)
	s_or_b32 s48, vcc_lo, s26
	s_and_b32 s48, exec_lo, s48
	s_delay_alu instid0(SALU_CYCLE_1) | instskip(SKIP_2) | instid1(SALU_CYCLE_1)
	s_or_b32 s17, s48, s17
	s_and_not1_b32 s16, s16, exec_lo
	s_and_b32 s26, s26, exec_lo
	s_or_b32 s16, s16, s26
	s_and_not1_b32 exec_lo, exec_lo, s17
	s_cbranch_execz .LBB162_446
.LBB162_441:                            ;   Parent Loop BB162_18 Depth=1
                                        ; =>  This Inner Loop Header: Depth=2
	s_delay_alu instid0(VALU_DEP_1)
	v_cmp_gt_u64_e32 vcc_lo, s[8:9], v[12:13]
	v_mov_b32_e32 v4, 0
	v_mov_b32_e32 v5, 0
	s_and_saveexec_b32 s26, vcc_lo
	s_cbranch_execz .LBB162_443
; %bb.442:                              ;   in Loop: Header=BB162_441 Depth=2
	ds_load_b64 v[4:5], v14
.LBB162_443:                            ;   in Loop: Header=BB162_441 Depth=2
	s_or_b32 exec_lo, exec_lo, s26
	s_and_saveexec_b32 s26, vcc_lo
	s_cbranch_execz .LBB162_440
; %bb.444:                              ;   in Loop: Header=BB162_441 Depth=2
	s_waitcnt lgkmcnt(0)
	v_xor_b32_e32 v3, 0x80000000, v5
	v_and_b32_e32 v6, v4, v22
	s_delay_alu instid0(VALU_DEP_2) | instskip(NEXT) | instid1(VALU_DEP_1)
	v_and_b32_e32 v7, v3, v23
	v_cmp_eq_u64_e32 vcc_lo, v[6:7], v[24:25]
	s_and_b32 exec_lo, exec_lo, vcc_lo
	s_cbranch_execz .LBB162_440
; %bb.445:                              ;   in Loop: Header=BB162_441 Depth=2
	v_mov_b32_e32 v3, v19
	ds_store_b128 v19, v[2:5] offset:3072
	s_branch .LBB162_440
.LBB162_446:                            ;   in Loop: Header=BB162_18 Depth=1
	s_set_inst_prefetch_distance 0x2
	s_or_b32 exec_lo, exec_lo, s17
	s_delay_alu instid0(SALU_CYCLE_1)
	s_and_b32 s16, s16, exec_lo
.LBB162_447:                            ;   in Loop: Header=BB162_18 Depth=1
	s_or_b32 exec_lo, exec_lo, s7
	s_mov_b32 s7, 0
	s_mov_b32 s8, -1
.LBB162_448:                            ;   in Loop: Header=BB162_18 Depth=1
	s_and_b32 vcc_lo, exec_lo, s7
	s_mov_b32 s9, s7
	s_cbranch_vccz .LBB162_464
; %bb.449:                              ;   in Loop: Header=BB162_18 Depth=1
	s_mov_b32 s26, s71
	s_delay_alu instid0(SALU_CYCLE_1)
	s_cmp_lg_u64 s[26:27], 0
	s_cbranch_scc0 .LBB162_451
; %bb.450:                              ;   in Loop: Header=BB162_18 Depth=1
	v_cvt_f32_u32_e32 v3, s35
	s_sub_u32 s9, 0, s35
	s_subb_u32 s16, 0, 0
	s_delay_alu instid0(VALU_DEP_1) | instskip(NEXT) | instid1(VALU_DEP_1)
	v_fmac_f32_e64 v3, 0, 0x4f800000
	v_rcp_f32_e32 v3, v3
	s_waitcnt_depctr 0xfff
	v_mul_f32_e32 v3, 0x5f7ffffc, v3
	s_delay_alu instid0(VALU_DEP_1) | instskip(NEXT) | instid1(VALU_DEP_1)
	v_mul_f32_e32 v4, 0x2f800000, v3
	v_trunc_f32_e32 v4, v4
	s_delay_alu instid0(VALU_DEP_1) | instskip(SKIP_1) | instid1(VALU_DEP_2)
	v_fmac_f32_e32 v3, 0xcf800000, v4
	v_cvt_u32_f32_e32 v4, v4
	v_cvt_u32_f32_e32 v3, v3
	s_delay_alu instid0(VALU_DEP_2) | instskip(NEXT) | instid1(VALU_DEP_2)
	v_readfirstlane_b32 s7, v4
	v_readfirstlane_b32 s8, v3
	s_delay_alu instid0(VALU_DEP_2) | instskip(NEXT) | instid1(VALU_DEP_1)
	s_mul_i32 s17, s9, s7
	s_mul_hi_u32 s48, s9, s8
	s_mul_i32 s26, s16, s8
	s_add_i32 s17, s48, s17
	s_mul_i32 s49, s9, s8
	s_add_i32 s17, s17, s26
	s_mul_hi_u32 s48, s8, s49
	s_mul_hi_u32 s50, s7, s49
	s_mul_i32 s26, s7, s49
	s_mul_hi_u32 s49, s8, s17
	s_mul_i32 s8, s8, s17
	s_mul_hi_u32 s51, s7, s17
	s_add_u32 s8, s48, s8
	s_addc_u32 s48, 0, s49
	s_add_u32 s8, s8, s26
	s_mul_i32 s17, s7, s17
	s_addc_u32 s8, s48, s50
	s_addc_u32 s26, s51, 0
	s_add_u32 s8, s8, s17
	s_addc_u32 s17, 0, s26
	v_add_co_u32 v3, s8, v3, s8
	s_delay_alu instid0(VALU_DEP_1) | instskip(SKIP_1) | instid1(VALU_DEP_1)
	s_cmp_lg_u32 s8, 0
	s_addc_u32 s7, s7, s17
	v_readfirstlane_b32 s8, v3
	s_mul_i32 s17, s9, s7
	s_delay_alu instid0(VALU_DEP_1)
	s_mul_hi_u32 s26, s9, s8
	s_mul_i32 s16, s16, s8
	s_add_i32 s17, s26, s17
	s_mul_i32 s9, s9, s8
	s_add_i32 s17, s17, s16
	s_mul_hi_u32 s26, s7, s9
	s_mul_i32 s48, s7, s9
	s_mul_hi_u32 s9, s8, s9
	s_mul_hi_u32 s49, s8, s17
	s_mul_i32 s8, s8, s17
	s_mul_hi_u32 s16, s7, s17
	s_add_u32 s8, s9, s8
	s_addc_u32 s9, 0, s49
	s_add_u32 s8, s8, s48
	s_mul_i32 s17, s7, s17
	s_addc_u32 s8, s9, s26
	s_addc_u32 s9, s16, 0
	s_add_u32 s8, s8, s17
	s_addc_u32 s9, 0, s9
	v_add_co_u32 v3, s8, v3, s8
	s_delay_alu instid0(VALU_DEP_1) | instskip(SKIP_1) | instid1(VALU_DEP_1)
	s_cmp_lg_u32 s8, 0
	s_addc_u32 s7, s7, s9
	v_readfirstlane_b32 s8, v3
	s_mul_i32 s16, s88, s7
	s_mul_hi_u32 s9, s88, s7
	s_mul_hi_u32 s17, s27, s7
	s_mul_i32 s7, s27, s7
	s_mul_hi_u32 s26, s88, s8
	s_mul_hi_u32 s48, s27, s8
	s_mul_i32 s8, s27, s8
	s_add_u32 s16, s26, s16
	s_addc_u32 s9, 0, s9
	s_add_u32 s8, s16, s8
	s_addc_u32 s8, s9, s48
	s_addc_u32 s9, s17, 0
	s_add_u32 s7, s8, s7
	s_addc_u32 s8, 0, s9
	s_mul_hi_u32 s9, s35, s7
	s_mul_i32 s7, s35, s7
	s_mul_i32 s8, s35, s8
	v_sub_co_u32 v3, s7, s88, s7
	s_add_i32 s9, s9, s8
	s_cmp_lg_u32 s7, 0
	s_delay_alu instid0(VALU_DEP_1) | instskip(SKIP_3) | instid1(VALU_DEP_2)
	v_sub_co_u32 v4, s7, v3, s35
	s_subb_u32 s8, s27, s9
	s_cmp_lg_u32 s7, 0
	v_cmp_le_u32_e32 vcc_lo, s35, v3
	v_cmp_le_u32_e64 s7, s35, v4
	v_sub_co_u32 v5, s9, v4, s35
	s_subb_u32 s16, s8, 0
	s_cmp_lg_u32 s9, 0
	s_delay_alu instid0(VALU_DEP_2)
	v_cndmask_b32_e64 v6, 0, -1, s7
	s_subb_u32 s9, s16, 0
	s_cmp_eq_u32 s16, 0
	v_mov_b32_e32 v8, s9
	v_cndmask_b32_e64 v7, 0, -1, vcc_lo
	s_cselect_b32 vcc_lo, -1, 0
	s_cmp_eq_u32 s8, 0
	v_cndmask_b32_e32 v6, -1, v6, vcc_lo
	s_cselect_b32 vcc_lo, -1, 0
	v_cndmask_b32_e32 v7, -1, v7, vcc_lo
	s_delay_alu instid0(VALU_DEP_2) | instskip(NEXT) | instid1(VALU_DEP_2)
	v_cmp_ne_u32_e32 vcc_lo, 0, v6
	v_cmp_ne_u32_e64 s7, 0, v7
	v_cndmask_b32_e32 v6, s16, v8, vcc_lo
	v_cndmask_b32_e32 v5, v4, v5, vcc_lo
	s_delay_alu instid0(VALU_DEP_2) | instskip(NEXT) | instid1(VALU_DEP_2)
	v_cndmask_b32_e64 v4, s8, v6, s7
	v_cndmask_b32_e64 v3, v3, v5, s7
	s_mov_b32 s7, 0
	s_branch .LBB162_452
.LBB162_451:                            ;   in Loop: Header=BB162_18 Depth=1
	s_mov_b32 s7, -1
                                        ; implicit-def: $vgpr3_vgpr4
.LBB162_452:                            ;   in Loop: Header=BB162_18 Depth=1
	s_delay_alu instid0(SALU_CYCLE_1)
	s_and_not1_b32 vcc_lo, exec_lo, s7
	s_cbranch_vccnz .LBB162_454
; %bb.453:                              ;   in Loop: Header=BB162_18 Depth=1
	v_cvt_f32_u32_e32 v3, s35
	s_sub_i32 s7, 0, s35
	s_delay_alu instid0(VALU_DEP_1) | instskip(SKIP_2) | instid1(VALU_DEP_1)
	v_rcp_iflag_f32_e32 v3, v3
	s_waitcnt_depctr 0xfff
	v_mul_f32_e32 v3, 0x4f7ffffe, v3
	v_cvt_u32_f32_e32 v3, v3
	s_delay_alu instid0(VALU_DEP_1) | instskip(NEXT) | instid1(VALU_DEP_1)
	v_mul_lo_u32 v4, s7, v3
	v_mul_hi_u32 v4, v3, v4
	s_delay_alu instid0(VALU_DEP_1) | instskip(NEXT) | instid1(VALU_DEP_1)
	v_add_nc_u32_e32 v3, v3, v4
	v_mul_hi_u32 v3, s88, v3
	s_delay_alu instid0(VALU_DEP_1) | instskip(NEXT) | instid1(VALU_DEP_1)
	v_mul_lo_u32 v3, v3, s35
	v_sub_nc_u32_e32 v3, s88, v3
	s_delay_alu instid0(VALU_DEP_1) | instskip(SKIP_1) | instid1(VALU_DEP_2)
	v_subrev_nc_u32_e32 v4, s35, v3
	v_cmp_le_u32_e32 vcc_lo, s35, v3
	v_cndmask_b32_e32 v3, v3, v4, vcc_lo
	s_delay_alu instid0(VALU_DEP_1) | instskip(SKIP_1) | instid1(VALU_DEP_2)
	v_subrev_nc_u32_e32 v4, s35, v3
	v_cmp_le_u32_e32 vcc_lo, s35, v3
	v_cndmask_b32_e32 v18, v3, v4, vcc_lo
	s_delay_alu instid0(VALU_DEP_1)
	v_dual_mov_b32 v3, v18 :: v_dual_mov_b32 v4, v19
.LBB162_454:                            ;   in Loop: Header=BB162_18 Depth=1
	s_delay_alu instid0(VALU_DEP_1) | instskip(NEXT) | instid1(VALU_DEP_2)
	v_sub_co_u32 v8, vcc_lo, s88, v3
	v_sub_co_ci_u32_e32 v9, vcc_lo, s27, v4, vcc_lo
	s_mov_b32 s16, 0
	s_mov_b32 s8, exec_lo
                                        ; implicit-def: $vgpr6_vgpr7
	s_delay_alu instid0(VALU_DEP_1)
	v_cmpx_gt_u64_e64 v[8:9], v[0:1]
	s_cbranch_execz .LBB162_463
; %bb.455:                              ;   in Loop: Header=BB162_18 Depth=1
	v_dual_mov_b32 v13, v1 :: v_dual_mov_b32 v12, v0
                                        ; implicit-def: $sgpr9
	s_branch .LBB162_457
.LBB162_456:                            ;   in Loop: Header=BB162_457 Depth=2
	s_or_b32 exec_lo, exec_lo, s7
	s_waitcnt vmcnt(0) lgkmcnt(0)
	s_barrier
	buffer_gl0_inv
	ds_load_b128 v[4:7], v19 offset:3072
	v_add_co_u32 v12, vcc_lo, v12, s35
	v_add_co_ci_u32_e32 v13, vcc_lo, 0, v13, vcc_lo
	s_waitcnt lgkmcnt(0)
	s_barrier
	buffer_gl0_inv
	v_cmp_ge_u64_e32 vcc_lo, v[12:13], v[8:9]
	v_readfirstlane_b32 s49, v5
	v_readfirstlane_b32 s48, v4
	s_delay_alu instid0(VALU_DEP_1) | instskip(SKIP_1) | instid1(SALU_CYCLE_1)
	s_cmp_lg_u64 s[48:49], 0
	s_cselect_b32 s7, -1, 0
	s_or_b32 s17, vcc_lo, s7
	s_delay_alu instid0(SALU_CYCLE_1) | instskip(NEXT) | instid1(SALU_CYCLE_1)
	s_and_b32 s17, exec_lo, s17
	s_or_b32 s16, s17, s16
	s_and_not1_b32 s9, s9, exec_lo
	s_and_b32 s7, s7, exec_lo
	s_delay_alu instid0(SALU_CYCLE_1)
	s_or_b32 s9, s9, s7
	s_and_not1_b32 exec_lo, exec_lo, s16
	s_cbranch_execz .LBB162_462
.LBB162_457:                            ;   Parent Loop BB162_18 Depth=1
                                        ; =>  This Inner Loop Header: Depth=2
	s_delay_alu instid0(VALU_DEP_1)
	v_cmp_gt_u64_e32 vcc_lo, s[36:37], v[12:13]
	v_mov_b32_e32 v4, 0
	v_mov_b32_e32 v5, 0
	s_and_saveexec_b32 s17, vcc_lo
	s_cbranch_execz .LBB162_459
; %bb.458:                              ;   in Loop: Header=BB162_457 Depth=2
	v_mul_lo_u32 v5, v13, s30
	v_mul_lo_u32 v6, v12, s31
	v_mad_u64_u32 v[3:4], null, v12, s30, 0
	s_delay_alu instid0(VALU_DEP_1) | instskip(NEXT) | instid1(VALU_DEP_1)
	v_add3_u32 v4, v4, v6, v5
	v_lshlrev_b64 v[3:4], 3, v[3:4]
	s_delay_alu instid0(VALU_DEP_1) | instskip(NEXT) | instid1(VALU_DEP_1)
	v_add_co_u32 v3, s7, s29, v3
	v_add_co_ci_u32_e64 v4, s7, s33, v4, s7
	global_load_b64 v[4:5], v[3:4], off
.LBB162_459:                            ;   in Loop: Header=BB162_457 Depth=2
	s_or_b32 exec_lo, exec_lo, s17
	s_and_saveexec_b32 s7, vcc_lo
	s_cbranch_execz .LBB162_456
; %bb.460:                              ;   in Loop: Header=BB162_457 Depth=2
	s_waitcnt vmcnt(0)
	v_xor_b32_e32 v3, 0x80000000, v5
	v_and_b32_e32 v6, v4, v22
	s_delay_alu instid0(VALU_DEP_2) | instskip(NEXT) | instid1(VALU_DEP_1)
	v_and_b32_e32 v7, v3, v23
	v_cmp_eq_u64_e32 vcc_lo, v[6:7], v[24:25]
	s_and_b32 exec_lo, exec_lo, vcc_lo
	s_cbranch_execz .LBB162_456
; %bb.461:                              ;   in Loop: Header=BB162_457 Depth=2
	v_mov_b32_e32 v3, v19
	ds_store_b128 v19, v[2:5] offset:3072
	s_branch .LBB162_456
.LBB162_462:                            ;   in Loop: Header=BB162_18 Depth=1
	s_or_b32 exec_lo, exec_lo, s16
	s_delay_alu instid0(SALU_CYCLE_1)
	s_and_b32 s16, s9, exec_lo
.LBB162_463:                            ;   in Loop: Header=BB162_18 Depth=1
	s_or_b32 exec_lo, exec_lo, s8
	s_mov_b32 s8, 0
	s_mov_b32 s7, -1
	s_mov_b32 s9, 0
.LBB162_464:                            ;   in Loop: Header=BB162_18 Depth=1
	s_or_not1_b32 s17, s16, exec_lo
.LBB162_465:                            ;   in Loop: Header=BB162_18 Depth=1
	s_or_b32 exec_lo, exec_lo, s59
	s_mov_b32 s26, 0
                                        ; implicit-def: $vgpr5
                                        ; implicit-def: $vgpr3_vgpr4
	s_and_saveexec_b32 s16, s17
	s_cbranch_execz .LBB162_477
; %bb.466:                              ;   in Loop: Header=BB162_18 Depth=1
	v_mov_b32_e32 v3, 1
	v_dual_mov_b32 v4, 0 :: v_dual_mov_b32 v5, 1
	s_xor_b32 s26, s58, -1
	s_delay_alu instid0(SALU_CYCLE_1)
	s_and_saveexec_b32 s17, s26
	s_cbranch_execz .LBB162_476
; %bb.467:                              ;   in Loop: Header=BB162_18 Depth=1
	s_mov_b32 s26, exec_lo
                                        ; implicit-def: $sgpr58
	v_cmpx_ge_u64_e64 s[10:11], v[10:11]
	s_xor_b32 s26, exec_lo, s26
	s_cbranch_execz .LBB162_473
; %bb.468:                              ;   in Loop: Header=BB162_18 Depth=1
	ds_load_b64 v[3:4], v19 offset:5120
	s_waitcnt lgkmcnt(0)
	v_cmp_ne_u64_e32 vcc_lo, 0, v[3:4]
	s_cbranch_vccnz .LBB162_472
; %bb.469:                              ;   in Loop: Header=BB162_18 Depth=1
	s_and_saveexec_b32 s48, s5
	s_cbranch_execz .LBB162_471
; %bb.470:                              ;   in Loop: Header=BB162_18 Depth=1
	v_dual_mov_b32 v3, s10 :: v_dual_mov_b32 v4, s11
	ds_store_b64 v19, v[3:4] offset:5128
.LBB162_471:                            ;   in Loop: Header=BB162_18 Depth=1
	s_or_b32 exec_lo, exec_lo, s48
	s_waitcnt lgkmcnt(0)
	s_barrier
	buffer_gl0_inv
.LBB162_472:                            ;   in Loop: Header=BB162_18 Depth=1
	v_and_b32_e32 v25, s15, v25
	v_and_b32_e32 v24, s14, v24
	v_or_b32_e32 v23, s13, v23
	v_or_b32_e32 v22, s12, v22
	s_mov_b32 s58, 5
.LBB162_473:                            ;   in Loop: Header=BB162_18 Depth=1
	s_or_saveexec_b32 s12, s26
	v_mov_b32_e32 v5, s58
	s_xor_b32 exec_lo, exec_lo, s12
; %bb.474:                              ;   in Loop: Header=BB162_18 Depth=1
	v_sub_co_u32 v10, vcc_lo, v10, s10
	v_subrev_co_ci_u32_e32 v11, vcc_lo, s11, v11, vcc_lo
	v_mov_b32_e32 v5, 5
; %bb.475:                              ;   in Loop: Header=BB162_18 Depth=1
	s_or_b32 exec_lo, exec_lo, s12
	s_delay_alu instid0(VALU_DEP_2)
	v_dual_mov_b32 v3, v10 :: v_dual_mov_b32 v4, v11
.LBB162_476:                            ;   in Loop: Header=BB162_18 Depth=1
	s_or_b32 exec_lo, exec_lo, s17
	s_delay_alu instid0(SALU_CYCLE_1)
	s_mov_b32 s26, exec_lo
.LBB162_477:                            ;   in Loop: Header=BB162_18 Depth=1
	s_or_b32 exec_lo, exec_lo, s16
	s_delay_alu instid0(VALU_DEP_1)
	v_dual_mov_b32 v11, v4 :: v_dual_mov_b32 v10, v3
	s_or_not1_b32 s16, s26, exec_lo
.LBB162_478:                            ;   in Loop: Header=BB162_18 Depth=1
	s_or_b32 exec_lo, exec_lo, s24
	s_delay_alu instid0(SALU_CYCLE_1)
	s_and_not1_b32 s10, s18, exec_lo
	s_and_b32 s7, s7, exec_lo
	s_and_b32 s8, s8, exec_lo
	s_or_b32 s18, s10, s7
	s_and_not1_b32 s7, s19, exec_lo
	s_and_not1_b32 s10, s68, exec_lo
	s_and_b32 s9, s9, exec_lo
	v_dual_mov_b32 v8, v10 :: v_dual_mov_b32 v9, v11
	s_or_b32 s19, s7, s8
	s_or_b32 s68, s10, s9
	s_and_b32 s26, s16, exec_lo
.LBB162_479:                            ;   in Loop: Header=BB162_18 Depth=1
	s_or_b32 exec_lo, exec_lo, s69
	s_delay_alu instid0(SALU_CYCLE_1)
	s_and_b32 s18, s18, exec_lo
	s_and_b32 s9, s19, exec_lo
	s_and_b32 s8, s68, exec_lo
	s_or_not1_b32 s7, s26, exec_lo
.LBB162_480:                            ;   in Loop: Header=BB162_18 Depth=1
	s_or_b32 exec_lo, exec_lo, s79
	s_delay_alu instid0(SALU_CYCLE_1)
	s_and_not1_b32 s10, s20, exec_lo
	s_and_b32 s11, s18, exec_lo
	s_and_b32 s9, s9, exec_lo
	s_or_b32 s20, s10, s11
	s_and_not1_b32 s10, s21, exec_lo
	s_and_not1_b32 s11, s77, exec_lo
	s_and_b32 s8, s8, exec_lo
	v_dual_mov_b32 v29, v9 :: v_dual_mov_b32 v28, v8
	s_or_b32 s21, s10, s9
	s_or_b32 s77, s11, s8
	s_and_b32 s26, s7, exec_lo
.LBB162_481:                            ;   in Loop: Header=BB162_18 Depth=1
	s_or_b32 exec_lo, exec_lo, s78
	s_delay_alu instid0(SALU_CYCLE_1)
	s_and_b32 s20, s20, exec_lo
	s_and_b32 s9, s21, exec_lo
	;; [unrolled: 1-line block ×3, first 2 shown]
	s_or_not1_b32 s21, s26, exec_lo
.LBB162_482:                            ;   in Loop: Header=BB162_18 Depth=1
	s_or_b32 exec_lo, exec_lo, s76
	s_mov_b32 s7, s74
	s_mov_b32 s10, s70
	s_and_saveexec_b32 s11, s21
; %bb.483:                              ;   in Loop: Header=BB162_18 Depth=1
	v_cmp_eq_u32_e32 vcc_lo, 5, v5
	v_cmp_ne_u32_e64 s7, 5, v5
	s_and_not1_b32 s10, s70, exec_lo
	s_and_not1_b32 s12, s74, exec_lo
	s_and_not1_b32 s20, s20, exec_lo
	s_and_b32 s13, vcc_lo, exec_lo
	s_and_b32 s7, s7, exec_lo
	s_and_not1_b32 s9, s9, exec_lo
	s_and_not1_b32 s8, s8, exec_lo
	s_or_b32 s10, s10, s7
	s_or_b32 s7, s12, s13
; %bb.484:                              ;   in Loop: Header=BB162_18 Depth=1
	s_or_b32 exec_lo, exec_lo, s11
	s_delay_alu instid0(SALU_CYCLE_1)
	s_and_not1_b32 s11, s22, exec_lo
	s_and_b32 s12, s20, exec_lo
	s_and_b32 s9, s9, exec_lo
	s_or_b32 s22, s11, s12
	s_and_not1_b32 s11, s23, exec_lo
	s_and_not1_b32 s12, s25, exec_lo
	s_and_b32 s8, s8, exec_lo
	v_dual_mov_b32 v12, v24 :: v_dual_mov_b32 v13, v25
	v_dual_mov_b32 v14, v22 :: v_dual_mov_b32 v15, v23
	;; [unrolled: 1-line block ×3, first 2 shown]
	s_or_b32 s23, s11, s9
	s_or_b32 s25, s12, s8
	s_and_not1_b32 s8, s70, exec_lo
	s_and_b32 s9, s10, exec_lo
	s_and_not1_b32 s10, s74, exec_lo
	s_and_b32 s7, s7, exec_lo
	s_or_b32 s70, s8, s9
	s_or_b32 s74, s10, s7
.LBB162_485:                            ;   in Loop: Header=BB162_18 Depth=1
	s_or_b32 exec_lo, exec_lo, s75
	s_mov_b32 s76, s25
	s_mov_b32 s75, s25
	s_and_saveexec_b32 s7, s74
.LBB162_486:                            ;   in Loop: Header=BB162_18 Depth=1
	v_mov_b32_e32 v5, 0
	s_and_not1_b32 s25, s25, exec_lo
	s_and_not1_b32 s22, s22, exec_lo
	;; [unrolled: 1-line block ×5, first 2 shown]
	s_or_b32 s70, s70, exec_lo
.LBB162_487:                            ;   in Loop: Header=BB162_18 Depth=1
	s_or_b32 exec_lo, exec_lo, s7
	s_delay_alu instid0(SALU_CYCLE_1)
	s_and_not1_b32 s7, s67, exec_lo
	s_and_b32 s9, s25, exec_lo
	s_and_not1_b32 s10, s104, exec_lo
	s_or_b32 s67, s7, s9
	s_and_not1_b32 s7, s66, exec_lo
	s_and_b32 s9, s22, exec_lo
	s_and_b32 s11, s23, exec_lo
	s_or_b32 s66, s7, s9
	s_or_b32 s104, s10, s11
	s_and_not1_b32 s7, vcc_hi, exec_lo
	s_and_b32 s9, s76, exec_lo
	s_and_not1_b32 s10, s103, exec_lo
	s_and_b32 s11, s75, exec_lo
	s_mov_b32 s8, -1
	s_or_b32 vcc_hi, s7, s9
	s_or_b32 s103, s10, s11
                                        ; implicit-def: $vgpr22_vgpr23
                                        ; implicit-def: $vgpr24_vgpr25
                                        ; implicit-def: $vgpr26_vgpr27
                                        ; implicit-def: $vgpr6_vgpr7
	s_and_saveexec_b32 s7, s70
	s_delay_alu instid0(SALU_CYCLE_1)
	s_xor_b32 s7, exec_lo, s7
	s_cbranch_execz .LBB162_17
; %bb.488:                              ;   in Loop: Header=BB162_18 Depth=1
	s_mov_b32 s9, -1
	s_mov_b32 s10, exec_lo
	v_cmpx_eq_u32_e32 0, v5
	s_cbranch_execz .LBB162_16
; %bb.489:                              ;   in Loop: Header=BB162_18 Depth=1
	s_xor_b32 s97, s97, 1
	s_add_i32 s11, s101, -2
	s_cmp_eq_u32 s101, 0
	s_mov_b32 s101, s11
	s_cselect_b32 s8, -1, 0
	s_xor_b32 s9, exec_lo, -1
	s_or_not1_b32 s8, s8, exec_lo
	s_branch .LBB162_16
.LBB162_490:
	s_or_b32 exec_lo, exec_lo, s95
	s_xor_b32 s7, s102, -1
	s_xor_b32 s9, s99, -1
	;; [unrolled: 1-line block ×5, first 2 shown]
	s_mov_b32 s8, 0
	s_and_saveexec_b32 s12, s11
	s_delay_alu instid0(SALU_CYCLE_1)
	s_xor_b32 s12, exec_lo, s12
	s_cbranch_execz .LBB162_547
; %bb.491:
	s_and_saveexec_b32 s11, s10
	s_delay_alu instid0(SALU_CYCLE_1)
	s_xor_b32 s13, exec_lo, s11
	s_cbranch_execz .LBB162_545
; %bb.492:
	s_and_saveexec_b32 s10, s9
	s_delay_alu instid0(SALU_CYCLE_1)
	s_xor_b32 s14, exec_lo, s10
	s_cbranch_execz .LBB162_543
; %bb.493:
	s_and_saveexec_b32 s9, s7
	s_delay_alu instid0(SALU_CYCLE_1)
	s_xor_b32 s15, exec_lo, s9
	s_cbranch_execz .LBB162_541
; %bb.494:
	s_and_saveexec_b32 s7, s6
	s_delay_alu instid0(SALU_CYCLE_1)
	s_xor_b32 s6, exec_lo, s7
; %bb.495:
	v_xor_b32_e32 v13, 0x80000000, v13
	s_delay_alu instid0(VALU_DEP_1)
	v_dual_mov_b32 v10, v12 :: v_dual_mov_b32 v11, v13
; %bb.496:
	s_or_b32 exec_lo, exec_lo, s6
	s_and_saveexec_b32 s6, s5
	s_cbranch_execz .LBB162_498
; %bb.497:
	v_mov_b32_e32 v2, 0
	s_delay_alu instid0(VALU_DEP_1)
	v_mov_b32_e32 v3, v2
	ds_store_b64 v2, v[2:3] offset:5136
.LBB162_498:
	s_or_b32 exec_lo, exec_lo, s6
	v_mov_b32_e32 v2, 0
	v_mov_b32_e32 v3, 0
	s_waitcnt lgkmcnt(0)
	s_barrier
	buffer_gl0_inv
	s_and_saveexec_b32 s5, s4
	s_cbranch_execz .LBB162_500
; %bb.499:
	global_load_b64 v[2:3], v[16:17], off
.LBB162_500:
	s_or_b32 exec_lo, exec_lo, s5
	s_clause 0x2
	s_load_b64 s[26:27], s[0:1], 0x450
	s_load_b128 s[48:51], s[0:1], 0x298
	s_load_b64 s[24:25], s[0:1], 0x2a8
	s_add_u32 s5, s36, 31
	s_addc_u32 s7, s37, 0
	s_and_b32 s6, s5, 0xffffffe0
	s_mul_i32 s5, s62, s47
	s_mul_hi_u32 s8, s62, s46
	s_mul_i32 s9, s62, s46
	s_add_i32 s8, s8, s5
	s_sub_u32 s16, s34, s9
	s_subb_u32 s8, 0, s8
	s_mul_i32 s18, s56, s42
	s_mul_i32 s20, s60, s44
	s_waitcnt lgkmcnt(0)
	s_mul_i32 s5, s16, s27
	s_mul_hi_u32 s9, s16, s26
	s_mul_i32 s8, s8, s26
	s_add_i32 s5, s9, s5
	s_mul_i32 s9, s28, s40
	s_add_i32 s17, s5, s8
	s_mul_i32 s5, s28, s41
	s_mul_hi_u32 s8, s28, s40
	s_mul_hi_u32 s11, s28, s48
	s_add_i32 s8, s8, s5
	s_sub_u32 s5, s56, s9
	s_subb_u32 s8, s57, s8
	s_mul_i32 s9, s5, s51
	s_mul_hi_u32 s10, s5, s50
	s_mul_i32 s8, s8, s50
	s_add_i32 s9, s10, s9
	s_mul_i32 s10, s28, s49
	s_add_i32 s9, s9, s8
	s_add_i32 s11, s11, s10
	s_mul_i32 s8, s56, s43
	s_mul_hi_u32 s10, s56, s42
	s_load_b128 s[40:43], s[0:1], 0x440
	s_add_i32 s10, s10, s8
	s_sub_u32 s18, s34, s18
	s_subb_u32 s10, 0, s10
	s_mul_i32 s8, s18, s25
	s_mul_hi_u32 s19, s18, s24
	s_mul_i32 s10, s10, s24
	s_mul_i32 s18, s18, s24
	s_load_b64 s[24:25], s[0:1], 0x1c8
	s_add_i32 s19, s19, s8
	s_mul_i32 s8, s5, s50
	s_add_i32 s19, s19, s10
	s_mul_i32 s5, s60, s45
	s_mul_hi_u32 s10, s60, s44
	s_mul_i32 s16, s16, s26
	s_add_i32 s5, s10, s5
	s_sub_u32 s20, s62, s20
	s_subb_u32 s5, s63, s5
	s_mul_i32 s10, s28, s48
	s_waitcnt lgkmcnt(0)
	s_mul_i32 s21, s20, s43
	s_mul_hi_u32 s22, s20, s42
	s_mul_i32 s5, s5, s42
	s_add_i32 s21, s22, s21
	s_mul_hi_u32 s22, s60, s40
	s_add_i32 s21, s21, s5
	s_mul_i32 s5, s60, s41
	s_lshl_b64 s[10:11], s[10:11], 3
	s_add_i32 s23, s22, s5
	s_add_u32 s5, s24, s10
	s_addc_u32 s10, s25, s11
	s_lshl_b64 s[8:9], s[8:9], 3
	s_mul_i32 s22, s60, s40
	s_add_u32 s5, s5, s8
	s_addc_u32 s24, s10, s9
	s_clause 0x1
	s_load_b64 s[8:9], s[0:1], 0x368
	s_load_b64 s[10:11], s[0:1], 0x510
	s_lshl_b64 s[18:19], s[18:19], 3
	s_mul_i32 s20, s20, s42
	s_add_u32 s1, s5, s18
	s_addc_u32 s5, s24, s19
	s_lshl_b64 s[18:19], s[22:23], 3
	v_readlane_b32 s22, v43, 0
	v_readlane_b32 s23, v43, 1
	s_delay_alu instid0(VALU_DEP_2) | instskip(NEXT) | instid1(VALU_DEP_1)
	s_add_u32 s0, s22, s18
	s_addc_u32 s22, s23, s19
	s_lshl_b64 s[18:19], s[20:21], 3
	s_mov_b32 s20, exec_lo
	s_add_u32 s0, s0, s18
	s_addc_u32 s18, s22, s19
	s_lshl_b64 s[16:17], s[16:17], 3
	s_mov_b32 s19, 0
	s_add_u32 s16, s0, s16
	s_addc_u32 s17, s18, s17
	s_mov_b32 s0, -1
	s_mov_b32 s18, 0
	v_cmpx_gt_u64_e64 s[6:7], v[0:1]
	s_cbranch_execz .LBB162_516
; %bb.501:
	v_xor_b32_e32 v5, 0x80000000, v11
	v_dual_mov_b32 v4, v10 :: v_dual_mov_b32 v7, 0
	v_dual_mov_b32 v19, v1 :: v_dual_mov_b32 v18, v0
                                        ; implicit-def: $sgpr21
                                        ; implicit-def: $vgpr12_vgpr13
	s_branch .LBB162_503
.LBB162_502:                            ;   in Loop: Header=BB162_503 Depth=1
	s_or_b32 exec_lo, exec_lo, s22
	s_xor_b32 s22, s24, -1
	s_and_b32 s0, exec_lo, s0
	v_dual_mov_b32 v2, v14 :: v_dual_mov_b32 v3, v15
	s_or_b32 s18, s0, s18
	v_dual_mov_b32 v19, v9 :: v_dual_mov_b32 v18, v8
	s_and_not1_b32 s0, s21, exec_lo
	s_and_b32 s21, s22, exec_lo
	s_delay_alu instid0(SALU_CYCLE_1)
	s_or_b32 s21, s0, s21
	s_and_not1_b32 exec_lo, exec_lo, s18
	s_cbranch_execz .LBB162_515
.LBB162_503:                            ; =>This Inner Loop Header: Depth=1
	s_delay_alu instid0(VALU_DEP_1) | instskip(SKIP_1) | instid1(VALU_DEP_3)
	v_add_co_u32 v8, vcc_lo, v18, s35
	v_mov_b32_e32 v14, 0
	v_add_co_ci_u32_e32 v9, vcc_lo, 0, v19, vcc_lo
	v_mov_b32_e32 v15, 0
	s_mov_b32 s0, exec_lo
	s_delay_alu instid0(VALU_DEP_2)
	v_cmpx_gt_u64_e64 s[36:37], v[8:9]
	s_cbranch_execz .LBB162_505
; %bb.504:                              ;   in Loop: Header=BB162_503 Depth=1
	v_mul_lo_u32 v6, v9, s30
	v_mul_lo_u32 v20, v8, s31
	v_mad_u64_u32 v[14:15], null, v8, s30, 0
	s_delay_alu instid0(VALU_DEP_1) | instskip(NEXT) | instid1(VALU_DEP_1)
	v_add3_u32 v15, v15, v20, v6
	v_lshlrev_b64 v[14:15], 3, v[14:15]
	s_delay_alu instid0(VALU_DEP_1) | instskip(NEXT) | instid1(VALU_DEP_2)
	v_add_co_u32 v14, vcc_lo, s29, v14
	v_add_co_ci_u32_e32 v15, vcc_lo, s33, v15, vcc_lo
	global_load_b64 v[14:15], v[14:15], off
.LBB162_505:                            ;   in Loop: Header=BB162_503 Depth=1
	s_or_b32 exec_lo, exec_lo, s0
	s_waitcnt vmcnt(0)
	v_xor_b32_e32 v21, 0x80000000, v3
	v_mov_b32_e32 v20, v2
	s_delay_alu instid0(VALU_DEP_1) | instskip(SKIP_4) | instid1(VALU_DEP_2)
	v_cmp_gt_u64_e32 vcc_lo, v[20:21], v[4:5]
	v_cndmask_b32_e64 v6, 0, 1, vcc_lo
	v_cmp_lt_u64_e32 vcc_lo, v[20:21], v[4:5]
	v_cndmask_b32_e64 v20, 0, 1, vcc_lo
	v_cmp_gt_u64_e32 vcc_lo, s[36:37], v[18:19]
	v_cndmask_b32_e64 v6, v20, v6, s3
	s_delay_alu instid0(VALU_DEP_1) | instskip(NEXT) | instid1(VALU_DEP_1)
	v_and_b32_e32 v6, 1, v6
	v_cmp_eq_u32_e64 s0, 1, v6
	s_delay_alu instid0(VALU_DEP_1) | instskip(NEXT) | instid1(SALU_CYCLE_1)
	s_and_b32 s23, vcc_lo, s0
	v_cndmask_b32_e64 v6, 0, 1, s23
	s_delay_alu instid0(VALU_DEP_1) | instskip(SKIP_2) | instid1(SALU_CYCLE_1)
	v_cmp_ne_u32_e32 vcc_lo, 0, v6
	s_cmp_lg_u32 vcc_lo, 0
	s_cselect_b32 s0, -1, 0
	s_and_b32 s0, s2, s0
	s_delay_alu instid0(SALU_CYCLE_1)
	s_and_saveexec_b32 s22, s0
	s_cbranch_execz .LBB162_509
; %bb.506:                              ;   in Loop: Header=BB162_503 Depth=1
	s_mov_b32 s26, exec_lo
	s_bcnt1_i32_b32 s24, vcc_lo
	v_mbcnt_lo_u32_b32 v20, s26, 0
	s_mov_b32 s25, exec_lo
                                        ; implicit-def: $vgpr12_vgpr13
	s_delay_alu instid0(VALU_DEP_1)
	v_cmpx_eq_u32_e32 0, v20
	s_cbranch_execz .LBB162_508
; %bb.507:                              ;   in Loop: Header=BB162_503 Depth=1
	s_bcnt1_i32_b32 s0, s26
	s_delay_alu instid0(SALU_CYCLE_1) | instskip(NEXT) | instid1(SALU_CYCLE_1)
	s_mul_i32 s0, s24, s0
	v_mov_b32_e32 v6, s0
	s_waitcnt lgkmcnt(0)
	ds_add_rtn_u64 v[12:13], v7, v[6:7] offset:5136
.LBB162_508:                            ;   in Loop: Header=BB162_503 Depth=1
	s_or_b32 exec_lo, exec_lo, s25
	s_waitcnt lgkmcnt(0)
	v_readfirstlane_b32 s27, v13
	v_readfirstlane_b32 s26, v12
	s_delay_alu instid0(VALU_DEP_1)
	v_mad_u64_u32 v[12:13], null, s24, v20, s[26:27]
.LBB162_509:                            ;   in Loop: Header=BB162_503 Depth=1
	s_or_b32 exec_lo, exec_lo, s22
	s_waitcnt lgkmcnt(0)
	ds_bpermute_b32 v12, v7, v12
	ds_bpermute_b32 v13, v7, v13
	s_mov_b32 s0, -1
	s_mov_b32 s25, -1
                                        ; implicit-def: $sgpr24
	s_and_saveexec_b32 s22, s23
	s_cbranch_execz .LBB162_513
; %bb.510:                              ;   in Loop: Header=BB162_503 Depth=1
	v_and_b32_e32 v6, vcc_lo, v34
	s_mov_b32 s23, 0
	s_mov_b32 s24, exec_lo
	s_delay_alu instid0(VALU_DEP_1) | instskip(SKIP_1) | instid1(VALU_DEP_1)
	v_bcnt_u32_b32 v6, v6, 0
	s_waitcnt lgkmcnt(0)
	v_add_co_u32 v20, vcc_lo, v12, v6
	v_add_co_ci_u32_e32 v21, vcc_lo, 0, v13, vcc_lo
	s_delay_alu instid0(VALU_DEP_1)
	v_cmpx_gt_u64_e64 s[38:39], v[20:21]
	s_cbranch_execz .LBB162_512
; %bb.511:                              ;   in Loop: Header=BB162_503 Depth=1
	v_mul_lo_u32 v6, v21, s8
	v_mul_lo_u32 v26, v20, s9
	v_mad_u64_u32 v[22:23], null, v20, s8, 0
	v_mul_lo_u32 v21, v21, s10
	v_mul_lo_u32 v27, v20, s11
	v_mad_u64_u32 v[24:25], null, v20, s10, 0
	s_mov_b32 s23, exec_lo
	s_delay_alu instid0(VALU_DEP_4) | instskip(NEXT) | instid1(VALU_DEP_2)
	v_add3_u32 v23, v23, v26, v6
	v_add3_u32 v25, v25, v27, v21
	s_delay_alu instid0(VALU_DEP_2) | instskip(NEXT) | instid1(VALU_DEP_2)
	v_lshlrev_b64 v[20:21], 3, v[22:23]
	v_lshlrev_b64 v[22:23], 3, v[24:25]
	s_delay_alu instid0(VALU_DEP_2) | instskip(NEXT) | instid1(VALU_DEP_3)
	v_add_co_u32 v20, vcc_lo, s1, v20
	v_add_co_ci_u32_e32 v21, vcc_lo, s5, v21, vcc_lo
	s_delay_alu instid0(VALU_DEP_3) | instskip(NEXT) | instid1(VALU_DEP_4)
	v_add_co_u32 v22, vcc_lo, s16, v22
	v_add_co_ci_u32_e32 v23, vcc_lo, s17, v23, vcc_lo
	global_store_b64 v[20:21], v[2:3], off
	global_store_b64 v[22:23], v[18:19], off
.LBB162_512:                            ;   in Loop: Header=BB162_503 Depth=1
	s_or_b32 exec_lo, exec_lo, s24
	s_mov_b32 s24, -1
	s_or_not1_b32 s25, s23, exec_lo
.LBB162_513:                            ;   in Loop: Header=BB162_503 Depth=1
	s_or_b32 exec_lo, exec_lo, s22
	s_and_saveexec_b32 s22, s25
	s_cbranch_execz .LBB162_502
; %bb.514:                              ;   in Loop: Header=BB162_503 Depth=1
	v_cmp_le_u64_e32 vcc_lo, s[6:7], v[8:9]
	s_and_not1_b32 s24, s24, exec_lo
	s_or_not1_b32 s0, vcc_lo, exec_lo
	s_branch .LBB162_502
.LBB162_515:
	s_or_b32 exec_lo, exec_lo, s18
	s_delay_alu instid0(SALU_CYCLE_1)
	s_mov_b32 s18, exec_lo
	s_or_not1_b32 s0, s21, exec_lo
.LBB162_516:
	s_or_b32 exec_lo, exec_lo, s20
	s_and_saveexec_b32 s3, s0
	s_cbranch_execz .LBB162_539
; %bb.517:
	v_mov_b32_e32 v8, 0
	v_mov_b32_e32 v9, 0
	s_waitcnt vmcnt(0) lgkmcnt(0)
	s_waitcnt_vscnt null, 0x0
	s_barrier
	buffer_gl0_inv
	s_and_saveexec_b32 s0, s4
	s_cbranch_execz .LBB162_519
; %bb.518:
	global_load_b64 v[8:9], v[16:17], off
.LBB162_519:
	s_or_b32 exec_lo, exec_lo, s0
	v_mov_b32_e32 v3, 0
	s_mov_b32 s19, 0
                                        ; implicit-def: $sgpr4
                                        ; implicit-def: $sgpr20
                                        ; implicit-def: $sgpr21
                                        ; implicit-def: $vgpr4_vgpr5
	s_branch .LBB162_522
.LBB162_520:                            ;   in Loop: Header=BB162_522 Depth=1
	s_or_b32 exec_lo, exec_lo, s24
	v_dual_mov_b32 v0, v6 :: v_dual_mov_b32 v1, v7
	s_and_not1_b32 s21, s21, exec_lo
	s_and_b32 s23, s26, exec_lo
	s_and_not1_b32 s20, s20, exec_lo
	s_and_b32 s0, s0, exec_lo
	s_or_b32 s21, s21, s23
	s_or_b32 s20, s20, s0
.LBB162_521:                            ;   in Loop: Header=BB162_522 Depth=1
	s_or_b32 exec_lo, exec_lo, s22
	s_xor_b32 s0, s21, -1
	s_and_b32 s22, exec_lo, s20
	s_delay_alu instid0(SALU_CYCLE_1) | instskip(SKIP_2) | instid1(SALU_CYCLE_1)
	s_or_b32 s19, s22, s19
	s_and_not1_b32 s4, s4, exec_lo
	s_and_b32 s0, s0, exec_lo
	s_or_b32 s4, s4, s0
	s_and_not1_b32 exec_lo, exec_lo, s19
	s_cbranch_execz .LBB162_537
.LBB162_522:                            ; =>This Inner Loop Header: Depth=1
	s_or_b32 s21, s21, exec_lo
	s_or_b32 s20, s20, exec_lo
	s_mov_b32 s22, exec_lo
	v_cmpx_gt_u64_e64 s[6:7], v[0:1]
	s_cbranch_execz .LBB162_521
; %bb.523:                              ;   in Loop: Header=BB162_522 Depth=1
	v_add_co_u32 v6, vcc_lo, v0, s35
	v_mov_b32_e32 v12, 0
	v_add_co_ci_u32_e32 v7, vcc_lo, 0, v1, vcc_lo
	v_mov_b32_e32 v13, 0
	s_mov_b32 s0, exec_lo
	s_delay_alu instid0(VALU_DEP_2)
	v_cmpx_gt_u64_e64 s[36:37], v[6:7]
	s_cbranch_execz .LBB162_525
; %bb.524:                              ;   in Loop: Header=BB162_522 Depth=1
	v_mul_lo_u32 v2, v7, s30
	v_mul_lo_u32 v14, v6, s31
	v_mad_u64_u32 v[12:13], null, v6, s30, 0
	s_delay_alu instid0(VALU_DEP_1) | instskip(NEXT) | instid1(VALU_DEP_1)
	v_add3_u32 v13, v13, v14, v2
	v_lshlrev_b64 v[12:13], 3, v[12:13]
	s_delay_alu instid0(VALU_DEP_1) | instskip(NEXT) | instid1(VALU_DEP_2)
	v_add_co_u32 v12, vcc_lo, s29, v12
	v_add_co_ci_u32_e32 v13, vcc_lo, s33, v13, vcc_lo
	global_load_b64 v[12:13], v[12:13], off
.LBB162_525:                            ;   in Loop: Header=BB162_522 Depth=1
	s_or_b32 exec_lo, exec_lo, s0
	v_cmp_gt_u64_e32 vcc_lo, s[36:37], v[0:1]
	s_waitcnt vmcnt(0)
	v_cmp_eq_u64_e64 s0, v[8:9], v[10:11]
	s_delay_alu instid0(VALU_DEP_1) | instskip(NEXT) | instid1(SALU_CYCLE_1)
	s_and_b32 s24, vcc_lo, s0
	v_cndmask_b32_e64 v2, 0, 1, s24
	s_delay_alu instid0(VALU_DEP_1) | instskip(SKIP_2) | instid1(SALU_CYCLE_1)
	v_cmp_ne_u32_e32 vcc_lo, 0, v2
	s_cmp_lg_u32 vcc_lo, 0
	s_cselect_b32 s0, -1, 0
	s_and_b32 s0, s2, s0
	s_delay_alu instid0(SALU_CYCLE_1)
	s_and_saveexec_b32 s23, s0
	s_cbranch_execz .LBB162_529
; %bb.526:                              ;   in Loop: Header=BB162_522 Depth=1
	s_mov_b32 s27, exec_lo
	s_bcnt1_i32_b32 s25, vcc_lo
	v_mbcnt_lo_u32_b32 v14, s27, 0
	s_mov_b32 s26, exec_lo
                                        ; implicit-def: $vgpr4_vgpr5
	s_delay_alu instid0(VALU_DEP_1)
	v_cmpx_eq_u32_e32 0, v14
	s_cbranch_execz .LBB162_528
; %bb.527:                              ;   in Loop: Header=BB162_522 Depth=1
	s_bcnt1_i32_b32 s0, s27
	s_delay_alu instid0(SALU_CYCLE_1) | instskip(NEXT) | instid1(SALU_CYCLE_1)
	s_mul_i32 s0, s25, s0
	v_mov_b32_e32 v2, s0
	ds_add_rtn_u64 v[4:5], v3, v[2:3] offset:5136
.LBB162_528:                            ;   in Loop: Header=BB162_522 Depth=1
	s_or_b32 exec_lo, exec_lo, s26
	s_waitcnt lgkmcnt(0)
	v_readfirstlane_b32 s27, v5
	v_readfirstlane_b32 s26, v4
	s_delay_alu instid0(VALU_DEP_1)
	v_mad_u64_u32 v[4:5], null, s25, v14, s[26:27]
.LBB162_529:                            ;   in Loop: Header=BB162_522 Depth=1
	s_or_b32 exec_lo, exec_lo, s23
	ds_bpermute_b32 v4, v3, v4
	ds_bpermute_b32 v5, v3, v5
	s_cmp_eq_u32 vcc_lo, 0
	s_mov_b32 s25, -1
	s_cselect_b32 s23, -1, 0
	s_mov_b32 s26, -1
	s_waitcnt lgkmcnt(0)
	v_cmp_gt_u64_e64 s0, s[38:39], v[4:5]
	s_delay_alu instid0(VALU_DEP_1) | instskip(SKIP_4) | instid1(SALU_CYCLE_1)
	s_or_b32 s23, s23, s0
	s_mov_b32 s0, -1
	v_cndmask_b32_e64 v9, v9, v13, s23
	v_cndmask_b32_e64 v8, v8, v12, s23
	s_and_b32 s27, s24, s23
	s_and_saveexec_b32 s24, s27
	s_cbranch_execz .LBB162_535
; %bb.530:                              ;   in Loop: Header=BB162_522 Depth=1
	v_and_b32_e32 v2, vcc_lo, v34
	v_sub_co_u32 v8, vcc_lo, s38, v4
	v_sub_co_ci_u32_e32 v9, vcc_lo, s39, v5, vcc_lo
	s_delay_alu instid0(VALU_DEP_3) | instskip(SKIP_2) | instid1(VALU_DEP_1)
	v_bcnt_u32_b32 v2, v2, 0
	s_mov_b32 s27, -1
	s_mov_b32 s26, exec_lo
	v_cmp_le_u64_e64 s25, v[8:9], v[2:3]
	v_cmpx_gt_u64_e64 v[8:9], v[2:3]
	s_cbranch_execz .LBB162_534
; %bb.531:                              ;   in Loop: Header=BB162_522 Depth=1
	v_add_co_u32 v8, vcc_lo, v4, v2
	v_add_co_ci_u32_e32 v9, vcc_lo, 0, v5, vcc_lo
	s_delay_alu instid0(VALU_DEP_4) | instskip(SKIP_1) | instid1(VALU_DEP_1)
	s_mov_b32 s28, s25
	s_mov_b32 s27, exec_lo
	v_cmpx_gt_u64_e64 s[38:39], v[8:9]
	s_cbranch_execz .LBB162_533
; %bb.532:                              ;   in Loop: Header=BB162_522 Depth=1
	v_mul_lo_u32 v2, v9, s8
	v_mul_lo_u32 v18, v8, s9
	v_mad_u64_u32 v[14:15], null, v8, s8, 0
	v_mul_lo_u32 v9, v9, s10
	v_mul_lo_u32 v19, v8, s11
	v_mad_u64_u32 v[16:17], null, v8, s10, 0
	s_or_b32 s28, s25, exec_lo
	s_delay_alu instid0(VALU_DEP_4) | instskip(NEXT) | instid1(VALU_DEP_2)
	v_add3_u32 v15, v15, v18, v2
	v_add3_u32 v17, v17, v19, v9
	s_delay_alu instid0(VALU_DEP_2) | instskip(NEXT) | instid1(VALU_DEP_2)
	v_lshlrev_b64 v[8:9], 3, v[14:15]
	v_lshlrev_b64 v[14:15], 3, v[16:17]
	s_delay_alu instid0(VALU_DEP_2) | instskip(NEXT) | instid1(VALU_DEP_3)
	v_add_co_u32 v8, vcc_lo, s1, v8
	v_add_co_ci_u32_e32 v9, vcc_lo, s5, v9, vcc_lo
	s_delay_alu instid0(VALU_DEP_3) | instskip(NEXT) | instid1(VALU_DEP_4)
	v_add_co_u32 v14, vcc_lo, s16, v14
	v_add_co_ci_u32_e32 v15, vcc_lo, s17, v15, vcc_lo
	global_store_b64 v[8:9], v[10:11], off
	global_store_b64 v[14:15], v[0:1], off
.LBB162_533:                            ;   in Loop: Header=BB162_522 Depth=1
	s_or_b32 exec_lo, exec_lo, s27
	s_delay_alu instid0(SALU_CYCLE_1)
	s_and_not1_b32 s25, s25, exec_lo
	s_and_b32 s28, s28, exec_lo
	s_xor_b32 s27, exec_lo, -1
	s_or_b32 s25, s25, s28
.LBB162_534:                            ;   in Loop: Header=BB162_522 Depth=1
	s_or_b32 exec_lo, exec_lo, s26
	v_dual_mov_b32 v8, v12 :: v_dual_mov_b32 v9, v13
	s_or_not1_b32 s26, s27, exec_lo
	s_or_b32 s23, s23, exec_lo
	s_or_not1_b32 s25, s25, exec_lo
.LBB162_535:                            ;   in Loop: Header=BB162_522 Depth=1
	s_or_b32 exec_lo, exec_lo, s24
	s_and_saveexec_b32 s24, s25
	s_cbranch_execz .LBB162_520
; %bb.536:                              ;   in Loop: Header=BB162_522 Depth=1
	s_xor_b32 s0, s23, -1
	s_or_b32 s26, s26, exec_lo
	s_or_not1_b32 s0, s0, exec_lo
	s_branch .LBB162_520
.LBB162_537:
	s_or_b32 exec_lo, exec_lo, s19
	s_mov_b32 s0, 0
	s_and_saveexec_b32 s1, s4
	s_delay_alu instid0(SALU_CYCLE_1)
	s_xor_b32 s1, exec_lo, s1
	s_cbranch_execnz .LBB162_569
.LBB162_538:
	s_or_b32 exec_lo, exec_lo, s1
	s_delay_alu instid0(SALU_CYCLE_1)
	s_and_b32 s19, s0, exec_lo
	s_and_not1_b32 s18, s18, exec_lo
.LBB162_539:
	s_or_b32 exec_lo, exec_lo, s3
	s_and_saveexec_b32 s0, s18
	s_delay_alu instid0(SALU_CYCLE_1)
	s_xor_b32 s0, exec_lo, s0
	s_cbranch_execnz .LBB162_565
.LBB162_540:
	s_or_b32 exec_lo, exec_lo, s0
	s_waitcnt lgkmcnt(0)
	s_and_b32 s8, s19, exec_lo
.LBB162_541:
	s_and_not1_saveexec_b32 s0, s15
	s_cbranch_execnz .LBB162_561
.LBB162_542:
	s_or_b32 exec_lo, exec_lo, s0
	s_delay_alu instid0(SALU_CYCLE_1)
	s_and_b32 s8, s8, exec_lo
.LBB162_543:
	s_and_not1_saveexec_b32 s0, s14
	s_cbranch_execnz .LBB162_557
.LBB162_544:
	s_or_b32 exec_lo, exec_lo, s0
	s_delay_alu instid0(SALU_CYCLE_1)
	s_and_b32 s8, s8, exec_lo
.LBB162_545:
	s_and_not1_saveexec_b32 s0, s13
	s_cbranch_execnz .LBB162_553
.LBB162_546:
	s_or_b32 exec_lo, exec_lo, s0
	s_delay_alu instid0(SALU_CYCLE_1)
	s_and_b32 s8, s8, exec_lo
.LBB162_547:
	s_and_not1_saveexec_b32 s0, s12
	s_cbranch_execnz .LBB162_551
; %bb.548:
	s_or_b32 exec_lo, exec_lo, s0
	s_and_saveexec_b32 s0, s8
.LBB162_549:
	; divergent unreachable
.LBB162_550:
	s_nop 0
	s_sendmsg sendmsg(MSG_DEALLOC_VGPRS)
	s_endpgm
.LBB162_551:
	s_cbranch_execnz .LBB162_555
; %bb.552:
	s_or_b32 s8, s8, exec_lo
	s_or_b32 exec_lo, exec_lo, s0
	s_and_saveexec_b32 s0, s8
	s_cbranch_execnz .LBB162_549
	s_branch .LBB162_550
.LBB162_553:
	s_cbranch_execnz .LBB162_559
; %bb.554:
	s_or_b32 s8, s8, exec_lo
	s_branch .LBB162_546
.LBB162_555:
	s_trap 2
	s_sendmsg_rtn_b32 s0, sendmsg(MSG_RTN_GET_DOORBELL)
	s_mov_b32 ttmp2, m0
	s_waitcnt lgkmcnt(0)
	s_and_b32 s0, s0, 0x3ff
	s_delay_alu instid0(SALU_CYCLE_1) | instskip(NEXT) | instid1(SALU_CYCLE_1)
	s_bitset1_b32 s0, 10
	s_mov_b32 m0, s0
	s_sendmsg sendmsg(MSG_INTERRUPT)
	s_mov_b32 m0, ttmp2
.LBB162_556:                            ; =>This Inner Loop Header: Depth=1
	s_sethalt 5
	s_branch .LBB162_556
.LBB162_557:
	s_cbranch_execnz .LBB162_563
; %bb.558:
	s_or_b32 s8, s8, exec_lo
	s_branch .LBB162_544
.LBB162_559:
	s_trap 2
	s_sendmsg_rtn_b32 s0, sendmsg(MSG_RTN_GET_DOORBELL)
	s_mov_b32 ttmp2, m0
	s_waitcnt lgkmcnt(0)
	s_and_b32 s0, s0, 0x3ff
	s_delay_alu instid0(SALU_CYCLE_1) | instskip(NEXT) | instid1(SALU_CYCLE_1)
	s_bitset1_b32 s0, 10
	s_mov_b32 m0, s0
	s_sendmsg sendmsg(MSG_INTERRUPT)
	s_mov_b32 m0, ttmp2
.LBB162_560:                            ; =>This Inner Loop Header: Depth=1
	s_sethalt 5
	s_branch .LBB162_560
.LBB162_561:
	s_cbranch_execnz .LBB162_567
; %bb.562:
	s_or_b32 s8, s8, exec_lo
	s_branch .LBB162_542
.LBB162_563:
	s_trap 2
	s_sendmsg_rtn_b32 s0, sendmsg(MSG_RTN_GET_DOORBELL)
	s_mov_b32 ttmp2, m0
	s_waitcnt lgkmcnt(0)
	s_and_b32 s0, s0, 0x3ff
	s_delay_alu instid0(SALU_CYCLE_1) | instskip(NEXT) | instid1(SALU_CYCLE_1)
	s_bitset1_b32 s0, 10
	s_mov_b32 m0, s0
	s_sendmsg sendmsg(MSG_INTERRUPT)
	s_mov_b32 m0, ttmp2
.LBB162_564:                            ; =>This Inner Loop Header: Depth=1
	s_sethalt 5
	s_branch .LBB162_564
.LBB162_565:
	s_cbranch_execnz .LBB162_571
; %bb.566:
	s_or_b32 s19, s19, exec_lo
	s_branch .LBB162_540
.LBB162_567:
	s_trap 2
	s_sendmsg_rtn_b32 s0, sendmsg(MSG_RTN_GET_DOORBELL)
	s_mov_b32 ttmp2, m0
	s_waitcnt lgkmcnt(0)
	s_and_b32 s0, s0, 0x3ff
	s_delay_alu instid0(SALU_CYCLE_1) | instskip(NEXT) | instid1(SALU_CYCLE_1)
	s_bitset1_b32 s0, 10
	s_mov_b32 m0, s0
	s_sendmsg sendmsg(MSG_INTERRUPT)
	s_mov_b32 m0, ttmp2
.LBB162_568:                            ; =>This Inner Loop Header: Depth=1
	s_sethalt 5
	s_branch .LBB162_568
.LBB162_569:
	s_cbranch_execnz .LBB162_573
; %bb.570:
	s_mov_b32 s0, exec_lo
	s_branch .LBB162_538
.LBB162_571:
	s_trap 2
	s_sendmsg_rtn_b32 s0, sendmsg(MSG_RTN_GET_DOORBELL)
	s_mov_b32 ttmp2, m0
	s_waitcnt lgkmcnt(0)
	s_and_b32 s0, s0, 0x3ff
	s_delay_alu instid0(SALU_CYCLE_1) | instskip(NEXT) | instid1(SALU_CYCLE_1)
	s_bitset1_b32 s0, 10
	s_mov_b32 m0, s0
	s_sendmsg sendmsg(MSG_INTERRUPT)
	s_mov_b32 m0, ttmp2
.LBB162_572:                            ; =>This Inner Loop Header: Depth=1
	s_sethalt 5
	s_branch .LBB162_572
.LBB162_573:
	s_trap 2
	s_sendmsg_rtn_b32 s0, sendmsg(MSG_RTN_GET_DOORBELL)
	s_mov_b32 ttmp2, m0
	s_waitcnt lgkmcnt(0)
	s_and_b32 s0, s0, 0x3ff
	s_delay_alu instid0(SALU_CYCLE_1) | instskip(NEXT) | instid1(SALU_CYCLE_1)
	s_bitset1_b32 s0, 10
	s_mov_b32 m0, s0
	s_sendmsg sendmsg(MSG_INTERRUPT)
	s_mov_b32 m0, ttmp2
.LBB162_574:                            ; =>This Inner Loop Header: Depth=1
	s_sethalt 5
	s_branch .LBB162_574
	.section	.rodata,"a",@progbits
	.p2align	6, 0x0
	.amdhsa_kernel _ZN2at6native6sbtopk10gatherTopKIlmLi3ELb0EEEvNS_4cuda6detail10TensorInfoIKT_T0_EES8_S8_bS8_S8_NS5_IS6_S8_EES8_NS5_IlS8_EES8_PS6_
		.amdhsa_group_segment_fixed_size 5152
		.amdhsa_private_segment_fixed_size 0
		.amdhsa_kernarg_size 1568
		.amdhsa_user_sgpr_count 13
		.amdhsa_user_sgpr_dispatch_ptr 0
		.amdhsa_user_sgpr_queue_ptr 0
		.amdhsa_user_sgpr_kernarg_segment_ptr 1
		.amdhsa_user_sgpr_dispatch_id 0
		.amdhsa_user_sgpr_private_segment_size 0
		.amdhsa_wavefront_size32 1
		.amdhsa_uses_dynamic_stack 0
		.amdhsa_enable_private_segment 0
		.amdhsa_system_sgpr_workgroup_id_x 1
		.amdhsa_system_sgpr_workgroup_id_y 1
		.amdhsa_system_sgpr_workgroup_id_z 1
		.amdhsa_system_sgpr_workgroup_info 0
		.amdhsa_system_vgpr_workitem_id 0
		.amdhsa_next_free_vgpr 44
		.amdhsa_next_free_sgpr 105
		.amdhsa_reserve_vcc 1
		.amdhsa_float_round_mode_32 0
		.amdhsa_float_round_mode_16_64 0
		.amdhsa_float_denorm_mode_32 3
		.amdhsa_float_denorm_mode_16_64 3
		.amdhsa_dx10_clamp 1
		.amdhsa_ieee_mode 1
		.amdhsa_fp16_overflow 0
		.amdhsa_workgroup_processor_mode 1
		.amdhsa_memory_ordered 1
		.amdhsa_forward_progress 0
		.amdhsa_shared_vgpr_count 0
		.amdhsa_exception_fp_ieee_invalid_op 0
		.amdhsa_exception_fp_denorm_src 0
		.amdhsa_exception_fp_ieee_div_zero 0
		.amdhsa_exception_fp_ieee_overflow 0
		.amdhsa_exception_fp_ieee_underflow 0
		.amdhsa_exception_fp_ieee_inexact 0
		.amdhsa_exception_int_div_zero 0
	.end_amdhsa_kernel
	.section	.text._ZN2at6native6sbtopk10gatherTopKIlmLi3ELb0EEEvNS_4cuda6detail10TensorInfoIKT_T0_EES8_S8_bS8_S8_NS5_IS6_S8_EES8_NS5_IlS8_EES8_PS6_,"axG",@progbits,_ZN2at6native6sbtopk10gatherTopKIlmLi3ELb0EEEvNS_4cuda6detail10TensorInfoIKT_T0_EES8_S8_bS8_S8_NS5_IS6_S8_EES8_NS5_IlS8_EES8_PS6_,comdat
.Lfunc_end162:
	.size	_ZN2at6native6sbtopk10gatherTopKIlmLi3ELb0EEEvNS_4cuda6detail10TensorInfoIKT_T0_EES8_S8_bS8_S8_NS5_IS6_S8_EES8_NS5_IlS8_EES8_PS6_, .Lfunc_end162-_ZN2at6native6sbtopk10gatherTopKIlmLi3ELb0EEEvNS_4cuda6detail10TensorInfoIKT_T0_EES8_S8_bS8_S8_NS5_IS6_S8_EES8_NS5_IlS8_EES8_PS6_
                                        ; -- End function
	.section	.AMDGPU.csdata,"",@progbits
; Kernel info:
; codeLenInByte = 30440
; NumSgprs: 107
; NumVgprs: 44
; ScratchSize: 0
; MemoryBound: 0
; FloatMode: 240
; IeeeMode: 1
; LDSByteSize: 5152 bytes/workgroup (compile time only)
; SGPRBlocks: 13
; VGPRBlocks: 5
; NumSGPRsForWavesPerEU: 107
; NumVGPRsForWavesPerEU: 44
; Occupancy: 16
; WaveLimiterHint : 1
; COMPUTE_PGM_RSRC2:SCRATCH_EN: 0
; COMPUTE_PGM_RSRC2:USER_SGPR: 13
; COMPUTE_PGM_RSRC2:TRAP_HANDLER: 0
; COMPUTE_PGM_RSRC2:TGID_X_EN: 1
; COMPUTE_PGM_RSRC2:TGID_Y_EN: 1
; COMPUTE_PGM_RSRC2:TGID_Z_EN: 1
; COMPUTE_PGM_RSRC2:TIDIG_COMP_CNT: 0
	.section	.text._ZN2at6native6mbtopk23computeBlockDigitCountsIlmmLin1EEEvNS_4cuda6detail10TensorInfoIKT_T0_EEjPjjS8_iijT1_PSB_Ps,"axG",@progbits,_ZN2at6native6mbtopk23computeBlockDigitCountsIlmmLin1EEEvNS_4cuda6detail10TensorInfoIKT_T0_EEjPjjS8_iijT1_PSB_Ps,comdat
	.protected	_ZN2at6native6mbtopk23computeBlockDigitCountsIlmmLin1EEEvNS_4cuda6detail10TensorInfoIKT_T0_EEjPjjS8_iijT1_PSB_Ps ; -- Begin function _ZN2at6native6mbtopk23computeBlockDigitCountsIlmmLin1EEEvNS_4cuda6detail10TensorInfoIKT_T0_EEjPjjS8_iijT1_PSB_Ps
	.globl	_ZN2at6native6mbtopk23computeBlockDigitCountsIlmmLin1EEEvNS_4cuda6detail10TensorInfoIKT_T0_EEjPjjS8_iijT1_PSB_Ps
	.p2align	8
	.type	_ZN2at6native6mbtopk23computeBlockDigitCountsIlmmLin1EEEvNS_4cuda6detail10TensorInfoIKT_T0_EEjPjjS8_iijT1_PSB_Ps,@function
_ZN2at6native6mbtopk23computeBlockDigitCountsIlmmLin1EEEvNS_4cuda6detail10TensorInfoIKT_T0_EEjPjjS8_iijT1_PSB_Ps: ; @_ZN2at6native6mbtopk23computeBlockDigitCountsIlmmLin1EEEvNS_4cuda6detail10TensorInfoIKT_T0_EEjPjjS8_iijT1_PSB_Ps
; %bb.0:
	s_clause 0x2
	s_load_b128 s[8:11], s[0:1], 0x1c0
	s_load_b32 s5, s[0:1], 0x1b0
	s_load_b64 s[2:3], s[0:1], 0x1e8
	s_waitcnt lgkmcnt(0)
	v_cvt_f32_u32_e32 v1, s10
	s_sub_i32 s6, 0, s10
	s_mul_i32 s3, s3, s15
	s_mov_b32 s15, 0
	s_add_i32 s3, s3, s14
	v_rcp_iflag_f32_e32 v1, v1
	s_mul_i32 s26, s3, s2
	s_delay_alu instid0(SALU_CYCLE_1) | instskip(SKIP_2) | instid1(VALU_DEP_1)
	s_add_i32 s26, s26, s13
	s_waitcnt_depctr 0xfff
	v_mul_f32_e32 v1, 0x4f7ffffe, v1
	v_cvt_u32_f32_e32 v1, v1
	s_delay_alu instid0(VALU_DEP_1) | instskip(NEXT) | instid1(VALU_DEP_1)
	v_readfirstlane_b32 s4, v1
	s_mul_i32 s6, s6, s4
	s_delay_alu instid0(SALU_CYCLE_1) | instskip(NEXT) | instid1(SALU_CYCLE_1)
	s_mul_hi_u32 s2, s4, s6
	s_add_i32 s4, s4, s2
	s_delay_alu instid0(SALU_CYCLE_1) | instskip(NEXT) | instid1(SALU_CYCLE_1)
	s_mul_hi_u32 s2, s26, s4
	s_mul_i32 s3, s2, s10
	s_add_i32 s4, s2, 1
	s_sub_i32 s3, s26, s3
	s_delay_alu instid0(SALU_CYCLE_1)
	s_sub_i32 s6, s3, s10
	s_cmp_ge_u32 s3, s10
	s_cselect_b32 s2, s4, s2
	s_cselect_b32 s3, s6, s3
	s_add_i32 s4, s2, 1
	s_cmp_ge_u32 s3, s10
	s_cselect_b32 s14, s4, s2
	s_delay_alu instid0(SALU_CYCLE_1)
	s_cmp_ge_u32 s14, s5
	s_cbranch_scc1 .LBB163_32
; %bb.1:
	s_clause 0x1
	s_load_b128 s[4:7], s[0:1], 0x1d0
	s_load_b32 s11, s[0:1], 0x198
	s_lshl_b64 s[2:3], s[14:15], 3
	s_mov_b64 s[20:21], s[14:15]
	s_mov_b64 s[12:13], 0
	s_waitcnt lgkmcnt(0)
	s_add_u32 s6, s6, s2
	s_addc_u32 s7, s7, s3
	s_load_b64 s[2:3], s[0:1], 0x1e0
	s_load_b64 s[6:7], s[6:7], 0x0
	s_cmp_lt_i32 s11, 2
	s_cbranch_scc1 .LBB163_9
; %bb.2:
	s_mov_b32 s16, 0
	s_add_i32 s12, s11, -1
	s_mov_b32 s13, s16
	s_add_i32 s11, s11, 1
	s_lshl_b64 s[12:13], s[12:13], 3
	s_delay_alu instid0(SALU_CYCLE_1)
	s_add_u32 s12, s12, s0
	s_addc_u32 s13, s13, s1
	s_add_u32 s18, s12, 8
	s_addc_u32 s19, s13, 0
	s_mov_b64 s[12:13], 0
.LBB163_3:                              ; =>This Inner Loop Header: Depth=1
	s_load_b64 s[22:23], s[18:19], 0x0
	s_mov_b32 s15, -1
	s_waitcnt lgkmcnt(0)
	s_or_b64 s[24:25], s[20:21], s[22:23]
	s_delay_alu instid0(SALU_CYCLE_1) | instskip(NEXT) | instid1(SALU_CYCLE_1)
	s_mov_b32 s17, s25
                                        ; implicit-def: $sgpr24_sgpr25
	s_cmp_lg_u64 s[16:17], 0
	s_cbranch_scc0 .LBB163_5
; %bb.4:                                ;   in Loop: Header=BB163_3 Depth=1
	v_cvt_f32_u32_e32 v1, s22
	v_cvt_f32_u32_e32 v2, s23
	s_sub_u32 s24, 0, s22
	s_subb_u32 s25, 0, s23
	s_waitcnt_depctr 0xfff
	v_fmac_f32_e32 v1, 0x4f800000, v2
	s_delay_alu instid0(VALU_DEP_1) | instskip(SKIP_2) | instid1(VALU_DEP_1)
	v_rcp_f32_e32 v1, v1
	s_waitcnt_depctr 0xfff
	v_mul_f32_e32 v1, 0x5f7ffffc, v1
	v_mul_f32_e32 v2, 0x2f800000, v1
	s_delay_alu instid0(VALU_DEP_1) | instskip(NEXT) | instid1(VALU_DEP_1)
	v_trunc_f32_e32 v2, v2
	v_fmac_f32_e32 v1, 0xcf800000, v2
	v_cvt_u32_f32_e32 v2, v2
	s_delay_alu instid0(VALU_DEP_2) | instskip(NEXT) | instid1(VALU_DEP_2)
	v_cvt_u32_f32_e32 v1, v1
	v_readfirstlane_b32 s15, v2
	s_delay_alu instid0(VALU_DEP_2) | instskip(NEXT) | instid1(VALU_DEP_2)
	v_readfirstlane_b32 s17, v1
	s_mul_i32 s27, s24, s15
	s_delay_alu instid0(VALU_DEP_1)
	s_mul_hi_u32 s29, s24, s17
	s_mul_i32 s28, s25, s17
	s_add_i32 s27, s29, s27
	s_mul_i32 s30, s24, s17
	s_add_i32 s27, s27, s28
	s_mul_hi_u32 s29, s17, s30
	s_mul_hi_u32 s31, s15, s30
	s_mul_i32 s28, s15, s30
	s_mul_hi_u32 s30, s17, s27
	s_mul_i32 s17, s17, s27
	s_mul_hi_u32 s33, s15, s27
	s_add_u32 s17, s29, s17
	s_addc_u32 s29, 0, s30
	s_add_u32 s17, s17, s28
	s_mul_i32 s27, s15, s27
	s_addc_u32 s17, s29, s31
	s_addc_u32 s28, s33, 0
	s_add_u32 s17, s17, s27
	s_addc_u32 s27, 0, s28
	v_add_co_u32 v1, s17, v1, s17
	s_delay_alu instid0(VALU_DEP_1) | instskip(SKIP_1) | instid1(VALU_DEP_1)
	s_cmp_lg_u32 s17, 0
	s_addc_u32 s15, s15, s27
	v_readfirstlane_b32 s17, v1
	s_mul_i32 s27, s24, s15
	s_delay_alu instid0(VALU_DEP_1)
	s_mul_hi_u32 s28, s24, s17
	s_mul_i32 s25, s25, s17
	s_add_i32 s27, s28, s27
	s_mul_i32 s24, s24, s17
	s_add_i32 s27, s27, s25
	s_mul_hi_u32 s28, s15, s24
	s_mul_i32 s29, s15, s24
	s_mul_hi_u32 s24, s17, s24
	s_mul_hi_u32 s30, s17, s27
	s_mul_i32 s17, s17, s27
	s_mul_hi_u32 s25, s15, s27
	s_add_u32 s17, s24, s17
	s_addc_u32 s24, 0, s30
	s_add_u32 s17, s17, s29
	s_mul_i32 s27, s15, s27
	s_addc_u32 s17, s24, s28
	s_addc_u32 s24, s25, 0
	s_add_u32 s17, s17, s27
	s_addc_u32 s24, 0, s24
	v_add_co_u32 v1, s17, v1, s17
	s_delay_alu instid0(VALU_DEP_1) | instskip(SKIP_1) | instid1(VALU_DEP_1)
	s_cmp_lg_u32 s17, 0
	s_addc_u32 s15, s15, s24
	v_readfirstlane_b32 s17, v1
	s_mul_i32 s25, s20, s15
	s_mul_hi_u32 s24, s20, s15
	s_mul_hi_u32 s27, s21, s15
	s_mul_i32 s15, s21, s15
	s_mul_hi_u32 s28, s20, s17
	s_mul_hi_u32 s29, s21, s17
	s_mul_i32 s17, s21, s17
	s_add_u32 s25, s28, s25
	s_addc_u32 s24, 0, s24
	s_add_u32 s17, s25, s17
	s_addc_u32 s17, s24, s29
	s_addc_u32 s24, s27, 0
	s_add_u32 s17, s17, s15
	s_addc_u32 s24, 0, s24
	s_mul_hi_u32 s15, s22, s17
	s_mul_i32 s27, s22, s24
	s_mul_i32 s28, s22, s17
	s_add_i32 s15, s15, s27
	v_sub_co_u32 v1, s27, s20, s28
	s_mul_i32 s25, s23, s17
	s_delay_alu instid0(SALU_CYCLE_1) | instskip(NEXT) | instid1(VALU_DEP_1)
	s_add_i32 s15, s15, s25
	v_sub_co_u32 v2, s28, v1, s22
	s_sub_i32 s25, s21, s15
	s_cmp_lg_u32 s27, 0
	s_subb_u32 s25, s25, s23
	s_cmp_lg_u32 s28, 0
	v_readfirstlane_b32 s28, v2
	s_subb_u32 s25, s25, 0
	s_delay_alu instid0(SALU_CYCLE_1) | instskip(SKIP_1) | instid1(VALU_DEP_1)
	s_cmp_ge_u32 s25, s23
	s_cselect_b32 s29, -1, 0
	s_cmp_ge_u32 s28, s22
	s_cselect_b32 s28, -1, 0
	s_cmp_eq_u32 s25, s23
	s_cselect_b32 s25, s28, s29
	s_add_u32 s28, s17, 1
	s_addc_u32 s29, s24, 0
	s_add_u32 s30, s17, 2
	s_addc_u32 s31, s24, 0
	s_cmp_lg_u32 s25, 0
	s_cselect_b32 s28, s30, s28
	s_cselect_b32 s25, s31, s29
	s_cmp_lg_u32 s27, 0
	v_readfirstlane_b32 s27, v1
	s_subb_u32 s15, s21, s15
	s_delay_alu instid0(SALU_CYCLE_1) | instskip(SKIP_1) | instid1(VALU_DEP_1)
	s_cmp_ge_u32 s15, s23
	s_cselect_b32 s29, -1, 0
	s_cmp_ge_u32 s27, s22
	s_cselect_b32 s27, -1, 0
	s_cmp_eq_u32 s15, s23
	s_cselect_b32 s15, s27, s29
	s_delay_alu instid0(SALU_CYCLE_1)
	s_cmp_lg_u32 s15, 0
	s_mov_b32 s15, 0
	s_cselect_b32 s25, s25, s24
	s_cselect_b32 s24, s28, s17
.LBB163_5:                              ;   in Loop: Header=BB163_3 Depth=1
	s_and_not1_b32 vcc_lo, exec_lo, s15
	s_cbranch_vccnz .LBB163_7
; %bb.6:                                ;   in Loop: Header=BB163_3 Depth=1
	v_cvt_f32_u32_e32 v1, s22
	s_sub_i32 s17, 0, s22
	s_waitcnt_depctr 0xfff
	v_rcp_iflag_f32_e32 v1, v1
	s_waitcnt_depctr 0xfff
	v_mul_f32_e32 v1, 0x4f7ffffe, v1
	s_delay_alu instid0(VALU_DEP_1) | instskip(NEXT) | instid1(VALU_DEP_1)
	v_cvt_u32_f32_e32 v1, v1
	v_readfirstlane_b32 s15, v1
	s_delay_alu instid0(VALU_DEP_1) | instskip(NEXT) | instid1(SALU_CYCLE_1)
	s_mul_i32 s17, s17, s15
	s_mul_hi_u32 s17, s15, s17
	s_delay_alu instid0(SALU_CYCLE_1) | instskip(NEXT) | instid1(SALU_CYCLE_1)
	s_add_i32 s15, s15, s17
	s_mul_hi_u32 s15, s20, s15
	s_delay_alu instid0(SALU_CYCLE_1) | instskip(SKIP_2) | instid1(SALU_CYCLE_1)
	s_mul_i32 s17, s15, s22
	s_add_i32 s24, s15, 1
	s_sub_i32 s17, s20, s17
	s_sub_i32 s25, s17, s22
	s_cmp_ge_u32 s17, s22
	s_cselect_b32 s15, s24, s15
	s_cselect_b32 s17, s25, s17
	s_add_i32 s24, s15, 1
	s_cmp_ge_u32 s17, s22
	s_mov_b32 s25, s16
	s_cselect_b32 s24, s24, s15
.LBB163_7:                              ;   in Loop: Header=BB163_3 Depth=1
	s_load_b64 s[28:29], s[18:19], 0xc8
	s_mul_i32 s15, s24, s23
	s_mul_hi_u32 s17, s24, s22
	s_mul_i32 s23, s25, s22
	s_add_i32 s15, s17, s15
	s_mul_i32 s17, s24, s22
	s_add_i32 s15, s15, s23
	s_sub_u32 s17, s20, s17
	s_subb_u32 s15, s21, s15
	s_waitcnt lgkmcnt(0)
	s_mul_i32 s15, s28, s15
	s_mul_hi_u32 s20, s28, s17
	s_mul_i32 s21, s29, s17
	s_add_i32 s15, s20, s15
	s_mul_i32 s17, s28, s17
	s_add_i32 s15, s15, s21
	s_add_u32 s12, s17, s12
	s_addc_u32 s13, s15, s13
	s_add_i32 s11, s11, -1
	s_add_u32 s18, s18, -8
	s_addc_u32 s19, s19, -1
	s_cmp_gt_u32 s11, 2
	s_cbranch_scc0 .LBB163_10
; %bb.8:                                ;   in Loop: Header=BB163_3 Depth=1
	s_mov_b64 s[20:21], s[24:25]
	s_branch .LBB163_3
.LBB163_9:
	s_mov_b64 s[24:25], s[20:21]
.LBB163_10:
	v_cmp_gt_u32_e32 vcc_lo, 0x100, v0
	v_lshlrev_b32_e32 v3, 2, v0
	s_and_saveexec_b32 s11, vcc_lo
	s_cbranch_execz .LBB163_12
; %bb.11:
	v_mov_b32_e32 v1, 0
	ds_store_b32 v3, v1
.LBB163_12:
	s_or_b32 exec_lo, exec_lo, s11
	s_load_b32 s15, s[0:1], 0x1a0
	s_mul_i32 s11, s14, s10
	s_waitcnt lgkmcnt(0)
	s_sub_i32 s11, s26, s11
	s_barrier
	s_mul_i32 s14, s9, s11
	s_add_i32 s11, s11, 1
	s_lshl_b32 s16, s14, 8
	buffer_gl0_inv
	s_sub_i32 s14, s15, s16
	s_delay_alu instid0(SALU_CYCLE_1) | instskip(SKIP_3) | instid1(VALU_DEP_1)
	s_add_u32 s14, s14, 0xff
	s_addc_u32 s17, 0, 0
	s_cmp_lt_u32 s11, s10
	v_alignbit_b32 v1, s17, s14, 8
	v_readfirstlane_b32 s14, v1
	s_delay_alu instid0(VALU_DEP_1)
	s_cselect_b32 s9, s9, s14
	s_mov_b32 s14, 0
	s_cmp_lt_i32 s9, 1
	s_cbranch_scc1 .LBB163_28
; %bb.13:
	s_clause 0x2
	s_load_b64 s[18:19], s[0:1], 0xd0
	s_load_b64 s[10:11], s[0:1], 0x1b8
	;; [unrolled: 1-line block ×3, first 2 shown]
	v_add_nc_u32_e32 v4, s16, v0
	s_waitcnt lgkmcnt(0)
	s_mul_i32 s17, s18, s25
	s_mul_hi_u32 s20, s18, s24
	s_mul_i32 s19, s19, s24
	s_add_i32 s17, s20, s17
	s_mul_i32 s18, s18, s24
	s_add_i32 s19, s17, s19
	s_delay_alu instid0(SALU_CYCLE_1) | instskip(NEXT) | instid1(SALU_CYCLE_1)
	s_lshl_b64 s[18:19], s[18:19], 3
	s_add_u32 s17, s0, s18
	s_addc_u32 s18, s1, s19
	s_lshl_b64 s[0:1], s[12:13], 3
	s_delay_alu instid0(SALU_CYCLE_1)
	s_add_u32 s12, s17, s0
	s_addc_u32 s13, s18, s1
	s_and_b32 s1, s8, 0xff
	s_cmp_eq_u32 s9, 1
	s_cbranch_scc1 .LBB163_23
; %bb.14:
	v_dual_mov_b32 v5, 1 :: v_dual_mov_b32 v6, v4
	s_and_b32 s8, s9, 0x7ffffffe
	s_branch .LBB163_16
.LBB163_15:                             ;   in Loop: Header=BB163_16 Depth=1
	s_or_b32 exec_lo, exec_lo, s16
	v_add_nc_u32_e32 v6, 0x200, v6
	s_add_i32 s14, s14, 2
	s_delay_alu instid0(SALU_CYCLE_1)
	s_cmp_eq_u32 s8, s14
	s_cbranch_scc1 .LBB163_22
.LBB163_16:                             ; =>This Inner Loop Header: Depth=1
	s_mov_b32 s16, exec_lo
	s_delay_alu instid0(VALU_DEP_1)
	v_cmpx_gt_u32_e64 s15, v6
	s_cbranch_execz .LBB163_19
; %bb.17:                               ;   in Loop: Header=BB163_16 Depth=1
	v_mad_u64_u32 v[1:2], null, v6, s10, 0
	s_delay_alu instid0(VALU_DEP_1) | instskip(NEXT) | instid1(VALU_DEP_1)
	v_mad_u64_u32 v[7:8], null, v6, s11, v[2:3]
	v_mov_b32_e32 v2, v7
	s_delay_alu instid0(VALU_DEP_1) | instskip(NEXT) | instid1(VALU_DEP_1)
	v_lshlrev_b64 v[1:2], 3, v[1:2]
	v_add_co_u32 v1, s0, s12, v1
	s_delay_alu instid0(VALU_DEP_1) | instskip(SKIP_4) | instid1(VALU_DEP_2)
	v_add_co_ci_u32_e64 v2, s0, s13, v2, s0
	global_load_b64 v[1:2], v[1:2], off
	s_waitcnt vmcnt(0)
	v_xor_b32_e32 v2, 0x80000000, v2
	v_xor_b32_e32 v9, s6, v1
	v_xor_b32_e32 v7, s7, v2
	s_delay_alu instid0(VALU_DEP_1) | instskip(NEXT) | instid1(VALU_DEP_3)
	v_and_b32_e32 v8, s5, v7
	v_and_b32_e32 v7, s4, v9
	s_delay_alu instid0(VALU_DEP_1) | instskip(NEXT) | instid1(VALU_DEP_1)
	v_cmp_eq_u64_e64 s0, 0, v[7:8]
	s_and_b32 exec_lo, exec_lo, s0
	s_cbranch_execz .LBB163_19
; %bb.18:                               ;   in Loop: Header=BB163_16 Depth=1
	v_lshrrev_b64 v[1:2], s1, v[1:2]
	s_delay_alu instid0(VALU_DEP_1) | instskip(NEXT) | instid1(VALU_DEP_1)
	v_and_b32_e32 v1, 0xff, v1
	v_lshlrev_b32_e32 v1, 2, v1
	ds_add_u32 v1, v5
.LBB163_19:                             ;   in Loop: Header=BB163_16 Depth=1
	s_or_b32 exec_lo, exec_lo, s16
	v_add_nc_u32_e32 v1, 0x100, v6
	s_mov_b32 s16, exec_lo
	s_delay_alu instid0(VALU_DEP_1)
	v_cmpx_gt_u32_e64 s15, v1
	s_cbranch_execz .LBB163_15
; %bb.20:                               ;   in Loop: Header=BB163_16 Depth=1
	v_mad_u64_u32 v[7:8], null, v1, s10, 0
	s_delay_alu instid0(VALU_DEP_1) | instskip(NEXT) | instid1(VALU_DEP_1)
	v_mov_b32_e32 v2, v8
	v_mad_u64_u32 v[8:9], null, v1, s11, v[2:3]
	s_delay_alu instid0(VALU_DEP_1) | instskip(NEXT) | instid1(VALU_DEP_1)
	v_lshlrev_b64 v[1:2], 3, v[7:8]
	v_add_co_u32 v1, s0, s12, v1
	s_delay_alu instid0(VALU_DEP_1) | instskip(SKIP_4) | instid1(VALU_DEP_2)
	v_add_co_ci_u32_e64 v2, s0, s13, v2, s0
	global_load_b64 v[1:2], v[1:2], off
	s_waitcnt vmcnt(0)
	v_xor_b32_e32 v2, 0x80000000, v2
	v_xor_b32_e32 v9, s6, v1
	;; [unrolled: 1-line block ×3, first 2 shown]
	s_delay_alu instid0(VALU_DEP_1) | instskip(NEXT) | instid1(VALU_DEP_3)
	v_and_b32_e32 v8, s5, v7
	v_and_b32_e32 v7, s4, v9
	s_delay_alu instid0(VALU_DEP_1) | instskip(NEXT) | instid1(VALU_DEP_1)
	v_cmp_eq_u64_e64 s0, 0, v[7:8]
	s_and_b32 exec_lo, exec_lo, s0
	s_cbranch_execz .LBB163_15
; %bb.21:                               ;   in Loop: Header=BB163_16 Depth=1
	v_lshrrev_b64 v[1:2], s1, v[1:2]
	s_delay_alu instid0(VALU_DEP_1) | instskip(NEXT) | instid1(VALU_DEP_1)
	v_and_b32_e32 v1, 0xff, v1
	v_lshlrev_b32_e32 v1, 2, v1
	ds_add_u32 v1, v5
	s_branch .LBB163_15
.LBB163_22:
	s_lshl_b32 s14, s8, 8
.LBB163_23:
	s_bitcmp0_b32 s9, 0
	s_cbranch_scc1 .LBB163_28
; %bb.24:
	v_add_nc_u32_e32 v1, s14, v4
	s_mov_b32 s8, exec_lo
	s_delay_alu instid0(VALU_DEP_1)
	v_cmpx_gt_u32_e64 s15, v1
	s_cbranch_execz .LBB163_27
; %bb.25:
	v_mad_u64_u32 v[4:5], null, v1, s10, 0
	s_delay_alu instid0(VALU_DEP_1) | instskip(NEXT) | instid1(VALU_DEP_1)
	v_mov_b32_e32 v2, v5
	v_mad_u64_u32 v[5:6], null, v1, s11, v[2:3]
	s_delay_alu instid0(VALU_DEP_1) | instskip(NEXT) | instid1(VALU_DEP_1)
	v_lshlrev_b64 v[1:2], 3, v[4:5]
	v_add_co_u32 v1, s0, s12, v1
	s_delay_alu instid0(VALU_DEP_1) | instskip(SKIP_4) | instid1(VALU_DEP_2)
	v_add_co_ci_u32_e64 v2, s0, s13, v2, s0
	global_load_b64 v[1:2], v[1:2], off
	s_waitcnt vmcnt(0)
	v_xor_b32_e32 v2, 0x80000000, v2
	v_xor_b32_e32 v6, s6, v1
	;; [unrolled: 1-line block ×3, first 2 shown]
	s_delay_alu instid0(VALU_DEP_1) | instskip(NEXT) | instid1(VALU_DEP_3)
	v_and_b32_e32 v5, s5, v4
	v_and_b32_e32 v4, s4, v6
	s_delay_alu instid0(VALU_DEP_1) | instskip(NEXT) | instid1(VALU_DEP_1)
	v_cmp_eq_u64_e64 s0, 0, v[4:5]
	s_and_b32 exec_lo, exec_lo, s0
	s_cbranch_execz .LBB163_27
; %bb.26:
	v_lshrrev_b64 v[1:2], s1, v[1:2]
	s_delay_alu instid0(VALU_DEP_1) | instskip(NEXT) | instid1(VALU_DEP_1)
	v_dual_mov_b32 v2, 1 :: v_dual_and_b32 v1, 0xff, v1
	v_lshlrev_b32_e32 v1, 2, v1
	ds_add_u32 v1, v2
.LBB163_27:
	s_or_b32 exec_lo, exec_lo, s8
.LBB163_28:
	v_mov_b32_e32 v1, 0
	s_waitcnt lgkmcnt(0)
	s_barrier
	buffer_gl0_inv
	s_and_saveexec_b32 s0, vcc_lo
	s_cbranch_execz .LBB163_30
; %bb.29:
	ds_load_b32 v1, v3
.LBB163_30:
	s_or_b32 exec_lo, exec_lo, s0
	s_and_saveexec_b32 s0, vcc_lo
	s_cbranch_execz .LBB163_32
; %bb.31:
	v_lshl_or_b32 v2, s26, 8, v0
	v_mov_b32_e32 v3, 0
	s_delay_alu instid0(VALU_DEP_1) | instskip(NEXT) | instid1(VALU_DEP_1)
	v_lshlrev_b64 v[2:3], 1, v[2:3]
	v_add_co_u32 v2, vcc_lo, s2, v2
	s_delay_alu instid0(VALU_DEP_2)
	v_add_co_ci_u32_e32 v3, vcc_lo, s3, v3, vcc_lo
	s_waitcnt lgkmcnt(0)
	global_store_b16 v[2:3], v1, off
.LBB163_32:
	s_nop 0
	s_sendmsg sendmsg(MSG_DEALLOC_VGPRS)
	s_endpgm
	.section	.rodata,"a",@progbits
	.p2align	6, 0x0
	.amdhsa_kernel _ZN2at6native6mbtopk23computeBlockDigitCountsIlmmLin1EEEvNS_4cuda6detail10TensorInfoIKT_T0_EEjPjjS8_iijT1_PSB_Ps
		.amdhsa_group_segment_fixed_size 1024
		.amdhsa_private_segment_fixed_size 0
		.amdhsa_kernarg_size 744
		.amdhsa_user_sgpr_count 13
		.amdhsa_user_sgpr_dispatch_ptr 0
		.amdhsa_user_sgpr_queue_ptr 0
		.amdhsa_user_sgpr_kernarg_segment_ptr 1
		.amdhsa_user_sgpr_dispatch_id 0
		.amdhsa_user_sgpr_private_segment_size 0
		.amdhsa_wavefront_size32 1
		.amdhsa_uses_dynamic_stack 0
		.amdhsa_enable_private_segment 0
		.amdhsa_system_sgpr_workgroup_id_x 1
		.amdhsa_system_sgpr_workgroup_id_y 1
		.amdhsa_system_sgpr_workgroup_id_z 1
		.amdhsa_system_sgpr_workgroup_info 0
		.amdhsa_system_vgpr_workitem_id 0
		.amdhsa_next_free_vgpr 10
		.amdhsa_next_free_sgpr 34
		.amdhsa_reserve_vcc 1
		.amdhsa_float_round_mode_32 0
		.amdhsa_float_round_mode_16_64 0
		.amdhsa_float_denorm_mode_32 3
		.amdhsa_float_denorm_mode_16_64 3
		.amdhsa_dx10_clamp 1
		.amdhsa_ieee_mode 1
		.amdhsa_fp16_overflow 0
		.amdhsa_workgroup_processor_mode 1
		.amdhsa_memory_ordered 1
		.amdhsa_forward_progress 0
		.amdhsa_shared_vgpr_count 0
		.amdhsa_exception_fp_ieee_invalid_op 0
		.amdhsa_exception_fp_denorm_src 0
		.amdhsa_exception_fp_ieee_div_zero 0
		.amdhsa_exception_fp_ieee_overflow 0
		.amdhsa_exception_fp_ieee_underflow 0
		.amdhsa_exception_fp_ieee_inexact 0
		.amdhsa_exception_int_div_zero 0
	.end_amdhsa_kernel
	.section	.text._ZN2at6native6mbtopk23computeBlockDigitCountsIlmmLin1EEEvNS_4cuda6detail10TensorInfoIKT_T0_EEjPjjS8_iijT1_PSB_Ps,"axG",@progbits,_ZN2at6native6mbtopk23computeBlockDigitCountsIlmmLin1EEEvNS_4cuda6detail10TensorInfoIKT_T0_EEjPjjS8_iijT1_PSB_Ps,comdat
.Lfunc_end163:
	.size	_ZN2at6native6mbtopk23computeBlockDigitCountsIlmmLin1EEEvNS_4cuda6detail10TensorInfoIKT_T0_EEjPjjS8_iijT1_PSB_Ps, .Lfunc_end163-_ZN2at6native6mbtopk23computeBlockDigitCountsIlmmLin1EEEvNS_4cuda6detail10TensorInfoIKT_T0_EEjPjjS8_iijT1_PSB_Ps
                                        ; -- End function
	.section	.AMDGPU.csdata,"",@progbits
; Kernel info:
; codeLenInByte = 2048
; NumSgprs: 36
; NumVgprs: 10
; ScratchSize: 0
; MemoryBound: 0
; FloatMode: 240
; IeeeMode: 1
; LDSByteSize: 1024 bytes/workgroup (compile time only)
; SGPRBlocks: 4
; VGPRBlocks: 1
; NumSGPRsForWavesPerEU: 36
; NumVGPRsForWavesPerEU: 10
; Occupancy: 16
; WaveLimiterHint : 0
; COMPUTE_PGM_RSRC2:SCRATCH_EN: 0
; COMPUTE_PGM_RSRC2:USER_SGPR: 13
; COMPUTE_PGM_RSRC2:TRAP_HANDLER: 0
; COMPUTE_PGM_RSRC2:TGID_X_EN: 1
; COMPUTE_PGM_RSRC2:TGID_Y_EN: 1
; COMPUTE_PGM_RSRC2:TGID_Z_EN: 1
; COMPUTE_PGM_RSRC2:TIDIG_COMP_CNT: 0
	.section	.text._ZN2at6native6mbtopk10gatherTopKIlmLin1EEEvNS_4cuda6detail10TensorInfoIKT_T0_EES8_S8_bjS8_NS5_IS6_S8_EES8_NS5_IlS8_EES8_jjPS6_PjSD_j,"axG",@progbits,_ZN2at6native6mbtopk10gatherTopKIlmLin1EEEvNS_4cuda6detail10TensorInfoIKT_T0_EES8_S8_bjS8_NS5_IS6_S8_EES8_NS5_IlS8_EES8_jjPS6_PjSD_j,comdat
	.protected	_ZN2at6native6mbtopk10gatherTopKIlmLin1EEEvNS_4cuda6detail10TensorInfoIKT_T0_EES8_S8_bjS8_NS5_IS6_S8_EES8_NS5_IlS8_EES8_jjPS6_PjSD_j ; -- Begin function _ZN2at6native6mbtopk10gatherTopKIlmLin1EEEvNS_4cuda6detail10TensorInfoIKT_T0_EES8_S8_bjS8_NS5_IS6_S8_EES8_NS5_IlS8_EES8_jjPS6_PjSD_j
	.globl	_ZN2at6native6mbtopk10gatherTopKIlmLin1EEEvNS_4cuda6detail10TensorInfoIKT_T0_EES8_S8_bjS8_NS5_IS6_S8_EES8_NS5_IlS8_EES8_jjPS6_PjSD_j
	.p2align	8
	.type	_ZN2at6native6mbtopk10gatherTopKIlmLin1EEEvNS_4cuda6detail10TensorInfoIKT_T0_EES8_S8_bjS8_NS5_IS6_S8_EES8_NS5_IlS8_EES8_jjPS6_PjSD_j,@function
_ZN2at6native6mbtopk10gatherTopKIlmLin1EEEvNS_4cuda6detail10TensorInfoIKT_T0_EES8_S8_bjS8_NS5_IS6_S8_EES8_NS5_IlS8_EES8_jjPS6_PjSD_j: ; @_ZN2at6native6mbtopk10gatherTopKIlmLin1EEEvNS_4cuda6detail10TensorInfoIKT_T0_EES8_S8_bjS8_NS5_IS6_S8_EES8_NS5_IlS8_EES8_jjPS6_PjSD_j
; %bb.0:
	s_clause 0x1
	s_load_b64 s[2:3], s[0:1], 0x538
	s_load_b32 s4, s[0:1], 0x530
	s_waitcnt lgkmcnt(0)
	s_mul_i32 s3, s3, s15
	s_delay_alu instid0(SALU_CYCLE_1) | instskip(NEXT) | instid1(SALU_CYCLE_1)
	s_add_i32 s3, s3, s14
	s_mul_i32 s3, s3, s2
	s_delay_alu instid0(SALU_CYCLE_1) | instskip(NEXT) | instid1(SALU_CYCLE_1)
	s_add_i32 s3, s3, s13
	s_cmp_ge_u32 s3, s4
	s_cbranch_scc1 .LBB164_67
; %bb.1:
	s_load_b64 s[16:17], s[0:1], 0x510
	s_waitcnt lgkmcnt(0)
	v_cvt_f32_u32_e32 v1, s17
	s_sub_i32 s4, 0, s17
	s_lshl_b32 s33, s16, 8
	s_delay_alu instid0(VALU_DEP_1) | instskip(SKIP_2) | instid1(VALU_DEP_1)
	v_rcp_iflag_f32_e32 v1, v1
	s_waitcnt_depctr 0xfff
	v_mul_f32_e32 v1, 0x4f7ffffe, v1
	v_cvt_u32_f32_e32 v1, v1
	s_delay_alu instid0(VALU_DEP_1) | instskip(NEXT) | instid1(VALU_DEP_1)
	v_readfirstlane_b32 s2, v1
	s_mul_i32 s4, s4, s2
	s_delay_alu instid0(SALU_CYCLE_1) | instskip(NEXT) | instid1(SALU_CYCLE_1)
	s_mul_hi_u32 s4, s2, s4
	s_add_i32 s2, s2, s4
	s_load_b128 s[4:7], s[0:1], 0x1a0
	s_mul_hi_u32 s2, s3, s2
	s_delay_alu instid0(SALU_CYCLE_1) | instskip(SKIP_2) | instid1(SALU_CYCLE_1)
	s_mul_i32 s8, s2, s17
	s_add_i32 s9, s2, 1
	s_sub_i32 s8, s3, s8
	s_sub_i32 s10, s8, s17
	s_cmp_ge_u32 s8, s17
	s_cselect_b32 s2, s9, s2
	s_cselect_b32 s8, s10, s8
	s_add_i32 s9, s2, 1
	s_cmp_ge_u32 s8, s17
	s_cselect_b32 s2, s9, s2
	s_delay_alu instid0(SALU_CYCLE_1) | instskip(NEXT) | instid1(SALU_CYCLE_1)
	s_mul_i32 s20, s2, s17
	s_sub_i32 s52, s3, s20
	s_delay_alu instid0(SALU_CYCLE_1) | instskip(NEXT) | instid1(SALU_CYCLE_1)
	s_add_i32 s3, s52, 1
	s_cmp_lt_u32 s3, s17
	s_mov_b32 s3, 0
	s_cbranch_scc1 .LBB164_3
; %bb.2:
	s_mul_i32 s8, s52, s33
	s_waitcnt lgkmcnt(0)
	s_sub_u32 s8, s4, s8
	s_subb_u32 s9, s5, 0
	s_add_u32 s8, s8, 0xff
	s_addc_u32 s9, s9, 0
	s_delay_alu instid0(SALU_CYCLE_1) | instskip(NEXT) | instid1(SALU_CYCLE_1)
	s_ashr_i32 s10, s9, 31
	s_lshr_b32 s10, s10, 24
	s_delay_alu instid0(SALU_CYCLE_1) | instskip(SKIP_1) | instid1(SALU_CYCLE_1)
	s_add_u32 s8, s8, s10
	s_addc_u32 s9, s9, 0
	v_alignbit_b32 v1, s9, s8, 8
	s_delay_alu instid0(VALU_DEP_1)
	v_readfirstlane_b32 s16, v1
.LBB164_3:
	s_load_b32 s9, s[0:1], 0x198
	s_mov_b64 s[18:19], 0
	s_mov_b64 s[22:23], s[2:3]
	s_waitcnt lgkmcnt(0)
	s_cmp_lt_i32 s9, 2
	s_cbranch_scc1 .LBB164_11
; %bb.4:
	s_mov_b32 s8, 0
	s_add_i32 s10, s9, -1
	s_mov_b32 s11, s8
	s_add_i32 s21, s9, 1
	s_lshl_b64 s[10:11], s[10:11], 3
	s_mov_b64 s[12:13], s[2:3]
	s_add_u32 s9, s10, s0
	s_addc_u32 s11, s11, s1
	s_add_u32 s10, s9, 8
	s_addc_u32 s11, s11, 0
.LBB164_5:                              ; =>This Inner Loop Header: Depth=1
	s_load_b64 s[14:15], s[10:11], 0x0
	s_waitcnt lgkmcnt(0)
	s_or_b64 s[22:23], s[12:13], s[14:15]
	s_delay_alu instid0(SALU_CYCLE_1) | instskip(NEXT) | instid1(SALU_CYCLE_1)
	s_mov_b32 s9, s23
                                        ; implicit-def: $sgpr22_sgpr23
	s_cmp_lg_u64 s[8:9], 0
	s_mov_b32 s9, -1
	s_cbranch_scc0 .LBB164_7
; %bb.6:                                ;   in Loop: Header=BB164_5 Depth=1
	v_cvt_f32_u32_e32 v1, s14
	v_cvt_f32_u32_e32 v2, s15
	s_sub_u32 s23, 0, s14
	s_subb_u32 s24, 0, s15
	s_waitcnt_depctr 0xfff
	v_fmac_f32_e32 v1, 0x4f800000, v2
	s_delay_alu instid0(VALU_DEP_1) | instskip(SKIP_2) | instid1(VALU_DEP_1)
	v_rcp_f32_e32 v1, v1
	s_waitcnt_depctr 0xfff
	v_mul_f32_e32 v1, 0x5f7ffffc, v1
	v_mul_f32_e32 v2, 0x2f800000, v1
	s_delay_alu instid0(VALU_DEP_1) | instskip(NEXT) | instid1(VALU_DEP_1)
	v_trunc_f32_e32 v2, v2
	v_fmac_f32_e32 v1, 0xcf800000, v2
	v_cvt_u32_f32_e32 v2, v2
	s_delay_alu instid0(VALU_DEP_2) | instskip(NEXT) | instid1(VALU_DEP_2)
	v_cvt_u32_f32_e32 v1, v1
	v_readfirstlane_b32 s9, v2
	s_delay_alu instid0(VALU_DEP_2) | instskip(NEXT) | instid1(VALU_DEP_2)
	v_readfirstlane_b32 s22, v1
	s_mul_i32 s25, s23, s9
	s_delay_alu instid0(VALU_DEP_1)
	s_mul_hi_u32 s27, s23, s22
	s_mul_i32 s26, s24, s22
	s_add_i32 s25, s27, s25
	s_mul_i32 s28, s23, s22
	s_add_i32 s25, s25, s26
	s_mul_hi_u32 s27, s22, s28
	s_mul_hi_u32 s29, s9, s28
	s_mul_i32 s26, s9, s28
	s_mul_hi_u32 s28, s22, s25
	s_mul_i32 s22, s22, s25
	s_mul_hi_u32 s30, s9, s25
	s_add_u32 s22, s27, s22
	s_addc_u32 s27, 0, s28
	s_add_u32 s22, s22, s26
	s_mul_i32 s25, s9, s25
	s_addc_u32 s22, s27, s29
	s_addc_u32 s26, s30, 0
	s_add_u32 s22, s22, s25
	s_addc_u32 s25, 0, s26
	v_add_co_u32 v1, s22, v1, s22
	s_delay_alu instid0(VALU_DEP_1) | instskip(SKIP_1) | instid1(VALU_DEP_1)
	s_cmp_lg_u32 s22, 0
	s_addc_u32 s9, s9, s25
	v_readfirstlane_b32 s22, v1
	s_mul_i32 s25, s23, s9
	s_delay_alu instid0(VALU_DEP_1)
	s_mul_hi_u32 s26, s23, s22
	s_mul_i32 s24, s24, s22
	s_add_i32 s25, s26, s25
	s_mul_i32 s23, s23, s22
	s_add_i32 s25, s25, s24
	s_mul_hi_u32 s26, s9, s23
	s_mul_i32 s27, s9, s23
	s_mul_hi_u32 s23, s22, s23
	s_mul_hi_u32 s28, s22, s25
	s_mul_i32 s22, s22, s25
	s_mul_hi_u32 s24, s9, s25
	s_add_u32 s22, s23, s22
	s_addc_u32 s23, 0, s28
	s_add_u32 s22, s22, s27
	s_mul_i32 s25, s9, s25
	s_addc_u32 s22, s23, s26
	s_addc_u32 s23, s24, 0
	s_add_u32 s22, s22, s25
	s_addc_u32 s23, 0, s23
	v_add_co_u32 v1, s22, v1, s22
	s_delay_alu instid0(VALU_DEP_1) | instskip(SKIP_1) | instid1(VALU_DEP_1)
	s_cmp_lg_u32 s22, 0
	s_addc_u32 s9, s9, s23
	v_readfirstlane_b32 s22, v1
	s_mul_i32 s24, s12, s9
	s_mul_hi_u32 s23, s12, s9
	s_mul_hi_u32 s25, s13, s9
	s_mul_i32 s9, s13, s9
	s_mul_hi_u32 s26, s12, s22
	s_mul_hi_u32 s27, s13, s22
	s_mul_i32 s22, s13, s22
	s_add_u32 s24, s26, s24
	s_addc_u32 s23, 0, s23
	s_add_u32 s22, s24, s22
	s_addc_u32 s22, s23, s27
	s_addc_u32 s23, s25, 0
	s_add_u32 s22, s22, s9
	s_addc_u32 s23, 0, s23
	s_mul_hi_u32 s9, s14, s22
	s_mul_i32 s25, s14, s23
	s_mul_i32 s26, s14, s22
	s_add_i32 s9, s9, s25
	v_sub_co_u32 v1, s25, s12, s26
	s_mul_i32 s24, s15, s22
	s_delay_alu instid0(SALU_CYCLE_1) | instskip(NEXT) | instid1(VALU_DEP_1)
	s_add_i32 s9, s9, s24
	v_sub_co_u32 v2, s26, v1, s14
	s_sub_i32 s24, s13, s9
	s_cmp_lg_u32 s25, 0
	s_subb_u32 s24, s24, s15
	s_cmp_lg_u32 s26, 0
	v_readfirstlane_b32 s26, v2
	s_subb_u32 s24, s24, 0
	s_delay_alu instid0(SALU_CYCLE_1) | instskip(SKIP_1) | instid1(VALU_DEP_1)
	s_cmp_ge_u32 s24, s15
	s_cselect_b32 s27, -1, 0
	s_cmp_ge_u32 s26, s14
	s_cselect_b32 s26, -1, 0
	s_cmp_eq_u32 s24, s15
	s_cselect_b32 s24, s26, s27
	s_add_u32 s26, s22, 1
	s_addc_u32 s27, s23, 0
	s_add_u32 s28, s22, 2
	s_addc_u32 s29, s23, 0
	s_cmp_lg_u32 s24, 0
	s_cselect_b32 s24, s28, s26
	s_cselect_b32 s26, s29, s27
	s_cmp_lg_u32 s25, 0
	v_readfirstlane_b32 s25, v1
	s_subb_u32 s9, s13, s9
	s_delay_alu instid0(SALU_CYCLE_1) | instskip(SKIP_1) | instid1(VALU_DEP_1)
	s_cmp_ge_u32 s9, s15
	s_cselect_b32 s27, -1, 0
	s_cmp_ge_u32 s25, s14
	s_cselect_b32 s25, -1, 0
	s_cmp_eq_u32 s9, s15
	s_cselect_b32 s9, s25, s27
	s_delay_alu instid0(SALU_CYCLE_1)
	s_cmp_lg_u32 s9, 0
	s_mov_b32 s9, 0
	s_cselect_b32 s23, s26, s23
	s_cselect_b32 s22, s24, s22
.LBB164_7:                              ;   in Loop: Header=BB164_5 Depth=1
	s_and_not1_b32 vcc_lo, exec_lo, s9
	s_cbranch_vccnz .LBB164_9
; %bb.8:                                ;   in Loop: Header=BB164_5 Depth=1
	v_cvt_f32_u32_e32 v1, s14
	s_sub_i32 s22, 0, s14
	s_waitcnt_depctr 0xfff
	v_rcp_iflag_f32_e32 v1, v1
	s_waitcnt_depctr 0xfff
	v_mul_f32_e32 v1, 0x4f7ffffe, v1
	s_delay_alu instid0(VALU_DEP_1) | instskip(NEXT) | instid1(VALU_DEP_1)
	v_cvt_u32_f32_e32 v1, v1
	v_readfirstlane_b32 s9, v1
	s_delay_alu instid0(VALU_DEP_1) | instskip(NEXT) | instid1(SALU_CYCLE_1)
	s_mul_i32 s22, s22, s9
	s_mul_hi_u32 s22, s9, s22
	s_delay_alu instid0(SALU_CYCLE_1) | instskip(NEXT) | instid1(SALU_CYCLE_1)
	s_add_i32 s9, s9, s22
	s_mul_hi_u32 s9, s12, s9
	s_delay_alu instid0(SALU_CYCLE_1) | instskip(SKIP_2) | instid1(SALU_CYCLE_1)
	s_mul_i32 s22, s9, s14
	s_add_i32 s23, s9, 1
	s_sub_i32 s22, s12, s22
	s_sub_i32 s24, s22, s14
	s_cmp_ge_u32 s22, s14
	s_cselect_b32 s9, s23, s9
	s_cselect_b32 s22, s24, s22
	s_add_i32 s23, s9, 1
	s_cmp_ge_u32 s22, s14
	s_cselect_b32 s22, s23, s9
	s_mov_b32 s23, s8
.LBB164_9:                              ;   in Loop: Header=BB164_5 Depth=1
	s_load_b64 s[24:25], s[10:11], 0xc8
	s_mul_i32 s9, s22, s15
	s_mul_hi_u32 s15, s22, s14
	s_mul_i32 s26, s23, s14
	s_add_i32 s9, s15, s9
	s_mul_i32 s14, s22, s14
	s_add_i32 s9, s9, s26
	s_sub_u32 s12, s12, s14
	s_subb_u32 s9, s13, s9
	s_waitcnt lgkmcnt(0)
	s_mul_i32 s9, s24, s9
	s_mul_hi_u32 s13, s24, s12
	s_mul_i32 s14, s25, s12
	s_add_i32 s9, s13, s9
	s_mul_i32 s12, s24, s12
	s_add_i32 s9, s9, s14
	s_add_u32 s18, s12, s18
	s_addc_u32 s19, s9, s19
	s_add_i32 s21, s21, -1
	s_add_u32 s10, s10, -8
	s_addc_u32 s11, s11, -1
	s_cmp_gt_u32 s21, 2
	s_cbranch_scc0 .LBB164_11
; %bb.10:                               ;   in Loop: Header=BB164_5 Depth=1
	s_mov_b64 s[12:13], s[22:23]
	s_branch .LBB164_5
.LBB164_11:
	s_clause 0x1
	s_load_b32 s11, s[0:1], 0x358
	s_load_b64 s[26:27], s[0:1], 0xd0
	s_add_u32 s8, s0, 0x1c0
	s_addc_u32 s9, s1, 0
	s_mov_b64 s[24:25], 0
	s_mov_b64 s[28:29], s[2:3]
	s_waitcnt lgkmcnt(0)
	s_cmp_lt_i32 s11, 2
	s_cbranch_scc1 .LBB164_19
; %bb.12:
	s_mov_b32 s10, 0
	s_add_i32 s12, s11, -1
	s_mov_b32 s13, s10
	s_add_i32 s21, s11, 1
	s_lshl_b64 s[12:13], s[12:13], 3
	s_mov_b64 s[14:15], s[2:3]
	s_add_u32 s11, s12, s8
	s_addc_u32 s13, s13, s9
	s_add_u32 s12, s11, 8
	s_addc_u32 s13, s13, 0
.LBB164_13:                             ; =>This Inner Loop Header: Depth=1
	s_load_b64 s[30:31], s[12:13], 0x0
	s_waitcnt lgkmcnt(0)
	s_or_b64 s[28:29], s[14:15], s[30:31]
	s_delay_alu instid0(SALU_CYCLE_1) | instskip(NEXT) | instid1(SALU_CYCLE_1)
	s_mov_b32 s11, s29
                                        ; implicit-def: $sgpr28_sgpr29
	s_cmp_lg_u64 s[10:11], 0
	s_mov_b32 s11, -1
	s_cbranch_scc0 .LBB164_15
; %bb.14:                               ;   in Loop: Header=BB164_13 Depth=1
	v_cvt_f32_u32_e32 v1, s30
	v_cvt_f32_u32_e32 v2, s31
	s_sub_u32 s29, 0, s30
	s_subb_u32 s34, 0, s31
	s_waitcnt_depctr 0xfff
	v_fmac_f32_e32 v1, 0x4f800000, v2
	s_delay_alu instid0(VALU_DEP_1) | instskip(SKIP_2) | instid1(VALU_DEP_1)
	v_rcp_f32_e32 v1, v1
	s_waitcnt_depctr 0xfff
	v_mul_f32_e32 v1, 0x5f7ffffc, v1
	v_mul_f32_e32 v2, 0x2f800000, v1
	s_delay_alu instid0(VALU_DEP_1) | instskip(NEXT) | instid1(VALU_DEP_1)
	v_trunc_f32_e32 v2, v2
	v_fmac_f32_e32 v1, 0xcf800000, v2
	v_cvt_u32_f32_e32 v2, v2
	s_delay_alu instid0(VALU_DEP_2) | instskip(NEXT) | instid1(VALU_DEP_2)
	v_cvt_u32_f32_e32 v1, v1
	v_readfirstlane_b32 s11, v2
	s_delay_alu instid0(VALU_DEP_2) | instskip(NEXT) | instid1(VALU_DEP_2)
	v_readfirstlane_b32 s28, v1
	s_mul_i32 s35, s29, s11
	s_delay_alu instid0(VALU_DEP_1)
	s_mul_hi_u32 s37, s29, s28
	s_mul_i32 s36, s34, s28
	s_add_i32 s35, s37, s35
	s_mul_i32 s38, s29, s28
	s_add_i32 s35, s35, s36
	s_mul_hi_u32 s37, s28, s38
	s_mul_hi_u32 s39, s11, s38
	s_mul_i32 s36, s11, s38
	s_mul_hi_u32 s38, s28, s35
	s_mul_i32 s28, s28, s35
	s_mul_hi_u32 s40, s11, s35
	s_add_u32 s28, s37, s28
	s_addc_u32 s37, 0, s38
	s_add_u32 s28, s28, s36
	s_mul_i32 s35, s11, s35
	s_addc_u32 s28, s37, s39
	s_addc_u32 s36, s40, 0
	s_add_u32 s28, s28, s35
	s_addc_u32 s35, 0, s36
	v_add_co_u32 v1, s28, v1, s28
	s_delay_alu instid0(VALU_DEP_1) | instskip(SKIP_1) | instid1(VALU_DEP_1)
	s_cmp_lg_u32 s28, 0
	s_addc_u32 s11, s11, s35
	v_readfirstlane_b32 s28, v1
	s_mul_i32 s35, s29, s11
	s_delay_alu instid0(VALU_DEP_1)
	s_mul_hi_u32 s36, s29, s28
	s_mul_i32 s34, s34, s28
	s_add_i32 s35, s36, s35
	s_mul_i32 s29, s29, s28
	s_add_i32 s35, s35, s34
	s_mul_hi_u32 s36, s11, s29
	s_mul_i32 s37, s11, s29
	s_mul_hi_u32 s29, s28, s29
	s_mul_hi_u32 s38, s28, s35
	s_mul_i32 s28, s28, s35
	s_mul_hi_u32 s34, s11, s35
	s_add_u32 s28, s29, s28
	s_addc_u32 s29, 0, s38
	s_add_u32 s28, s28, s37
	s_mul_i32 s35, s11, s35
	s_addc_u32 s28, s29, s36
	s_addc_u32 s29, s34, 0
	s_add_u32 s28, s28, s35
	s_addc_u32 s29, 0, s29
	v_add_co_u32 v1, s28, v1, s28
	s_delay_alu instid0(VALU_DEP_1) | instskip(SKIP_1) | instid1(VALU_DEP_1)
	s_cmp_lg_u32 s28, 0
	s_addc_u32 s11, s11, s29
	v_readfirstlane_b32 s28, v1
	s_mul_i32 s34, s14, s11
	s_mul_hi_u32 s29, s14, s11
	s_mul_hi_u32 s35, s15, s11
	s_mul_i32 s11, s15, s11
	s_mul_hi_u32 s36, s14, s28
	s_mul_hi_u32 s37, s15, s28
	s_mul_i32 s28, s15, s28
	s_add_u32 s34, s36, s34
	s_addc_u32 s29, 0, s29
	s_add_u32 s28, s34, s28
	s_addc_u32 s28, s29, s37
	s_addc_u32 s29, s35, 0
	s_add_u32 s28, s28, s11
	s_addc_u32 s29, 0, s29
	s_mul_hi_u32 s11, s30, s28
	s_mul_i32 s35, s30, s29
	s_mul_i32 s36, s30, s28
	s_add_i32 s11, s11, s35
	v_sub_co_u32 v1, s35, s14, s36
	s_mul_i32 s34, s31, s28
	s_delay_alu instid0(SALU_CYCLE_1) | instskip(NEXT) | instid1(VALU_DEP_1)
	s_add_i32 s11, s11, s34
	v_sub_co_u32 v2, s36, v1, s30
	s_sub_i32 s34, s15, s11
	s_cmp_lg_u32 s35, 0
	s_subb_u32 s34, s34, s31
	s_cmp_lg_u32 s36, 0
	v_readfirstlane_b32 s36, v2
	s_subb_u32 s34, s34, 0
	s_delay_alu instid0(SALU_CYCLE_1) | instskip(SKIP_1) | instid1(VALU_DEP_1)
	s_cmp_ge_u32 s34, s31
	s_cselect_b32 s37, -1, 0
	s_cmp_ge_u32 s36, s30
	s_cselect_b32 s36, -1, 0
	s_cmp_eq_u32 s34, s31
	s_cselect_b32 s34, s36, s37
	s_add_u32 s36, s28, 1
	s_addc_u32 s37, s29, 0
	s_add_u32 s38, s28, 2
	s_addc_u32 s39, s29, 0
	s_cmp_lg_u32 s34, 0
	s_cselect_b32 s34, s38, s36
	s_cselect_b32 s36, s39, s37
	s_cmp_lg_u32 s35, 0
	v_readfirstlane_b32 s35, v1
	s_subb_u32 s11, s15, s11
	s_delay_alu instid0(SALU_CYCLE_1) | instskip(SKIP_1) | instid1(VALU_DEP_1)
	s_cmp_ge_u32 s11, s31
	s_cselect_b32 s37, -1, 0
	s_cmp_ge_u32 s35, s30
	s_cselect_b32 s35, -1, 0
	s_cmp_eq_u32 s11, s31
	s_cselect_b32 s11, s35, s37
	s_delay_alu instid0(SALU_CYCLE_1)
	s_cmp_lg_u32 s11, 0
	s_mov_b32 s11, 0
	s_cselect_b32 s29, s36, s29
	s_cselect_b32 s28, s34, s28
.LBB164_15:                             ;   in Loop: Header=BB164_13 Depth=1
	s_and_not1_b32 vcc_lo, exec_lo, s11
	s_cbranch_vccnz .LBB164_17
; %bb.16:                               ;   in Loop: Header=BB164_13 Depth=1
	v_cvt_f32_u32_e32 v1, s30
	s_sub_i32 s28, 0, s30
	s_waitcnt_depctr 0xfff
	v_rcp_iflag_f32_e32 v1, v1
	s_waitcnt_depctr 0xfff
	v_mul_f32_e32 v1, 0x4f7ffffe, v1
	s_delay_alu instid0(VALU_DEP_1) | instskip(NEXT) | instid1(VALU_DEP_1)
	v_cvt_u32_f32_e32 v1, v1
	v_readfirstlane_b32 s11, v1
	s_delay_alu instid0(VALU_DEP_1) | instskip(NEXT) | instid1(SALU_CYCLE_1)
	s_mul_i32 s28, s28, s11
	s_mul_hi_u32 s28, s11, s28
	s_delay_alu instid0(SALU_CYCLE_1) | instskip(NEXT) | instid1(SALU_CYCLE_1)
	s_add_i32 s11, s11, s28
	s_mul_hi_u32 s11, s14, s11
	s_delay_alu instid0(SALU_CYCLE_1) | instskip(SKIP_2) | instid1(SALU_CYCLE_1)
	s_mul_i32 s28, s11, s30
	s_add_i32 s29, s11, 1
	s_sub_i32 s28, s14, s28
	s_sub_i32 s34, s28, s30
	s_cmp_ge_u32 s28, s30
	s_cselect_b32 s11, s29, s11
	s_cselect_b32 s28, s34, s28
	s_add_i32 s29, s11, 1
	s_cmp_ge_u32 s28, s30
	s_cselect_b32 s28, s29, s11
	s_mov_b32 s29, s10
.LBB164_17:                             ;   in Loop: Header=BB164_13 Depth=1
	s_load_b64 s[34:35], s[12:13], 0xc8
	s_mul_i32 s11, s28, s31
	s_mul_hi_u32 s31, s28, s30
	s_mul_i32 s36, s29, s30
	s_add_i32 s11, s31, s11
	s_mul_i32 s30, s28, s30
	s_add_i32 s11, s11, s36
	s_sub_u32 s14, s14, s30
	s_subb_u32 s11, s15, s11
	s_waitcnt lgkmcnt(0)
	s_mul_i32 s11, s34, s11
	s_mul_hi_u32 s15, s34, s14
	s_mul_i32 s30, s35, s14
	s_add_i32 s11, s15, s11
	s_mul_i32 s14, s34, s14
	s_add_i32 s11, s11, s30
	s_add_u32 s24, s14, s24
	s_addc_u32 s25, s11, s25
	s_add_i32 s21, s21, -1
	s_add_u32 s12, s12, -8
	s_addc_u32 s13, s13, -1
	s_cmp_gt_u32 s21, 2
	s_cbranch_scc0 .LBB164_19
; %bb.18:                               ;   in Loop: Header=BB164_13 Depth=1
	s_mov_b64 s[14:15], s[28:29]
	s_branch .LBB164_13
.LBB164_19:
	s_clause 0x1
	s_load_b32 s11, s[0:1], 0x500
	s_load_b64 s[34:35], s[8:9], 0xd0
	s_add_u32 s9, s0, 0x368
	s_addc_u32 s10, s1, 0
	s_mov_b64 s[30:31], 0
	s_waitcnt lgkmcnt(0)
	s_cmp_lt_i32 s11, 2
	s_cbranch_scc1 .LBB164_27
; %bb.20:
	s_mov_b32 s8, 0
	s_add_i32 s12, s11, -1
	s_mov_b32 s13, s8
	s_add_i32 s21, s11, 1
	s_lshl_b64 s[12:13], s[12:13], 3
	s_delay_alu instid0(SALU_CYCLE_1)
	s_add_u32 s9, s12, s9
	s_addc_u32 s11, s13, s10
	s_add_u32 s10, s9, 8
	s_addc_u32 s11, s11, 0
	s_mov_b64 s[12:13], s[2:3]
.LBB164_21:                             ; =>This Inner Loop Header: Depth=1
	s_load_b64 s[14:15], s[10:11], 0x0
	s_waitcnt lgkmcnt(0)
	s_or_b64 s[36:37], s[12:13], s[14:15]
	s_delay_alu instid0(SALU_CYCLE_1) | instskip(NEXT) | instid1(SALU_CYCLE_1)
	s_mov_b32 s9, s37
                                        ; implicit-def: $sgpr36_sgpr37
	s_cmp_lg_u64 s[8:9], 0
	s_mov_b32 s9, -1
	s_cbranch_scc0 .LBB164_23
; %bb.22:                               ;   in Loop: Header=BB164_21 Depth=1
	v_cvt_f32_u32_e32 v1, s14
	v_cvt_f32_u32_e32 v2, s15
	s_sub_u32 s37, 0, s14
	s_subb_u32 s38, 0, s15
	s_waitcnt_depctr 0xfff
	v_fmac_f32_e32 v1, 0x4f800000, v2
	s_delay_alu instid0(VALU_DEP_1) | instskip(SKIP_2) | instid1(VALU_DEP_1)
	v_rcp_f32_e32 v1, v1
	s_waitcnt_depctr 0xfff
	v_mul_f32_e32 v1, 0x5f7ffffc, v1
	v_mul_f32_e32 v2, 0x2f800000, v1
	s_delay_alu instid0(VALU_DEP_1) | instskip(NEXT) | instid1(VALU_DEP_1)
	v_trunc_f32_e32 v2, v2
	v_fmac_f32_e32 v1, 0xcf800000, v2
	v_cvt_u32_f32_e32 v2, v2
	s_delay_alu instid0(VALU_DEP_2) | instskip(NEXT) | instid1(VALU_DEP_2)
	v_cvt_u32_f32_e32 v1, v1
	v_readfirstlane_b32 s9, v2
	s_delay_alu instid0(VALU_DEP_2) | instskip(NEXT) | instid1(VALU_DEP_2)
	v_readfirstlane_b32 s36, v1
	s_mul_i32 s39, s37, s9
	s_delay_alu instid0(VALU_DEP_1)
	s_mul_hi_u32 s41, s37, s36
	s_mul_i32 s40, s38, s36
	s_add_i32 s39, s41, s39
	s_mul_i32 s42, s37, s36
	s_add_i32 s39, s39, s40
	s_mul_hi_u32 s41, s36, s42
	s_mul_hi_u32 s43, s9, s42
	s_mul_i32 s40, s9, s42
	s_mul_hi_u32 s42, s36, s39
	s_mul_i32 s36, s36, s39
	s_mul_hi_u32 s44, s9, s39
	s_add_u32 s36, s41, s36
	s_addc_u32 s41, 0, s42
	s_add_u32 s36, s36, s40
	s_mul_i32 s39, s9, s39
	s_addc_u32 s36, s41, s43
	s_addc_u32 s40, s44, 0
	s_add_u32 s36, s36, s39
	s_addc_u32 s39, 0, s40
	v_add_co_u32 v1, s36, v1, s36
	s_delay_alu instid0(VALU_DEP_1) | instskip(SKIP_1) | instid1(VALU_DEP_1)
	s_cmp_lg_u32 s36, 0
	s_addc_u32 s9, s9, s39
	v_readfirstlane_b32 s36, v1
	s_mul_i32 s39, s37, s9
	s_delay_alu instid0(VALU_DEP_1)
	s_mul_hi_u32 s40, s37, s36
	s_mul_i32 s38, s38, s36
	s_add_i32 s39, s40, s39
	s_mul_i32 s37, s37, s36
	s_add_i32 s39, s39, s38
	s_mul_hi_u32 s40, s9, s37
	s_mul_i32 s41, s9, s37
	s_mul_hi_u32 s37, s36, s37
	s_mul_hi_u32 s42, s36, s39
	s_mul_i32 s36, s36, s39
	s_mul_hi_u32 s38, s9, s39
	s_add_u32 s36, s37, s36
	s_addc_u32 s37, 0, s42
	s_add_u32 s36, s36, s41
	s_mul_i32 s39, s9, s39
	s_addc_u32 s36, s37, s40
	s_addc_u32 s37, s38, 0
	s_add_u32 s36, s36, s39
	s_addc_u32 s37, 0, s37
	v_add_co_u32 v1, s36, v1, s36
	s_delay_alu instid0(VALU_DEP_1) | instskip(SKIP_1) | instid1(VALU_DEP_1)
	s_cmp_lg_u32 s36, 0
	s_addc_u32 s9, s9, s37
	v_readfirstlane_b32 s36, v1
	s_mul_i32 s38, s12, s9
	s_mul_hi_u32 s37, s12, s9
	s_mul_hi_u32 s39, s13, s9
	s_mul_i32 s9, s13, s9
	s_mul_hi_u32 s40, s12, s36
	s_mul_hi_u32 s41, s13, s36
	s_mul_i32 s36, s13, s36
	s_add_u32 s38, s40, s38
	s_addc_u32 s37, 0, s37
	s_add_u32 s36, s38, s36
	s_addc_u32 s36, s37, s41
	s_addc_u32 s37, s39, 0
	s_add_u32 s36, s36, s9
	s_addc_u32 s37, 0, s37
	s_mul_hi_u32 s9, s14, s36
	s_mul_i32 s39, s14, s37
	s_mul_i32 s40, s14, s36
	s_add_i32 s9, s9, s39
	v_sub_co_u32 v1, s39, s12, s40
	s_mul_i32 s38, s15, s36
	s_delay_alu instid0(SALU_CYCLE_1) | instskip(NEXT) | instid1(VALU_DEP_1)
	s_add_i32 s9, s9, s38
	v_sub_co_u32 v2, s40, v1, s14
	s_sub_i32 s38, s13, s9
	s_cmp_lg_u32 s39, 0
	s_subb_u32 s38, s38, s15
	s_cmp_lg_u32 s40, 0
	v_readfirstlane_b32 s40, v2
	s_subb_u32 s38, s38, 0
	s_delay_alu instid0(SALU_CYCLE_1) | instskip(SKIP_1) | instid1(VALU_DEP_1)
	s_cmp_ge_u32 s38, s15
	s_cselect_b32 s41, -1, 0
	s_cmp_ge_u32 s40, s14
	s_cselect_b32 s40, -1, 0
	s_cmp_eq_u32 s38, s15
	s_cselect_b32 s38, s40, s41
	s_add_u32 s40, s36, 1
	s_addc_u32 s41, s37, 0
	s_add_u32 s42, s36, 2
	s_addc_u32 s43, s37, 0
	s_cmp_lg_u32 s38, 0
	s_cselect_b32 s38, s42, s40
	s_cselect_b32 s40, s43, s41
	s_cmp_lg_u32 s39, 0
	v_readfirstlane_b32 s39, v1
	s_subb_u32 s9, s13, s9
	s_delay_alu instid0(SALU_CYCLE_1) | instskip(SKIP_1) | instid1(VALU_DEP_1)
	s_cmp_ge_u32 s9, s15
	s_cselect_b32 s41, -1, 0
	s_cmp_ge_u32 s39, s14
	s_cselect_b32 s39, -1, 0
	s_cmp_eq_u32 s9, s15
	s_cselect_b32 s9, s39, s41
	s_delay_alu instid0(SALU_CYCLE_1)
	s_cmp_lg_u32 s9, 0
	s_mov_b32 s9, 0
	s_cselect_b32 s37, s40, s37
	s_cselect_b32 s36, s38, s36
.LBB164_23:                             ;   in Loop: Header=BB164_21 Depth=1
	s_and_not1_b32 vcc_lo, exec_lo, s9
	s_cbranch_vccnz .LBB164_25
; %bb.24:                               ;   in Loop: Header=BB164_21 Depth=1
	v_cvt_f32_u32_e32 v1, s14
	s_sub_i32 s36, 0, s14
	s_waitcnt_depctr 0xfff
	v_rcp_iflag_f32_e32 v1, v1
	s_waitcnt_depctr 0xfff
	v_mul_f32_e32 v1, 0x4f7ffffe, v1
	s_delay_alu instid0(VALU_DEP_1) | instskip(NEXT) | instid1(VALU_DEP_1)
	v_cvt_u32_f32_e32 v1, v1
	v_readfirstlane_b32 s9, v1
	s_delay_alu instid0(VALU_DEP_1) | instskip(NEXT) | instid1(SALU_CYCLE_1)
	s_mul_i32 s36, s36, s9
	s_mul_hi_u32 s36, s9, s36
	s_delay_alu instid0(SALU_CYCLE_1) | instskip(NEXT) | instid1(SALU_CYCLE_1)
	s_add_i32 s9, s9, s36
	s_mul_hi_u32 s9, s12, s9
	s_delay_alu instid0(SALU_CYCLE_1) | instskip(SKIP_2) | instid1(SALU_CYCLE_1)
	s_mul_i32 s36, s9, s14
	s_add_i32 s37, s9, 1
	s_sub_i32 s36, s12, s36
	s_sub_i32 s38, s36, s14
	s_cmp_ge_u32 s36, s14
	s_cselect_b32 s9, s37, s9
	s_cselect_b32 s36, s38, s36
	s_add_i32 s37, s9, 1
	s_cmp_ge_u32 s36, s14
	s_cselect_b32 s36, s37, s9
	s_mov_b32 s37, s8
.LBB164_25:                             ;   in Loop: Header=BB164_21 Depth=1
	s_load_b64 s[38:39], s[10:11], 0xc8
	s_mul_i32 s9, s36, s15
	s_mul_hi_u32 s15, s36, s14
	s_mul_i32 s40, s37, s14
	s_add_i32 s9, s15, s9
	s_mul_i32 s14, s36, s14
	s_add_i32 s9, s9, s40
	s_sub_u32 s12, s12, s14
	s_subb_u32 s9, s13, s9
	s_waitcnt lgkmcnt(0)
	s_mul_i32 s9, s38, s9
	s_mul_hi_u32 s13, s38, s12
	s_mul_i32 s14, s39, s12
	s_add_i32 s9, s13, s9
	s_mul_i32 s12, s38, s12
	s_add_i32 s9, s9, s14
	s_add_u32 s30, s12, s30
	s_addc_u32 s31, s9, s31
	s_add_i32 s21, s21, -1
	s_add_u32 s10, s10, -8
	s_addc_u32 s11, s11, -1
	s_cmp_gt_u32 s21, 2
	s_cbranch_scc0 .LBB164_28
; %bb.26:                               ;   in Loop: Header=BB164_21 Depth=1
	s_mov_b64 s[12:13], s[36:37]
	s_branch .LBB164_21
.LBB164_27:
	s_mov_b64 s[36:37], s[2:3]
.LBB164_28:
	s_load_b128 s[8:11], s[0:1], 0x518
	s_lshl_b64 s[2:3], s[2:3], 3
	s_clause 0x1
	s_load_b64 s[44:45], s[0:1], 0x0
	s_load_b64 s[40:41], s[0:1], 0x1c0
	s_mov_b32 s21, 0
	s_waitcnt lgkmcnt(0)
	s_add_u32 s2, s8, s2
	s_addc_u32 s3, s9, s3
	s_clause 0x1
	s_load_b64 s[42:43], s[0:1], 0x438
	s_load_b64 s[38:39], s[0:1], 0x368
	;; [unrolled: 1-line block ×3, first 2 shown]
	v_cmp_ne_u32_e64 s2, 0, v0
	v_cmp_eq_u32_e64 s3, 0, v0
	s_delay_alu instid0(VALU_DEP_1)
	s_and_saveexec_b32 s53, s3
	s_cbranch_execz .LBB164_44
; %bb.29:
	s_load_b64 s[46:47], s[0:1], 0x528
	s_lshl_b64 s[48:49], s[20:21], 2
	s_mov_b32 s20, 0
	s_add_u32 s12, s10, s48
	s_addc_u32 s13, s11, s49
	s_mov_b32 s54, 0
	s_waitcnt lgkmcnt(0)
	s_add_u32 s14, s46, s48
	s_addc_u32 s15, s47, s49
	s_cmp_lt_u32 s17, 4
	s_cbranch_scc1 .LBB164_41
; %bb.30:
	s_mov_b32 s55, 0
.LBB164_31:                             ; =>This Inner Loop Header: Depth=1
	s_add_u32 s12, s10, s48
	s_addc_u32 s13, s11, s49
	s_add_u32 s50, s46, s48
	s_load_b128 s[12:15], s[12:13], 0x0
	s_addc_u32 s51, s47, s49
	s_cmp_ge_u32 s55, s52
	s_cbranch_scc0 .LBB164_38
; %bb.32:                               ;   in Loop: Header=BB164_31 Depth=1
	s_add_i32 s56, s55, 1
	s_delay_alu instid0(SALU_CYCLE_1)
	s_cmp_ge_u32 s56, s52
	s_cbranch_scc0 .LBB164_39
.LBB164_33:                             ;   in Loop: Header=BB164_31 Depth=1
	s_add_i32 s56, s56, 1
	s_delay_alu instid0(SALU_CYCLE_1)
	s_cmp_ge_u32 s56, s52
	s_cbranch_scc0 .LBB164_40
.LBB164_34:                             ;   in Loop: Header=BB164_31 Depth=1
	s_add_i32 s56, s56, 1
	s_delay_alu instid0(SALU_CYCLE_1)
	s_cmp_ge_u32 s56, s52
	s_cbranch_scc1 .LBB164_36
.LBB164_35:                             ;   in Loop: Header=BB164_31 Depth=1
	s_load_b32 s50, s[50:51], 0xc
	s_waitcnt lgkmcnt(0)
	s_add_i32 s21, s21, s15
	s_add_i32 s20, s50, s20
.LBB164_36:                             ;   in Loop: Header=BB164_31 Depth=1
	s_waitcnt lgkmcnt(0)
	s_add_i32 s12, s12, s54
	s_delay_alu instid0(SALU_CYCLE_1) | instskip(NEXT) | instid1(SALU_CYCLE_1)
	s_add_i32 s12, s12, s13
	s_add_i32 s12, s12, s14
	s_delay_alu instid0(SALU_CYCLE_1)
	s_add_i32 s54, s12, s15
	s_add_u32 s10, s10, 16
	s_addc_u32 s11, s11, 0
	s_add_u32 s46, s46, 16
	s_addc_u32 s47, s47, 0
	s_add_i32 s51, s56, 4
	s_add_u32 s14, s46, s48
	s_addc_u32 s15, s47, s49
	s_add_u32 s12, s10, s48
	s_addc_u32 s13, s11, s49
	s_add_i32 s50, s56, 1
	s_cmp_ge_u32 s51, s17
	s_cbranch_scc1 .LBB164_42
; %bb.37:                               ;   in Loop: Header=BB164_31 Depth=1
	s_mov_b32 s55, s50
	s_branch .LBB164_31
.LBB164_38:                             ;   in Loop: Header=BB164_31 Depth=1
	s_load_b32 s56, s[50:51], 0x0
	s_waitcnt lgkmcnt(0)
	s_add_i32 s21, s12, s21
	s_add_i32 s20, s56, s20
	;; [unrolled: 1-line block ×3, first 2 shown]
	s_delay_alu instid0(SALU_CYCLE_1)
	s_cmp_ge_u32 s56, s52
	s_cbranch_scc1 .LBB164_33
.LBB164_39:                             ;   in Loop: Header=BB164_31 Depth=1
	s_load_b32 s57, s[50:51], 0x4
	s_waitcnt lgkmcnt(0)
	s_add_i32 s21, s21, s13
	s_add_i32 s20, s57, s20
	;; [unrolled: 1-line block ×3, first 2 shown]
	s_delay_alu instid0(SALU_CYCLE_1)
	s_cmp_ge_u32 s56, s52
	s_cbranch_scc1 .LBB164_34
.LBB164_40:                             ;   in Loop: Header=BB164_31 Depth=1
	s_load_b32 s57, s[50:51], 0x8
	s_waitcnt lgkmcnt(0)
	s_add_i32 s21, s21, s14
	s_add_i32 s20, s57, s20
	;; [unrolled: 1-line block ×3, first 2 shown]
	s_delay_alu instid0(SALU_CYCLE_1)
	s_cmp_ge_u32 s56, s52
	s_cbranch_scc0 .LBB164_35
	s_branch .LBB164_36
.LBB164_41:
	s_mov_b32 s10, 0
	s_delay_alu instid0(SALU_CYCLE_1)
	s_cmp_ge_u32 s10, s17
	s_cbranch_scc0 .LBB164_65
	s_branch .LBB164_43
.LBB164_42:
	s_add_i32 s10, s55, 4
	s_delay_alu instid0(SALU_CYCLE_1)
	s_cmp_ge_u32 s10, s17
	s_cbranch_scc0 .LBB164_65
.LBB164_43:
	v_dual_mov_b32 v1, s20 :: v_dual_mov_b32 v2, s54
	v_dual_mov_b32 v3, s21 :: v_dual_mov_b32 v4, 0
	ds_store_b96 v4, v[1:3] offset:1056
.LBB164_44:
	s_or_b32 exec_lo, exec_lo, s53
	s_cmp_eq_u32 s16, 0
	s_waitcnt lgkmcnt(0)
	s_barrier
	buffer_gl0_inv
	s_cbranch_scc1 .LBB164_67
; %bb.45:
	s_mul_i32 s10, s34, s29
	s_mul_hi_u32 s11, s34, s28
	s_mul_hi_u32 s12, s26, s22
	s_add_i32 s10, s11, s10
	s_mul_i32 s11, s26, s23
	s_mul_i32 s13, s35, s28
	s_add_i32 s12, s12, s11
	s_mul_i32 s14, s27, s22
	v_dual_mov_b32 v5, 0 :: v_dual_add_nc_u32 v4, -1, v0
	s_add_i32 s11, s10, s13
	s_add_i32 s13, s12, s14
	s_mul_i32 s10, s42, s37
	s_mul_hi_u32 s14, s42, s36
	s_mul_i32 s12, s26, s22
	s_add_i32 s10, s14, s10
	s_mul_i32 s14, s43, s36
	s_lshl_b64 s[12:13], s[12:13], 3
	s_add_i32 s15, s10, s14
	ds_load_b96 v[1:3], v5 offset:1056
	s_add_u32 s14, s44, s12
	s_addc_u32 s20, s45, s13
	s_lshl_b64 s[12:13], s[18:19], 3
	s_mul_i32 s10, s34, s28
	s_add_u32 s17, s14, s12
	s_addc_u32 s20, s20, s13
	s_lshl_b64 s[10:11], s[10:11], 3
	s_mul_i32 s14, s42, s36
	s_add_u32 s12, s40, s10
	s_addc_u32 s13, s41, s11
	s_lshl_b64 s[10:11], s[24:25], 3
	v_lshlrev_b32_e32 v8, 3, v0
	s_add_u32 s21, s12, s10
	s_addc_u32 s22, s13, s11
	s_lshl_b64 s[10:11], s[14:15], 3
	v_lshrrev_b32_e32 v9, 2, v0
	s_add_u32 s12, s38, s10
	s_addc_u32 s13, s39, s11
	s_lshl_b64 s[10:11], s[30:31], 3
	s_waitcnt lgkmcnt(0)
	v_add_nc_u32_e32 v1, v1, v2
	s_add_u32 s23, s12, s10
	s_addc_u32 s24, s13, s11
	s_clause 0x3
	s_load_b32 s10, s[0:1], 0x1b0
	s_load_b64 s[12:13], s[0:1], 0x1b8
	s_load_b64 s[14:15], s[0:1], 0x360
	;; [unrolled: 1-line block ×3, first 2 shown]
	v_lshrrev_b32_e32 v2, 5, v0
	v_mad_u64_u32 v[6:7], null, s52, s33, v[0:1]
	v_lshrrev_b32_e32 v12, 5, v4
	v_mbcnt_lo_u32_b32 v10, -1, 0
	s_xor_b32 s11, s9, 0x80000000
	v_add_lshl_u32 v11, v2, v0, 2
	v_cmp_gt_u32_e64 s0, 32, v0
	v_add_lshl_u32 v0, v9, v8, 2
	v_add_lshl_u32 v12, v12, v4, 2
	v_dual_mov_b32 v4, v6 :: v_dual_and_b32 v13, 15, v10
	v_bfe_i32 v14, v10, 4, 1
	v_add_nc_u32_e32 v15, -1, v10
                                        ; implicit-def: $vgpr6_vgpr7
	s_waitcnt lgkmcnt(0)
	s_bitcmp1_b32 s10, 0
	s_mov_b32 s10, s8
	s_cselect_b32 s1, -1, 0
	s_branch .LBB164_48
.LBB164_46:                             ;   in Loop: Header=BB164_48 Depth=1
	s_or_b32 exec_lo, exec_lo, s25
	v_add_nc_u32_e32 v1, v2, v1
.LBB164_47:                             ;   in Loop: Header=BB164_48 Depth=1
	v_add_nc_u32_e32 v3, v16, v3
	v_add_nc_u32_e32 v4, 0x100, v4
	s_add_i32 s16, s16, -1
	s_delay_alu instid0(SALU_CYCLE_1)
	s_cmp_lg_u32 s16, 0
	s_cbranch_scc0 .LBB164_67
.LBB164_48:                             ; =>This Inner Loop Header: Depth=1
	v_mov_b32_e32 v2, v5
	v_mov_b32_e32 v8, v5
	s_mov_b32 s25, exec_lo
	v_cmpx_gt_u64_e64 s[4:5], v[4:5]
	s_cbranch_execz .LBB164_50
; %bb.49:                               ;   in Loop: Header=BB164_48 Depth=1
	v_mad_u64_u32 v[6:7], null, v4, s12, 0
	s_delay_alu instid0(VALU_DEP_1) | instskip(NEXT) | instid1(VALU_DEP_1)
	v_mov_b32_e32 v2, v7
	v_mad_u64_u32 v[7:8], null, v4, s13, v[2:3]
	s_delay_alu instid0(VALU_DEP_1) | instskip(NEXT) | instid1(VALU_DEP_1)
	v_lshlrev_b64 v[6:7], 3, v[6:7]
	v_add_co_u32 v6, vcc_lo, s17, v6
	s_delay_alu instid0(VALU_DEP_2) | instskip(SKIP_4) | instid1(VALU_DEP_1)
	v_add_co_ci_u32_e32 v7, vcc_lo, s20, v7, vcc_lo
	global_load_b64 v[6:7], v[6:7], off
	s_waitcnt vmcnt(0)
	v_xor_b32_e32 v9, 0x80000000, v7
	v_mov_b32_e32 v8, v6
	v_cmp_lt_u64_e32 vcc_lo, s[10:11], v[8:9]
	v_cndmask_b32_e64 v2, 0, 1, vcc_lo
	v_cmp_gt_u64_e32 vcc_lo, s[10:11], v[8:9]
	v_cndmask_b32_e64 v8, 0, 1, vcc_lo
	v_cmp_eq_u64_e32 vcc_lo, s[8:9], v[6:7]
	s_delay_alu instid0(VALU_DEP_2) | instskip(SKIP_1) | instid1(VALU_DEP_2)
	v_cndmask_b32_e64 v2, v8, v2, s1
	v_cndmask_b32_e64 v8, 0, 1, vcc_lo
	v_and_b32_e32 v2, 1, v2
.LBB164_50:                             ;   in Loop: Header=BB164_48 Depth=1
	s_or_b32 exec_lo, exec_lo, s25
	ds_store_b32 v11, v2
	s_waitcnt lgkmcnt(0)
	s_waitcnt_vscnt null, 0x0
	s_barrier
	buffer_gl0_inv
	s_and_saveexec_b32 s25, s0
	s_cbranch_execz .LBB164_52
; %bb.51:                               ;   in Loop: Header=BB164_48 Depth=1
	ds_load_2addr_b32 v[16:17], v0 offset1:1
	ds_load_2addr_b32 v[18:19], v0 offset0:2 offset1:3
	ds_load_2addr_b32 v[20:21], v0 offset0:4 offset1:5
	;; [unrolled: 1-line block ×3, first 2 shown]
	v_cmp_ne_u32_e32 vcc_lo, 0, v13
	; wave barrier
	s_waitcnt lgkmcnt(3)
	v_add_nc_u32_e32 v9, v17, v16
	s_waitcnt lgkmcnt(2)
	s_delay_alu instid0(VALU_DEP_1) | instskip(SKIP_1) | instid1(VALU_DEP_1)
	v_add3_u32 v9, v9, v18, v19
	s_waitcnt lgkmcnt(1)
	v_add3_u32 v9, v9, v20, v21
	s_waitcnt lgkmcnt(0)
	s_delay_alu instid0(VALU_DEP_1) | instskip(NEXT) | instid1(VALU_DEP_1)
	v_add3_u32 v9, v9, v22, v23
	v_mov_b32_dpp v17, v9 row_shr:1 row_mask:0xf bank_mask:0xf
	s_delay_alu instid0(VALU_DEP_1) | instskip(SKIP_1) | instid1(VALU_DEP_2)
	v_cndmask_b32_e32 v17, 0, v17, vcc_lo
	v_cmp_lt_u32_e32 vcc_lo, 1, v13
	v_add_nc_u32_e32 v9, v17, v9
	s_delay_alu instid0(VALU_DEP_1) | instskip(NEXT) | instid1(VALU_DEP_1)
	v_mov_b32_dpp v17, v9 row_shr:2 row_mask:0xf bank_mask:0xf
	v_cndmask_b32_e32 v17, 0, v17, vcc_lo
	v_cmp_lt_u32_e32 vcc_lo, 3, v13
	s_delay_alu instid0(VALU_DEP_2) | instskip(NEXT) | instid1(VALU_DEP_1)
	v_add_nc_u32_e32 v9, v9, v17
	v_mov_b32_dpp v17, v9 row_shr:4 row_mask:0xf bank_mask:0xf
	s_delay_alu instid0(VALU_DEP_1) | instskip(SKIP_1) | instid1(VALU_DEP_2)
	v_cndmask_b32_e32 v17, 0, v17, vcc_lo
	v_cmp_lt_u32_e32 vcc_lo, 7, v13
	v_add_nc_u32_e32 v9, v9, v17
	s_delay_alu instid0(VALU_DEP_1) | instskip(NEXT) | instid1(VALU_DEP_1)
	v_mov_b32_dpp v17, v9 row_shr:8 row_mask:0xf bank_mask:0xf
	v_cndmask_b32_e32 v17, 0, v17, vcc_lo
	v_cmp_gt_i32_e32 vcc_lo, 0, v15
	s_delay_alu instid0(VALU_DEP_2) | instskip(SKIP_4) | instid1(VALU_DEP_1)
	v_dual_cndmask_b32 v18, v15, v10 :: v_dual_add_nc_u32 v9, v9, v17
	ds_swizzle_b32 v17, v9 offset:swizzle(BROADCAST,32,15)
	v_lshlrev_b32_e32 v18, 2, v18
	s_waitcnt lgkmcnt(0)
	v_and_b32_e32 v17, v14, v17
	v_add_nc_u32_e32 v9, v9, v17
	ds_bpermute_b32 v9, v18, v9
	s_waitcnt lgkmcnt(0)
	v_add_nc_u32_e32 v9, v9, v16
	s_delay_alu instid0(VALU_DEP_1)
	v_cndmask_b32_e64 v9, v9, v2, s3
	ds_store_b32 v0, v9
	; wave barrier
	ds_load_2addr_b32 v[16:17], v0 offset0:1 offset1:2
	ds_load_2addr_b32 v[18:19], v0 offset0:3 offset1:4
	ds_load_2addr_b32 v[20:21], v0 offset0:5 offset1:6
	ds_load_b32 v22, v0 offset:28
	s_waitcnt lgkmcnt(3)
	v_add_nc_u32_e32 v9, v16, v9
	s_delay_alu instid0(VALU_DEP_1) | instskip(SKIP_1) | instid1(VALU_DEP_1)
	v_add_nc_u32_e32 v16, v17, v9
	s_waitcnt lgkmcnt(2)
	v_add_nc_u32_e32 v17, v18, v16
	s_delay_alu instid0(VALU_DEP_1) | instskip(SKIP_1) | instid1(VALU_DEP_1)
	v_add_nc_u32_e32 v18, v19, v17
	;; [unrolled: 4-line block ×3, first 2 shown]
	s_waitcnt lgkmcnt(0)
	v_add_nc_u32_e32 v21, v22, v20
	ds_store_2addr_b32 v0, v9, v16 offset0:1 offset1:2
	ds_store_2addr_b32 v0, v17, v18 offset0:3 offset1:4
	ds_store_2addr_b32 v0, v19, v20 offset0:5 offset1:6
	ds_store_b32 v0, v21 offset:28
.LBB164_52:                             ;   in Loop: Header=BB164_48 Depth=1
	s_or_b32 exec_lo, exec_lo, s25
	v_mov_b32_e32 v9, 0
	s_waitcnt lgkmcnt(0)
	s_barrier
	buffer_gl0_inv
	s_and_saveexec_b32 s25, s2
	s_cbranch_execz .LBB164_54
; %bb.53:                               ;   in Loop: Header=BB164_48 Depth=1
	ds_load_b32 v9, v12
.LBB164_54:                             ;   in Loop: Header=BB164_48 Depth=1
	s_or_b32 exec_lo, exec_lo, s25
	ds_load_b32 v16, v5 offset:1048
	s_mov_b32 s25, exec_lo
	s_waitcnt lgkmcnt(0)
	s_barrier
	buffer_gl0_inv
	v_cmpx_ne_u32_e32 0, v2
	s_cbranch_execz .LBB164_56
; %bb.55:                               ;   in Loop: Header=BB164_48 Depth=1
	v_add_nc_u32_e32 v23, v9, v3
	s_delay_alu instid0(VALU_DEP_1) | instskip(NEXT) | instid1(VALU_DEP_1)
	v_mad_u64_u32 v[17:18], null, v23, s14, 0
	v_mov_b32_e32 v2, v18
	v_mad_u64_u32 v[19:20], null, v23, s18, 0
	s_delay_alu instid0(VALU_DEP_1) | instskip(NEXT) | instid1(VALU_DEP_3)
	v_mov_b32_e32 v9, v20
	v_mad_u64_u32 v[20:21], null, v23, s15, v[2:3]
	s_delay_alu instid0(VALU_DEP_2) | instskip(NEXT) | instid1(VALU_DEP_2)
	v_mad_u64_u32 v[21:22], null, v23, s19, v[9:10]
	v_mov_b32_e32 v18, v20
	s_delay_alu instid0(VALU_DEP_2) | instskip(NEXT) | instid1(VALU_DEP_2)
	v_mov_b32_e32 v20, v21
	v_lshlrev_b64 v[17:18], 3, v[17:18]
	s_delay_alu instid0(VALU_DEP_2) | instskip(NEXT) | instid1(VALU_DEP_2)
	v_lshlrev_b64 v[19:20], 3, v[19:20]
	v_add_co_u32 v17, vcc_lo, s21, v17
	s_delay_alu instid0(VALU_DEP_3) | instskip(NEXT) | instid1(VALU_DEP_3)
	v_add_co_ci_u32_e32 v18, vcc_lo, s22, v18, vcc_lo
	v_add_co_u32 v19, vcc_lo, s23, v19
	s_delay_alu instid0(VALU_DEP_4)
	v_add_co_ci_u32_e32 v20, vcc_lo, s24, v20, vcc_lo
	global_store_b64 v[17:18], v[6:7], off
	global_store_b64 v[19:20], v[4:5], off
.LBB164_56:                             ;   in Loop: Header=BB164_48 Depth=1
	s_or_b32 exec_lo, exec_lo, s25
	v_mov_b32_e32 v2, v5
	s_delay_alu instid0(VALU_DEP_1)
	v_cmp_le_u64_e32 vcc_lo, s[6:7], v[1:2]
	s_cbranch_vccnz .LBB164_47
; %bb.57:                               ;   in Loop: Header=BB164_48 Depth=1
	ds_store_b32 v11, v8
	s_waitcnt lgkmcnt(0)
	s_waitcnt_vscnt null, 0x0
	s_barrier
	buffer_gl0_inv
	s_and_saveexec_b32 s25, s0
	s_cbranch_execz .LBB164_59
; %bb.58:                               ;   in Loop: Header=BB164_48 Depth=1
	ds_load_2addr_b32 v[17:18], v0 offset1:1
	ds_load_2addr_b32 v[19:20], v0 offset0:2 offset1:3
	ds_load_2addr_b32 v[21:22], v0 offset0:4 offset1:5
	;; [unrolled: 1-line block ×3, first 2 shown]
	v_cmp_ne_u32_e32 vcc_lo, 0, v13
	; wave barrier
	s_waitcnt lgkmcnt(3)
	v_add_nc_u32_e32 v2, v18, v17
	s_waitcnt lgkmcnt(2)
	s_delay_alu instid0(VALU_DEP_1) | instskip(SKIP_1) | instid1(VALU_DEP_1)
	v_add3_u32 v2, v2, v19, v20
	s_waitcnt lgkmcnt(1)
	v_add3_u32 v2, v2, v21, v22
	s_waitcnt lgkmcnt(0)
	s_delay_alu instid0(VALU_DEP_1) | instskip(NEXT) | instid1(VALU_DEP_1)
	v_add3_u32 v2, v2, v23, v24
	v_mov_b32_dpp v9, v2 row_shr:1 row_mask:0xf bank_mask:0xf
	s_delay_alu instid0(VALU_DEP_1) | instskip(SKIP_1) | instid1(VALU_DEP_2)
	v_cndmask_b32_e32 v9, 0, v9, vcc_lo
	v_cmp_lt_u32_e32 vcc_lo, 1, v13
	v_add_nc_u32_e32 v2, v9, v2
	s_delay_alu instid0(VALU_DEP_1) | instskip(NEXT) | instid1(VALU_DEP_1)
	v_mov_b32_dpp v9, v2 row_shr:2 row_mask:0xf bank_mask:0xf
	v_cndmask_b32_e32 v9, 0, v9, vcc_lo
	v_cmp_lt_u32_e32 vcc_lo, 3, v13
	s_delay_alu instid0(VALU_DEP_2) | instskip(NEXT) | instid1(VALU_DEP_1)
	v_add_nc_u32_e32 v2, v2, v9
	v_mov_b32_dpp v9, v2 row_shr:4 row_mask:0xf bank_mask:0xf
	s_delay_alu instid0(VALU_DEP_1) | instskip(SKIP_1) | instid1(VALU_DEP_2)
	v_cndmask_b32_e32 v9, 0, v9, vcc_lo
	v_cmp_lt_u32_e32 vcc_lo, 7, v13
	v_add_nc_u32_e32 v2, v2, v9
	s_delay_alu instid0(VALU_DEP_1) | instskip(NEXT) | instid1(VALU_DEP_1)
	v_mov_b32_dpp v9, v2 row_shr:8 row_mask:0xf bank_mask:0xf
	v_cndmask_b32_e32 v9, 0, v9, vcc_lo
	v_cmp_gt_i32_e32 vcc_lo, 0, v15
	s_delay_alu instid0(VALU_DEP_2)
	v_add_nc_u32_e32 v2, v2, v9
	v_cndmask_b32_e32 v18, v15, v10, vcc_lo
	ds_swizzle_b32 v9, v2 offset:swizzle(BROADCAST,32,15)
	v_lshlrev_b32_e32 v18, 2, v18
	s_waitcnt lgkmcnt(0)
	v_and_b32_e32 v9, v14, v9
	s_delay_alu instid0(VALU_DEP_1) | instskip(SKIP_3) | instid1(VALU_DEP_1)
	v_add_nc_u32_e32 v2, v2, v9
	ds_bpermute_b32 v2, v18, v2
	s_waitcnt lgkmcnt(0)
	v_add_nc_u32_e32 v2, v2, v17
	v_cndmask_b32_e64 v2, v2, v8, s3
	ds_store_b32 v0, v2
	; wave barrier
	ds_load_2addr_b32 v[17:18], v0 offset0:1 offset1:2
	ds_load_2addr_b32 v[19:20], v0 offset0:3 offset1:4
	;; [unrolled: 1-line block ×3, first 2 shown]
	ds_load_b32 v9, v0 offset:28
	s_waitcnt lgkmcnt(3)
	v_add_nc_u32_e32 v2, v17, v2
	s_delay_alu instid0(VALU_DEP_1) | instskip(SKIP_1) | instid1(VALU_DEP_1)
	v_add_nc_u32_e32 v17, v18, v2
	s_waitcnt lgkmcnt(2)
	v_add_nc_u32_e32 v18, v19, v17
	s_delay_alu instid0(VALU_DEP_1) | instskip(SKIP_1) | instid1(VALU_DEP_1)
	v_add_nc_u32_e32 v19, v20, v18
	;; [unrolled: 4-line block ×3, first 2 shown]
	s_waitcnt lgkmcnt(0)
	v_add_nc_u32_e32 v9, v9, v21
	ds_store_2addr_b32 v0, v2, v17 offset0:1 offset1:2
	ds_store_2addr_b32 v0, v18, v19 offset0:3 offset1:4
	;; [unrolled: 1-line block ×3, first 2 shown]
	ds_store_b32 v0, v9 offset:28
.LBB164_59:                             ;   in Loop: Header=BB164_48 Depth=1
	s_or_b32 exec_lo, exec_lo, s25
	v_mov_b32_e32 v9, 0
	s_waitcnt lgkmcnt(0)
	s_barrier
	buffer_gl0_inv
	s_and_saveexec_b32 s25, s2
	s_cbranch_execz .LBB164_61
; %bb.60:                               ;   in Loop: Header=BB164_48 Depth=1
	ds_load_b32 v9, v12
.LBB164_61:                             ;   in Loop: Header=BB164_48 Depth=1
	s_or_b32 exec_lo, exec_lo, s25
	ds_load_b32 v2, v5 offset:1048
	s_mov_b32 s25, exec_lo
	s_waitcnt lgkmcnt(0)
	s_barrier
	buffer_gl0_inv
	v_cmpx_ne_u32_e32 0, v8
	s_cbranch_execz .LBB164_46
; %bb.62:                               ;   in Loop: Header=BB164_48 Depth=1
	v_add_nc_u32_e32 v8, v9, v1
	v_mov_b32_e32 v9, v5
	s_delay_alu instid0(VALU_DEP_1)
	v_cmp_gt_u64_e32 vcc_lo, s[6:7], v[8:9]
	s_and_b32 exec_lo, exec_lo, vcc_lo
	s_cbranch_execz .LBB164_46
; %bb.63:                               ;   in Loop: Header=BB164_48 Depth=1
	v_mad_u64_u32 v[17:18], null, v8, s14, 0
	v_mad_u64_u32 v[19:20], null, v8, s18, 0
	s_delay_alu instid0(VALU_DEP_1) | instskip(NEXT) | instid1(VALU_DEP_1)
	v_dual_mov_b32 v9, v18 :: v_dual_mov_b32 v18, v20
	v_mad_u64_u32 v[20:21], null, v8, s15, v[9:10]
	s_delay_alu instid0(VALU_DEP_2) | instskip(NEXT) | instid1(VALU_DEP_2)
	v_mad_u64_u32 v[21:22], null, v8, s19, v[18:19]
	v_mov_b32_e32 v18, v20
	s_delay_alu instid0(VALU_DEP_2) | instskip(NEXT) | instid1(VALU_DEP_2)
	v_mov_b32_e32 v20, v21
	v_lshlrev_b64 v[8:9], 3, v[17:18]
	s_delay_alu instid0(VALU_DEP_2) | instskip(NEXT) | instid1(VALU_DEP_2)
	v_lshlrev_b64 v[17:18], 3, v[19:20]
	v_add_co_u32 v8, vcc_lo, s21, v8
	s_delay_alu instid0(VALU_DEP_3) | instskip(NEXT) | instid1(VALU_DEP_3)
	v_add_co_ci_u32_e32 v9, vcc_lo, s22, v9, vcc_lo
	v_add_co_u32 v17, vcc_lo, s23, v17
	s_delay_alu instid0(VALU_DEP_4)
	v_add_co_ci_u32_e32 v18, vcc_lo, s24, v18, vcc_lo
	global_store_b64 v[8:9], v[6:7], off
	global_store_b64 v[17:18], v[4:5], off
	s_branch .LBB164_46
	.p2align	6
.LBB164_64:                             ;   in Loop: Header=BB164_65 Depth=1
	s_add_u32 s12, s12, 4
	s_addc_u32 s13, s13, 0
	s_waitcnt lgkmcnt(0)
	s_add_i32 s54, s11, s54
	s_add_u32 s14, s14, 4
	s_addc_u32 s15, s15, 0
	s_add_i32 s10, s10, 1
	s_delay_alu instid0(SALU_CYCLE_1)
	s_cmp_lt_u32 s10, s17
	s_cbranch_scc0 .LBB164_43
.LBB164_65:                             ; =>This Inner Loop Header: Depth=1
	s_load_b32 s11, s[12:13], 0x0
	s_cmp_ge_u32 s10, s52
	s_cbranch_scc1 .LBB164_64
; %bb.66:                               ;   in Loop: Header=BB164_65 Depth=1
	s_load_b32 s46, s[14:15], 0x0
	s_waitcnt lgkmcnt(0)
	s_add_i32 s21, s11, s21
	s_add_i32 s20, s46, s20
	s_branch .LBB164_64
.LBB164_67:
	s_nop 0
	s_sendmsg sendmsg(MSG_DEALLOC_VGPRS)
	s_endpgm
	.section	.rodata,"a",@progbits
	.p2align	6, 0x0
	.amdhsa_kernel _ZN2at6native6mbtopk10gatherTopKIlmLin1EEEvNS_4cuda6detail10TensorInfoIKT_T0_EES8_S8_bjS8_NS5_IS6_S8_EES8_NS5_IlS8_EES8_jjPS6_PjSD_j
		.amdhsa_group_segment_fixed_size 1068
		.amdhsa_private_segment_fixed_size 0
		.amdhsa_kernarg_size 1592
		.amdhsa_user_sgpr_count 13
		.amdhsa_user_sgpr_dispatch_ptr 0
		.amdhsa_user_sgpr_queue_ptr 0
		.amdhsa_user_sgpr_kernarg_segment_ptr 1
		.amdhsa_user_sgpr_dispatch_id 0
		.amdhsa_user_sgpr_private_segment_size 0
		.amdhsa_wavefront_size32 1
		.amdhsa_uses_dynamic_stack 0
		.amdhsa_enable_private_segment 0
		.amdhsa_system_sgpr_workgroup_id_x 1
		.amdhsa_system_sgpr_workgroup_id_y 1
		.amdhsa_system_sgpr_workgroup_id_z 1
		.amdhsa_system_sgpr_workgroup_info 0
		.amdhsa_system_vgpr_workitem_id 0
		.amdhsa_next_free_vgpr 25
		.amdhsa_next_free_sgpr 58
		.amdhsa_reserve_vcc 1
		.amdhsa_float_round_mode_32 0
		.amdhsa_float_round_mode_16_64 0
		.amdhsa_float_denorm_mode_32 3
		.amdhsa_float_denorm_mode_16_64 3
		.amdhsa_dx10_clamp 1
		.amdhsa_ieee_mode 1
		.amdhsa_fp16_overflow 0
		.amdhsa_workgroup_processor_mode 1
		.amdhsa_memory_ordered 1
		.amdhsa_forward_progress 0
		.amdhsa_shared_vgpr_count 0
		.amdhsa_exception_fp_ieee_invalid_op 0
		.amdhsa_exception_fp_denorm_src 0
		.amdhsa_exception_fp_ieee_div_zero 0
		.amdhsa_exception_fp_ieee_overflow 0
		.amdhsa_exception_fp_ieee_underflow 0
		.amdhsa_exception_fp_ieee_inexact 0
		.amdhsa_exception_int_div_zero 0
	.end_amdhsa_kernel
	.section	.text._ZN2at6native6mbtopk10gatherTopKIlmLin1EEEvNS_4cuda6detail10TensorInfoIKT_T0_EES8_S8_bjS8_NS5_IS6_S8_EES8_NS5_IlS8_EES8_jjPS6_PjSD_j,"axG",@progbits,_ZN2at6native6mbtopk10gatherTopKIlmLin1EEEvNS_4cuda6detail10TensorInfoIKT_T0_EES8_S8_bjS8_NS5_IS6_S8_EES8_NS5_IlS8_EES8_jjPS6_PjSD_j,comdat
.Lfunc_end164:
	.size	_ZN2at6native6mbtopk10gatherTopKIlmLin1EEEvNS_4cuda6detail10TensorInfoIKT_T0_EES8_S8_bjS8_NS5_IS6_S8_EES8_NS5_IlS8_EES8_jjPS6_PjSD_j, .Lfunc_end164-_ZN2at6native6mbtopk10gatherTopKIlmLin1EEEvNS_4cuda6detail10TensorInfoIKT_T0_EES8_S8_bjS8_NS5_IS6_S8_EES8_NS5_IlS8_EES8_jjPS6_PjSD_j
                                        ; -- End function
	.section	.AMDGPU.csdata,"",@progbits
; Kernel info:
; codeLenInByte = 5412
; NumSgprs: 60
; NumVgprs: 25
; ScratchSize: 0
; MemoryBound: 0
; FloatMode: 240
; IeeeMode: 1
; LDSByteSize: 1068 bytes/workgroup (compile time only)
; SGPRBlocks: 7
; VGPRBlocks: 3
; NumSGPRsForWavesPerEU: 60
; NumVGPRsForWavesPerEU: 25
; Occupancy: 16
; WaveLimiterHint : 1
; COMPUTE_PGM_RSRC2:SCRATCH_EN: 0
; COMPUTE_PGM_RSRC2:USER_SGPR: 13
; COMPUTE_PGM_RSRC2:TRAP_HANDLER: 0
; COMPUTE_PGM_RSRC2:TGID_X_EN: 1
; COMPUTE_PGM_RSRC2:TGID_Y_EN: 1
; COMPUTE_PGM_RSRC2:TGID_Z_EN: 1
; COMPUTE_PGM_RSRC2:TIDIG_COMP_CNT: 0
	.section	.text._ZN2at6native6sbtopk10gatherTopKIlmLin1ELb0EEEvNS_4cuda6detail10TensorInfoIKT_T0_EES8_S8_bS8_S8_NS5_IS6_S8_EES8_NS5_IlS8_EES8_PS6_,"axG",@progbits,_ZN2at6native6sbtopk10gatherTopKIlmLin1ELb0EEEvNS_4cuda6detail10TensorInfoIKT_T0_EES8_S8_bS8_S8_NS5_IS6_S8_EES8_NS5_IlS8_EES8_PS6_,comdat
	.protected	_ZN2at6native6sbtopk10gatherTopKIlmLin1ELb0EEEvNS_4cuda6detail10TensorInfoIKT_T0_EES8_S8_bS8_S8_NS5_IS6_S8_EES8_NS5_IlS8_EES8_PS6_ ; -- Begin function _ZN2at6native6sbtopk10gatherTopKIlmLin1ELb0EEEvNS_4cuda6detail10TensorInfoIKT_T0_EES8_S8_bS8_S8_NS5_IS6_S8_EES8_NS5_IlS8_EES8_PS6_
	.globl	_ZN2at6native6sbtopk10gatherTopKIlmLin1ELb0EEEvNS_4cuda6detail10TensorInfoIKT_T0_EES8_S8_bS8_S8_NS5_IS6_S8_EES8_NS5_IlS8_EES8_PS6_
	.p2align	8
	.type	_ZN2at6native6sbtopk10gatherTopKIlmLin1ELb0EEEvNS_4cuda6detail10TensorInfoIKT_T0_EES8_S8_bS8_S8_NS5_IS6_S8_EES8_NS5_IlS8_EES8_PS6_,@function
_ZN2at6native6sbtopk10gatherTopKIlmLin1ELb0EEEvNS_4cuda6detail10TensorInfoIKT_T0_EES8_S8_bS8_S8_NS5_IS6_S8_EES8_NS5_IlS8_EES8_PS6_: ; @_ZN2at6native6sbtopk10gatherTopKIlmLin1ELb0EEEvNS_4cuda6detail10TensorInfoIKT_T0_EES8_S8_bS8_S8_NS5_IS6_S8_EES8_NS5_IlS8_EES8_PS6_
; %bb.0:
	s_clause 0x1
	s_load_b64 s[10:11], s[0:1], 0x520
	s_load_b128 s[28:31], s[0:1], 0x1b8
	s_add_u32 s8, s0, 0x520
	s_addc_u32 s9, s1, 0
	s_mov_b32 s5, 0
	s_waitcnt lgkmcnt(0)
	s_mul_i32 s2, s11, s15
	s_delay_alu instid0(SALU_CYCLE_1) | instskip(NEXT) | instid1(SALU_CYCLE_1)
	s_add_i32 s2, s2, s14
	s_mul_i32 s2, s2, s10
	s_delay_alu instid0(SALU_CYCLE_1) | instskip(NEXT) | instid1(SALU_CYCLE_1)
	s_add_i32 s4, s2, s13
	v_cmp_ge_u64_e64 s2, s[4:5], s[28:29]
	s_delay_alu instid0(VALU_DEP_1)
	s_and_b32 vcc_lo, exec_lo, s2
	s_cbranch_vccnz .LBB165_563
; %bb.1:
	s_load_b32 s11, s[0:1], 0x198
	s_mov_b64 s[2:3], 0
	s_mov_b64 s[6:7], s[4:5]
	s_waitcnt lgkmcnt(0)
	s_cmp_lt_i32 s11, 2
	s_cbranch_scc1 .LBB165_9
; %bb.2:
	s_mov_b32 s14, 0
	s_add_i32 s2, s11, -1
	s_mov_b32 s3, s14
	s_add_i32 s11, s11, 1
	s_lshl_b64 s[6:7], s[2:3], 3
	s_mov_b64 s[2:3], 0
	s_add_u32 s6, s6, s0
	s_addc_u32 s7, s7, s1
	s_add_u32 s16, s6, 8
	s_addc_u32 s17, s7, 0
	s_mov_b64 s[18:19], s[4:5]
.LBB165_3:                              ; =>This Inner Loop Header: Depth=1
	s_load_b64 s[20:21], s[16:17], 0x0
	s_mov_b32 s12, -1
	s_waitcnt lgkmcnt(0)
	s_or_b64 s[6:7], s[18:19], s[20:21]
	s_delay_alu instid0(SALU_CYCLE_1) | instskip(NEXT) | instid1(SALU_CYCLE_1)
	s_mov_b32 s15, s7
                                        ; implicit-def: $sgpr6_sgpr7
	s_cmp_lg_u64 s[14:15], 0
	s_cbranch_scc0 .LBB165_5
; %bb.4:                                ;   in Loop: Header=BB165_3 Depth=1
	v_cvt_f32_u32_e32 v1, s20
	v_cvt_f32_u32_e32 v2, s21
	s_sub_u32 s12, 0, s20
	s_subb_u32 s15, 0, s21
	s_waitcnt_depctr 0xfff
	v_fmac_f32_e32 v1, 0x4f800000, v2
	s_delay_alu instid0(VALU_DEP_1) | instskip(SKIP_2) | instid1(VALU_DEP_1)
	v_rcp_f32_e32 v1, v1
	s_waitcnt_depctr 0xfff
	v_mul_f32_e32 v1, 0x5f7ffffc, v1
	v_mul_f32_e32 v2, 0x2f800000, v1
	s_delay_alu instid0(VALU_DEP_1) | instskip(NEXT) | instid1(VALU_DEP_1)
	v_trunc_f32_e32 v2, v2
	v_fmac_f32_e32 v1, 0xcf800000, v2
	v_cvt_u32_f32_e32 v2, v2
	s_delay_alu instid0(VALU_DEP_2) | instskip(NEXT) | instid1(VALU_DEP_2)
	v_cvt_u32_f32_e32 v1, v1
	v_readfirstlane_b32 s6, v2
	s_delay_alu instid0(VALU_DEP_2) | instskip(NEXT) | instid1(VALU_DEP_2)
	v_readfirstlane_b32 s7, v1
	s_mul_i32 s22, s12, s6
	s_delay_alu instid0(VALU_DEP_1)
	s_mul_hi_u32 s24, s12, s7
	s_mul_i32 s23, s15, s7
	s_add_i32 s22, s24, s22
	s_mul_i32 s25, s12, s7
	s_add_i32 s22, s22, s23
	s_mul_hi_u32 s24, s7, s25
	s_mul_hi_u32 s26, s6, s25
	s_mul_i32 s23, s6, s25
	s_mul_hi_u32 s25, s7, s22
	s_mul_i32 s7, s7, s22
	s_mul_hi_u32 s27, s6, s22
	s_add_u32 s7, s24, s7
	s_addc_u32 s24, 0, s25
	s_add_u32 s7, s7, s23
	s_mul_i32 s22, s6, s22
	s_addc_u32 s7, s24, s26
	s_addc_u32 s23, s27, 0
	s_add_u32 s7, s7, s22
	s_addc_u32 s22, 0, s23
	v_add_co_u32 v1, s7, v1, s7
	s_delay_alu instid0(VALU_DEP_1) | instskip(SKIP_1) | instid1(VALU_DEP_1)
	s_cmp_lg_u32 s7, 0
	s_addc_u32 s6, s6, s22
	v_readfirstlane_b32 s7, v1
	s_mul_i32 s22, s12, s6
	s_delay_alu instid0(VALU_DEP_1)
	s_mul_hi_u32 s23, s12, s7
	s_mul_i32 s15, s15, s7
	s_add_i32 s22, s23, s22
	s_mul_i32 s12, s12, s7
	s_add_i32 s22, s22, s15
	s_mul_hi_u32 s23, s6, s12
	s_mul_i32 s24, s6, s12
	s_mul_hi_u32 s12, s7, s12
	s_mul_hi_u32 s25, s7, s22
	s_mul_i32 s7, s7, s22
	s_mul_hi_u32 s15, s6, s22
	s_add_u32 s7, s12, s7
	s_addc_u32 s12, 0, s25
	s_add_u32 s7, s7, s24
	s_mul_i32 s22, s6, s22
	s_addc_u32 s7, s12, s23
	s_addc_u32 s12, s15, 0
	s_add_u32 s7, s7, s22
	s_addc_u32 s12, 0, s12
	v_add_co_u32 v1, s7, v1, s7
	s_delay_alu instid0(VALU_DEP_1) | instskip(SKIP_1) | instid1(VALU_DEP_1)
	s_cmp_lg_u32 s7, 0
	s_addc_u32 s6, s6, s12
	v_readfirstlane_b32 s7, v1
	s_mul_i32 s15, s18, s6
	s_mul_hi_u32 s12, s18, s6
	s_mul_hi_u32 s22, s19, s6
	s_mul_i32 s6, s19, s6
	s_mul_hi_u32 s23, s18, s7
	s_mul_hi_u32 s24, s19, s7
	s_mul_i32 s7, s19, s7
	s_add_u32 s15, s23, s15
	s_addc_u32 s12, 0, s12
	s_add_u32 s7, s15, s7
	s_addc_u32 s7, s12, s24
	s_addc_u32 s12, s22, 0
	s_add_u32 s6, s7, s6
	s_addc_u32 s7, 0, s12
	s_mul_hi_u32 s12, s20, s6
	s_mul_i32 s22, s20, s7
	s_mul_i32 s23, s20, s6
	s_add_i32 s12, s12, s22
	v_sub_co_u32 v1, s22, s18, s23
	s_mul_i32 s15, s21, s6
	s_delay_alu instid0(SALU_CYCLE_1) | instskip(NEXT) | instid1(VALU_DEP_1)
	s_add_i32 s12, s12, s15
	v_sub_co_u32 v2, s23, v1, s20
	s_sub_i32 s15, s19, s12
	s_cmp_lg_u32 s22, 0
	s_subb_u32 s15, s15, s21
	s_cmp_lg_u32 s23, 0
	v_readfirstlane_b32 s23, v2
	s_subb_u32 s15, s15, 0
	s_delay_alu instid0(SALU_CYCLE_1) | instskip(SKIP_1) | instid1(VALU_DEP_1)
	s_cmp_ge_u32 s15, s21
	s_cselect_b32 s24, -1, 0
	s_cmp_ge_u32 s23, s20
	s_cselect_b32 s23, -1, 0
	s_cmp_eq_u32 s15, s21
	s_cselect_b32 s15, s23, s24
	s_add_u32 s23, s6, 1
	s_addc_u32 s24, s7, 0
	s_add_u32 s25, s6, 2
	s_addc_u32 s26, s7, 0
	s_cmp_lg_u32 s15, 0
	s_cselect_b32 s15, s25, s23
	s_cselect_b32 s23, s26, s24
	s_cmp_lg_u32 s22, 0
	v_readfirstlane_b32 s22, v1
	s_subb_u32 s12, s19, s12
	s_delay_alu instid0(SALU_CYCLE_1) | instskip(SKIP_1) | instid1(VALU_DEP_1)
	s_cmp_ge_u32 s12, s21
	s_cselect_b32 s24, -1, 0
	s_cmp_ge_u32 s22, s20
	s_cselect_b32 s22, -1, 0
	s_cmp_eq_u32 s12, s21
	s_cselect_b32 s12, s22, s24
	s_delay_alu instid0(SALU_CYCLE_1)
	s_cmp_lg_u32 s12, 0
	s_mov_b32 s12, 0
	s_cselect_b32 s7, s23, s7
	s_cselect_b32 s6, s15, s6
.LBB165_5:                              ;   in Loop: Header=BB165_3 Depth=1
	s_and_not1_b32 vcc_lo, exec_lo, s12
	s_cbranch_vccnz .LBB165_7
; %bb.6:                                ;   in Loop: Header=BB165_3 Depth=1
	v_cvt_f32_u32_e32 v1, s20
	s_sub_i32 s7, 0, s20
	s_waitcnt_depctr 0xfff
	v_rcp_iflag_f32_e32 v1, v1
	s_waitcnt_depctr 0xfff
	v_mul_f32_e32 v1, 0x4f7ffffe, v1
	s_delay_alu instid0(VALU_DEP_1) | instskip(NEXT) | instid1(VALU_DEP_1)
	v_cvt_u32_f32_e32 v1, v1
	v_readfirstlane_b32 s6, v1
	s_delay_alu instid0(VALU_DEP_1) | instskip(NEXT) | instid1(SALU_CYCLE_1)
	s_mul_i32 s7, s7, s6
	s_mul_hi_u32 s7, s6, s7
	s_delay_alu instid0(SALU_CYCLE_1) | instskip(NEXT) | instid1(SALU_CYCLE_1)
	s_add_i32 s6, s6, s7
	s_mul_hi_u32 s6, s18, s6
	s_delay_alu instid0(SALU_CYCLE_1) | instskip(SKIP_2) | instid1(SALU_CYCLE_1)
	s_mul_i32 s7, s6, s20
	s_add_i32 s12, s6, 1
	s_sub_i32 s7, s18, s7
	s_sub_i32 s15, s7, s20
	s_cmp_ge_u32 s7, s20
	s_cselect_b32 s6, s12, s6
	s_cselect_b32 s7, s15, s7
	s_add_i32 s12, s6, 1
	s_cmp_ge_u32 s7, s20
	s_mov_b32 s7, s14
	s_cselect_b32 s6, s12, s6
.LBB165_7:                              ;   in Loop: Header=BB165_3 Depth=1
	s_load_b64 s[22:23], s[16:17], 0xc8
	s_mul_i32 s12, s6, s21
	s_mul_hi_u32 s15, s6, s20
	s_mul_i32 s21, s7, s20
	s_add_i32 s12, s15, s12
	s_mul_i32 s15, s6, s20
	s_add_i32 s12, s12, s21
	s_sub_u32 s15, s18, s15
	s_subb_u32 s12, s19, s12
	s_waitcnt lgkmcnt(0)
	s_mul_i32 s12, s22, s12
	s_mul_hi_u32 s18, s22, s15
	s_mul_i32 s19, s23, s15
	s_add_i32 s12, s18, s12
	s_mul_i32 s15, s22, s15
	s_add_i32 s12, s12, s19
	s_add_u32 s2, s15, s2
	s_addc_u32 s3, s12, s3
	s_add_i32 s11, s11, -1
	s_add_u32 s16, s16, -8
	s_addc_u32 s17, s17, -1
	s_cmp_gt_u32 s11, 2
	s_cbranch_scc0 .LBB165_9
; %bb.8:                                ;   in Loop: Header=BB165_3 Depth=1
	s_mov_b64 s[18:19], s[6:7]
	s_branch .LBB165_3
.LBB165_9:
	s_clause 0x1
	s_load_b32 s11, s[0:1], 0x360
	s_load_b64 s[14:15], s[0:1], 0xd0
	s_add_u32 s16, s0, 0x1c8
	s_addc_u32 s17, s1, 0
	s_mov_b64 s[28:29], 0
	s_mov_b64 s[40:41], s[4:5]
	s_waitcnt lgkmcnt(0)
	s_cmp_lt_i32 s11, 2
	s_cbranch_scc1 .LBB165_17
; %bb.10:
	s_mov_b32 s18, 0
	s_add_i32 s20, s11, -1
	s_mov_b32 s21, s18
	s_add_i32 s11, s11, 1
	s_lshl_b64 s[20:21], s[20:21], 3
	s_mov_b64 s[22:23], s[4:5]
	s_add_u32 s12, s20, s16
	s_addc_u32 s19, s21, s17
	s_add_u32 s20, s12, 8
	s_addc_u32 s21, s19, 0
.LBB165_11:                             ; =>This Inner Loop Header: Depth=1
	s_load_b64 s[24:25], s[20:21], 0x0
	s_mov_b32 s12, -1
                                        ; implicit-def: $sgpr40_sgpr41
	s_waitcnt lgkmcnt(0)
	s_or_b64 s[26:27], s[22:23], s[24:25]
	s_delay_alu instid0(SALU_CYCLE_1) | instskip(NEXT) | instid1(SALU_CYCLE_1)
	s_mov_b32 s19, s27
	s_cmp_lg_u64 s[18:19], 0
	s_cbranch_scc0 .LBB165_13
; %bb.12:                               ;   in Loop: Header=BB165_11 Depth=1
	v_cvt_f32_u32_e32 v1, s24
	v_cvt_f32_u32_e32 v2, s25
	s_sub_u32 s26, 0, s24
	s_subb_u32 s27, 0, s25
	s_waitcnt_depctr 0xfff
	v_fmac_f32_e32 v1, 0x4f800000, v2
	s_delay_alu instid0(VALU_DEP_1) | instskip(SKIP_2) | instid1(VALU_DEP_1)
	v_rcp_f32_e32 v1, v1
	s_waitcnt_depctr 0xfff
	v_mul_f32_e32 v1, 0x5f7ffffc, v1
	v_mul_f32_e32 v2, 0x2f800000, v1
	s_delay_alu instid0(VALU_DEP_1) | instskip(NEXT) | instid1(VALU_DEP_1)
	v_trunc_f32_e32 v2, v2
	v_fmac_f32_e32 v1, 0xcf800000, v2
	v_cvt_u32_f32_e32 v2, v2
	s_delay_alu instid0(VALU_DEP_2) | instskip(NEXT) | instid1(VALU_DEP_2)
	v_cvt_u32_f32_e32 v1, v1
	v_readfirstlane_b32 s12, v2
	s_delay_alu instid0(VALU_DEP_2) | instskip(NEXT) | instid1(VALU_DEP_2)
	v_readfirstlane_b32 s19, v1
	s_mul_i32 s33, s26, s12
	s_delay_alu instid0(VALU_DEP_1)
	s_mul_hi_u32 s35, s26, s19
	s_mul_i32 s34, s27, s19
	s_add_i32 s33, s35, s33
	s_mul_i32 s36, s26, s19
	s_add_i32 s33, s33, s34
	s_mul_hi_u32 s35, s19, s36
	s_mul_hi_u32 s37, s12, s36
	s_mul_i32 s34, s12, s36
	s_mul_hi_u32 s36, s19, s33
	s_mul_i32 s19, s19, s33
	s_mul_hi_u32 s38, s12, s33
	s_add_u32 s19, s35, s19
	s_addc_u32 s35, 0, s36
	s_add_u32 s19, s19, s34
	s_mul_i32 s33, s12, s33
	s_addc_u32 s19, s35, s37
	s_addc_u32 s34, s38, 0
	s_add_u32 s19, s19, s33
	s_addc_u32 s33, 0, s34
	v_add_co_u32 v1, s19, v1, s19
	s_delay_alu instid0(VALU_DEP_1) | instskip(SKIP_1) | instid1(VALU_DEP_1)
	s_cmp_lg_u32 s19, 0
	s_addc_u32 s12, s12, s33
	v_readfirstlane_b32 s19, v1
	s_mul_i32 s33, s26, s12
	s_delay_alu instid0(VALU_DEP_1)
	s_mul_hi_u32 s34, s26, s19
	s_mul_i32 s27, s27, s19
	s_add_i32 s33, s34, s33
	s_mul_i32 s26, s26, s19
	s_add_i32 s33, s33, s27
	s_mul_hi_u32 s34, s12, s26
	s_mul_i32 s35, s12, s26
	s_mul_hi_u32 s26, s19, s26
	s_mul_hi_u32 s36, s19, s33
	s_mul_i32 s19, s19, s33
	s_mul_hi_u32 s27, s12, s33
	s_add_u32 s19, s26, s19
	s_addc_u32 s26, 0, s36
	s_add_u32 s19, s19, s35
	s_mul_i32 s33, s12, s33
	s_addc_u32 s19, s26, s34
	s_addc_u32 s26, s27, 0
	s_add_u32 s19, s19, s33
	s_addc_u32 s26, 0, s26
	v_add_co_u32 v1, s19, v1, s19
	s_delay_alu instid0(VALU_DEP_1) | instskip(SKIP_1) | instid1(VALU_DEP_1)
	s_cmp_lg_u32 s19, 0
	s_addc_u32 s12, s12, s26
	v_readfirstlane_b32 s19, v1
	s_mul_i32 s27, s22, s12
	s_mul_hi_u32 s26, s22, s12
	s_mul_hi_u32 s33, s23, s12
	s_mul_i32 s12, s23, s12
	s_mul_hi_u32 s34, s22, s19
	s_mul_hi_u32 s35, s23, s19
	s_mul_i32 s19, s23, s19
	s_add_u32 s27, s34, s27
	s_addc_u32 s26, 0, s26
	s_add_u32 s19, s27, s19
	s_addc_u32 s19, s26, s35
	s_addc_u32 s26, s33, 0
	s_add_u32 s19, s19, s12
	s_addc_u32 s26, 0, s26
	s_mul_hi_u32 s12, s24, s19
	s_mul_i32 s33, s24, s26
	s_mul_i32 s34, s24, s19
	s_add_i32 s12, s12, s33
	v_sub_co_u32 v1, s33, s22, s34
	s_mul_i32 s27, s25, s19
	s_delay_alu instid0(SALU_CYCLE_1) | instskip(NEXT) | instid1(VALU_DEP_1)
	s_add_i32 s12, s12, s27
	v_sub_co_u32 v2, s34, v1, s24
	s_sub_i32 s27, s23, s12
	s_cmp_lg_u32 s33, 0
	s_subb_u32 s27, s27, s25
	s_cmp_lg_u32 s34, 0
	v_readfirstlane_b32 s34, v2
	s_subb_u32 s27, s27, 0
	s_delay_alu instid0(SALU_CYCLE_1) | instskip(SKIP_1) | instid1(VALU_DEP_1)
	s_cmp_ge_u32 s27, s25
	s_cselect_b32 s35, -1, 0
	s_cmp_ge_u32 s34, s24
	s_cselect_b32 s34, -1, 0
	s_cmp_eq_u32 s27, s25
	s_cselect_b32 s27, s34, s35
	s_add_u32 s34, s19, 1
	s_addc_u32 s35, s26, 0
	s_add_u32 s36, s19, 2
	s_addc_u32 s37, s26, 0
	s_cmp_lg_u32 s27, 0
	s_cselect_b32 s27, s36, s34
	s_cselect_b32 s34, s37, s35
	s_cmp_lg_u32 s33, 0
	v_readfirstlane_b32 s33, v1
	s_subb_u32 s12, s23, s12
	s_delay_alu instid0(SALU_CYCLE_1) | instskip(SKIP_1) | instid1(VALU_DEP_1)
	s_cmp_ge_u32 s12, s25
	s_cselect_b32 s35, -1, 0
	s_cmp_ge_u32 s33, s24
	s_cselect_b32 s33, -1, 0
	s_cmp_eq_u32 s12, s25
	s_cselect_b32 s12, s33, s35
	s_delay_alu instid0(SALU_CYCLE_1)
	s_cmp_lg_u32 s12, 0
	s_mov_b32 s12, 0
	s_cselect_b32 s41, s34, s26
	s_cselect_b32 s40, s27, s19
.LBB165_13:                             ;   in Loop: Header=BB165_11 Depth=1
	s_and_not1_b32 vcc_lo, exec_lo, s12
	s_cbranch_vccnz .LBB165_15
; %bb.14:                               ;   in Loop: Header=BB165_11 Depth=1
	v_cvt_f32_u32_e32 v1, s24
	s_sub_i32 s19, 0, s24
	s_mov_b32 s41, s18
	s_waitcnt_depctr 0xfff
	v_rcp_iflag_f32_e32 v1, v1
	s_waitcnt_depctr 0xfff
	v_mul_f32_e32 v1, 0x4f7ffffe, v1
	s_delay_alu instid0(VALU_DEP_1) | instskip(NEXT) | instid1(VALU_DEP_1)
	v_cvt_u32_f32_e32 v1, v1
	v_readfirstlane_b32 s12, v1
	s_delay_alu instid0(VALU_DEP_1) | instskip(NEXT) | instid1(SALU_CYCLE_1)
	s_mul_i32 s19, s19, s12
	s_mul_hi_u32 s19, s12, s19
	s_delay_alu instid0(SALU_CYCLE_1) | instskip(NEXT) | instid1(SALU_CYCLE_1)
	s_add_i32 s12, s12, s19
	s_mul_hi_u32 s12, s22, s12
	s_delay_alu instid0(SALU_CYCLE_1) | instskip(SKIP_2) | instid1(SALU_CYCLE_1)
	s_mul_i32 s19, s12, s24
	s_add_i32 s26, s12, 1
	s_sub_i32 s19, s22, s19
	s_sub_i32 s27, s19, s24
	s_cmp_ge_u32 s19, s24
	s_cselect_b32 s12, s26, s12
	s_cselect_b32 s19, s27, s19
	s_add_i32 s26, s12, 1
	s_cmp_ge_u32 s19, s24
	s_cselect_b32 s40, s26, s12
.LBB165_15:                             ;   in Loop: Header=BB165_11 Depth=1
	s_load_b64 s[26:27], s[20:21], 0xc8
	s_mul_i32 s12, s40, s25
	s_mul_hi_u32 s19, s40, s24
	s_mul_i32 s25, s41, s24
	s_add_i32 s12, s19, s12
	s_mul_i32 s19, s40, s24
	s_add_i32 s12, s12, s25
	s_sub_u32 s19, s22, s19
	s_subb_u32 s12, s23, s12
	s_waitcnt lgkmcnt(0)
	s_mul_i32 s12, s26, s12
	s_mul_hi_u32 s22, s26, s19
	s_mul_i32 s23, s27, s19
	s_add_i32 s12, s22, s12
	s_mul_i32 s19, s26, s19
	s_add_i32 s12, s12, s23
	s_add_u32 s28, s19, s28
	s_addc_u32 s29, s12, s29
	s_add_i32 s11, s11, -1
	s_add_u32 s20, s20, -8
	s_addc_u32 s21, s21, -1
	s_cmp_gt_u32 s11, 2
	s_cbranch_scc0 .LBB165_17
; %bb.16:                               ;   in Loop: Header=BB165_11 Depth=1
	s_mov_b64 s[22:23], s[40:41]
	s_branch .LBB165_11
.LBB165_17:
	s_clause 0x1
	s_load_b32 s11, s[0:1], 0x508
	s_load_b64 s[16:17], s[16:17], 0xd0
                                        ; implicit-def: $vgpr57 : SGPR spill to VGPR lane
	s_add_u32 s12, s0, 0x370
	s_mov_b64 s[44:45], 0
	s_waitcnt lgkmcnt(0)
	v_writelane_b32 v57, s16, 0
	v_writelane_b32 v57, s17, 1
	s_addc_u32 s17, s1, 0
	s_cmp_lt_i32 s11, 2
	s_cbranch_scc1 .LBB165_25
; %bb.18:
	s_mov_b32 s16, 0
	s_add_i32 s18, s11, -1
	s_mov_b32 s19, s16
	s_add_i32 s11, s11, 1
	s_lshl_b64 s[18:19], s[18:19], 3
	s_delay_alu instid0(SALU_CYCLE_1)
	s_add_u32 s12, s18, s12
	s_addc_u32 s17, s19, s17
	s_add_u32 s18, s12, 8
	s_addc_u32 s19, s17, 0
.LBB165_19:                             ; =>This Inner Loop Header: Depth=1
	s_load_b64 s[20:21], s[18:19], 0x0
	s_mov_b32 s12, -1
                                        ; implicit-def: $sgpr52_sgpr53
	s_waitcnt lgkmcnt(0)
	s_or_b64 s[22:23], s[4:5], s[20:21]
	s_delay_alu instid0(SALU_CYCLE_1) | instskip(NEXT) | instid1(SALU_CYCLE_1)
	s_mov_b32 s17, s23
	s_cmp_lg_u64 s[16:17], 0
	s_cbranch_scc0 .LBB165_21
; %bb.20:                               ;   in Loop: Header=BB165_19 Depth=1
	v_cvt_f32_u32_e32 v1, s20
	v_cvt_f32_u32_e32 v2, s21
	s_sub_u32 s22, 0, s20
	s_subb_u32 s23, 0, s21
	s_waitcnt_depctr 0xfff
	v_fmac_f32_e32 v1, 0x4f800000, v2
	s_delay_alu instid0(VALU_DEP_1) | instskip(SKIP_2) | instid1(VALU_DEP_1)
	v_rcp_f32_e32 v1, v1
	s_waitcnt_depctr 0xfff
	v_mul_f32_e32 v1, 0x5f7ffffc, v1
	v_mul_f32_e32 v2, 0x2f800000, v1
	s_delay_alu instid0(VALU_DEP_1) | instskip(NEXT) | instid1(VALU_DEP_1)
	v_trunc_f32_e32 v2, v2
	v_fmac_f32_e32 v1, 0xcf800000, v2
	v_cvt_u32_f32_e32 v2, v2
	s_delay_alu instid0(VALU_DEP_2) | instskip(NEXT) | instid1(VALU_DEP_2)
	v_cvt_u32_f32_e32 v1, v1
	v_readfirstlane_b32 s12, v2
	s_delay_alu instid0(VALU_DEP_2) | instskip(NEXT) | instid1(VALU_DEP_2)
	v_readfirstlane_b32 s17, v1
	s_mul_i32 s24, s22, s12
	s_delay_alu instid0(VALU_DEP_1)
	s_mul_hi_u32 s26, s22, s17
	s_mul_i32 s25, s23, s17
	s_add_i32 s24, s26, s24
	s_mul_i32 s27, s22, s17
	s_add_i32 s24, s24, s25
	s_mul_hi_u32 s26, s17, s27
	s_mul_hi_u32 s33, s12, s27
	s_mul_i32 s25, s12, s27
	s_mul_hi_u32 s27, s17, s24
	s_mul_i32 s17, s17, s24
	s_mul_hi_u32 s34, s12, s24
	s_add_u32 s17, s26, s17
	s_addc_u32 s26, 0, s27
	s_add_u32 s17, s17, s25
	s_mul_i32 s24, s12, s24
	s_addc_u32 s17, s26, s33
	s_addc_u32 s25, s34, 0
	s_add_u32 s17, s17, s24
	s_addc_u32 s24, 0, s25
	v_add_co_u32 v1, s17, v1, s17
	s_delay_alu instid0(VALU_DEP_1) | instskip(SKIP_1) | instid1(VALU_DEP_1)
	s_cmp_lg_u32 s17, 0
	s_addc_u32 s12, s12, s24
	v_readfirstlane_b32 s17, v1
	s_mul_i32 s24, s22, s12
	s_delay_alu instid0(VALU_DEP_1)
	s_mul_hi_u32 s25, s22, s17
	s_mul_i32 s23, s23, s17
	s_add_i32 s24, s25, s24
	s_mul_i32 s22, s22, s17
	s_add_i32 s24, s24, s23
	s_mul_hi_u32 s25, s12, s22
	s_mul_i32 s26, s12, s22
	s_mul_hi_u32 s22, s17, s22
	s_mul_hi_u32 s27, s17, s24
	s_mul_i32 s17, s17, s24
	s_mul_hi_u32 s23, s12, s24
	s_add_u32 s17, s22, s17
	s_addc_u32 s22, 0, s27
	s_add_u32 s17, s17, s26
	s_mul_i32 s24, s12, s24
	s_addc_u32 s17, s22, s25
	s_addc_u32 s22, s23, 0
	s_add_u32 s17, s17, s24
	s_addc_u32 s22, 0, s22
	v_add_co_u32 v1, s17, v1, s17
	s_delay_alu instid0(VALU_DEP_1) | instskip(SKIP_1) | instid1(VALU_DEP_1)
	s_cmp_lg_u32 s17, 0
	s_addc_u32 s12, s12, s22
	v_readfirstlane_b32 s17, v1
	s_mul_i32 s23, s4, s12
	s_mul_hi_u32 s22, s4, s12
	s_mul_hi_u32 s24, s5, s12
	s_mul_i32 s12, s5, s12
	s_mul_hi_u32 s25, s4, s17
	s_mul_hi_u32 s26, s5, s17
	s_mul_i32 s17, s5, s17
	s_add_u32 s23, s25, s23
	s_addc_u32 s22, 0, s22
	s_add_u32 s17, s23, s17
	s_addc_u32 s17, s22, s26
	s_addc_u32 s22, s24, 0
	s_add_u32 s17, s17, s12
	s_addc_u32 s22, 0, s22
	s_mul_hi_u32 s12, s20, s17
	s_mul_i32 s24, s20, s22
	s_mul_i32 s25, s20, s17
	s_add_i32 s12, s12, s24
	v_sub_co_u32 v1, s24, s4, s25
	s_mul_i32 s23, s21, s17
	s_delay_alu instid0(SALU_CYCLE_1) | instskip(NEXT) | instid1(VALU_DEP_1)
	s_add_i32 s12, s12, s23
	v_sub_co_u32 v2, s25, v1, s20
	s_sub_i32 s23, s5, s12
	s_cmp_lg_u32 s24, 0
	s_subb_u32 s23, s23, s21
	s_cmp_lg_u32 s25, 0
	v_readfirstlane_b32 s25, v2
	s_subb_u32 s23, s23, 0
	s_delay_alu instid0(SALU_CYCLE_1) | instskip(SKIP_1) | instid1(VALU_DEP_1)
	s_cmp_ge_u32 s23, s21
	s_cselect_b32 s26, -1, 0
	s_cmp_ge_u32 s25, s20
	s_cselect_b32 s25, -1, 0
	s_cmp_eq_u32 s23, s21
	s_cselect_b32 s23, s25, s26
	s_add_u32 s25, s17, 1
	s_addc_u32 s26, s22, 0
	s_add_u32 s27, s17, 2
	s_addc_u32 s33, s22, 0
	s_cmp_lg_u32 s23, 0
	s_cselect_b32 s23, s27, s25
	s_cselect_b32 s25, s33, s26
	s_cmp_lg_u32 s24, 0
	v_readfirstlane_b32 s24, v1
	s_subb_u32 s12, s5, s12
	s_delay_alu instid0(SALU_CYCLE_1) | instskip(SKIP_1) | instid1(VALU_DEP_1)
	s_cmp_ge_u32 s12, s21
	s_cselect_b32 s26, -1, 0
	s_cmp_ge_u32 s24, s20
	s_cselect_b32 s24, -1, 0
	s_cmp_eq_u32 s12, s21
	s_cselect_b32 s12, s24, s26
	s_delay_alu instid0(SALU_CYCLE_1)
	s_cmp_lg_u32 s12, 0
	s_mov_b32 s12, 0
	s_cselect_b32 s53, s25, s22
	s_cselect_b32 s52, s23, s17
.LBB165_21:                             ;   in Loop: Header=BB165_19 Depth=1
	s_and_not1_b32 vcc_lo, exec_lo, s12
	s_cbranch_vccnz .LBB165_23
; %bb.22:                               ;   in Loop: Header=BB165_19 Depth=1
	v_cvt_f32_u32_e32 v1, s20
	s_sub_i32 s17, 0, s20
	s_mov_b32 s53, s16
	s_waitcnt_depctr 0xfff
	v_rcp_iflag_f32_e32 v1, v1
	s_waitcnt_depctr 0xfff
	v_mul_f32_e32 v1, 0x4f7ffffe, v1
	s_delay_alu instid0(VALU_DEP_1) | instskip(NEXT) | instid1(VALU_DEP_1)
	v_cvt_u32_f32_e32 v1, v1
	v_readfirstlane_b32 s12, v1
	s_delay_alu instid0(VALU_DEP_1) | instskip(NEXT) | instid1(SALU_CYCLE_1)
	s_mul_i32 s17, s17, s12
	s_mul_hi_u32 s17, s12, s17
	s_delay_alu instid0(SALU_CYCLE_1) | instskip(NEXT) | instid1(SALU_CYCLE_1)
	s_add_i32 s12, s12, s17
	s_mul_hi_u32 s12, s4, s12
	s_delay_alu instid0(SALU_CYCLE_1) | instskip(SKIP_2) | instid1(SALU_CYCLE_1)
	s_mul_i32 s17, s12, s20
	s_add_i32 s22, s12, 1
	s_sub_i32 s17, s4, s17
	s_sub_i32 s23, s17, s20
	s_cmp_ge_u32 s17, s20
	s_cselect_b32 s12, s22, s12
	s_cselect_b32 s17, s23, s17
	s_add_i32 s22, s12, 1
	s_cmp_ge_u32 s17, s20
	s_cselect_b32 s52, s22, s12
.LBB165_23:                             ;   in Loop: Header=BB165_19 Depth=1
	s_load_b64 s[22:23], s[18:19], 0xc8
	s_mul_i32 s12, s52, s21
	s_mul_hi_u32 s17, s52, s20
	s_mul_i32 s21, s53, s20
	s_add_i32 s12, s17, s12
	s_mul_i32 s17, s52, s20
	s_add_i32 s12, s12, s21
	s_sub_u32 s4, s4, s17
	s_subb_u32 s5, s5, s12
	s_waitcnt lgkmcnt(0)
	s_mul_i32 s5, s22, s5
	s_mul_hi_u32 s12, s22, s4
	s_mul_i32 s17, s23, s4
	s_add_i32 s5, s12, s5
	s_mul_i32 s4, s22, s4
	s_add_i32 s5, s5, s17
	s_add_u32 s44, s4, s44
	s_addc_u32 s45, s5, s45
	s_add_i32 s11, s11, -1
	s_add_u32 s18, s18, -8
	s_addc_u32 s19, s19, -1
	s_cmp_gt_u32 s11, 2
	s_cbranch_scc0 .LBB165_26
; %bb.24:                               ;   in Loop: Header=BB165_19 Depth=1
	s_mov_b64 s[4:5], s[52:53]
	s_branch .LBB165_19
.LBB165_25:
	s_mov_b64 s[52:53], s[4:5]
.LBB165_26:
	s_clause 0x2
	s_load_b128 s[36:39], s[0:1], 0x1a0
	s_load_b64 s[64:65], s[0:1], 0x0
	s_load_b64 s[4:5], s[0:1], 0x370
	s_mov_b32 s61, 0
	s_waitcnt lgkmcnt(0)
	v_writelane_b32 v57, s4, 2
	v_writelane_b32 v57, s5, 3
	v_cmp_eq_u32_e64 s5, 0, v0
	s_delay_alu instid0(VALU_DEP_1)
	s_and_saveexec_b32 s4, s5
	s_cbranch_execz .LBB165_28
; %bb.27:
	v_dual_mov_b32 v1, 0 :: v_dual_mov_b32 v4, s37
	s_delay_alu instid0(VALU_DEP_1)
	v_dual_mov_b32 v3, s36 :: v_dual_mov_b32 v2, v1
	ds_store_b32 v1, v1 offset:5144
	ds_store_b128 v1, v[1:4] offset:5120
.LBB165_28:
	s_or_b32 exec_lo, exec_lo, s4
	s_mul_i32 s7, s14, s7
	s_mul_hi_u32 s11, s14, s6
	v_lshlrev_b32_e32 v53, 5, v0
	s_load_b32 s4, s[0:1], 0x1b0
	s_mul_i32 s12, s15, s6
	s_add_i32 s7, s11, s7
	s_mul_i32 s6, s14, s6
	s_add_i32 s7, s7, s12
	s_waitcnt lgkmcnt(0)
	s_lshl_b64 s[16:17], s[6:7], 3
	s_barrier
	buffer_gl0_inv
	s_load_b32 s7, s[8:9], 0xc
	v_or_b32_e32 v13, 8, v53
	s_lshl_b64 s[48:49], s[2:3], 3
	s_add_u32 s14, s64, s16
	s_addc_u32 s15, s65, s17
	v_mbcnt_lo_u32_b32 v49, -1, 0
	v_mad_u64_u32 v[26:27], null, s30, v13, s[14:15]
	s_add_u32 s80, s14, s48
	s_addc_u32 s81, s15, s49
	v_lshrrev_b32_e32 v6, 3, v0
	s_bitcmp1_b32 s4, 0
	v_cmp_gt_u32_e32 vcc_lo, 32, v0
	v_cmp_gt_i32_e64 s4, 4, v49
	s_delay_alu instid0(VALU_DEP_4) | instskip(SKIP_4) | instid1(VALU_DEP_3)
	v_mov_b32_e32 v8, v27
	v_or_b32_e32 v11, 24, v53
	v_or_b32_e32 v12, 16, v53
	v_mad_u64_u32 v[2:3], null, v0, s30, 0
	s_cselect_b32 s88, -1, 0
	v_mad_u64_u32 v[22:23], null, s30, v11, s[14:15]
	s_delay_alu instid0(VALU_DEP_3)
	v_mad_u64_u32 v[24:25], null, s30, v12, s[14:15]
	v_dual_mov_b32 v19, 0 :: v_dual_and_b32 v50, 0x7c, v6
	s_waitcnt lgkmcnt(0)
	s_and_b32 s33, s7, 0xffff
	v_lshlrev_b64 v[6:7], v49, -1
	s_xor_b32 s82, s88, -1
	s_and_b32 s83, vcc_lo, s4
	s_bfe_u32 s11, s7, 0xb0005
	s_add_u32 s85, s33, -1
	s_addc_u32 s86, 0, -1
	s_add_u32 s87, s85, s36
	s_addc_u32 s27, s86, s37
	v_lshlrev_b32_e32 v51, 3, v0
	s_cmp_lt_u32 s13, s10
	v_not_b32_e32 v48, v6
	v_dual_mov_b32 v6, v23 :: v_dual_mov_b32 v7, v25
	v_dual_mov_b32 v36, s38 :: v_dual_mov_b32 v1, v3
	v_lshlrev_b32_e32 v20, 2, v0
	s_cselect_b32 s10, 12, 18
	s_delay_alu instid0(VALU_DEP_3)
	v_mad_u64_u32 v[9:10], null, s31, v11, v[6:7]
	s_add_u32 s62, s8, s10
	s_addc_u32 s63, s9, 0
	s_add_i32 s8, s11, -1
	v_mad_u64_u32 v[3:4], null, v0, s31, v[1:2]
	s_bfe_u32 s3, s33, 0x30005
	s_cmp_gt_u32 s8, 6
	v_writelane_b32 v57, s3, 4
	s_cselect_b32 s89, -1, 0
	s_and_b32 s90, s11, 0x7f8
	s_cmp_lg_u32 s3, 0
	v_cmp_gt_u16_e64 s91, s7, 31
	s_cselect_b32 s92, -1, 0
	s_add_u32 s7, s16, s48
	s_addc_u32 s8, s17, s49
	v_mad_u64_u32 v[10:11], null, s31, v12, v[7:8]
	v_mad_u64_u32 v[6:7], null, s31, v13, v[8:9]
	v_lshlrev_b64 v[4:5], 3, v[2:3]
	s_add_u32 s10, s64, s7
	s_addc_u32 s11, s65, s8
	v_writelane_b32 v57, s10, 5
	v_lshlrev_b64 v[2:3], 5, v[2:3]
	v_mov_b32_e32 v21, v19
	v_add_co_u32 v16, vcc_lo, s80, v4
	v_writelane_b32 v57, s11, 6
	s_lshl_b64 s[66:67], s[30:31], 3
	s_lshl_b64 s[68:69], s[30:31], 5
	v_dual_mov_b32 v27, v6 :: v_dual_mov_b32 v6, 0
	s_lshl_b32 s93, s33, 3
	v_dual_mov_b32 v1, v19 :: v_dual_add_nc_u32 v52, 0xc00, v51
	v_add_co_ci_u32_e32 v17, vcc_lo, s81, v5, vcc_lo
	s_add_u32 s7, s64, s48
	v_mov_b32_e32 v7, 0
	v_add_co_u32 v28, vcc_lo, s14, v2
	s_addc_u32 s8, s65, s49
	s_add_u32 s7, s7, s16
	v_add_co_ci_u32_e32 v29, vcc_lo, s15, v3, vcc_lo
	v_writelane_b32 v57, s16, 7
	s_addc_u32 s11, s8, s17
	v_add_co_u32 v30, vcc_lo, s7, v4
	v_cmp_lt_u64_e64 s84, 0x180, s[36:37]
	v_cmp_gt_u64_e64 s4, s[36:37], v[0:1]
	s_mul_i32 s9, s31, s33
	s_mul_hi_u32 s10, s30, s33
	v_mov_b32_e32 v35, v7
	v_dual_mov_b32 v33, v7 :: v_dual_mov_b32 v32, v6
	v_cmp_eq_u32_e64 s2, 0, v49
	v_cmp_gt_u32_e64 s6, 2, v0
	v_dual_mov_b32 v23, v9 :: v_dual_mov_b32 v2, 1
	v_mov_b32_e32 v25, v10
	v_lshl_or_b32 v54, v49, 3, 0xc00
	v_add_co_ci_u32_e32 v31, vcc_lo, s11, v5, vcc_lo
	v_dual_mov_b32 v37, s39 :: v_dual_mov_b32 v34, v6
	s_add_i32 s9, s10, s9
	s_mul_i32 s8, s30, s33
	s_mov_b32 s100, 62
	s_lshl_b64 s[34:35], s[8:9], 3
	s_mov_b32 s94, 0
	s_mov_b32 s96, 0
	v_writelane_b32 v57, s17, 8
                                        ; implicit-def: $sgpr95
                                        ; implicit-def: $sgpr99
                                        ; implicit-def: $sgpr98
                                        ; implicit-def: $sgpr101
                                        ; implicit-def: $sgpr97
                                        ; implicit-def: $sgpr102
                                        ; implicit-def: $sgpr104
                                        ; implicit-def: $sgpr103
                                        ; implicit-def: $vcc_hi
                                        ; implicit-def: $sgpr54
	s_branch .LBB165_31
.LBB165_29:                             ;   in Loop: Header=BB165_31 Depth=1
	s_or_b32 exec_lo, exec_lo, s10
	v_dual_mov_b32 v33, v15 :: v_dual_mov_b32 v32, v14
	v_dual_mov_b32 v35, v13 :: v_dual_mov_b32 v34, v12
	;; [unrolled: 1-line block ×4, first 2 shown]
	s_and_not1_b32 s3, s54, exec_lo
	s_and_b32 s9, s9, exec_lo
	s_and_not1_b32 vcc_hi, vcc_hi, exec_lo
	s_or_b32 s54, s3, s9
	s_and_not1_b32 s103, s103, exec_lo
	s_and_not1_b32 s104, s104, exec_lo
	;; [unrolled: 1-line block ×3, first 2 shown]
	s_or_not1_b32 s8, s8, exec_lo
.LBB165_30:                             ;   in Loop: Header=BB165_31 Depth=1
	s_or_b32 exec_lo, exec_lo, s7
	s_delay_alu instid0(SALU_CYCLE_1) | instskip(NEXT) | instid1(SALU_CYCLE_1)
	s_and_b32 s7, exec_lo, s8
	s_or_b32 s94, s7, s94
	s_and_not1_b32 s7, s97, exec_lo
	s_and_b32 s8, s54, exec_lo
	s_and_not1_b32 s9, s101, exec_lo
	s_or_b32 s97, s7, s8
	s_and_b32 s7, vcc_hi, exec_lo
	s_and_not1_b32 s8, s98, exec_lo
	s_and_b32 s10, s103, exec_lo
	s_or_b32 s101, s9, s7
	s_or_b32 s98, s8, s10
	s_and_not1_b32 s7, s99, exec_lo
	s_and_b32 s8, s104, exec_lo
	s_and_not1_b32 s9, s95, exec_lo
	s_and_b32 s10, s102, exec_lo
	s_or_b32 s99, s7, s8
	s_or_b32 s95, s9, s10
	s_and_not1_b32 exec_lo, exec_lo, s94
	s_cbranch_execz .LBB165_503
.LBB165_31:                             ; =>This Loop Header: Depth=1
                                        ;     Child Loop BB165_39 Depth 2
                                        ;     Child Loop BB165_57 Depth 2
	;; [unrolled: 1-line block ×24, first 2 shown]
	ds_load_b128 v[8:11], v19 offset:5120
	s_waitcnt lgkmcnt(0)
	v_readfirstlane_b32 s71, v9
	v_readfirstlane_b32 s70, v8
	s_delay_alu instid0(VALU_DEP_1)
	s_cmp_lg_u64 s[70:71], 0
	s_cbranch_scc1 .LBB165_64
; %bb.32:                               ;   in Loop: Header=BB165_31 Depth=1
	s_and_b32 vcc_lo, exec_lo, s84
	s_cbranch_vccz .LBB165_47
; %bb.33:                               ;   in Loop: Header=BB165_31 Depth=1
	v_cmp_gt_u64_e32 vcc_lo, 0x181, v[10:11]
	s_mov_b32 s9, 0
	s_mov_b32 s7, 0
	s_cbranch_vccz .LBB165_48
; %bb.34:                               ;   in Loop: Header=BB165_31 Depth=1
	v_mov_b32_e32 v3, 0
	v_mov_b32_e32 v4, 0
	s_and_saveexec_b32 s7, s4
	s_cbranch_execz .LBB165_36
; %bb.35:                               ;   in Loop: Header=BB165_31 Depth=1
	global_load_b64 v[3:4], v[16:17], off
.LBB165_36:                             ;   in Loop: Header=BB165_31 Depth=1
	s_or_b32 exec_lo, exec_lo, s7
	s_and_saveexec_b32 s10, s4
	s_cbranch_execz .LBB165_49
; %bb.37:                               ;   in Loop: Header=BB165_31 Depth=1
	global_load_u16 v11, v19, s[62:63]
	v_readlane_b32 s12, v57, 5
	v_readlane_b32 s13, v57, 6
	s_waitcnt vmcnt(0)
	v_readfirstlane_b32 s7, v11
	s_delay_alu instid0(VALU_DEP_1) | instskip(NEXT) | instid1(SALU_CYCLE_1)
	s_and_b32 s7, 0xffff, s7
	v_add_nc_u32_e32 v12, s7, v0
	s_mul_i32 s8, s67, s7
	s_mul_hi_u32 s11, s66, s7
	s_delay_alu instid0(SALU_CYCLE_1) | instskip(NEXT) | instid1(VALU_DEP_1)
	s_add_i32 s11, s11, s8
	v_mad_u64_u32 v[8:9], null, s66, v12, s[12:13]
	s_mul_i32 s12, s66, s7
	s_mov_b32 s13, 0
	s_delay_alu instid0(VALU_DEP_1) | instskip(NEXT) | instid1(VALU_DEP_1)
	v_mov_b32_e32 v5, v9
	v_mad_u64_u32 v[9:10], null, s67, v12, v[5:6]
	v_and_b32_e32 v5, 0xffff, v11
	v_dual_mov_b32 v11, v1 :: v_dual_mov_b32 v10, v0
	s_branch .LBB165_39
.LBB165_38:                             ;   in Loop: Header=BB165_39 Depth=2
	s_or_b32 exec_lo, exec_lo, s8
	v_add_co_u32 v8, vcc_lo, v8, s12
	v_add_co_ci_u32_e32 v9, vcc_lo, s11, v9, vcc_lo
	s_waitcnt vmcnt(0)
	v_dual_mov_b32 v3, v12 :: v_dual_mov_b32 v4, v13
	s_and_not1_b32 exec_lo, exec_lo, s13
	s_cbranch_execz .LBB165_49
.LBB165_39:                             ;   Parent Loop BB165_31 Depth=1
                                        ; =>  This Inner Loop Header: Depth=2
	s_delay_alu instid0(VALU_DEP_1) | instskip(NEXT) | instid1(VALU_DEP_2)
	v_add_co_u32 v10, vcc_lo, v10, v5
	v_add_co_ci_u32_e32 v11, vcc_lo, 0, v11, vcc_lo
	v_mov_b32_e32 v12, 0
	v_mov_b32_e32 v13, 0
	s_mov_b32 s8, exec_lo
	s_delay_alu instid0(VALU_DEP_3)
	v_cmp_le_u64_e32 vcc_lo, s[36:37], v[10:11]
	v_cmpx_gt_u64_e64 s[36:37], v[10:11]
	s_cbranch_execz .LBB165_41
; %bb.40:                               ;   in Loop: Header=BB165_39 Depth=2
	global_load_b64 v[12:13], v[8:9], off
.LBB165_41:                             ;   in Loop: Header=BB165_39 Depth=2
	s_or_b32 exec_lo, exec_lo, s8
	s_waitcnt lgkmcnt(0)
	v_xor_b32_e32 v14, 0x80000000, v4
	s_delay_alu instid0(VALU_DEP_1) | instskip(SKIP_1) | instid1(VALU_DEP_1)
	v_and_b32_e32 v15, v14, v33
	v_and_b32_e32 v14, v3, v32
	v_cmp_eq_u64_e64 s7, v[14:15], v[34:35]
	v_mov_b32_e32 v14, 0
	s_delay_alu instid0(VALU_DEP_2) | instskip(SKIP_1) | instid1(SALU_CYCLE_1)
	s_cmp_lg_u32 s7, 0
	s_cselect_b32 s8, -1, 0
	s_and_b32 s8, s2, s8
	s_delay_alu instid0(SALU_CYCLE_1)
	s_and_saveexec_b32 s14, s8
	s_cbranch_execz .LBB165_45
; %bb.42:                               ;   in Loop: Header=BB165_39 Depth=2
	s_mov_b32 s17, exec_lo
	s_bcnt1_i32_b32 s15, s7
	v_mbcnt_lo_u32_b32 v14, s17, 0
	s_mov_b32 s16, exec_lo
                                        ; implicit-def: $vgpr15
	s_delay_alu instid0(VALU_DEP_1)
	v_cmpx_eq_u32_e32 0, v14
	s_cbranch_execz .LBB165_44
; %bb.43:                               ;   in Loop: Header=BB165_39 Depth=2
	s_bcnt1_i32_b32 s8, s17
	s_delay_alu instid0(SALU_CYCLE_1) | instskip(NEXT) | instid1(SALU_CYCLE_1)
	s_mul_i32 s8, s15, s8
	v_mov_b32_e32 v15, s8
	ds_add_rtn_u32 v15, v19, v15 offset:5144
.LBB165_44:                             ;   in Loop: Header=BB165_39 Depth=2
	s_or_b32 exec_lo, exec_lo, s16
	s_waitcnt lgkmcnt(0)
	v_readfirstlane_b32 s8, v15
	s_delay_alu instid0(VALU_DEP_1)
	v_mad_u32_u24 v14, s15, v14, s8
.LBB165_45:                             ;   in Loop: Header=BB165_39 Depth=2
	s_or_b32 exec_lo, exec_lo, s14
	ds_bpermute_b32 v14, v19, v14
	s_and_b32 s8, exec_lo, vcc_lo
	s_delay_alu instid0(SALU_CYCLE_1)
	s_or_b32 s13, s8, s13
	s_and_saveexec_b32 s8, s7
	s_cbranch_execz .LBB165_38
; %bb.46:                               ;   in Loop: Header=BB165_39 Depth=2
	v_and_b32_e32 v15, s7, v48
	s_delay_alu instid0(VALU_DEP_1) | instskip(NEXT) | instid1(VALU_DEP_1)
	v_bcnt_u32_b32 v15, v15, 0
	v_lshlrev_b32_e32 v15, 3, v15
	s_waitcnt lgkmcnt(0)
	s_delay_alu instid0(VALU_DEP_1)
	v_lshl_add_u32 v14, v14, 3, v15
	ds_store_b64 v14, v[3:4]
	s_branch .LBB165_38
.LBB165_47:                             ;   in Loop: Header=BB165_31 Depth=1
	s_mov_b32 s7, 0
                                        ; implicit-def: $sgpr70_sgpr71
	s_cbranch_execnz .LBB165_52
	s_branch .LBB165_62
.LBB165_48:                             ;   in Loop: Header=BB165_31 Depth=1
	s_mov_b64 s[70:71], 0
	s_and_b32 vcc_lo, exec_lo, s9
	s_cbranch_vccnz .LBB165_52
	s_branch .LBB165_62
.LBB165_49:                             ;   in Loop: Header=BB165_31 Depth=1
	s_or_b32 exec_lo, exec_lo, s10
	s_waitcnt vmcnt(0) lgkmcnt(0)
	s_barrier
	buffer_gl0_inv
	s_and_saveexec_b32 s7, s5
	s_cbranch_execz .LBB165_51
; %bb.50:                               ;   in Loop: Header=BB165_31 Depth=1
	ds_load_b32 v3, v19 offset:5144
	s_waitcnt lgkmcnt(0)
	v_ashrrev_i32_e32 v4, 31, v3
	ds_store_b64 v19, v[3:4] offset:5120
.LBB165_51:                             ;   in Loop: Header=BB165_31 Depth=1
	s_or_b32 exec_lo, exec_lo, s7
	s_waitcnt lgkmcnt(0)
	s_mov_b32 s7, -1
	s_barrier
	s_mov_b64 s[70:71], 0
	s_and_b32 vcc_lo, exec_lo, s9
	s_cbranch_vccz .LBB165_62
.LBB165_52:                             ;   in Loop: Header=BB165_31 Depth=1
	v_mov_b32_e32 v3, 0
	v_mov_b32_e32 v4, 0
	s_and_saveexec_b32 s7, s4
	s_cbranch_execz .LBB165_54
; %bb.53:                               ;   in Loop: Header=BB165_31 Depth=1
	global_load_b64 v[3:4], v[16:17], off
.LBB165_54:                             ;   in Loop: Header=BB165_31 Depth=1
	s_or_b32 exec_lo, exec_lo, s7
	s_and_saveexec_b32 s8, s4
	s_cbranch_execz .LBB165_59
; %bb.55:                               ;   in Loop: Header=BB165_31 Depth=1
	global_load_u16 v11, v19, s[62:63]
	v_readlane_b32 s10, v57, 5
	v_readlane_b32 s11, v57, 6
	s_mov_b32 s12, 0
	s_waitcnt vmcnt(0)
	v_readfirstlane_b32 s7, v11
	v_and_b32_e32 v14, 0xffff, v11
	s_delay_alu instid0(VALU_DEP_2) | instskip(NEXT) | instid1(SALU_CYCLE_1)
	s_and_b32 s7, 0xffff, s7
	v_add_nc_u32_e32 v12, s7, v0
	s_lshl_b32 s9, s7, 3
	s_delay_alu instid0(VALU_DEP_1) | instskip(SKIP_2) | instid1(SALU_CYCLE_1)
	v_mad_u64_u32 v[8:9], null, s66, v12, s[10:11]
	s_mul_i32 s10, s67, s7
	s_mul_hi_u32 s11, s66, s7
	s_add_i32 s10, s11, s10
	s_mul_i32 s11, s66, s7
	s_delay_alu instid0(VALU_DEP_1) | instskip(NEXT) | instid1(VALU_DEP_1)
	v_mov_b32_e32 v5, v9
	v_mad_u64_u32 v[9:10], null, s67, v12, v[5:6]
	v_mov_b32_e32 v5, v51
	v_dual_mov_b32 v11, v1 :: v_dual_mov_b32 v10, v0
	s_set_inst_prefetch_distance 0x1
	s_branch .LBB165_57
	.p2align	6
.LBB165_56:                             ;   in Loop: Header=BB165_57 Depth=2
	s_or_b32 exec_lo, exec_lo, s13
	s_delay_alu instid0(SALU_CYCLE_1)
	s_and_b32 s7, exec_lo, vcc_lo
	v_add_co_u32 v8, vcc_lo, v8, s11
	ds_store_b64 v5, v[3:4]
	s_waitcnt vmcnt(0)
	v_mov_b32_e32 v3, v12
	v_dual_mov_b32 v4, v13 :: v_dual_add_nc_u32 v5, s9, v5
	v_add_co_ci_u32_e32 v9, vcc_lo, s10, v9, vcc_lo
	s_or_b32 s12, s7, s12
	s_delay_alu instid0(SALU_CYCLE_1)
	s_and_not1_b32 exec_lo, exec_lo, s12
	s_cbranch_execz .LBB165_59
.LBB165_57:                             ;   Parent Loop BB165_31 Depth=1
                                        ; =>  This Inner Loop Header: Depth=2
	s_delay_alu instid0(VALU_DEP_1) | instskip(NEXT) | instid1(VALU_DEP_2)
	v_add_co_u32 v10, vcc_lo, v10, v14
	v_add_co_ci_u32_e32 v11, vcc_lo, 0, v11, vcc_lo
	v_mov_b32_e32 v12, 0
	v_mov_b32_e32 v13, 0
	s_mov_b32 s13, exec_lo
	s_delay_alu instid0(VALU_DEP_3)
	v_cmp_le_u64_e32 vcc_lo, s[36:37], v[10:11]
	v_cmpx_gt_u64_e64 s[36:37], v[10:11]
	s_cbranch_execz .LBB165_56
; %bb.58:                               ;   in Loop: Header=BB165_57 Depth=2
	global_load_b64 v[12:13], v[8:9], off
	s_branch .LBB165_56
.LBB165_59:                             ;   in Loop: Header=BB165_31 Depth=1
	s_set_inst_prefetch_distance 0x2
	s_or_b32 exec_lo, exec_lo, s8
	s_waitcnt vmcnt(0) lgkmcnt(0)
	s_barrier
	buffer_gl0_inv
	s_and_saveexec_b32 s7, s5
	s_cbranch_execz .LBB165_61
; %bb.60:                               ;   in Loop: Header=BB165_31 Depth=1
	v_dual_mov_b32 v3, s36 :: v_dual_mov_b32 v4, s37
	ds_store_b64 v19, v[3:4] offset:5120
.LBB165_61:                             ;   in Loop: Header=BB165_31 Depth=1
	s_or_b32 exec_lo, exec_lo, s7
	s_mov_b32 s7, -1
	s_waitcnt lgkmcnt(0)
	s_barrier
                                        ; implicit-def: $sgpr70_sgpr71
.LBB165_62:                             ;   in Loop: Header=BB165_31 Depth=1
	s_and_b32 vcc_lo, exec_lo, s7
	s_cbranch_vccz .LBB165_64
; %bb.63:                               ;   in Loop: Header=BB165_31 Depth=1
	buffer_gl0_inv
	ds_load_b64 v[3:4], v19 offset:5120
	s_waitcnt lgkmcnt(0)
	v_readfirstlane_b32 s70, v3
.LBB165_64:                             ;   in Loop: Header=BB165_31 Depth=1
	s_delay_alu instid0(VALU_DEP_1)
	s_cmp_lt_i32 s70, 1
	s_cbranch_scc0 .LBB165_79
; %bb.65:                               ;   in Loop: Header=BB165_31 Depth=1
	global_load_u16 v3, v19, s[62:63]
	s_mov_b32 s8, s61
	s_mov_b32 s9, s37
	s_waitcnt vmcnt(0)
	v_readfirstlane_b32 s7, v3
	s_delay_alu instid0(VALU_DEP_1) | instskip(NEXT) | instid1(SALU_CYCLE_1)
	s_and_b32 s26, s7, 0xffff
	s_lshl_b32 s46, s26, 2
	s_cmp_lg_u64 s[8:9], 0
	s_cbranch_scc0 .LBB165_99
; %bb.66:                               ;   in Loop: Header=BB165_31 Depth=1
	v_cvt_f32_u32_e32 v3, s46
	s_sub_u32 s9, 0, s46
	s_subb_u32 s10, 0, 0
	s_delay_alu instid0(VALU_DEP_1) | instskip(NEXT) | instid1(VALU_DEP_1)
	v_fmac_f32_e64 v3, 0, 0x4f800000
	v_rcp_f32_e32 v3, v3
	s_waitcnt_depctr 0xfff
	v_mul_f32_e32 v3, 0x5f7ffffc, v3
	s_delay_alu instid0(VALU_DEP_1) | instskip(NEXT) | instid1(VALU_DEP_1)
	v_mul_f32_e32 v4, 0x2f800000, v3
	v_trunc_f32_e32 v4, v4
	s_delay_alu instid0(VALU_DEP_1) | instskip(SKIP_1) | instid1(VALU_DEP_2)
	v_fmac_f32_e32 v3, 0xcf800000, v4
	v_cvt_u32_f32_e32 v4, v4
	v_cvt_u32_f32_e32 v3, v3
	s_delay_alu instid0(VALU_DEP_2) | instskip(NEXT) | instid1(VALU_DEP_2)
	v_readfirstlane_b32 s7, v4
	v_readfirstlane_b32 s8, v3
	s_delay_alu instid0(VALU_DEP_2) | instskip(NEXT) | instid1(VALU_DEP_1)
	s_mul_i32 s11, s9, s7
	s_mul_hi_u32 s13, s9, s8
	s_mul_i32 s12, s10, s8
	s_add_i32 s11, s13, s11
	s_mul_i32 s14, s9, s8
	s_add_i32 s11, s11, s12
	s_mul_hi_u32 s13, s8, s14
	s_mul_hi_u32 s15, s7, s14
	s_mul_i32 s12, s7, s14
	s_mul_hi_u32 s14, s8, s11
	s_mul_i32 s8, s8, s11
	s_mul_hi_u32 s16, s7, s11
	s_add_u32 s8, s13, s8
	s_addc_u32 s13, 0, s14
	s_add_u32 s8, s8, s12
	s_mul_i32 s11, s7, s11
	s_addc_u32 s8, s13, s15
	s_addc_u32 s12, s16, 0
	s_add_u32 s8, s8, s11
	s_addc_u32 s11, 0, s12
	v_add_co_u32 v3, s8, v3, s8
	s_delay_alu instid0(VALU_DEP_1) | instskip(SKIP_1) | instid1(VALU_DEP_1)
	s_cmp_lg_u32 s8, 0
	s_addc_u32 s7, s7, s11
	v_readfirstlane_b32 s8, v3
	s_mul_i32 s11, s9, s7
	s_delay_alu instid0(VALU_DEP_1)
	s_mul_hi_u32 s12, s9, s8
	s_mul_i32 s10, s10, s8
	s_add_i32 s11, s12, s11
	s_mul_i32 s9, s9, s8
	s_add_i32 s11, s11, s10
	s_mul_hi_u32 s12, s7, s9
	s_mul_i32 s13, s7, s9
	s_mul_hi_u32 s9, s8, s9
	s_mul_hi_u32 s14, s8, s11
	s_mul_i32 s8, s8, s11
	s_mul_hi_u32 s10, s7, s11
	s_add_u32 s8, s9, s8
	s_addc_u32 s9, 0, s14
	s_add_u32 s8, s8, s13
	s_mul_i32 s11, s7, s11
	s_addc_u32 s8, s9, s12
	s_addc_u32 s9, s10, 0
	s_add_u32 s8, s8, s11
	s_addc_u32 s9, 0, s9
	v_add_co_u32 v3, s8, v3, s8
	s_delay_alu instid0(VALU_DEP_1) | instskip(SKIP_1) | instid1(VALU_DEP_1)
	s_cmp_lg_u32 s8, 0
	s_addc_u32 s7, s7, s9
	v_readfirstlane_b32 s8, v3
	s_mul_i32 s10, s36, s7
	s_mul_hi_u32 s9, s36, s7
	s_mul_hi_u32 s11, s37, s7
	s_mul_i32 s7, s37, s7
	s_mul_hi_u32 s12, s36, s8
	s_mul_hi_u32 s13, s37, s8
	s_mul_i32 s8, s37, s8
	s_add_u32 s10, s12, s10
	s_addc_u32 s9, 0, s9
	s_add_u32 s8, s10, s8
	s_addc_u32 s8, s9, s13
	s_addc_u32 s9, s11, 0
	s_add_u32 s7, s8, s7
	s_addc_u32 s8, 0, s9
	s_mul_hi_u32 s9, s46, s7
	s_mul_i32 s7, s46, s7
	s_mul_i32 s8, s46, s8
	v_sub_co_u32 v3, s7, s36, s7
	s_add_i32 s9, s9, s8
	s_cmp_lg_u32 s7, 0
	s_delay_alu instid0(VALU_DEP_1) | instskip(SKIP_2) | instid1(VALU_DEP_1)
	v_sub_co_u32 v4, s7, v3, s46
	s_subb_u32 s8, s37, s9
	s_cmp_lg_u32 s7, 0
	v_cmp_le_u32_e32 vcc_lo, s46, v4
	v_sub_co_u32 v5, s7, v4, s46
	s_subb_u32 s9, s8, 0
	s_cmp_lg_u32 s7, 0
	v_cndmask_b32_e64 v8, 0, -1, vcc_lo
	s_subb_u32 s7, s9, 0
	s_cmp_eq_u32 s9, 0
	v_mov_b32_e32 v10, s7
	s_cselect_b32 vcc_lo, -1, 0
	s_cmp_eq_u32 s8, 0
	v_cndmask_b32_e32 v8, -1, v8, vcc_lo
	v_cmp_le_u32_e32 vcc_lo, s46, v3
	s_cselect_b32 s7, -1, 0
	v_cndmask_b32_e64 v9, 0, -1, vcc_lo
	s_delay_alu instid0(VALU_DEP_3) | instskip(NEXT) | instid1(VALU_DEP_2)
	v_cmp_ne_u32_e32 vcc_lo, 0, v8
	v_cndmask_b32_e64 v8, -1, v9, s7
	v_cndmask_b32_e32 v9, s9, v10, vcc_lo
	v_cndmask_b32_e32 v5, v4, v5, vcc_lo
	s_delay_alu instid0(VALU_DEP_3) | instskip(NEXT) | instid1(VALU_DEP_3)
	v_cmp_ne_u32_e32 vcc_lo, 0, v8
	v_cndmask_b32_e32 v4, s8, v9, vcc_lo
	s_delay_alu instid0(VALU_DEP_3)
	v_cndmask_b32_e32 v3, v3, v5, vcc_lo
	s_cbranch_execnz .LBB165_68
.LBB165_67:                             ;   in Loop: Header=BB165_31 Depth=1
	v_cvt_f32_u32_e32 v3, s46
	s_sub_i32 s7, 0, s46
	s_delay_alu instid0(VALU_DEP_1) | instskip(SKIP_2) | instid1(VALU_DEP_1)
	v_rcp_iflag_f32_e32 v3, v3
	s_waitcnt_depctr 0xfff
	v_mul_f32_e32 v3, 0x4f7ffffe, v3
	v_cvt_u32_f32_e32 v3, v3
	s_delay_alu instid0(VALU_DEP_1) | instskip(NEXT) | instid1(VALU_DEP_1)
	v_mul_lo_u32 v4, s7, v3
	v_mul_hi_u32 v4, v3, v4
	s_delay_alu instid0(VALU_DEP_1) | instskip(NEXT) | instid1(VALU_DEP_1)
	v_add_nc_u32_e32 v3, v3, v4
	v_mul_hi_u32 v3, s36, v3
	s_delay_alu instid0(VALU_DEP_1) | instskip(NEXT) | instid1(VALU_DEP_1)
	v_mul_lo_u32 v3, v3, s46
	v_sub_nc_u32_e32 v3, s36, v3
	s_delay_alu instid0(VALU_DEP_1) | instskip(SKIP_1) | instid1(VALU_DEP_2)
	v_subrev_nc_u32_e32 v4, s46, v3
	v_cmp_le_u32_e32 vcc_lo, s46, v3
	v_cndmask_b32_e32 v3, v3, v4, vcc_lo
	s_delay_alu instid0(VALU_DEP_1) | instskip(SKIP_1) | instid1(VALU_DEP_2)
	v_subrev_nc_u32_e32 v4, s46, v3
	v_cmp_le_u32_e32 vcc_lo, s46, v3
	v_cndmask_b32_e32 v18, v3, v4, vcc_lo
	s_delay_alu instid0(VALU_DEP_1)
	v_dual_mov_b32 v3, v18 :: v_dual_mov_b32 v4, v19
.LBB165_68:                             ;   in Loop: Header=BB165_31 Depth=1
	v_mov_b32_e32 v8, 0
	v_mov_b32_e32 v9, 0
	s_delay_alu instid0(VALU_DEP_3) | instskip(NEXT) | instid1(VALU_DEP_4)
	v_sub_co_u32 v3, vcc_lo, s36, v3
	v_sub_co_ci_u32_e32 v4, vcc_lo, s37, v4, vcc_lo
	s_delay_alu instid0(VALU_DEP_3)
	v_dual_mov_b32 v11, v9 :: v_dual_mov_b32 v10, v8
	v_dual_mov_b32 v13, v9 :: v_dual_mov_b32 v12, v8
	;; [unrolled: 1-line block ×3, first 2 shown]
	s_mov_b64 s[24:25], 0
	s_mov_b32 s47, exec_lo
	v_cmpx_gt_u64_e64 v[3:4], v[20:21]
	s_cbranch_execz .LBB165_72
; %bb.69:                               ;   in Loop: Header=BB165_31 Depth=1
	v_dual_mov_b32 v39, v29 :: v_dual_mov_b32 v38, v28
	v_dual_mov_b32 v41, v27 :: v_dual_mov_b32 v40, v26
	;; [unrolled: 1-line block ×5, first 2 shown]
	s_mul_i32 s7, s69, s26
	s_mul_hi_u32 s8, s68, s26
	s_and_b32 s55, s100, 0xfe
	s_add_i32 s56, s8, s7
	s_mul_i32 s57, s68, s26
	s_mov_b32 s58, 0
	s_mov_b64 s[72:73], 0
	s_mov_b64 s[74:75], 0
	;; [unrolled: 1-line block ×3, first 2 shown]
.LBB165_70:                             ;   Parent Loop BB165_31 Depth=1
                                        ; =>  This Inner Loop Header: Depth=2
	v_add_co_u32 v8, vcc_lo, v38, s48
	v_add_co_ci_u32_e32 v9, vcc_lo, s49, v39, vcc_lo
	global_load_b64 v[8:9], v[8:9], off
	s_waitcnt vmcnt(0)
	v_xor_b32_e32 v9, 0x80000000, v9
	v_and_b32_e32 v10, v8, v32
	s_delay_alu instid0(VALU_DEP_2) | instskip(SKIP_1) | instid1(VALU_DEP_2)
	v_and_b32_e32 v11, v9, v33
	v_lshrrev_b64 v[8:9], s55, v[8:9]
	v_cmp_eq_u64_e32 vcc_lo, v[10:11], v[34:35]
	v_add_co_u32 v10, s7, v40, s48
	s_delay_alu instid0(VALU_DEP_1) | instskip(NEXT) | instid1(VALU_DEP_4)
	v_add_co_ci_u32_e64 v11, s7, s49, v41, s7
	v_and_b32_e32 v18, 3, v8
	global_load_b64 v[10:11], v[10:11], off
	v_cmp_eq_u64_e64 s22, 0, v[18:19]
	v_cmp_eq_u64_e64 s23, 1, v[18:19]
	s_delay_alu instid0(VALU_DEP_2) | instskip(NEXT) | instid1(SALU_CYCLE_1)
	s_and_b32 s22, vcc_lo, s22
	v_cndmask_b32_e64 v5, 0, 1, s22
	s_delay_alu instid0(VALU_DEP_1) | instskip(NEXT) | instid1(VALU_DEP_1)
	v_cmp_ne_u32_e64 s22, 0, v5
	s_bcnt1_i32_b32 s22, s22
	s_waitcnt vmcnt(0)
	v_xor_b32_e32 v11, 0x80000000, v11
	v_and_b32_e32 v12, v10, v32
	s_delay_alu instid0(VALU_DEP_2) | instskip(SKIP_2) | instid1(VALU_DEP_3)
	v_and_b32_e32 v13, v11, v33
	v_lshrrev_b64 v[8:9], s55, v[10:11]
	v_mov_b32_e32 v9, v19
	v_cmp_eq_u64_e64 s7, v[12:13], v[34:35]
	v_add_co_u32 v12, s8, v42, s48
	s_delay_alu instid0(VALU_DEP_1)
	v_add_co_ci_u32_e64 v13, s8, s49, v43, s8
	v_and_b32_e32 v8, 3, v8
	global_load_b64 v[12:13], v[12:13], off
	v_cmp_eq_u64_e64 s10, 0, v[8:9]
	v_cmp_eq_u64_e64 s11, 1, v[8:9]
	;; [unrolled: 1-line block ×4, first 2 shown]
	s_delay_alu instid0(VALU_DEP_4) | instskip(NEXT) | instid1(SALU_CYCLE_1)
	s_and_b32 s10, s7, s10
	v_cndmask_b32_e64 v5, 0, 1, s10
	s_delay_alu instid0(VALU_DEP_1) | instskip(NEXT) | instid1(VALU_DEP_1)
	v_cmp_ne_u32_e64 s10, 0, v5
	s_bcnt1_i32_b32 s10, s10
	s_delay_alu instid0(SALU_CYCLE_1) | instskip(SKIP_3) | instid1(VALU_DEP_2)
	s_add_i32 s10, s10, s22
	s_waitcnt vmcnt(0)
	v_xor_b32_e32 v13, 0x80000000, v13
	v_and_b32_e32 v14, v12, v32
	v_and_b32_e32 v15, v13, v33
	v_lshrrev_b64 v[8:9], s55, v[12:13]
	v_mov_b32_e32 v9, v19
	s_delay_alu instid0(VALU_DEP_3) | instskip(SKIP_1) | instid1(VALU_DEP_1)
	v_cmp_eq_u64_e64 s8, v[14:15], v[34:35]
	v_add_co_u32 v14, s9, v44, s48
	v_add_co_ci_u32_e64 v15, s9, s49, v45, s9
	v_and_b32_e32 v8, 3, v8
	global_load_b64 v[14:15], v[14:15], off
	v_cmp_eq_u64_e64 s14, 0, v[8:9]
	v_cmp_eq_u64_e64 s15, 1, v[8:9]
	;; [unrolled: 1-line block ×4, first 2 shown]
	s_delay_alu instid0(VALU_DEP_4) | instskip(NEXT) | instid1(SALU_CYCLE_1)
	s_and_b32 s14, s8, s14
	v_cndmask_b32_e64 v5, 0, 1, s14
	s_delay_alu instid0(VALU_DEP_1) | instskip(NEXT) | instid1(VALU_DEP_1)
	v_cmp_ne_u32_e64 s14, 0, v5
	s_bcnt1_i32_b32 s14, s14
	s_delay_alu instid0(SALU_CYCLE_1) | instskip(SKIP_3) | instid1(VALU_DEP_2)
	s_add_i32 s10, s10, s14
	s_waitcnt vmcnt(0)
	v_xor_b32_e32 v15, 0x80000000, v15
	v_and_b32_e32 v55, v14, v32
	v_lshrrev_b64 v[8:9], s55, v[14:15]
	v_and_b32_e32 v56, v15, v33
	s_delay_alu instid0(VALU_DEP_2) | instskip(NEXT) | instid1(VALU_DEP_2)
	v_dual_mov_b32 v9, v19 :: v_dual_and_b32 v8, 3, v8
	v_cmp_eq_u64_e64 s9, v[55:56], v[34:35]
	s_delay_alu instid0(VALU_DEP_2) | instskip(SKIP_3) | instid1(VALU_DEP_4)
	v_cmp_eq_u64_e64 s18, 0, v[8:9]
	v_cmp_eq_u64_e64 s19, 1, v[8:9]
	;; [unrolled: 1-line block ×4, first 2 shown]
	s_and_b32 s18, s9, s18
	s_delay_alu instid0(SALU_CYCLE_1) | instskip(NEXT) | instid1(VALU_DEP_1)
	v_cndmask_b32_e64 v5, 0, 1, s18
	v_cmp_ne_u32_e64 s18, 0, v5
	s_delay_alu instid0(VALU_DEP_1) | instskip(NEXT) | instid1(SALU_CYCLE_1)
	s_bcnt1_i32_b32 s18, s18
	s_add_i32 s10, s10, s18
	s_delay_alu instid0(SALU_CYCLE_1)
	s_add_u32 s76, s76, s10
	s_addc_u32 s77, s77, 0
	s_and_b32 s10, vcc_lo, s23
	s_and_b32 s11, s7, s11
	v_cndmask_b32_e64 v5, 0, 1, s10
	s_and_b32 s14, s8, s15
	s_and_b32 s15, s9, s19
	v_dual_mov_b32 v8, s76 :: v_dual_mov_b32 v9, s77
	s_delay_alu instid0(VALU_DEP_2) | instskip(SKIP_1) | instid1(VALU_DEP_2)
	v_cmp_ne_u32_e64 s10, 0, v5
	v_cndmask_b32_e64 v5, 0, 1, s11
	s_bcnt1_i32_b32 s10, s10
	s_delay_alu instid0(VALU_DEP_1) | instskip(SKIP_1) | instid1(VALU_DEP_2)
	v_cmp_ne_u32_e64 s11, 0, v5
	v_cndmask_b32_e64 v5, 0, 1, s14
	s_bcnt1_i32_b32 s11, s11
	s_delay_alu instid0(VALU_DEP_1) | instskip(SKIP_2) | instid1(VALU_DEP_2)
	v_cmp_ne_u32_e64 s14, 0, v5
	v_cndmask_b32_e64 v5, 0, 1, s15
	s_add_i32 s10, s11, s10
	s_bcnt1_i32_b32 s14, s14
	s_delay_alu instid0(VALU_DEP_1) | instskip(SKIP_1) | instid1(VALU_DEP_1)
	v_cmp_ne_u32_e64 s15, 0, v5
	s_add_i32 s10, s10, s14
	s_bcnt1_i32_b32 s15, s15
	s_delay_alu instid0(SALU_CYCLE_1) | instskip(NEXT) | instid1(SALU_CYCLE_1)
	s_add_i32 s10, s10, s15
	s_add_u32 s74, s74, s10
	s_addc_u32 s75, s75, 0
	s_delay_alu instid0(SALU_CYCLE_1)
	v_dual_mov_b32 v10, s74 :: v_dual_mov_b32 v11, s75
	v_cmp_eq_u64_e64 s18, 2, v[18:19]
	s_and_b32 s11, s7, s12
	s_and_b32 s12, s8, s16
	;; [unrolled: 1-line block ×3, first 2 shown]
	v_cmp_eq_u64_e64 s15, 3, v[18:19]
	s_delay_alu instid0(VALU_DEP_2) | instskip(NEXT) | instid1(SALU_CYCLE_1)
	s_and_b32 s10, vcc_lo, s18
	v_cndmask_b32_e64 v5, 0, 1, s10
	s_delay_alu instid0(VALU_DEP_1) | instskip(SKIP_1) | instid1(VALU_DEP_2)
	v_cmp_ne_u32_e64 s10, 0, v5
	v_cndmask_b32_e64 v5, 0, 1, s11
	s_bcnt1_i32_b32 s10, s10
	s_delay_alu instid0(VALU_DEP_1) | instskip(SKIP_1) | instid1(VALU_DEP_2)
	v_cmp_ne_u32_e64 s11, 0, v5
	v_cndmask_b32_e64 v5, 0, 1, s12
	s_bcnt1_i32_b32 s11, s11
	s_delay_alu instid0(VALU_DEP_1) | instskip(SKIP_3) | instid1(VALU_DEP_3)
	v_cmp_ne_u32_e64 s12, 0, v5
	v_cndmask_b32_e64 v5, 0, 1, s14
	s_add_i32 s10, s11, s10
	v_add_co_u32 v44, s11, v44, s57
	s_bcnt1_i32_b32 s12, s12
	s_delay_alu instid0(VALU_DEP_2) | instskip(SKIP_2) | instid1(VALU_DEP_2)
	v_cmp_ne_u32_e64 s14, 0, v5
	s_add_i32 s10, s10, s12
	v_add_co_u32 v42, s12, v42, s57
	s_bcnt1_i32_b32 s14, s14
	s_delay_alu instid0(SALU_CYCLE_1)
	s_add_i32 s10, s10, s14
	v_add_co_u32 v38, s14, v38, s57
	s_add_u32 s72, s72, s10
	s_addc_u32 s73, s73, 0
	s_and_b32 s10, vcc_lo, s15
	s_and_b32 s7, s7, s13
	v_cndmask_b32_e64 v5, 0, 1, s10
	s_and_b32 s8, s8, s17
	s_and_b32 s9, s9, s21
	v_add_co_u32 v46, s10, v46, s46
	s_delay_alu instid0(VALU_DEP_2) | instskip(SKIP_3) | instid1(VALU_DEP_3)
	v_cmp_ne_u32_e32 vcc_lo, 0, v5
	v_cndmask_b32_e64 v5, 0, 1, s7
	v_add_co_ci_u32_e64 v47, s10, 0, v47, s10
	v_add_co_ci_u32_e64 v45, s10, s56, v45, s11
	v_cmp_ne_u32_e64 s7, 0, v5
	v_cndmask_b32_e64 v5, 0, 1, s8
	s_bcnt1_i32_b32 s11, vcc_lo
	v_add_co_u32 v40, s13, v40, s57
	s_delay_alu instid0(VALU_DEP_3) | instskip(NEXT) | instid1(VALU_DEP_2)
	s_bcnt1_i32_b32 s7, s7
	v_cmp_ne_u32_e64 s8, 0, v5
	v_cndmask_b32_e64 v5, 0, 1, s9
	s_add_i32 s7, s7, s11
	v_add_co_ci_u32_e64 v43, s10, s56, v43, s12
	s_delay_alu instid0(VALU_DEP_3) | instskip(NEXT) | instid1(VALU_DEP_2)
	s_bcnt1_i32_b32 s8, s8
	v_cmp_ne_u32_e64 s9, 0, v5
	s_add_i32 s7, s7, s8
	v_add_co_ci_u32_e64 v41, s10, s56, v41, s13
	v_add_co_ci_u32_e64 v39, s10, s56, v39, s14
	s_delay_alu instid0(VALU_DEP_3)
	s_bcnt1_i32_b32 s9, s9
	v_cmp_ge_u64_e64 s10, v[46:47], v[3:4]
	s_add_i32 s7, s7, s9
	v_mov_b32_e32 v12, s72
	s_add_u32 s24, s24, s7
	s_addc_u32 s25, s25, 0
	v_dual_mov_b32 v14, s24 :: v_dual_mov_b32 v13, s73
	v_mov_b32_e32 v15, s25
	s_or_b32 s58, s10, s58
	s_delay_alu instid0(SALU_CYCLE_1)
	s_and_not1_b32 exec_lo, exec_lo, s58
	s_cbranch_execnz .LBB165_70
; %bb.71:                               ;   in Loop: Header=BB165_31 Depth=1
	s_or_b32 exec_lo, exec_lo, s58
.LBB165_72:                             ;   in Loop: Header=BB165_31 Depth=1
	s_delay_alu instid0(SALU_CYCLE_1) | instskip(SKIP_4) | instid1(VALU_DEP_3)
	s_or_b32 exec_lo, exec_lo, s47
	v_add_co_u32 v3, vcc_lo, v3, v0
	v_add_co_ci_u32_e32 v4, vcc_lo, 0, v4, vcc_lo
	v_mov_b32_e32 v40, 0
	v_mov_b32_e32 v41, 0
	v_cmp_gt_u64_e32 vcc_lo, s[36:37], v[3:4]
	s_and_saveexec_b32 s8, vcc_lo
	s_cbranch_execz .LBB165_74
; %bb.73:                               ;   in Loop: Header=BB165_31 Depth=1
	v_mul_lo_u32 v5, v4, s30
	v_mul_lo_u32 v18, v3, s31
	v_mad_u64_u32 v[38:39], null, v3, s30, 0
	s_delay_alu instid0(VALU_DEP_1) | instskip(NEXT) | instid1(VALU_DEP_1)
	v_add3_u32 v39, v39, v18, v5
	v_lshlrev_b64 v[38:39], 3, v[38:39]
	s_delay_alu instid0(VALU_DEP_1) | instskip(NEXT) | instid1(VALU_DEP_1)
	v_add_co_u32 v38, s7, s80, v38
	v_add_co_ci_u32_e64 v39, s7, s81, v39, s7
	global_load_b64 v[40:41], v[38:39], off
.LBB165_74:                             ;   in Loop: Header=BB165_31 Depth=1
	s_or_b32 exec_lo, exec_lo, s8
	s_and_saveexec_b32 s11, vcc_lo
	s_cbranch_execz .LBB165_81
; %bb.75:                               ;   in Loop: Header=BB165_31 Depth=1
	s_and_b32 s12, s100, 0xfe
	s_mov_b32 s13, 0
	s_branch .LBB165_77
.LBB165_76:                             ;   in Loop: Header=BB165_77 Depth=2
	s_or_b32 exec_lo, exec_lo, s8
	s_waitcnt vmcnt(0)
	v_xor_b32_e32 v41, 0x80000000, v41
	s_and_b32 s9, exec_lo, vcc_lo
	s_delay_alu instid0(SALU_CYCLE_1) | instskip(NEXT) | instid1(VALU_DEP_1)
	s_or_b32 s13, s9, s13
	v_lshrrev_b64 v[42:43], s12, v[40:41]
	v_and_b32_e32 v40, v40, v32
	v_and_b32_e32 v41, v41, v33
	s_delay_alu instid0(VALU_DEP_3) | instskip(NEXT) | instid1(VALU_DEP_2)
	v_and_b32_e32 v18, 3, v42
	v_cmp_eq_u64_e64 s7, v[40:41], v[34:35]
	s_delay_alu instid0(VALU_DEP_2) | instskip(SKIP_3) | instid1(VALU_DEP_4)
	v_cmp_eq_u64_e64 s8, 0, v[18:19]
	v_cmp_eq_u64_e32 vcc_lo, 1, v[18:19]
	v_cmp_eq_u64_e64 s9, 2, v[18:19]
	v_cmp_eq_u64_e64 s10, 3, v[18:19]
	s_and_b32 s8, s7, s8
	s_delay_alu instid0(SALU_CYCLE_1) | instskip(SKIP_1) | instid1(SALU_CYCLE_1)
	v_cndmask_b32_e64 v5, 0, 1, s8
	s_and_b32 s8, s7, vcc_lo
	v_cndmask_b32_e64 v18, 0, 1, s8
	s_and_b32 s8, s7, s9
	s_delay_alu instid0(VALU_DEP_2) | instskip(SKIP_2) | instid1(SALU_CYCLE_1)
	v_cmp_ne_u32_e32 vcc_lo, 0, v5
	v_cndmask_b32_e64 v40, 0, 1, s8
	s_and_b32 s7, s7, s10
	v_cndmask_b32_e64 v41, 0, 1, s7
	v_cmp_ne_u32_e64 s7, 0, v18
	s_bcnt1_i32_b32 s10, vcc_lo
	v_cmp_ne_u32_e64 s8, 0, v40
	v_add_co_u32 v8, vcc_lo, v8, s10
	s_delay_alu instid0(VALU_DEP_3)
	s_bcnt1_i32_b32 s7, s7
	v_cmp_ne_u32_e64 s9, 0, v41
	v_mov_b32_e32 v41, v39
	v_add_co_ci_u32_e32 v9, vcc_lo, 0, v9, vcc_lo
	v_add_co_u32 v10, vcc_lo, v10, s7
	s_bcnt1_i32_b32 s8, s8
	v_add_co_ci_u32_e32 v11, vcc_lo, 0, v11, vcc_lo
	v_add_co_u32 v12, vcc_lo, v12, s8
	s_bcnt1_i32_b32 s7, s9
	v_add_co_ci_u32_e32 v13, vcc_lo, 0, v13, vcc_lo
	v_add_co_u32 v14, vcc_lo, v14, s7
	v_add_co_ci_u32_e32 v15, vcc_lo, 0, v15, vcc_lo
	v_mov_b32_e32 v40, v38
	s_and_not1_b32 exec_lo, exec_lo, s13
	s_cbranch_execz .LBB165_80
.LBB165_77:                             ;   Parent Loop BB165_31 Depth=1
                                        ; =>  This Inner Loop Header: Depth=2
	v_add_co_u32 v3, vcc_lo, v3, s26
	v_add_co_ci_u32_e32 v4, vcc_lo, 0, v4, vcc_lo
	v_mov_b32_e32 v38, 0
	v_mov_b32_e32 v39, 0
	s_mov_b32 s8, exec_lo
	s_delay_alu instid0(VALU_DEP_3)
	v_cmp_le_u64_e32 vcc_lo, s[36:37], v[3:4]
	v_cmpx_gt_u64_e64 s[36:37], v[3:4]
	s_cbranch_execz .LBB165_76
; %bb.78:                               ;   in Loop: Header=BB165_77 Depth=2
	v_mul_lo_u32 v5, v4, s30
	v_mul_lo_u32 v18, v3, s31
	v_mad_u64_u32 v[38:39], null, v3, s30, 0
	s_delay_alu instid0(VALU_DEP_1) | instskip(NEXT) | instid1(VALU_DEP_1)
	v_add3_u32 v39, v39, v18, v5
	v_lshlrev_b64 v[38:39], 3, v[38:39]
	s_delay_alu instid0(VALU_DEP_1) | instskip(NEXT) | instid1(VALU_DEP_1)
	v_add_co_u32 v38, s7, s80, v38
	v_add_co_ci_u32_e64 v39, s7, s81, v39, s7
	global_load_b64 v[38:39], v[38:39], off
	s_branch .LBB165_76
.LBB165_79:                             ;   in Loop: Header=BB165_31 Depth=1
                                        ; implicit-def: $vgpr14_vgpr15
                                        ; implicit-def: $vgpr10_vgpr11
	s_cbranch_execnz .LBB165_82
	s_branch .LBB165_91
.LBB165_80:                             ;   in Loop: Header=BB165_31 Depth=1
	s_or_b32 exec_lo, exec_lo, s13
.LBB165_81:                             ;   in Loop: Header=BB165_31 Depth=1
	s_delay_alu instid0(SALU_CYCLE_1)
	s_or_b32 exec_lo, exec_lo, s11
	s_branch .LBB165_91
.LBB165_82:                             ;   in Loop: Header=BB165_31 Depth=1
	global_load_u16 v3, v19, s[62:63]
	v_mov_b32_e32 v8, 0
	s_mov_b64 s[72:73], 0
	s_mov_b32 s47, exec_lo
	v_mov_b32_e32 v9, 0
	s_delay_alu instid0(VALU_DEP_1)
	v_dual_mov_b32 v11, v9 :: v_dual_mov_b32 v10, v8
	v_dual_mov_b32 v13, v9 :: v_dual_mov_b32 v12, v8
	v_dual_mov_b32 v15, v9 :: v_dual_mov_b32 v14, v8
	s_waitcnt vmcnt(0)
	v_readfirstlane_b32 s7, v3
	v_and_b32_e32 v5, 0xffff, v3
	s_delay_alu instid0(VALU_DEP_2) | instskip(NEXT) | instid1(SALU_CYCLE_1)
	s_and_b32 s7, 0xffff, s7
	s_lshl_b32 s46, s7, 2
	s_delay_alu instid0(SALU_CYCLE_1) | instskip(SKIP_1) | instid1(VALU_DEP_1)
	v_cvt_f32_u32_e32 v4, s46
	s_sub_i32 s8, 0, s46
	v_rcp_iflag_f32_e32 v4, v4
	s_waitcnt_depctr 0xfff
	v_mul_f32_e32 v4, 0x4f7ffffe, v4
	s_delay_alu instid0(VALU_DEP_1) | instskip(NEXT) | instid1(VALU_DEP_1)
	v_cvt_u32_f32_e32 v4, v4
	v_readfirstlane_b32 s7, v4
	s_delay_alu instid0(VALU_DEP_1) | instskip(NEXT) | instid1(SALU_CYCLE_1)
	s_mul_i32 s8, s8, s7
	s_mul_hi_u32 s8, s7, s8
	s_delay_alu instid0(SALU_CYCLE_1) | instskip(NEXT) | instid1(SALU_CYCLE_1)
	s_add_i32 s7, s7, s8
	s_mul_hi_u32 s7, s70, s7
	s_delay_alu instid0(SALU_CYCLE_1) | instskip(NEXT) | instid1(SALU_CYCLE_1)
	s_mul_i32 s7, s7, s46
	s_sub_i32 s7, s70, s7
	s_delay_alu instid0(SALU_CYCLE_1) | instskip(SKIP_2) | instid1(SALU_CYCLE_1)
	s_sub_i32 s8, s7, s46
	s_cmp_ge_u32 s7, s46
	s_cselect_b32 s7, s8, s7
	s_sub_i32 s8, s7, s46
	s_cmp_ge_u32 s7, s46
	s_cselect_b32 s7, s8, s7
	s_delay_alu instid0(SALU_CYCLE_1) | instskip(NEXT) | instid1(SALU_CYCLE_1)
	s_sub_i32 s60, s70, s7
	v_cmpx_gt_u32_e64 s60, v20
	s_cbranch_execz .LBB165_86
; %bb.83:                               ;   in Loop: Header=BB165_31 Depth=1
	v_dual_mov_b32 v39, v53 :: v_dual_lshlrev_b32 v38, 5, v5
	v_dual_mov_b32 v3, v20 :: v_dual_mov_b32 v4, v21
	s_and_b32 s55, s100, 0xfe
	s_mov_b32 s56, 0
	s_mov_b64 s[74:75], 0
	s_mov_b64 s[76:77], 0
	;; [unrolled: 1-line block ×3, first 2 shown]
.LBB165_84:                             ;   Parent Loop BB165_31 Depth=1
                                        ; =>  This Inner Loop Header: Depth=2
	ds_load_b128 v[8:11], v39
	v_add_co_u32 v3, s18, v3, s46
	s_delay_alu instid0(VALU_DEP_1) | instskip(NEXT) | instid1(VALU_DEP_1)
	v_add_co_ci_u32_e64 v4, s18, 0, v4, s18
	v_cmp_le_u64_e64 s18, s[60:61], v[3:4]
	s_waitcnt lgkmcnt(0)
	v_xor_b32_e32 v9, 0x80000000, v9
	v_xor_b32_e32 v11, 0x80000000, v11
	v_and_b32_e32 v12, v8, v32
	v_and_b32_e32 v14, v10, v32
	s_delay_alu instid0(VALU_DEP_4)
	v_lshrrev_b64 v[40:41], s55, v[8:9]
	v_and_b32_e32 v13, v9, v33
	v_and_b32_e32 v15, v11, v33
	v_lshrrev_b64 v[41:42], s55, v[10:11]
	ds_load_b128 v[8:11], v39 offset:16
	v_add_nc_u32_e32 v39, v39, v38
	v_and_b32_e32 v18, 3, v40
	s_delay_alu instid0(VALU_DEP_1)
	v_cmp_eq_u64_e64 s19, 0, v[18:19]
	v_cmp_eq_u64_e64 s21, 1, v[18:19]
	;; [unrolled: 1-line block ×3, first 2 shown]
	s_waitcnt lgkmcnt(0)
	v_xor_b32_e32 v9, 0x80000000, v9
	v_xor_b32_e32 v11, 0x80000000, v11
	v_and_b32_e32 v42, v8, v32
	v_and_b32_e32 v44, v10, v32
	s_delay_alu instid0(VALU_DEP_4)
	v_and_b32_e32 v43, v9, v33
	v_lshrrev_b64 v[8:9], s55, v[8:9]
	v_lshrrev_b64 v[9:10], s55, v[10:11]
	v_and_b32_e32 v45, v11, v33
	v_dual_mov_b32 v11, v19 :: v_dual_and_b32 v10, 3, v41
	v_cmp_eq_u64_e32 vcc_lo, v[12:13], v[34:35]
	v_cmp_eq_u64_e64 s8, v[42:43], v[34:35]
	s_delay_alu instid0(VALU_DEP_4) | instskip(NEXT) | instid1(VALU_DEP_4)
	v_cmp_eq_u64_e64 s9, v[44:45], v[34:35]
	v_cmp_eq_u64_e64 s10, 0, v[10:11]
	;; [unrolled: 1-line block ×5, first 2 shown]
	v_and_b32_e32 v10, 3, v8
	v_dual_mov_b32 v9, v19 :: v_dual_and_b32 v8, 3, v9
	v_cmp_eq_u64_e64 s7, v[14:15], v[34:35]
	s_and_b32 s19, vcc_lo, s19
	s_delay_alu instid0(VALU_DEP_3)
	v_cmp_eq_u64_e64 s14, 0, v[10:11]
	v_cmp_eq_u64_e64 s15, 1, v[10:11]
	;; [unrolled: 1-line block ×4, first 2 shown]
	s_and_b32 s10, s7, s10
	v_cmp_eq_u64_e64 s24, 2, v[8:9]
	v_cmp_eq_u64_e64 s26, 3, v[8:9]
	v_cndmask_b32_e64 v8, 0, 1, s19
	s_and_b32 s14, s8, s14
	v_cndmask_b32_e64 v9, 0, 1, s10
	v_cmp_eq_u64_e64 s16, 2, v[10:11]
	v_cmp_eq_u64_e64 s17, 3, v[10:11]
	s_and_b32 s20, s9, s20
	v_cndmask_b32_e64 v10, 0, 1, s14
	v_cmp_ne_u32_e64 s10, 0, v8
	v_cndmask_b32_e64 v8, 0, 1, s20
	v_cmp_ne_u32_e64 s14, 0, v9
	s_delay_alu instid0(VALU_DEP_4) | instskip(NEXT) | instid1(VALU_DEP_4)
	v_cmp_ne_u32_e64 s19, 0, v10
	s_bcnt1_i32_b32 s10, s10
	s_delay_alu instid0(VALU_DEP_3) | instskip(NEXT) | instid1(VALU_DEP_3)
	v_cmp_ne_u32_e64 s20, 0, v8
	s_bcnt1_i32_b32 s14, s14
	s_delay_alu instid0(VALU_DEP_2) | instskip(SKIP_1) | instid1(VALU_DEP_1)
	s_bcnt1_i32_b32 s19, s19
	s_add_i32 s10, s14, s10
	s_bcnt1_i32_b32 s20, s20
	s_add_i32 s10, s10, s19
	s_delay_alu instid0(SALU_CYCLE_1) | instskip(NEXT) | instid1(SALU_CYCLE_1)
	s_add_i32 s10, s10, s20
	s_add_u32 s78, s78, s10
	s_addc_u32 s79, s79, 0
	s_and_b32 s10, vcc_lo, s21
	s_and_b32 s11, s7, s11
	v_cndmask_b32_e64 v8, 0, 1, s10
	s_and_b32 s14, s8, s15
	v_cndmask_b32_e64 v9, 0, 1, s11
	;; [unrolled: 2-line block ×3, first 2 shown]
	v_cmp_ne_u32_e64 s10, 0, v8
	v_cndmask_b32_e64 v8, 0, 1, s15
	v_cmp_ne_u32_e64 s11, 0, v9
	s_delay_alu instid0(VALU_DEP_4) | instskip(NEXT) | instid1(VALU_DEP_4)
	v_cmp_ne_u32_e64 s14, 0, v10
	s_bcnt1_i32_b32 s10, s10
	s_delay_alu instid0(VALU_DEP_3) | instskip(NEXT) | instid1(VALU_DEP_3)
	v_cmp_ne_u32_e64 s15, 0, v8
	s_bcnt1_i32_b32 s11, s11
	s_delay_alu instid0(VALU_DEP_2) | instskip(SKIP_1) | instid1(VALU_DEP_1)
	s_bcnt1_i32_b32 s14, s14
	s_add_i32 s10, s11, s10
	s_bcnt1_i32_b32 s15, s15
	s_add_i32 s10, s10, s14
	s_delay_alu instid0(SALU_CYCLE_1) | instskip(NEXT) | instid1(SALU_CYCLE_1)
	s_add_i32 s10, s10, s15
	s_add_u32 s76, s76, s10
	s_addc_u32 s77, s77, 0
	s_and_b32 s10, vcc_lo, s23
	s_and_b32 s11, s7, s12
	v_cndmask_b32_e64 v8, 0, 1, s10
	s_and_b32 s12, s8, s16
	v_cndmask_b32_e64 v9, 0, 1, s11
	s_and_b32 s14, s9, s24
	v_cndmask_b32_e64 v10, 0, 1, s12
	v_cmp_ne_u32_e64 s10, 0, v8
	v_cndmask_b32_e64 v8, 0, 1, s14
	v_cmp_ne_u32_e64 s11, 0, v9
	s_delay_alu instid0(VALU_DEP_4) | instskip(NEXT) | instid1(VALU_DEP_4)
	v_cmp_ne_u32_e64 s12, 0, v10
	s_bcnt1_i32_b32 s10, s10
	s_delay_alu instid0(VALU_DEP_3) | instskip(NEXT) | instid1(VALU_DEP_3)
	v_cmp_ne_u32_e64 s14, 0, v8
	s_bcnt1_i32_b32 s11, s11
	s_delay_alu instid0(VALU_DEP_2) | instskip(SKIP_1) | instid1(VALU_DEP_1)
	s_bcnt1_i32_b32 s12, s12
	s_add_i32 s10, s11, s10
	s_bcnt1_i32_b32 s14, s14
	s_add_i32 s10, s10, s12
	s_delay_alu instid0(SALU_CYCLE_1) | instskip(NEXT) | instid1(SALU_CYCLE_1)
	s_add_i32 s10, s10, s14
	s_add_u32 s74, s74, s10
	s_addc_u32 s75, s75, 0
	s_delay_alu instid0(SALU_CYCLE_1)
	v_dual_mov_b32 v12, s74 :: v_dual_mov_b32 v13, s75
	v_cmp_eq_u64_e64 s25, 3, v[18:19]
	s_and_b32 s7, s7, s13
	s_and_b32 s8, s8, s17
	v_cndmask_b32_e64 v9, 0, 1, s7
	s_and_b32 s9, s9, s26
	v_cndmask_b32_e64 v10, 0, 1, s8
	s_and_b32 s10, vcc_lo, s25
	s_delay_alu instid0(SALU_CYCLE_1) | instskip(SKIP_1) | instid1(VALU_DEP_3)
	v_cndmask_b32_e64 v8, 0, 1, s10
	v_cmp_ne_u32_e64 s7, 0, v9
	v_cmp_ne_u32_e64 s8, 0, v10
	v_dual_mov_b32 v10, s76 :: v_dual_mov_b32 v11, s77
	s_delay_alu instid0(VALU_DEP_4) | instskip(SKIP_4) | instid1(VALU_DEP_1)
	v_cmp_ne_u32_e32 vcc_lo, 0, v8
	v_cndmask_b32_e64 v8, 0, 1, s9
	s_bcnt1_i32_b32 s7, s7
	s_bcnt1_i32_b32 s8, s8
	s_bcnt1_i32_b32 s10, vcc_lo
	v_cmp_ne_u32_e64 s9, 0, v8
	s_add_i32 s7, s7, s10
	v_mov_b32_e32 v8, s78
	s_add_i32 s7, s7, s8
	v_mov_b32_e32 v9, s79
	s_bcnt1_i32_b32 s9, s9
	s_delay_alu instid0(SALU_CYCLE_1) | instskip(NEXT) | instid1(SALU_CYCLE_1)
	s_add_i32 s7, s7, s9
	s_add_u32 s72, s72, s7
	s_addc_u32 s73, s73, 0
	s_delay_alu instid0(SALU_CYCLE_1) | instskip(SKIP_1) | instid1(SALU_CYCLE_1)
	v_dual_mov_b32 v14, s72 :: v_dual_mov_b32 v15, s73
	s_or_b32 s56, s18, s56
	s_and_not1_b32 exec_lo, exec_lo, s56
	s_cbranch_execnz .LBB165_84
; %bb.85:                               ;   in Loop: Header=BB165_31 Depth=1
	s_or_b32 exec_lo, exec_lo, s56
.LBB165_86:                             ;   in Loop: Header=BB165_31 Depth=1
	s_delay_alu instid0(SALU_CYCLE_1) | instskip(SKIP_2) | instid1(VALU_DEP_1)
	s_or_b32 exec_lo, exec_lo, s47
	v_add_nc_u32_e32 v18, s60, v0
	s_mov_b32 s14, exec_lo
	v_cmpx_gt_u32_e64 s70, v18
	s_cbranch_execz .LBB165_90
; %bb.87:                               ;   in Loop: Header=BB165_31 Depth=1
	v_dual_mov_b32 v3, v18 :: v_dual_lshlrev_b32 v38, 3, v18
	v_dual_mov_b32 v4, v19 :: v_dual_lshlrev_b32 v39, 3, v5
	s_mov_b32 s13, 0
	s_and_b32 s12, s70, 0x7fffffff
	s_and_b32 s16, s100, 0xfe
	s_mov_b32 s15, s13
.LBB165_88:                             ;   Parent Loop BB165_31 Depth=1
                                        ; =>  This Inner Loop Header: Depth=2
	ds_load_b64 v[40:41], v38
	v_add_co_u32 v3, vcc_lo, v3, v5
	v_add_co_ci_u32_e32 v4, vcc_lo, 0, v4, vcc_lo
	v_add_nc_u32_e32 v38, v38, v39
	s_delay_alu instid0(VALU_DEP_2) | instskip(SKIP_3) | instid1(VALU_DEP_2)
	v_cmp_le_u64_e32 vcc_lo, s[12:13], v[3:4]
	s_waitcnt lgkmcnt(0)
	v_xor_b32_e32 v41, 0x80000000, v41
	v_and_b32_e32 v42, v40, v32
	v_and_b32_e32 v43, v41, v33
	v_lshrrev_b64 v[40:41], s16, v[40:41]
	s_delay_alu instid0(VALU_DEP_2) | instskip(NEXT) | instid1(VALU_DEP_2)
	v_cmp_eq_u64_e64 s7, v[42:43], v[34:35]
	v_and_b32_e32 v18, 3, v40
	s_delay_alu instid0(VALU_DEP_1) | instskip(SKIP_3) | instid1(VALU_DEP_4)
	v_cmp_eq_u64_e64 s8, 0, v[18:19]
	v_cmp_eq_u64_e64 s9, 1, v[18:19]
	v_cmp_eq_u64_e64 s10, 2, v[18:19]
	v_cmp_eq_u64_e64 s11, 3, v[18:19]
	s_and_b32 s8, s7, s8
	s_delay_alu instid0(SALU_CYCLE_1) | instskip(NEXT) | instid1(VALU_DEP_4)
	v_cndmask_b32_e64 v18, 0, 1, s8
	s_and_b32 s8, s7, s9
	s_delay_alu instid0(SALU_CYCLE_1)
	v_cndmask_b32_e64 v40, 0, 1, s8
	s_and_b32 s8, s7, s10
	s_and_b32 s7, s7, s11
	v_cndmask_b32_e64 v41, 0, 1, s8
	v_cndmask_b32_e64 v42, 0, 1, s7
	v_cmp_ne_u32_e64 s7, 0, v18
	v_cmp_ne_u32_e64 s8, 0, v40
	s_delay_alu instid0(VALU_DEP_4) | instskip(NEXT) | instid1(VALU_DEP_4)
	v_cmp_ne_u32_e64 s9, 0, v41
	v_cmp_ne_u32_e64 s10, 0, v42
	s_delay_alu instid0(VALU_DEP_4) | instskip(NEXT) | instid1(VALU_DEP_3)
	s_bcnt1_i32_b32 s7, s7
	s_bcnt1_i32_b32 s8, s8
	v_add_co_u32 v8, s7, v8, s7
	s_delay_alu instid0(VALU_DEP_1)
	v_add_co_ci_u32_e64 v9, s7, 0, v9, s7
	v_add_co_u32 v10, s7, v10, s8
	s_bcnt1_i32_b32 s9, s9
	v_add_co_ci_u32_e64 v11, s7, 0, v11, s7
	v_add_co_u32 v12, s7, v12, s9
	s_bcnt1_i32_b32 s10, s10
	v_add_co_ci_u32_e64 v13, s7, 0, v13, s7
	v_add_co_u32 v14, s7, v14, s10
	s_delay_alu instid0(VALU_DEP_1) | instskip(SKIP_1) | instid1(SALU_CYCLE_1)
	v_add_co_ci_u32_e64 v15, s7, 0, v15, s7
	s_or_b32 s15, vcc_lo, s15
	s_and_not1_b32 exec_lo, exec_lo, s15
	s_cbranch_execnz .LBB165_88
; %bb.89:                               ;   in Loop: Header=BB165_31 Depth=1
	s_or_b32 exec_lo, exec_lo, s15
.LBB165_90:                             ;   in Loop: Header=BB165_31 Depth=1
	s_delay_alu instid0(SALU_CYCLE_1)
	s_or_b32 exec_lo, exec_lo, s14
.LBB165_91:                             ;   in Loop: Header=BB165_31 Depth=1
	s_lshl_b32 s7, s96, 7
	s_and_saveexec_b32 s8, s2
	s_cbranch_execz .LBB165_93
; %bb.92:                               ;   in Loop: Header=BB165_31 Depth=1
	v_or_b32_e32 v3, s7, v50
	s_delay_alu instid0(VALU_DEP_1)
	v_lshlrev_b32_e32 v3, 3, v3
	ds_store_b128 v3, v[8:11] offset:3072
	ds_store_b128 v3, v[12:15] offset:3088
.LBB165_93:                             ;   in Loop: Header=BB165_31 Depth=1
	s_or_b32 exec_lo, exec_lo, s8
	s_waitcnt vmcnt(0) lgkmcnt(0)
	s_barrier
	buffer_gl0_inv
	s_and_saveexec_b32 s8, s83
	s_cbranch_execz .LBB165_104
; %bb.94:                               ;   in Loop: Header=BB165_31 Depth=1
	v_mov_b32_e32 v3, 0
	v_mov_b32_e32 v4, 0
	s_and_not1_b32 vcc_lo, exec_lo, s91
	s_cbranch_vccnz .LBB165_103
; %bb.95:                               ;   in Loop: Header=BB165_31 Depth=1
	v_mov_b32_e32 v3, 0
	v_mov_b32_e32 v4, 0
	s_and_not1_b32 vcc_lo, exec_lo, s89
	s_cbranch_vccnz .LBB165_100
; %bb.96:                               ;   in Loop: Header=BB165_31 Depth=1
	v_lshl_add_u32 v5, s96, 10, v54
	s_mov_b32 s9, 0
	s_set_inst_prefetch_distance 0x1
	.p2align	6
.LBB165_97:                             ;   Parent Loop BB165_31 Depth=1
                                        ; =>  This Inner Loop Header: Depth=2
	ds_load_2addr_b64 v[8:11], v5 offset1:4
	ds_load_2addr_b64 v[12:15], v5 offset0:8 offset1:12
	ds_load_2addr_b64 v[38:41], v5 offset0:16 offset1:20
	s_add_i32 s9, s9, 8
	s_delay_alu instid0(SALU_CYCLE_1) | instskip(SKIP_3) | instid1(VALU_DEP_2)
	s_cmp_eq_u32 s90, s9
	s_waitcnt lgkmcnt(2)
	v_add_co_u32 v3, vcc_lo, v8, v3
	v_add_co_ci_u32_e32 v4, vcc_lo, v9, v4, vcc_lo
	v_add_co_u32 v3, vcc_lo, v10, v3
	s_delay_alu instid0(VALU_DEP_2)
	v_add_co_ci_u32_e32 v4, vcc_lo, v11, v4, vcc_lo
	ds_load_2addr_b64 v[8:11], v5 offset0:24 offset1:28
	s_waitcnt lgkmcnt(2)
	v_add_co_u32 v3, vcc_lo, v12, v3
	v_add_co_ci_u32_e32 v4, vcc_lo, v13, v4, vcc_lo
	v_add_nc_u32_e32 v5, 0x100, v5
	s_delay_alu instid0(VALU_DEP_3) | instskip(NEXT) | instid1(VALU_DEP_3)
	v_add_co_u32 v3, vcc_lo, v14, v3
	v_add_co_ci_u32_e32 v4, vcc_lo, v15, v4, vcc_lo
	s_waitcnt lgkmcnt(1)
	s_delay_alu instid0(VALU_DEP_2) | instskip(NEXT) | instid1(VALU_DEP_2)
	v_add_co_u32 v3, vcc_lo, v38, v3
	v_add_co_ci_u32_e32 v4, vcc_lo, v39, v4, vcc_lo
	s_delay_alu instid0(VALU_DEP_2) | instskip(NEXT) | instid1(VALU_DEP_2)
	v_add_co_u32 v3, vcc_lo, v40, v3
	v_add_co_ci_u32_e32 v4, vcc_lo, v41, v4, vcc_lo
	s_waitcnt lgkmcnt(0)
	s_delay_alu instid0(VALU_DEP_2) | instskip(NEXT) | instid1(VALU_DEP_2)
	v_add_co_u32 v3, vcc_lo, v8, v3
	v_add_co_ci_u32_e32 v4, vcc_lo, v9, v4, vcc_lo
	s_delay_alu instid0(VALU_DEP_2) | instskip(NEXT) | instid1(VALU_DEP_2)
	v_add_co_u32 v3, vcc_lo, v10, v3
	v_add_co_ci_u32_e32 v4, vcc_lo, v11, v4, vcc_lo
	s_cbranch_scc0 .LBB165_97
; %bb.98:                               ;   in Loop: Header=BB165_31 Depth=1
	s_set_inst_prefetch_distance 0x2
	s_mov_b32 s9, s90
	s_and_not1_b32 vcc_lo, exec_lo, s92
	s_cbranch_vccz .LBB165_101
	s_branch .LBB165_103
.LBB165_99:                             ;   in Loop: Header=BB165_31 Depth=1
                                        ; implicit-def: $vgpr3_vgpr4
	s_branch .LBB165_67
.LBB165_100:                            ;   in Loop: Header=BB165_31 Depth=1
	s_mov_b32 s9, 0
	s_and_not1_b32 vcc_lo, exec_lo, s92
	s_cbranch_vccnz .LBB165_103
.LBB165_101:                            ;   in Loop: Header=BB165_31 Depth=1
	s_lshl_b32 s10, s96, 10
	s_lshl_b32 s9, s9, 5
	s_delay_alu instid0(SALU_CYCLE_1)
	v_add3_u32 v5, s10, s9, v54
	v_readlane_b32 s9, v57, 4
.LBB165_102:                            ;   Parent Loop BB165_31 Depth=1
                                        ; =>  This Inner Loop Header: Depth=2
	ds_load_b64 v[8:9], v5
	v_add_nc_u32_e32 v5, 32, v5
	s_add_i32 s9, s9, -1
	s_delay_alu instid0(SALU_CYCLE_1)
	s_cmp_lg_u32 s9, 0
	s_waitcnt lgkmcnt(0)
	v_add_co_u32 v3, vcc_lo, v8, v3
	v_add_co_ci_u32_e32 v4, vcc_lo, v9, v4, vcc_lo
	s_cbranch_scc1 .LBB165_102
.LBB165_103:                            ;   in Loop: Header=BB165_31 Depth=1
	v_add_lshl_u32 v5, s7, v49, 3
	ds_store_b64 v5, v[3:4] offset:3072
.LBB165_104:                            ;   in Loop: Header=BB165_31 Depth=1
	s_or_b32 exec_lo, exec_lo, s8
	s_lshl_b32 s7, s7, 3
	s_waitcnt lgkmcnt(0)
	v_mov_b32_e32 v3, s7
	s_barrier
	buffer_gl0_inv
	s_and_b32 s24, s100, 0xfe
	v_cmp_eq_u64_e64 s7, 1, v[36:37]
	ds_load_b128 v[8:11], v3 offset:3072
	ds_load_b128 v[12:15], v3 offset:3088
	s_lshl_b64 s[12:13], 3, s24
	s_mov_b32 s60, 0
	s_and_not1_b32 vcc_lo, exec_lo, s82
	s_not_b64 s[14:15], s[12:13]
	s_waitcnt lgkmcnt(1)
	v_readfirstlane_b32 s11, v9
	v_readfirstlane_b32 s10, v8
	;; [unrolled: 1-line block ×4, first 2 shown]
	s_waitcnt lgkmcnt(0)
	v_readfirstlane_b32 s19, v13
	v_readfirstlane_b32 s18, v12
	v_readfirstlane_b32 s21, v15
	v_readfirstlane_b32 s20, v14
	s_cbranch_vccnz .LBB165_120
; %bb.105:                              ;   in Loop: Header=BB165_31 Depth=1
	s_cmp_eq_u64 s[10:11], 1
	v_dual_mov_b32 v12, v34 :: v_dual_mov_b32 v13, v35
	v_dual_mov_b32 v14, v32 :: v_dual_mov_b32 v15, v33
	;; [unrolled: 1-line block ×3, first 2 shown]
	s_cselect_b32 s8, -1, 0
                                        ; implicit-def: $sgpr25
                                        ; implicit-def: $sgpr71
                                        ; implicit-def: $sgpr70
	s_delay_alu instid0(SALU_CYCLE_1)
	s_and_b32 s46, s8, s7
	s_mov_b32 s8, -1
	s_and_saveexec_b32 s47, s46
	s_cbranch_execz .LBB165_139
; %bb.106:                              ;   in Loop: Header=BB165_31 Depth=1
	ds_load_b64 v[3:4], v19 offset:5120
	s_waitcnt lgkmcnt(0)
	s_barrier
	buffer_gl0_inv
	v_readfirstlane_b32 s22, v3
	v_readfirstlane_b32 s23, v4
	s_and_saveexec_b32 s8, s6
	s_cbranch_execz .LBB165_108
; %bb.107:                              ;   in Loop: Header=BB165_31 Depth=1
	v_mov_b32_e32 v18, v19
	ds_store_b64 v52, v[18:19]
.LBB165_108:                            ;   in Loop: Header=BB165_31 Depth=1
	s_or_b32 exec_lo, exec_lo, s8
	v_and_b32_e32 v13, s15, v35
	v_and_b32_e32 v12, s14, v34
	v_or_b32_e32 v15, s13, v33
	v_or_b32_e32 v14, s12, v32
	s_cmp_eq_u64 s[22:23], 0
	s_waitcnt lgkmcnt(0)
	s_barrier
	buffer_gl0_inv
	s_cbranch_scc1 .LBB165_122
; %bb.109:                              ;   in Loop: Header=BB165_31 Depth=1
	s_add_u32 s25, s85, s22
	s_addc_u32 s9, s86, s23
	s_mov_b32 s8, s61
	s_delay_alu instid0(SALU_CYCLE_1)
	s_cmp_lg_u64 s[8:9], 0
	s_cbranch_scc0 .LBB165_166
; %bb.110:                              ;   in Loop: Header=BB165_31 Depth=1
	v_cvt_f32_u32_e32 v3, s33
	s_sub_u32 s26, 0, s33
	s_subb_u32 s42, 0, 0
	s_delay_alu instid0(VALU_DEP_1) | instskip(NEXT) | instid1(VALU_DEP_1)
	v_fmac_f32_e64 v3, 0, 0x4f800000
	v_rcp_f32_e32 v3, v3
	s_waitcnt_depctr 0xfff
	v_mul_f32_e32 v3, 0x5f7ffffc, v3
	s_delay_alu instid0(VALU_DEP_1) | instskip(NEXT) | instid1(VALU_DEP_1)
	v_mul_f32_e32 v4, 0x2f800000, v3
	v_trunc_f32_e32 v4, v4
	s_delay_alu instid0(VALU_DEP_1) | instskip(SKIP_1) | instid1(VALU_DEP_2)
	v_fmac_f32_e32 v3, 0xcf800000, v4
	v_cvt_u32_f32_e32 v4, v4
	v_cvt_u32_f32_e32 v3, v3
	s_delay_alu instid0(VALU_DEP_2) | instskip(NEXT) | instid1(VALU_DEP_2)
	v_readfirstlane_b32 s3, v4
	v_readfirstlane_b32 s8, v3
	s_delay_alu instid0(VALU_DEP_2) | instskip(NEXT) | instid1(VALU_DEP_1)
	s_mul_i32 s43, s26, s3
	s_mul_hi_u32 s51, s26, s8
	s_mul_i32 s50, s42, s8
	s_add_i32 s43, s51, s43
	s_mul_i32 s55, s26, s8
	s_add_i32 s43, s43, s50
	s_mul_hi_u32 s51, s8, s55
	s_mul_hi_u32 s56, s3, s55
	s_mul_i32 s50, s3, s55
	s_mul_hi_u32 s55, s8, s43
	s_mul_i32 s8, s8, s43
	s_mul_hi_u32 s57, s3, s43
	s_add_u32 s8, s51, s8
	s_addc_u32 s51, 0, s55
	s_add_u32 s8, s8, s50
	s_mul_i32 s43, s3, s43
	s_addc_u32 s8, s51, s56
	s_addc_u32 s50, s57, 0
	s_add_u32 s8, s8, s43
	s_addc_u32 s43, 0, s50
	v_add_co_u32 v3, s8, v3, s8
	s_delay_alu instid0(VALU_DEP_1) | instskip(SKIP_1) | instid1(VALU_DEP_1)
	s_cmp_lg_u32 s8, 0
	s_addc_u32 s3, s3, s43
	v_readfirstlane_b32 s8, v3
	s_mul_i32 s43, s26, s3
	s_delay_alu instid0(VALU_DEP_1)
	s_mul_hi_u32 s50, s26, s8
	s_mul_i32 s42, s42, s8
	s_add_i32 s43, s50, s43
	s_mul_i32 s26, s26, s8
	s_add_i32 s43, s43, s42
	s_mul_hi_u32 s50, s3, s26
	s_mul_i32 s51, s3, s26
	s_mul_hi_u32 s26, s8, s26
	s_mul_hi_u32 s55, s8, s43
	s_mul_i32 s8, s8, s43
	s_mul_hi_u32 s42, s3, s43
	s_add_u32 s8, s26, s8
	s_addc_u32 s26, 0, s55
	s_add_u32 s8, s8, s51
	s_mul_i32 s43, s3, s43
	s_addc_u32 s8, s26, s50
	s_addc_u32 s26, s42, 0
	s_add_u32 s8, s8, s43
	s_addc_u32 s26, 0, s26
	v_add_co_u32 v3, s8, v3, s8
	s_delay_alu instid0(VALU_DEP_1) | instskip(SKIP_1) | instid1(VALU_DEP_1)
	s_cmp_lg_u32 s8, 0
	s_addc_u32 s3, s3, s26
	v_readfirstlane_b32 s8, v3
	s_mul_i32 s42, s25, s3
	s_mul_hi_u32 s26, s25, s3
	s_mul_hi_u32 s43, s9, s3
	s_mul_i32 s3, s9, s3
	s_mul_hi_u32 s50, s25, s8
	s_mul_hi_u32 s51, s9, s8
	s_mul_i32 s8, s9, s8
	s_add_u32 s42, s50, s42
	s_addc_u32 s26, 0, s26
	s_add_u32 s8, s42, s8
	s_addc_u32 s8, s26, s51
	s_addc_u32 s26, s43, 0
	s_add_u32 s3, s8, s3
	s_addc_u32 s8, 0, s26
	s_mul_hi_u32 s26, s33, s3
	s_mul_i32 s3, s33, s3
	s_mul_i32 s8, s33, s8
	v_sub_co_u32 v3, s3, s25, s3
	s_add_i32 s26, s26, s8
	s_cmp_lg_u32 s3, 0
	s_delay_alu instid0(VALU_DEP_1) | instskip(SKIP_2) | instid1(VALU_DEP_1)
	v_sub_co_u32 v4, s3, v3, s33
	s_subb_u32 s26, s9, s26
	s_cmp_lg_u32 s3, 0
	v_cmp_le_u32_e32 vcc_lo, s33, v4
	v_sub_co_u32 v5, s3, v4, s33
	s_subb_u32 s42, s26, 0
	s_cmp_lg_u32 s3, 0
	v_cndmask_b32_e64 v8, 0, -1, vcc_lo
	s_subb_u32 s3, s42, 0
	s_cmp_eq_u32 s42, 0
	v_mov_b32_e32 v10, s3
	s_cselect_b32 vcc_lo, -1, 0
	s_cmp_eq_u32 s26, 0
	v_cndmask_b32_e32 v8, -1, v8, vcc_lo
	v_cmp_le_u32_e32 vcc_lo, s33, v3
	s_cselect_b32 s8, -1, 0
	v_cndmask_b32_e64 v9, 0, -1, vcc_lo
	s_delay_alu instid0(VALU_DEP_3) | instskip(NEXT) | instid1(VALU_DEP_2)
	v_cmp_ne_u32_e32 vcc_lo, 0, v8
	v_cndmask_b32_e64 v8, -1, v9, s8
	v_cndmask_b32_e32 v9, s42, v10, vcc_lo
	v_cndmask_b32_e32 v5, v4, v5, vcc_lo
	s_delay_alu instid0(VALU_DEP_3) | instskip(NEXT) | instid1(VALU_DEP_3)
	v_cmp_ne_u32_e32 vcc_lo, 0, v8
	v_cndmask_b32_e32 v4, s26, v9, vcc_lo
	s_delay_alu instid0(VALU_DEP_3)
	v_cndmask_b32_e32 v3, v3, v5, vcc_lo
	s_cbranch_execnz .LBB165_112
.LBB165_111:                            ;   in Loop: Header=BB165_31 Depth=1
	v_cvt_f32_u32_e32 v3, s33
	s_sub_i32 s3, 0, s33
	s_delay_alu instid0(VALU_DEP_1) | instskip(SKIP_2) | instid1(VALU_DEP_1)
	v_rcp_iflag_f32_e32 v3, v3
	s_waitcnt_depctr 0xfff
	v_mul_f32_e32 v3, 0x4f7ffffe, v3
	v_cvt_u32_f32_e32 v3, v3
	s_delay_alu instid0(VALU_DEP_1) | instskip(NEXT) | instid1(VALU_DEP_1)
	v_mul_lo_u32 v4, s3, v3
	v_mul_hi_u32 v4, v3, v4
	s_delay_alu instid0(VALU_DEP_1) | instskip(NEXT) | instid1(VALU_DEP_1)
	v_add_nc_u32_e32 v3, v3, v4
	v_mul_hi_u32 v3, s25, v3
	s_delay_alu instid0(VALU_DEP_1) | instskip(NEXT) | instid1(VALU_DEP_1)
	v_mul_lo_u32 v3, v3, s33
	v_sub_nc_u32_e32 v3, s25, v3
	s_delay_alu instid0(VALU_DEP_1) | instskip(SKIP_1) | instid1(VALU_DEP_2)
	v_subrev_nc_u32_e32 v4, s33, v3
	v_cmp_le_u32_e32 vcc_lo, s33, v3
	v_cndmask_b32_e32 v3, v3, v4, vcc_lo
	s_delay_alu instid0(VALU_DEP_1) | instskip(SKIP_1) | instid1(VALU_DEP_2)
	v_subrev_nc_u32_e32 v4, s33, v3
	v_cmp_le_u32_e32 vcc_lo, s33, v3
	v_cndmask_b32_e32 v18, v3, v4, vcc_lo
	s_delay_alu instid0(VALU_DEP_1)
	v_dual_mov_b32 v3, v18 :: v_dual_mov_b32 v4, v19
.LBB165_112:                            ;   in Loop: Header=BB165_31 Depth=1
	s_delay_alu instid0(VALU_DEP_1) | instskip(NEXT) | instid1(VALU_DEP_2)
	v_sub_co_u32 v38, vcc_lo, s25, v3
	v_sub_co_ci_u32_e32 v39, vcc_lo, s9, v4, vcc_lo
	s_mov_b32 s9, 0
	s_mov_b32 s8, exec_lo
                                        ; implicit-def: $vgpr10_vgpr11
	s_delay_alu instid0(VALU_DEP_1)
	v_cmpx_gt_u64_e64 v[38:39], v[0:1]
	s_cbranch_execz .LBB165_124
; %bb.113:                              ;   in Loop: Header=BB165_31 Depth=1
	v_dual_mov_b32 v18, v51 :: v_dual_mov_b32 v41, v1
	v_mov_b32_e32 v40, v0
	s_mov_b32 s25, 0
                                        ; implicit-def: $sgpr9
	s_set_inst_prefetch_distance 0x1
	s_branch .LBB165_115
	.p2align	6
.LBB165_114:                            ;   in Loop: Header=BB165_115 Depth=2
	s_or_b32 exec_lo, exec_lo, s26
	s_waitcnt lgkmcnt(0)
	s_barrier
	buffer_gl0_inv
	ds_load_b128 v[8:11], v19 offset:3072
	v_add_co_u32 v40, vcc_lo, v40, s33
	v_add_co_ci_u32_e32 v41, vcc_lo, 0, v41, vcc_lo
	v_add_nc_u32_e32 v18, s93, v18
	s_waitcnt lgkmcnt(0)
	s_barrier
	s_delay_alu instid0(VALU_DEP_2) | instskip(SKIP_3) | instid1(VALU_DEP_1)
	v_cmp_ge_u64_e32 vcc_lo, v[40:41], v[38:39]
	buffer_gl0_inv
	v_readfirstlane_b32 s43, v9
	v_readfirstlane_b32 s42, v8
	s_cmp_lg_u64 s[42:43], 0
	s_cselect_b32 s3, -1, 0
	s_delay_alu instid0(SALU_CYCLE_1) | instskip(NEXT) | instid1(SALU_CYCLE_1)
	s_or_b32 s26, vcc_lo, s3
	s_and_b32 s26, exec_lo, s26
	s_delay_alu instid0(SALU_CYCLE_1) | instskip(SKIP_2) | instid1(SALU_CYCLE_1)
	s_or_b32 s25, s26, s25
	s_and_not1_b32 s9, s9, exec_lo
	s_and_b32 s3, s3, exec_lo
	s_or_b32 s9, s9, s3
	s_and_not1_b32 exec_lo, exec_lo, s25
	s_cbranch_execz .LBB165_123
.LBB165_115:                            ;   Parent Loop BB165_31 Depth=1
                                        ; =>  This Inner Loop Header: Depth=2
	s_delay_alu instid0(VALU_DEP_1)
	v_cmp_gt_u64_e32 vcc_lo, s[22:23], v[40:41]
	v_mov_b32_e32 v4, 0
	v_mov_b32_e32 v5, 0
	s_and_saveexec_b32 s26, vcc_lo
	s_cbranch_execz .LBB165_117
; %bb.116:                              ;   in Loop: Header=BB165_115 Depth=2
	ds_load_b64 v[4:5], v18
.LBB165_117:                            ;   in Loop: Header=BB165_115 Depth=2
	s_or_b32 exec_lo, exec_lo, s26
	s_and_saveexec_b32 s26, vcc_lo
	s_cbranch_execz .LBB165_114
; %bb.118:                              ;   in Loop: Header=BB165_115 Depth=2
	s_waitcnt lgkmcnt(0)
	v_xor_b32_e32 v3, 0x80000000, v5
	v_and_b32_e32 v8, v4, v14
	s_delay_alu instid0(VALU_DEP_2) | instskip(NEXT) | instid1(VALU_DEP_1)
	v_and_b32_e32 v9, v3, v15
	v_cmp_eq_u64_e32 vcc_lo, v[8:9], v[12:13]
	s_and_b32 exec_lo, exec_lo, vcc_lo
	s_cbranch_execz .LBB165_114
; %bb.119:                              ;   in Loop: Header=BB165_115 Depth=2
	v_mov_b32_e32 v3, v19
	ds_store_b128 v19, v[2:5] offset:3072
	s_branch .LBB165_114
.LBB165_120:                            ;   in Loop: Header=BB165_31 Depth=1
	s_mov_b32 s55, 0
                                        ; implicit-def: $sgpr70
                                        ; implicit-def: $sgpr71
                                        ; implicit-def: $sgpr25
                                        ; implicit-def: $vgpr5
                                        ; implicit-def: $vgpr38_vgpr39
                                        ; implicit-def: $vgpr12_vgpr13
                                        ; implicit-def: $vgpr14_vgpr15
                                        ; implicit-def: $vgpr10_vgpr11
	s_cbranch_execnz .LBB165_303
.LBB165_121:                            ;   in Loop: Header=BB165_31 Depth=1
	s_mov_b32 s22, s25
	s_mov_b32 s23, s25
	s_and_saveexec_b32 s7, s60
	s_cbranch_execnz .LBB165_499
	s_branch .LBB165_500
.LBB165_122:                            ;   in Loop: Header=BB165_31 Depth=1
	s_mov_b32 s25, -1
	s_mov_b32 s9, 0
                                        ; implicit-def: $sgpr70
                                        ; implicit-def: $vgpr10_vgpr11
	s_mov_b32 s71, s25
	s_cbranch_execnz .LBB165_125
	s_branch .LBB165_138
.LBB165_123:                            ;   in Loop: Header=BB165_31 Depth=1
	s_set_inst_prefetch_distance 0x2
	s_or_b32 exec_lo, exec_lo, s25
	s_delay_alu instid0(SALU_CYCLE_1)
	s_and_b32 s9, s9, exec_lo
.LBB165_124:                            ;   in Loop: Header=BB165_31 Depth=1
	s_or_b32 exec_lo, exec_lo, s8
	s_mov_b32 s70, -1
	s_mov_b32 s25, 0
	s_delay_alu instid0(SALU_CYCLE_1)
	s_mov_b32 s71, s25
	s_branch .LBB165_138
.LBB165_125:                            ;   in Loop: Header=BB165_31 Depth=1
	s_mov_b32 s26, s61
	s_delay_alu instid0(SALU_CYCLE_1)
	s_cmp_lg_u64 s[26:27], 0
	s_cbranch_scc0 .LBB165_167
; %bb.126:                              ;   in Loop: Header=BB165_31 Depth=1
	v_cvt_f32_u32_e32 v3, s33
	s_sub_u32 s9, 0, s33
	s_subb_u32 s22, 0, 0
	s_delay_alu instid0(VALU_DEP_1) | instskip(NEXT) | instid1(VALU_DEP_1)
	v_fmac_f32_e64 v3, 0, 0x4f800000
	v_rcp_f32_e32 v3, v3
	s_waitcnt_depctr 0xfff
	v_mul_f32_e32 v3, 0x5f7ffffc, v3
	s_delay_alu instid0(VALU_DEP_1) | instskip(NEXT) | instid1(VALU_DEP_1)
	v_mul_f32_e32 v4, 0x2f800000, v3
	v_trunc_f32_e32 v4, v4
	s_delay_alu instid0(VALU_DEP_1) | instskip(SKIP_1) | instid1(VALU_DEP_2)
	v_fmac_f32_e32 v3, 0xcf800000, v4
	v_cvt_u32_f32_e32 v4, v4
	v_cvt_u32_f32_e32 v3, v3
	s_delay_alu instid0(VALU_DEP_2) | instskip(NEXT) | instid1(VALU_DEP_2)
	v_readfirstlane_b32 s3, v4
	v_readfirstlane_b32 s8, v3
	s_delay_alu instid0(VALU_DEP_2) | instskip(NEXT) | instid1(VALU_DEP_1)
	s_mul_i32 s23, s9, s3
	s_mul_hi_u32 s26, s9, s8
	s_mul_i32 s25, s22, s8
	s_add_i32 s23, s26, s23
	s_mul_i32 s42, s9, s8
	s_add_i32 s23, s23, s25
	s_mul_hi_u32 s26, s8, s42
	s_mul_hi_u32 s43, s3, s42
	s_mul_i32 s25, s3, s42
	s_mul_hi_u32 s42, s8, s23
	s_mul_i32 s8, s8, s23
	s_mul_hi_u32 s50, s3, s23
	s_add_u32 s8, s26, s8
	s_addc_u32 s26, 0, s42
	s_add_u32 s8, s8, s25
	s_mul_i32 s23, s3, s23
	s_addc_u32 s8, s26, s43
	s_addc_u32 s25, s50, 0
	s_add_u32 s8, s8, s23
	s_addc_u32 s23, 0, s25
	v_add_co_u32 v3, s8, v3, s8
	s_delay_alu instid0(VALU_DEP_1) | instskip(SKIP_1) | instid1(VALU_DEP_1)
	s_cmp_lg_u32 s8, 0
	s_addc_u32 s3, s3, s23
	v_readfirstlane_b32 s8, v3
	s_mul_i32 s23, s9, s3
	s_delay_alu instid0(VALU_DEP_1)
	s_mul_hi_u32 s25, s9, s8
	s_mul_i32 s22, s22, s8
	s_add_i32 s23, s25, s23
	s_mul_i32 s9, s9, s8
	s_add_i32 s23, s23, s22
	s_mul_hi_u32 s25, s3, s9
	s_mul_i32 s26, s3, s9
	s_mul_hi_u32 s9, s8, s9
	s_mul_hi_u32 s42, s8, s23
	s_mul_i32 s8, s8, s23
	s_mul_hi_u32 s22, s3, s23
	s_add_u32 s8, s9, s8
	s_addc_u32 s9, 0, s42
	s_add_u32 s8, s8, s26
	s_mul_i32 s23, s3, s23
	s_addc_u32 s8, s9, s25
	s_addc_u32 s9, s22, 0
	s_add_u32 s8, s8, s23
	s_addc_u32 s9, 0, s9
	v_add_co_u32 v3, s8, v3, s8
	s_delay_alu instid0(VALU_DEP_1) | instskip(SKIP_1) | instid1(VALU_DEP_1)
	s_cmp_lg_u32 s8, 0
	s_addc_u32 s3, s3, s9
	v_readfirstlane_b32 s8, v3
	s_mul_i32 s22, s87, s3
	s_mul_hi_u32 s9, s87, s3
	s_mul_hi_u32 s23, s27, s3
	s_mul_i32 s3, s27, s3
	s_mul_hi_u32 s25, s87, s8
	s_mul_hi_u32 s26, s27, s8
	s_mul_i32 s8, s27, s8
	s_add_u32 s22, s25, s22
	s_addc_u32 s9, 0, s9
	s_add_u32 s8, s22, s8
	s_addc_u32 s8, s9, s26
	s_addc_u32 s9, s23, 0
	s_add_u32 s3, s8, s3
	s_addc_u32 s8, 0, s9
	s_mul_hi_u32 s9, s33, s3
	s_mul_i32 s3, s33, s3
	s_mul_i32 s8, s33, s8
	v_sub_co_u32 v3, s3, s87, s3
	s_add_i32 s9, s9, s8
	s_cmp_lg_u32 s3, 0
	s_delay_alu instid0(VALU_DEP_1) | instskip(SKIP_2) | instid1(VALU_DEP_1)
	v_sub_co_u32 v4, s3, v3, s33
	s_subb_u32 s9, s27, s9
	s_cmp_lg_u32 s3, 0
	v_cmp_le_u32_e32 vcc_lo, s33, v4
	v_sub_co_u32 v5, s3, v4, s33
	s_subb_u32 s22, s9, 0
	s_cmp_lg_u32 s3, 0
	v_cndmask_b32_e64 v8, 0, -1, vcc_lo
	s_subb_u32 s3, s22, 0
	s_cmp_eq_u32 s22, 0
	v_mov_b32_e32 v10, s3
	s_cselect_b32 vcc_lo, -1, 0
	s_cmp_eq_u32 s9, 0
	v_cndmask_b32_e32 v8, -1, v8, vcc_lo
	v_cmp_le_u32_e32 vcc_lo, s33, v3
	s_cselect_b32 s8, -1, 0
	v_cndmask_b32_e64 v9, 0, -1, vcc_lo
	s_delay_alu instid0(VALU_DEP_3) | instskip(NEXT) | instid1(VALU_DEP_2)
	v_cmp_ne_u32_e32 vcc_lo, 0, v8
	v_cndmask_b32_e64 v8, -1, v9, s8
	v_cndmask_b32_e32 v9, s22, v10, vcc_lo
	v_cndmask_b32_e32 v5, v4, v5, vcc_lo
	s_delay_alu instid0(VALU_DEP_3) | instskip(NEXT) | instid1(VALU_DEP_3)
	v_cmp_ne_u32_e32 vcc_lo, 0, v8
	v_cndmask_b32_e32 v4, s9, v9, vcc_lo
	s_delay_alu instid0(VALU_DEP_3)
	v_cndmask_b32_e32 v3, v3, v5, vcc_lo
	s_cbranch_execnz .LBB165_128
.LBB165_127:                            ;   in Loop: Header=BB165_31 Depth=1
	v_cvt_f32_u32_e32 v3, s33
	s_sub_i32 s3, 0, s33
	s_delay_alu instid0(VALU_DEP_1) | instskip(SKIP_2) | instid1(VALU_DEP_1)
	v_rcp_iflag_f32_e32 v3, v3
	s_waitcnt_depctr 0xfff
	v_mul_f32_e32 v3, 0x4f7ffffe, v3
	v_cvt_u32_f32_e32 v3, v3
	s_delay_alu instid0(VALU_DEP_1) | instskip(NEXT) | instid1(VALU_DEP_1)
	v_mul_lo_u32 v4, s3, v3
	v_mul_hi_u32 v4, v3, v4
	s_delay_alu instid0(VALU_DEP_1) | instskip(NEXT) | instid1(VALU_DEP_1)
	v_add_nc_u32_e32 v3, v3, v4
	v_mul_hi_u32 v3, s87, v3
	s_delay_alu instid0(VALU_DEP_1) | instskip(NEXT) | instid1(VALU_DEP_1)
	v_mul_lo_u32 v3, v3, s33
	v_sub_nc_u32_e32 v3, s87, v3
	s_delay_alu instid0(VALU_DEP_1) | instskip(SKIP_1) | instid1(VALU_DEP_2)
	v_subrev_nc_u32_e32 v4, s33, v3
	v_cmp_le_u32_e32 vcc_lo, s33, v3
	v_cndmask_b32_e32 v3, v3, v4, vcc_lo
	s_delay_alu instid0(VALU_DEP_1) | instskip(SKIP_1) | instid1(VALU_DEP_2)
	v_subrev_nc_u32_e32 v4, s33, v3
	v_cmp_le_u32_e32 vcc_lo, s33, v3
	v_cndmask_b32_e32 v18, v3, v4, vcc_lo
	s_delay_alu instid0(VALU_DEP_1)
	v_dual_mov_b32 v3, v18 :: v_dual_mov_b32 v4, v19
.LBB165_128:                            ;   in Loop: Header=BB165_31 Depth=1
	s_delay_alu instid0(VALU_DEP_1) | instskip(NEXT) | instid1(VALU_DEP_2)
	v_sub_co_u32 v38, vcc_lo, s87, v3
	v_sub_co_ci_u32_e32 v39, vcc_lo, s27, v4, vcc_lo
	s_mov_b32 s9, 0
	s_mov_b32 s8, exec_lo
                                        ; implicit-def: $vgpr10_vgpr11
	s_delay_alu instid0(VALU_DEP_1)
	v_cmpx_gt_u64_e64 v[38:39], v[0:1]
	s_cbranch_execz .LBB165_137
; %bb.129:                              ;   in Loop: Header=BB165_31 Depth=1
	v_dual_mov_b32 v41, v31 :: v_dual_mov_b32 v40, v30
	v_dual_mov_b32 v43, v1 :: v_dual_mov_b32 v42, v0
	s_mov_b32 s22, 0
                                        ; implicit-def: $sgpr9
	s_set_inst_prefetch_distance 0x1
	s_branch .LBB165_131
	.p2align	6
.LBB165_130:                            ;   in Loop: Header=BB165_131 Depth=2
	s_or_b32 exec_lo, exec_lo, s23
	s_waitcnt vmcnt(0) lgkmcnt(0)
	s_barrier
	buffer_gl0_inv
	ds_load_b128 v[8:11], v19 offset:3072
	v_add_co_u32 v42, vcc_lo, v42, s33
	v_add_co_ci_u32_e32 v43, vcc_lo, 0, v43, vcc_lo
	s_waitcnt lgkmcnt(0)
	s_barrier
	buffer_gl0_inv
	v_cmp_ge_u64_e32 vcc_lo, v[42:43], v[38:39]
	v_readfirstlane_b32 s43, v9
	v_readfirstlane_b32 s42, v8
	s_delay_alu instid0(VALU_DEP_1) | instskip(SKIP_1) | instid1(SALU_CYCLE_1)
	s_cmp_lg_u64 s[42:43], 0
	s_cselect_b32 s3, -1, 0
	s_or_b32 s23, vcc_lo, s3
	v_add_co_u32 v40, vcc_lo, v40, s34
	s_and_b32 s23, exec_lo, s23
	v_add_co_ci_u32_e32 v41, vcc_lo, s35, v41, vcc_lo
	s_or_b32 s22, s23, s22
	s_and_not1_b32 s9, s9, exec_lo
	s_and_b32 s3, s3, exec_lo
	s_delay_alu instid0(SALU_CYCLE_1)
	s_or_b32 s9, s9, s3
	s_and_not1_b32 exec_lo, exec_lo, s22
	s_cbranch_execz .LBB165_136
.LBB165_131:                            ;   Parent Loop BB165_31 Depth=1
                                        ; =>  This Inner Loop Header: Depth=2
	s_delay_alu instid0(VALU_DEP_1)
	v_cmp_gt_u64_e32 vcc_lo, s[36:37], v[42:43]
	v_mov_b32_e32 v4, 0
	v_mov_b32_e32 v5, 0
	s_and_saveexec_b32 s23, vcc_lo
	s_cbranch_execz .LBB165_133
; %bb.132:                              ;   in Loop: Header=BB165_131 Depth=2
	global_load_b64 v[4:5], v[40:41], off
.LBB165_133:                            ;   in Loop: Header=BB165_131 Depth=2
	s_or_b32 exec_lo, exec_lo, s23
	s_and_saveexec_b32 s23, vcc_lo
	s_cbranch_execz .LBB165_130
; %bb.134:                              ;   in Loop: Header=BB165_131 Depth=2
	s_waitcnt vmcnt(0)
	v_xor_b32_e32 v3, 0x80000000, v5
	v_and_b32_e32 v8, v4, v14
	s_delay_alu instid0(VALU_DEP_2) | instskip(NEXT) | instid1(VALU_DEP_1)
	v_and_b32_e32 v9, v3, v15
	v_cmp_eq_u64_e32 vcc_lo, v[8:9], v[12:13]
	s_and_b32 exec_lo, exec_lo, vcc_lo
	s_cbranch_execz .LBB165_130
; %bb.135:                              ;   in Loop: Header=BB165_131 Depth=2
	v_mov_b32_e32 v3, v19
	ds_store_b128 v19, v[2:5] offset:3072
	s_branch .LBB165_130
.LBB165_136:                            ;   in Loop: Header=BB165_31 Depth=1
	s_set_inst_prefetch_distance 0x2
	s_or_b32 exec_lo, exec_lo, s22
	s_delay_alu instid0(SALU_CYCLE_1)
	s_and_b32 s9, s9, exec_lo
.LBB165_137:                            ;   in Loop: Header=BB165_31 Depth=1
	s_or_b32 exec_lo, exec_lo, s8
	s_mov_b32 s71, -1
	s_mov_b32 s25, 0
	s_mov_b32 s70, 0
.LBB165_138:                            ;   in Loop: Header=BB165_31 Depth=1
	s_or_not1_b32 s8, s9, exec_lo
.LBB165_139:                            ;   in Loop: Header=BB165_31 Depth=1
	s_or_b32 exec_lo, exec_lo, s47
	s_mov_b32 s72, 0
	s_mov_b32 s60, 0
	;; [unrolled: 1-line block ×3, first 2 shown]
                                        ; implicit-def: $vgpr5
                                        ; implicit-def: $vgpr38_vgpr39
	s_and_saveexec_b32 s73, s8
	s_cbranch_execz .LBB165_302
; %bb.140:                              ;   in Loop: Header=BB165_31 Depth=1
	v_dual_mov_b32 v38, 1 :: v_dual_mov_b32 v5, 1
	v_mov_b32_e32 v39, 0
	s_xor_b32 s3, s46, -1
	s_mov_b32 s26, 0
	s_and_saveexec_b32 s8, s3
	s_cbranch_execz .LBB165_150
; %bb.141:                              ;   in Loop: Header=BB165_31 Depth=1
                                        ; implicit-def: $sgpr23
                                        ; implicit-def: $sgpr9
	s_mov_b32 s3, exec_lo
	v_cmpx_ge_u64_e64 s[10:11], v[36:37]
	s_xor_b32 s22, exec_lo, s3
	s_cbranch_execz .LBB165_147
; %bb.142:                              ;   in Loop: Header=BB165_31 Depth=1
	ds_load_b64 v[3:4], v19 offset:5120
	s_waitcnt lgkmcnt(0)
	v_cmp_ne_u64_e32 vcc_lo, 0, v[3:4]
	s_cbranch_vccnz .LBB165_146
; %bb.143:                              ;   in Loop: Header=BB165_31 Depth=1
	s_and_saveexec_b32 s9, s5
	s_cbranch_execz .LBB165_145
; %bb.144:                              ;   in Loop: Header=BB165_31 Depth=1
	v_dual_mov_b32 v3, s10 :: v_dual_mov_b32 v4, s11
	ds_store_b64 v19, v[3:4] offset:5128
.LBB165_145:                            ;   in Loop: Header=BB165_31 Depth=1
	s_or_b32 exec_lo, exec_lo, s9
	s_waitcnt lgkmcnt(0)
	s_barrier
	buffer_gl0_inv
.LBB165_146:                            ;   in Loop: Header=BB165_31 Depth=1
	v_and_b32_e32 v13, s15, v13
	v_and_b32_e32 v12, s14, v12
	v_or_b32_e32 v15, s13, v15
	v_or_b32_e32 v14, s12, v14
	s_mov_b32 s9, 0
	s_mov_b32 s23, 8
.LBB165_147:                            ;   in Loop: Header=BB165_31 Depth=1
	s_or_saveexec_b32 s22, s22
	v_mov_b32_e32 v39, v37
	v_dual_mov_b32 v5, s23 :: v_dual_mov_b32 v38, v36
	s_xor_b32 exec_lo, exec_lo, s22
; %bb.148:                              ;   in Loop: Header=BB165_31 Depth=1
	v_sub_co_u32 v38, vcc_lo, v36, s10
	v_subrev_co_ci_u32_e32 v39, vcc_lo, s11, v37, vcc_lo
	v_mov_b32_e32 v5, 0
	s_or_b32 s9, s9, exec_lo
; %bb.149:                              ;   in Loop: Header=BB165_31 Depth=1
	s_or_b32 exec_lo, exec_lo, s22
	s_delay_alu instid0(SALU_CYCLE_1)
	s_and_b32 s26, s9, exec_lo
.LBB165_150:                            ;   in Loop: Header=BB165_31 Depth=1
	s_or_b32 exec_lo, exec_lo, s8
	s_mov_b32 s46, -1
                                        ; implicit-def: $sgpr9
                                        ; implicit-def: $sgpr22
                                        ; implicit-def: $sgpr23
	s_and_saveexec_b32 s3, s26
	s_delay_alu instid0(SALU_CYCLE_1)
	s_xor_b32 s55, exec_lo, s3
	s_cbranch_execz .LBB165_299
; %bb.151:                              ;   in Loop: Header=BB165_31 Depth=1
	v_cmp_eq_u64_e32 vcc_lo, 1, v[38:39]
	s_cmp_eq_u64 s[16:17], 1
                                        ; implicit-def: $sgpr60
                                        ; implicit-def: $sgpr75
                                        ; implicit-def: $sgpr74
	s_cselect_b32 s8, -1, 0
	s_delay_alu instid0(SALU_CYCLE_1)
	s_and_b32 s46, s8, vcc_lo
	s_mov_b32 s8, -1
	s_and_saveexec_b32 s47, s46
	s_cbranch_execz .LBB165_185
; %bb.152:                              ;   in Loop: Header=BB165_31 Depth=1
	ds_load_b64 v[3:4], v19 offset:5120
	s_waitcnt lgkmcnt(0)
	s_barrier
	buffer_gl0_inv
	v_readfirstlane_b32 s22, v3
	v_readfirstlane_b32 s23, v4
	s_and_saveexec_b32 s8, s6
	s_cbranch_execz .LBB165_154
; %bb.153:                              ;   in Loop: Header=BB165_31 Depth=1
	v_mov_b32_e32 v18, v19
	ds_store_b64 v52, v[18:19]
.LBB165_154:                            ;   in Loop: Header=BB165_31 Depth=1
	s_or_b32 exec_lo, exec_lo, s8
	v_and_b32_e32 v3, s15, v13
	v_and_b32_e32 v4, s14, v12
	s_lshl_b64 s[8:9], 1, s24
	v_or_b32_e32 v15, s13, v15
	v_or_b32_e32 v14, s12, v14
	v_or_b32_e32 v13, s9, v3
	v_or_b32_e32 v12, s8, v4
	s_cmp_eq_u64 s[22:23], 0
	s_waitcnt lgkmcnt(0)
	s_barrier
	buffer_gl0_inv
	s_cbranch_scc1 .LBB165_168
; %bb.155:                              ;   in Loop: Header=BB165_31 Depth=1
	s_add_u32 s26, s85, s22
	s_addc_u32 s9, s86, s23
	s_mov_b32 s8, s61
	s_delay_alu instid0(SALU_CYCLE_1)
	s_cmp_lg_u64 s[8:9], 0
	s_cbranch_scc0 .LBB165_212
; %bb.156:                              ;   in Loop: Header=BB165_31 Depth=1
	v_cvt_f32_u32_e32 v3, s33
	s_sub_u32 s43, 0, s33
	s_subb_u32 s56, 0, 0
	s_delay_alu instid0(VALU_DEP_1) | instskip(NEXT) | instid1(VALU_DEP_1)
	v_fmac_f32_e64 v3, 0, 0x4f800000
	v_rcp_f32_e32 v3, v3
	s_waitcnt_depctr 0xfff
	v_mul_f32_e32 v3, 0x5f7ffffc, v3
	s_delay_alu instid0(VALU_DEP_1) | instskip(NEXT) | instid1(VALU_DEP_1)
	v_mul_f32_e32 v4, 0x2f800000, v3
	v_trunc_f32_e32 v4, v4
	s_delay_alu instid0(VALU_DEP_1) | instskip(SKIP_1) | instid1(VALU_DEP_2)
	v_fmac_f32_e32 v3, 0xcf800000, v4
	v_cvt_u32_f32_e32 v4, v4
	v_cvt_u32_f32_e32 v3, v3
	s_delay_alu instid0(VALU_DEP_2) | instskip(NEXT) | instid1(VALU_DEP_2)
	v_readfirstlane_b32 s8, v4
	v_readfirstlane_b32 s42, v3
	s_delay_alu instid0(VALU_DEP_2) | instskip(NEXT) | instid1(VALU_DEP_1)
	s_mul_i32 s57, s43, s8
	s_mul_hi_u32 s59, s43, s42
	s_mul_i32 s58, s56, s42
	s_add_i32 s57, s59, s57
	s_mul_i32 s60, s43, s42
	s_add_i32 s57, s57, s58
	s_mul_hi_u32 s59, s42, s60
	s_mul_hi_u32 s74, s8, s60
	s_mul_i32 s58, s8, s60
	s_mul_hi_u32 s60, s42, s57
	s_mul_i32 s42, s42, s57
	s_mul_hi_u32 s75, s8, s57
	s_add_u32 s42, s59, s42
	s_addc_u32 s59, 0, s60
	s_add_u32 s42, s42, s58
	s_mul_i32 s57, s8, s57
	s_addc_u32 s42, s59, s74
	s_addc_u32 s58, s75, 0
	s_add_u32 s42, s42, s57
	s_addc_u32 s57, 0, s58
	v_add_co_u32 v3, s42, v3, s42
	s_delay_alu instid0(VALU_DEP_1) | instskip(SKIP_1) | instid1(VALU_DEP_1)
	s_cmp_lg_u32 s42, 0
	s_addc_u32 s8, s8, s57
	v_readfirstlane_b32 s42, v3
	s_mul_i32 s57, s43, s8
	s_delay_alu instid0(VALU_DEP_1)
	s_mul_hi_u32 s58, s43, s42
	s_mul_i32 s56, s56, s42
	s_add_i32 s57, s58, s57
	s_mul_i32 s43, s43, s42
	s_add_i32 s57, s57, s56
	s_mul_hi_u32 s58, s8, s43
	s_mul_i32 s59, s8, s43
	s_mul_hi_u32 s43, s42, s43
	s_mul_hi_u32 s60, s42, s57
	s_mul_i32 s42, s42, s57
	s_mul_hi_u32 s56, s8, s57
	s_add_u32 s42, s43, s42
	s_addc_u32 s43, 0, s60
	s_add_u32 s42, s42, s59
	s_mul_i32 s57, s8, s57
	s_addc_u32 s42, s43, s58
	s_addc_u32 s43, s56, 0
	s_add_u32 s42, s42, s57
	s_addc_u32 s43, 0, s43
	v_add_co_u32 v3, s42, v3, s42
	s_delay_alu instid0(VALU_DEP_1) | instskip(SKIP_1) | instid1(VALU_DEP_1)
	s_cmp_lg_u32 s42, 0
	s_addc_u32 s8, s8, s43
	v_readfirstlane_b32 s42, v3
	s_mul_i32 s56, s26, s8
	s_mul_hi_u32 s43, s26, s8
	s_mul_hi_u32 s57, s9, s8
	s_mul_i32 s8, s9, s8
	s_mul_hi_u32 s58, s26, s42
	s_mul_hi_u32 s59, s9, s42
	s_mul_i32 s42, s9, s42
	s_add_u32 s56, s58, s56
	s_addc_u32 s43, 0, s43
	s_add_u32 s42, s56, s42
	s_addc_u32 s42, s43, s59
	s_addc_u32 s43, s57, 0
	s_add_u32 s8, s42, s8
	s_addc_u32 s42, 0, s43
	s_mul_hi_u32 s43, s33, s8
	s_mul_i32 s8, s33, s8
	s_mul_i32 s42, s33, s42
	v_sub_co_u32 v3, s8, s26, s8
	s_add_i32 s43, s43, s42
	s_cmp_lg_u32 s8, 0
	s_delay_alu instid0(VALU_DEP_1) | instskip(SKIP_3) | instid1(VALU_DEP_2)
	v_sub_co_u32 v4, s8, v3, s33
	s_subb_u32 s42, s9, s43
	s_cmp_lg_u32 s8, 0
	v_cmp_le_u32_e32 vcc_lo, s33, v3
	v_cmp_le_u32_e64 s8, s33, v4
	v_sub_co_u32 v5, s43, v4, s33
	s_subb_u32 s56, s42, 0
	s_cmp_lg_u32 s43, 0
	s_delay_alu instid0(VALU_DEP_2)
	v_cndmask_b32_e64 v8, 0, -1, s8
	s_subb_u32 s43, s56, 0
	s_cmp_eq_u32 s56, 0
	v_mov_b32_e32 v10, s43
	v_cndmask_b32_e64 v9, 0, -1, vcc_lo
	s_cselect_b32 vcc_lo, -1, 0
	s_cmp_eq_u32 s42, 0
	v_cndmask_b32_e32 v8, -1, v8, vcc_lo
	s_cselect_b32 vcc_lo, -1, 0
	v_cndmask_b32_e32 v9, -1, v9, vcc_lo
	s_delay_alu instid0(VALU_DEP_2) | instskip(NEXT) | instid1(VALU_DEP_2)
	v_cmp_ne_u32_e32 vcc_lo, 0, v8
	v_cmp_ne_u32_e64 s8, 0, v9
	v_cndmask_b32_e32 v8, s56, v10, vcc_lo
	v_cndmask_b32_e32 v5, v4, v5, vcc_lo
	s_delay_alu instid0(VALU_DEP_2) | instskip(NEXT) | instid1(VALU_DEP_2)
	v_cndmask_b32_e64 v4, s42, v8, s8
	v_cndmask_b32_e64 v3, v3, v5, s8
	s_cbranch_execnz .LBB165_158
.LBB165_157:                            ;   in Loop: Header=BB165_31 Depth=1
	v_cvt_f32_u32_e32 v3, s33
	s_sub_i32 s8, 0, s33
	s_delay_alu instid0(VALU_DEP_1) | instskip(SKIP_2) | instid1(VALU_DEP_1)
	v_rcp_iflag_f32_e32 v3, v3
	s_waitcnt_depctr 0xfff
	v_mul_f32_e32 v3, 0x4f7ffffe, v3
	v_cvt_u32_f32_e32 v3, v3
	s_delay_alu instid0(VALU_DEP_1) | instskip(NEXT) | instid1(VALU_DEP_1)
	v_mul_lo_u32 v4, s8, v3
	v_mul_hi_u32 v4, v3, v4
	s_delay_alu instid0(VALU_DEP_1) | instskip(NEXT) | instid1(VALU_DEP_1)
	v_add_nc_u32_e32 v3, v3, v4
	v_mul_hi_u32 v3, s26, v3
	s_delay_alu instid0(VALU_DEP_1) | instskip(NEXT) | instid1(VALU_DEP_1)
	v_mul_lo_u32 v3, v3, s33
	v_sub_nc_u32_e32 v3, s26, v3
	s_delay_alu instid0(VALU_DEP_1) | instskip(SKIP_1) | instid1(VALU_DEP_2)
	v_subrev_nc_u32_e32 v4, s33, v3
	v_cmp_le_u32_e32 vcc_lo, s33, v3
	v_cndmask_b32_e32 v3, v3, v4, vcc_lo
	s_delay_alu instid0(VALU_DEP_1) | instskip(SKIP_1) | instid1(VALU_DEP_2)
	v_subrev_nc_u32_e32 v4, s33, v3
	v_cmp_le_u32_e32 vcc_lo, s33, v3
	v_cndmask_b32_e32 v18, v3, v4, vcc_lo
	s_delay_alu instid0(VALU_DEP_1)
	v_dual_mov_b32 v3, v18 :: v_dual_mov_b32 v4, v19
.LBB165_158:                            ;   in Loop: Header=BB165_31 Depth=1
	s_delay_alu instid0(VALU_DEP_1) | instskip(NEXT) | instid1(VALU_DEP_2)
	v_sub_co_u32 v40, vcc_lo, s26, v3
	v_sub_co_ci_u32_e32 v41, vcc_lo, s9, v4, vcc_lo
	s_mov_b32 s9, 0
	s_mov_b32 s8, exec_lo
                                        ; implicit-def: $vgpr10_vgpr11
	s_delay_alu instid0(VALU_DEP_1)
	v_cmpx_gt_u64_e64 v[40:41], v[0:1]
	s_cbranch_execz .LBB165_170
; %bb.159:                              ;   in Loop: Header=BB165_31 Depth=1
	v_dual_mov_b32 v18, v51 :: v_dual_mov_b32 v43, v1
	v_mov_b32_e32 v42, v0
	s_mov_b32 s26, 0
                                        ; implicit-def: $sgpr9
	s_set_inst_prefetch_distance 0x1
	s_branch .LBB165_161
	.p2align	6
.LBB165_160:                            ;   in Loop: Header=BB165_161 Depth=2
	s_or_b32 exec_lo, exec_lo, s56
	s_waitcnt lgkmcnt(0)
	s_barrier
	buffer_gl0_inv
	ds_load_b128 v[8:11], v19 offset:3072
	v_add_co_u32 v42, vcc_lo, v42, s33
	v_add_co_ci_u32_e32 v43, vcc_lo, 0, v43, vcc_lo
	v_add_nc_u32_e32 v18, s93, v18
	s_waitcnt lgkmcnt(0)
	s_barrier
	s_delay_alu instid0(VALU_DEP_2) | instskip(SKIP_3) | instid1(VALU_DEP_1)
	v_cmp_ge_u64_e32 vcc_lo, v[42:43], v[40:41]
	buffer_gl0_inv
	v_readfirstlane_b32 s57, v9
	v_readfirstlane_b32 s56, v8
	s_cmp_lg_u64 s[56:57], 0
	s_cselect_b32 s42, -1, 0
	s_delay_alu instid0(SALU_CYCLE_1) | instskip(NEXT) | instid1(SALU_CYCLE_1)
	s_or_b32 s43, vcc_lo, s42
	s_and_b32 s43, exec_lo, s43
	s_delay_alu instid0(SALU_CYCLE_1) | instskip(SKIP_2) | instid1(SALU_CYCLE_1)
	s_or_b32 s26, s43, s26
	s_and_not1_b32 s9, s9, exec_lo
	s_and_b32 s42, s42, exec_lo
	s_or_b32 s9, s9, s42
	s_and_not1_b32 exec_lo, exec_lo, s26
	s_cbranch_execz .LBB165_169
.LBB165_161:                            ;   Parent Loop BB165_31 Depth=1
                                        ; =>  This Inner Loop Header: Depth=2
	s_delay_alu instid0(VALU_DEP_1)
	v_cmp_gt_u64_e32 vcc_lo, s[22:23], v[42:43]
	v_mov_b32_e32 v4, 0
	v_mov_b32_e32 v5, 0
	s_and_saveexec_b32 s56, vcc_lo
	s_cbranch_execz .LBB165_163
; %bb.162:                              ;   in Loop: Header=BB165_161 Depth=2
	ds_load_b64 v[4:5], v18
.LBB165_163:                            ;   in Loop: Header=BB165_161 Depth=2
	s_or_b32 exec_lo, exec_lo, s56
	s_and_saveexec_b32 s56, vcc_lo
	s_cbranch_execz .LBB165_160
; %bb.164:                              ;   in Loop: Header=BB165_161 Depth=2
	s_waitcnt lgkmcnt(0)
	v_xor_b32_e32 v3, 0x80000000, v5
	v_and_b32_e32 v8, v4, v14
	s_delay_alu instid0(VALU_DEP_2) | instskip(NEXT) | instid1(VALU_DEP_1)
	v_and_b32_e32 v9, v3, v15
	v_cmp_eq_u64_e32 vcc_lo, v[8:9], v[12:13]
	s_and_b32 exec_lo, exec_lo, vcc_lo
	s_cbranch_execz .LBB165_160
; %bb.165:                              ;   in Loop: Header=BB165_161 Depth=2
	v_mov_b32_e32 v3, v19
	ds_store_b128 v19, v[2:5] offset:3072
	s_branch .LBB165_160
.LBB165_166:                            ;   in Loop: Header=BB165_31 Depth=1
                                        ; implicit-def: $vgpr3_vgpr4
	s_branch .LBB165_111
.LBB165_167:                            ;   in Loop: Header=BB165_31 Depth=1
                                        ; implicit-def: $vgpr3_vgpr4
	s_branch .LBB165_127
.LBB165_168:                            ;   in Loop: Header=BB165_31 Depth=1
	s_mov_b32 s60, -1
	s_mov_b32 s9, 0
                                        ; implicit-def: $sgpr74
                                        ; implicit-def: $vgpr10_vgpr11
	s_mov_b32 s75, s60
	s_cbranch_execnz .LBB165_171
	s_branch .LBB165_184
.LBB165_169:                            ;   in Loop: Header=BB165_31 Depth=1
	s_set_inst_prefetch_distance 0x2
	s_or_b32 exec_lo, exec_lo, s26
	s_delay_alu instid0(SALU_CYCLE_1)
	s_and_b32 s9, s9, exec_lo
.LBB165_170:                            ;   in Loop: Header=BB165_31 Depth=1
	s_or_b32 exec_lo, exec_lo, s8
	s_mov_b32 s74, -1
	s_mov_b32 s60, 0
	s_delay_alu instid0(SALU_CYCLE_1)
	s_mov_b32 s75, s60
	s_branch .LBB165_184
.LBB165_171:                            ;   in Loop: Header=BB165_31 Depth=1
	s_mov_b32 s26, s61
	s_delay_alu instid0(SALU_CYCLE_1)
	s_cmp_lg_u64 s[26:27], 0
	s_cbranch_scc0 .LBB165_213
; %bb.172:                              ;   in Loop: Header=BB165_31 Depth=1
	v_cvt_f32_u32_e32 v3, s33
	s_sub_u32 s22, 0, s33
	s_subb_u32 s23, 0, 0
	s_delay_alu instid0(VALU_DEP_1) | instskip(NEXT) | instid1(VALU_DEP_1)
	v_fmac_f32_e64 v3, 0, 0x4f800000
	v_rcp_f32_e32 v3, v3
	s_waitcnt_depctr 0xfff
	v_mul_f32_e32 v3, 0x5f7ffffc, v3
	s_delay_alu instid0(VALU_DEP_1) | instskip(NEXT) | instid1(VALU_DEP_1)
	v_mul_f32_e32 v4, 0x2f800000, v3
	v_trunc_f32_e32 v4, v4
	s_delay_alu instid0(VALU_DEP_1) | instskip(SKIP_1) | instid1(VALU_DEP_2)
	v_fmac_f32_e32 v3, 0xcf800000, v4
	v_cvt_u32_f32_e32 v4, v4
	v_cvt_u32_f32_e32 v3, v3
	s_delay_alu instid0(VALU_DEP_2) | instskip(NEXT) | instid1(VALU_DEP_2)
	v_readfirstlane_b32 s8, v4
	v_readfirstlane_b32 s9, v3
	s_delay_alu instid0(VALU_DEP_2) | instskip(NEXT) | instid1(VALU_DEP_1)
	s_mul_i32 s26, s22, s8
	s_mul_hi_u32 s43, s22, s9
	s_mul_i32 s42, s23, s9
	s_add_i32 s26, s43, s26
	s_mul_i32 s56, s22, s9
	s_add_i32 s26, s26, s42
	s_mul_hi_u32 s43, s9, s56
	s_mul_hi_u32 s57, s8, s56
	s_mul_i32 s42, s8, s56
	s_mul_hi_u32 s56, s9, s26
	s_mul_i32 s9, s9, s26
	s_mul_hi_u32 s58, s8, s26
	s_add_u32 s9, s43, s9
	s_addc_u32 s43, 0, s56
	s_add_u32 s9, s9, s42
	s_mul_i32 s26, s8, s26
	s_addc_u32 s9, s43, s57
	s_addc_u32 s42, s58, 0
	s_add_u32 s9, s9, s26
	s_addc_u32 s26, 0, s42
	v_add_co_u32 v3, s9, v3, s9
	s_delay_alu instid0(VALU_DEP_1) | instskip(SKIP_1) | instid1(VALU_DEP_1)
	s_cmp_lg_u32 s9, 0
	s_addc_u32 s8, s8, s26
	v_readfirstlane_b32 s9, v3
	s_mul_i32 s26, s22, s8
	s_delay_alu instid0(VALU_DEP_1)
	s_mul_hi_u32 s42, s22, s9
	s_mul_i32 s23, s23, s9
	s_add_i32 s26, s42, s26
	s_mul_i32 s22, s22, s9
	s_add_i32 s26, s26, s23
	s_mul_hi_u32 s42, s8, s22
	s_mul_i32 s43, s8, s22
	s_mul_hi_u32 s22, s9, s22
	s_mul_hi_u32 s56, s9, s26
	s_mul_i32 s9, s9, s26
	s_mul_hi_u32 s23, s8, s26
	s_add_u32 s9, s22, s9
	s_addc_u32 s22, 0, s56
	s_add_u32 s9, s9, s43
	s_mul_i32 s26, s8, s26
	s_addc_u32 s9, s22, s42
	s_addc_u32 s22, s23, 0
	s_add_u32 s9, s9, s26
	s_addc_u32 s22, 0, s22
	v_add_co_u32 v3, s9, v3, s9
	s_delay_alu instid0(VALU_DEP_1) | instskip(SKIP_1) | instid1(VALU_DEP_1)
	s_cmp_lg_u32 s9, 0
	s_addc_u32 s8, s8, s22
	v_readfirstlane_b32 s9, v3
	s_mul_i32 s23, s87, s8
	s_mul_hi_u32 s22, s87, s8
	s_mul_hi_u32 s26, s27, s8
	s_mul_i32 s8, s27, s8
	s_mul_hi_u32 s42, s87, s9
	s_mul_hi_u32 s43, s27, s9
	s_mul_i32 s9, s27, s9
	s_add_u32 s23, s42, s23
	s_addc_u32 s22, 0, s22
	s_add_u32 s9, s23, s9
	s_addc_u32 s9, s22, s43
	s_addc_u32 s22, s26, 0
	s_add_u32 s8, s9, s8
	s_addc_u32 s9, 0, s22
	s_mul_hi_u32 s22, s33, s8
	s_mul_i32 s8, s33, s8
	s_mul_i32 s9, s33, s9
	v_sub_co_u32 v3, s8, s87, s8
	s_add_i32 s22, s22, s9
	s_cmp_lg_u32 s8, 0
	s_delay_alu instid0(VALU_DEP_1) | instskip(SKIP_3) | instid1(VALU_DEP_2)
	v_sub_co_u32 v4, s8, v3, s33
	s_subb_u32 s9, s27, s22
	s_cmp_lg_u32 s8, 0
	v_cmp_le_u32_e32 vcc_lo, s33, v3
	v_cmp_le_u32_e64 s8, s33, v4
	v_sub_co_u32 v5, s22, v4, s33
	s_subb_u32 s23, s9, 0
	s_cmp_lg_u32 s22, 0
	s_delay_alu instid0(VALU_DEP_2)
	v_cndmask_b32_e64 v8, 0, -1, s8
	s_subb_u32 s22, s23, 0
	s_cmp_eq_u32 s23, 0
	v_mov_b32_e32 v10, s22
	v_cndmask_b32_e64 v9, 0, -1, vcc_lo
	s_cselect_b32 vcc_lo, -1, 0
	s_cmp_eq_u32 s9, 0
	v_cndmask_b32_e32 v8, -1, v8, vcc_lo
	s_cselect_b32 vcc_lo, -1, 0
	v_cndmask_b32_e32 v9, -1, v9, vcc_lo
	s_delay_alu instid0(VALU_DEP_2) | instskip(NEXT) | instid1(VALU_DEP_2)
	v_cmp_ne_u32_e32 vcc_lo, 0, v8
	v_cmp_ne_u32_e64 s8, 0, v9
	v_cndmask_b32_e32 v8, s23, v10, vcc_lo
	v_cndmask_b32_e32 v5, v4, v5, vcc_lo
	s_delay_alu instid0(VALU_DEP_2) | instskip(NEXT) | instid1(VALU_DEP_2)
	v_cndmask_b32_e64 v4, s9, v8, s8
	v_cndmask_b32_e64 v3, v3, v5, s8
	s_cbranch_execnz .LBB165_174
.LBB165_173:                            ;   in Loop: Header=BB165_31 Depth=1
	v_cvt_f32_u32_e32 v3, s33
	s_sub_i32 s8, 0, s33
	s_delay_alu instid0(VALU_DEP_1) | instskip(SKIP_2) | instid1(VALU_DEP_1)
	v_rcp_iflag_f32_e32 v3, v3
	s_waitcnt_depctr 0xfff
	v_mul_f32_e32 v3, 0x4f7ffffe, v3
	v_cvt_u32_f32_e32 v3, v3
	s_delay_alu instid0(VALU_DEP_1) | instskip(NEXT) | instid1(VALU_DEP_1)
	v_mul_lo_u32 v4, s8, v3
	v_mul_hi_u32 v4, v3, v4
	s_delay_alu instid0(VALU_DEP_1) | instskip(NEXT) | instid1(VALU_DEP_1)
	v_add_nc_u32_e32 v3, v3, v4
	v_mul_hi_u32 v3, s87, v3
	s_delay_alu instid0(VALU_DEP_1) | instskip(NEXT) | instid1(VALU_DEP_1)
	v_mul_lo_u32 v3, v3, s33
	v_sub_nc_u32_e32 v3, s87, v3
	s_delay_alu instid0(VALU_DEP_1) | instskip(SKIP_1) | instid1(VALU_DEP_2)
	v_subrev_nc_u32_e32 v4, s33, v3
	v_cmp_le_u32_e32 vcc_lo, s33, v3
	v_cndmask_b32_e32 v3, v3, v4, vcc_lo
	s_delay_alu instid0(VALU_DEP_1) | instskip(SKIP_1) | instid1(VALU_DEP_2)
	v_subrev_nc_u32_e32 v4, s33, v3
	v_cmp_le_u32_e32 vcc_lo, s33, v3
	v_cndmask_b32_e32 v18, v3, v4, vcc_lo
	s_delay_alu instid0(VALU_DEP_1)
	v_dual_mov_b32 v3, v18 :: v_dual_mov_b32 v4, v19
.LBB165_174:                            ;   in Loop: Header=BB165_31 Depth=1
	s_delay_alu instid0(VALU_DEP_1) | instskip(NEXT) | instid1(VALU_DEP_2)
	v_sub_co_u32 v40, vcc_lo, s87, v3
	v_sub_co_ci_u32_e32 v41, vcc_lo, s27, v4, vcc_lo
	s_mov_b32 s9, 0
	s_mov_b32 s8, exec_lo
                                        ; implicit-def: $vgpr10_vgpr11
	s_delay_alu instid0(VALU_DEP_1)
	v_cmpx_gt_u64_e64 v[40:41], v[0:1]
	s_cbranch_execz .LBB165_183
; %bb.175:                              ;   in Loop: Header=BB165_31 Depth=1
	v_dual_mov_b32 v43, v31 :: v_dual_mov_b32 v42, v30
	v_dual_mov_b32 v45, v1 :: v_dual_mov_b32 v44, v0
	s_mov_b32 s22, 0
                                        ; implicit-def: $sgpr9
	s_set_inst_prefetch_distance 0x1
	s_branch .LBB165_177
	.p2align	6
.LBB165_176:                            ;   in Loop: Header=BB165_177 Depth=2
	s_or_b32 exec_lo, exec_lo, s23
	s_waitcnt vmcnt(0) lgkmcnt(0)
	s_barrier
	buffer_gl0_inv
	ds_load_b128 v[8:11], v19 offset:3072
	v_add_co_u32 v44, vcc_lo, v44, s33
	v_add_co_ci_u32_e32 v45, vcc_lo, 0, v45, vcc_lo
	s_waitcnt lgkmcnt(0)
	s_barrier
	buffer_gl0_inv
	v_cmp_ge_u64_e32 vcc_lo, v[44:45], v[40:41]
	v_readfirstlane_b32 s57, v9
	v_readfirstlane_b32 s56, v8
	s_delay_alu instid0(VALU_DEP_1) | instskip(SKIP_1) | instid1(SALU_CYCLE_1)
	s_cmp_lg_u64 s[56:57], 0
	s_cselect_b32 s23, -1, 0
	s_or_b32 s26, vcc_lo, s23
	v_add_co_u32 v42, vcc_lo, v42, s34
	s_and_b32 s26, exec_lo, s26
	v_add_co_ci_u32_e32 v43, vcc_lo, s35, v43, vcc_lo
	s_or_b32 s22, s26, s22
	s_and_not1_b32 s9, s9, exec_lo
	s_and_b32 s23, s23, exec_lo
	s_delay_alu instid0(SALU_CYCLE_1)
	s_or_b32 s9, s9, s23
	s_and_not1_b32 exec_lo, exec_lo, s22
	s_cbranch_execz .LBB165_182
.LBB165_177:                            ;   Parent Loop BB165_31 Depth=1
                                        ; =>  This Inner Loop Header: Depth=2
	s_delay_alu instid0(VALU_DEP_1)
	v_cmp_gt_u64_e32 vcc_lo, s[36:37], v[44:45]
	v_mov_b32_e32 v4, 0
	v_mov_b32_e32 v5, 0
	s_and_saveexec_b32 s23, vcc_lo
	s_cbranch_execz .LBB165_179
; %bb.178:                              ;   in Loop: Header=BB165_177 Depth=2
	global_load_b64 v[4:5], v[42:43], off
.LBB165_179:                            ;   in Loop: Header=BB165_177 Depth=2
	s_or_b32 exec_lo, exec_lo, s23
	s_and_saveexec_b32 s23, vcc_lo
	s_cbranch_execz .LBB165_176
; %bb.180:                              ;   in Loop: Header=BB165_177 Depth=2
	s_waitcnt vmcnt(0)
	v_xor_b32_e32 v3, 0x80000000, v5
	v_and_b32_e32 v8, v4, v14
	s_delay_alu instid0(VALU_DEP_2) | instskip(NEXT) | instid1(VALU_DEP_1)
	v_and_b32_e32 v9, v3, v15
	v_cmp_eq_u64_e32 vcc_lo, v[8:9], v[12:13]
	s_and_b32 exec_lo, exec_lo, vcc_lo
	s_cbranch_execz .LBB165_176
; %bb.181:                              ;   in Loop: Header=BB165_177 Depth=2
	v_mov_b32_e32 v3, v19
	ds_store_b128 v19, v[2:5] offset:3072
	s_branch .LBB165_176
.LBB165_182:                            ;   in Loop: Header=BB165_31 Depth=1
	s_set_inst_prefetch_distance 0x2
	s_or_b32 exec_lo, exec_lo, s22
	s_delay_alu instid0(SALU_CYCLE_1)
	s_and_b32 s9, s9, exec_lo
.LBB165_183:                            ;   in Loop: Header=BB165_31 Depth=1
	s_or_b32 exec_lo, exec_lo, s8
	s_mov_b32 s75, -1
	s_mov_b32 s60, 0
	s_mov_b32 s74, 0
.LBB165_184:                            ;   in Loop: Header=BB165_31 Depth=1
	s_or_not1_b32 s8, s9, exec_lo
.LBB165_185:                            ;   in Loop: Header=BB165_31 Depth=1
	s_or_b32 exec_lo, exec_lo, s47
	s_mov_b32 s26, 0
                                        ; implicit-def: $vgpr5
	s_and_saveexec_b32 s76, s8
	s_cbranch_execz .LBB165_298
; %bb.186:                              ;   in Loop: Header=BB165_31 Depth=1
	v_dual_mov_b32 v40, 1 :: v_dual_mov_b32 v5, 1
	v_mov_b32_e32 v41, 0
	s_xor_b32 s9, s46, -1
	s_delay_alu instid0(SALU_CYCLE_1)
	s_and_saveexec_b32 s8, s9
	s_cbranch_execz .LBB165_196
; %bb.187:                              ;   in Loop: Header=BB165_31 Depth=1
	s_mov_b32 s22, exec_lo
                                        ; implicit-def: $sgpr23
                                        ; implicit-def: $sgpr9
	v_cmpx_ge_u64_e64 s[16:17], v[38:39]
	s_xor_b32 s22, exec_lo, s22
	s_cbranch_execz .LBB165_193
; %bb.188:                              ;   in Loop: Header=BB165_31 Depth=1
	ds_load_b64 v[3:4], v19 offset:5120
	s_waitcnt lgkmcnt(0)
	v_cmp_ne_u64_e32 vcc_lo, 0, v[3:4]
	s_cbranch_vccnz .LBB165_192
; %bb.189:                              ;   in Loop: Header=BB165_31 Depth=1
	s_and_saveexec_b32 s9, s5
	s_cbranch_execz .LBB165_191
; %bb.190:                              ;   in Loop: Header=BB165_31 Depth=1
	v_dual_mov_b32 v3, s16 :: v_dual_mov_b32 v4, s17
	ds_store_b64 v19, v[3:4] offset:5128
.LBB165_191:                            ;   in Loop: Header=BB165_31 Depth=1
	s_or_b32 exec_lo, exec_lo, s9
	s_waitcnt lgkmcnt(0)
	s_barrier
	buffer_gl0_inv
.LBB165_192:                            ;   in Loop: Header=BB165_31 Depth=1
	v_and_b32_e32 v3, s15, v13
	v_and_b32_e32 v4, s14, v12
	s_lshl_b64 s[46:47], 1, s24
	v_or_b32_e32 v15, s13, v15
	v_or_b32_e32 v14, s12, v14
	;; [unrolled: 1-line block ×4, first 2 shown]
	s_mov_b32 s9, 0
	s_mov_b32 s23, 8
.LBB165_193:                            ;   in Loop: Header=BB165_31 Depth=1
	s_or_saveexec_b32 s22, s22
	v_mov_b32_e32 v5, s23
	s_xor_b32 exec_lo, exec_lo, s22
; %bb.194:                              ;   in Loop: Header=BB165_31 Depth=1
	v_sub_co_u32 v38, vcc_lo, v38, s16
	v_subrev_co_ci_u32_e32 v39, vcc_lo, s17, v39, vcc_lo
	v_mov_b32_e32 v5, 0
	s_or_b32 s9, s9, exec_lo
; %bb.195:                              ;   in Loop: Header=BB165_31 Depth=1
	s_or_b32 exec_lo, exec_lo, s22
	s_delay_alu instid0(VALU_DEP_2)
	v_dual_mov_b32 v41, v39 :: v_dual_mov_b32 v40, v38
	s_and_b32 s26, s9, exec_lo
.LBB165_196:                            ;   in Loop: Header=BB165_31 Depth=1
	s_or_b32 exec_lo, exec_lo, s8
	s_mov_b32 s8, -1
                                        ; implicit-def: $sgpr9
                                        ; implicit-def: $sgpr22
                                        ; implicit-def: $sgpr23
	s_and_saveexec_b32 s77, s26
	s_cbranch_execz .LBB165_297
; %bb.197:                              ;   in Loop: Header=BB165_31 Depth=1
	v_cmp_eq_u64_e32 vcc_lo, 1, v[40:41]
	s_cmp_eq_u64 s[18:19], 1
                                        ; implicit-def: $sgpr78
                                        ; implicit-def: $sgpr58
                                        ; implicit-def: $sgpr79
	s_cselect_b32 s8, -1, 0
	s_delay_alu instid0(SALU_CYCLE_1)
	s_and_b32 s46, s8, vcc_lo
	s_mov_b32 s8, -1
	s_and_saveexec_b32 s47, s46
	s_cbranch_execz .LBB165_231
; %bb.198:                              ;   in Loop: Header=BB165_31 Depth=1
	ds_load_b64 v[3:4], v19 offset:5120
	s_waitcnt lgkmcnt(0)
	s_barrier
	buffer_gl0_inv
	v_readfirstlane_b32 s22, v3
	v_readfirstlane_b32 s23, v4
	s_and_saveexec_b32 s8, s6
	s_cbranch_execz .LBB165_200
; %bb.199:                              ;   in Loop: Header=BB165_31 Depth=1
	v_mov_b32_e32 v18, v19
	ds_store_b64 v52, v[18:19]
.LBB165_200:                            ;   in Loop: Header=BB165_31 Depth=1
	s_or_b32 exec_lo, exec_lo, s8
	v_and_b32_e32 v3, s15, v13
	v_and_b32_e32 v4, s14, v12
	s_lshl_b64 s[8:9], 2, s24
	v_or_b32_e32 v15, s13, v15
	v_or_b32_e32 v14, s12, v14
	;; [unrolled: 1-line block ×4, first 2 shown]
	s_cmp_eq_u64 s[22:23], 0
	s_waitcnt lgkmcnt(0)
	s_barrier
	buffer_gl0_inv
	s_cbranch_scc1 .LBB165_214
; %bb.201:                              ;   in Loop: Header=BB165_31 Depth=1
	s_add_u32 s26, s85, s22
	s_addc_u32 s9, s86, s23
	s_mov_b32 s8, s61
	s_delay_alu instid0(SALU_CYCLE_1)
	s_cmp_lg_u64 s[8:9], 0
	s_cbranch_scc0 .LBB165_249
; %bb.202:                              ;   in Loop: Header=BB165_31 Depth=1
	v_cvt_f32_u32_e32 v3, s33
	s_sub_u32 s43, 0, s33
	s_subb_u32 s56, 0, 0
	s_delay_alu instid0(VALU_DEP_1) | instskip(NEXT) | instid1(VALU_DEP_1)
	v_fmac_f32_e64 v3, 0, 0x4f800000
	v_rcp_f32_e32 v3, v3
	s_waitcnt_depctr 0xfff
	v_mul_f32_e32 v3, 0x5f7ffffc, v3
	s_delay_alu instid0(VALU_DEP_1) | instskip(NEXT) | instid1(VALU_DEP_1)
	v_mul_f32_e32 v4, 0x2f800000, v3
	v_trunc_f32_e32 v4, v4
	s_delay_alu instid0(VALU_DEP_1) | instskip(SKIP_1) | instid1(VALU_DEP_2)
	v_fmac_f32_e32 v3, 0xcf800000, v4
	v_cvt_u32_f32_e32 v4, v4
	v_cvt_u32_f32_e32 v3, v3
	s_delay_alu instid0(VALU_DEP_2) | instskip(NEXT) | instid1(VALU_DEP_2)
	v_readfirstlane_b32 s8, v4
	v_readfirstlane_b32 s42, v3
	s_delay_alu instid0(VALU_DEP_2) | instskip(NEXT) | instid1(VALU_DEP_1)
	s_mul_i32 s57, s43, s8
	s_mul_hi_u32 s59, s43, s42
	s_mul_i32 s58, s56, s42
	s_add_i32 s57, s59, s57
	s_mul_i32 s78, s43, s42
	s_add_i32 s57, s57, s58
	s_mul_hi_u32 s59, s42, s78
	s_mul_hi_u32 s79, s8, s78
	s_mul_i32 s58, s8, s78
	s_mul_hi_u32 s78, s42, s57
	s_mul_i32 s42, s42, s57
	s_mul_hi_u32 vcc_lo, s8, s57
	s_add_u32 s42, s59, s42
	s_addc_u32 s59, 0, s78
	s_add_u32 s42, s42, s58
	s_mul_i32 s57, s8, s57
	s_addc_u32 s42, s59, s79
	s_addc_u32 s58, vcc_lo, 0
	s_add_u32 s42, s42, s57
	s_addc_u32 s57, 0, s58
	v_add_co_u32 v3, s42, v3, s42
	s_delay_alu instid0(VALU_DEP_1) | instskip(SKIP_1) | instid1(VALU_DEP_1)
	s_cmp_lg_u32 s42, 0
	s_addc_u32 s8, s8, s57
	v_readfirstlane_b32 s42, v3
	s_mul_i32 s57, s43, s8
	s_delay_alu instid0(VALU_DEP_1)
	s_mul_hi_u32 s58, s43, s42
	s_mul_i32 s56, s56, s42
	s_add_i32 s57, s58, s57
	s_mul_i32 s43, s43, s42
	s_add_i32 s57, s57, s56
	s_mul_hi_u32 s58, s8, s43
	s_mul_i32 s59, s8, s43
	s_mul_hi_u32 s43, s42, s43
	s_mul_hi_u32 s78, s42, s57
	s_mul_i32 s42, s42, s57
	s_mul_hi_u32 s56, s8, s57
	s_add_u32 s42, s43, s42
	s_addc_u32 s43, 0, s78
	s_add_u32 s42, s42, s59
	s_mul_i32 s57, s8, s57
	s_addc_u32 s42, s43, s58
	s_addc_u32 s43, s56, 0
	s_add_u32 s42, s42, s57
	s_addc_u32 s43, 0, s43
	v_add_co_u32 v3, s42, v3, s42
	s_delay_alu instid0(VALU_DEP_1) | instskip(SKIP_1) | instid1(VALU_DEP_1)
	s_cmp_lg_u32 s42, 0
	s_addc_u32 s8, s8, s43
	v_readfirstlane_b32 s42, v3
	s_mul_i32 s56, s26, s8
	s_mul_hi_u32 s43, s26, s8
	s_mul_hi_u32 s57, s9, s8
	s_mul_i32 s8, s9, s8
	s_mul_hi_u32 s58, s26, s42
	s_mul_hi_u32 s59, s9, s42
	s_mul_i32 s42, s9, s42
	s_add_u32 s56, s58, s56
	s_addc_u32 s43, 0, s43
	s_add_u32 s42, s56, s42
	s_addc_u32 s42, s43, s59
	s_addc_u32 s43, s57, 0
	s_add_u32 s8, s42, s8
	s_addc_u32 s42, 0, s43
	s_mul_hi_u32 s43, s33, s8
	s_mul_i32 s8, s33, s8
	s_mul_i32 s42, s33, s42
	v_sub_co_u32 v3, s8, s26, s8
	s_add_i32 s43, s43, s42
	s_cmp_lg_u32 s8, 0
	s_delay_alu instid0(VALU_DEP_1) | instskip(SKIP_3) | instid1(VALU_DEP_2)
	v_sub_co_u32 v4, s8, v3, s33
	s_subb_u32 s42, s9, s43
	s_cmp_lg_u32 s8, 0
	v_cmp_le_u32_e32 vcc_lo, s33, v3
	v_cmp_le_u32_e64 s8, s33, v4
	v_sub_co_u32 v5, s43, v4, s33
	s_subb_u32 s56, s42, 0
	s_cmp_lg_u32 s43, 0
	s_delay_alu instid0(VALU_DEP_2)
	v_cndmask_b32_e64 v8, 0, -1, s8
	s_subb_u32 s43, s56, 0
	s_cmp_eq_u32 s56, 0
	v_mov_b32_e32 v10, s43
	v_cndmask_b32_e64 v9, 0, -1, vcc_lo
	s_cselect_b32 vcc_lo, -1, 0
	s_cmp_eq_u32 s42, 0
	v_cndmask_b32_e32 v8, -1, v8, vcc_lo
	s_cselect_b32 vcc_lo, -1, 0
	v_cndmask_b32_e32 v9, -1, v9, vcc_lo
	s_delay_alu instid0(VALU_DEP_2) | instskip(NEXT) | instid1(VALU_DEP_2)
	v_cmp_ne_u32_e32 vcc_lo, 0, v8
	v_cmp_ne_u32_e64 s8, 0, v9
	v_cndmask_b32_e32 v8, s56, v10, vcc_lo
	v_cndmask_b32_e32 v5, v4, v5, vcc_lo
	s_delay_alu instid0(VALU_DEP_2) | instskip(NEXT) | instid1(VALU_DEP_2)
	v_cndmask_b32_e64 v4, s42, v8, s8
	v_cndmask_b32_e64 v3, v3, v5, s8
	s_cbranch_execnz .LBB165_204
.LBB165_203:                            ;   in Loop: Header=BB165_31 Depth=1
	v_cvt_f32_u32_e32 v3, s33
	s_sub_i32 s8, 0, s33
	s_delay_alu instid0(VALU_DEP_1) | instskip(SKIP_2) | instid1(VALU_DEP_1)
	v_rcp_iflag_f32_e32 v3, v3
	s_waitcnt_depctr 0xfff
	v_mul_f32_e32 v3, 0x4f7ffffe, v3
	v_cvt_u32_f32_e32 v3, v3
	s_delay_alu instid0(VALU_DEP_1) | instskip(NEXT) | instid1(VALU_DEP_1)
	v_mul_lo_u32 v4, s8, v3
	v_mul_hi_u32 v4, v3, v4
	s_delay_alu instid0(VALU_DEP_1) | instskip(NEXT) | instid1(VALU_DEP_1)
	v_add_nc_u32_e32 v3, v3, v4
	v_mul_hi_u32 v3, s26, v3
	s_delay_alu instid0(VALU_DEP_1) | instskip(NEXT) | instid1(VALU_DEP_1)
	v_mul_lo_u32 v3, v3, s33
	v_sub_nc_u32_e32 v3, s26, v3
	s_delay_alu instid0(VALU_DEP_1) | instskip(SKIP_1) | instid1(VALU_DEP_2)
	v_subrev_nc_u32_e32 v4, s33, v3
	v_cmp_le_u32_e32 vcc_lo, s33, v3
	v_cndmask_b32_e32 v3, v3, v4, vcc_lo
	s_delay_alu instid0(VALU_DEP_1) | instskip(SKIP_1) | instid1(VALU_DEP_2)
	v_subrev_nc_u32_e32 v4, s33, v3
	v_cmp_le_u32_e32 vcc_lo, s33, v3
	v_cndmask_b32_e32 v18, v3, v4, vcc_lo
	s_delay_alu instid0(VALU_DEP_1)
	v_dual_mov_b32 v3, v18 :: v_dual_mov_b32 v4, v19
.LBB165_204:                            ;   in Loop: Header=BB165_31 Depth=1
	s_delay_alu instid0(VALU_DEP_1) | instskip(NEXT) | instid1(VALU_DEP_2)
	v_sub_co_u32 v38, vcc_lo, s26, v3
	v_sub_co_ci_u32_e32 v39, vcc_lo, s9, v4, vcc_lo
	s_mov_b32 s9, 0
	s_mov_b32 s8, exec_lo
                                        ; implicit-def: $vgpr10_vgpr11
	s_delay_alu instid0(VALU_DEP_1)
	v_cmpx_gt_u64_e64 v[38:39], v[0:1]
	s_cbranch_execz .LBB165_216
; %bb.205:                              ;   in Loop: Header=BB165_31 Depth=1
	v_dual_mov_b32 v18, v51 :: v_dual_mov_b32 v43, v1
	v_mov_b32_e32 v42, v0
	s_mov_b32 s26, 0
                                        ; implicit-def: $sgpr9
	s_set_inst_prefetch_distance 0x1
	s_branch .LBB165_207
	.p2align	6
.LBB165_206:                            ;   in Loop: Header=BB165_207 Depth=2
	s_or_b32 exec_lo, exec_lo, s56
	s_waitcnt lgkmcnt(0)
	s_barrier
	buffer_gl0_inv
	ds_load_b128 v[8:11], v19 offset:3072
	v_add_co_u32 v42, vcc_lo, v42, s33
	v_add_co_ci_u32_e32 v43, vcc_lo, 0, v43, vcc_lo
	v_add_nc_u32_e32 v18, s93, v18
	s_waitcnt lgkmcnt(0)
	s_barrier
	s_delay_alu instid0(VALU_DEP_2) | instskip(SKIP_3) | instid1(VALU_DEP_1)
	v_cmp_ge_u64_e32 vcc_lo, v[42:43], v[38:39]
	buffer_gl0_inv
	v_readfirstlane_b32 s57, v9
	v_readfirstlane_b32 s56, v8
	s_cmp_lg_u64 s[56:57], 0
	s_cselect_b32 s42, -1, 0
	s_delay_alu instid0(SALU_CYCLE_1) | instskip(NEXT) | instid1(SALU_CYCLE_1)
	s_or_b32 s43, vcc_lo, s42
	s_and_b32 s43, exec_lo, s43
	s_delay_alu instid0(SALU_CYCLE_1) | instskip(SKIP_2) | instid1(SALU_CYCLE_1)
	s_or_b32 s26, s43, s26
	s_and_not1_b32 s9, s9, exec_lo
	s_and_b32 s42, s42, exec_lo
	s_or_b32 s9, s9, s42
	s_and_not1_b32 exec_lo, exec_lo, s26
	s_cbranch_execz .LBB165_215
.LBB165_207:                            ;   Parent Loop BB165_31 Depth=1
                                        ; =>  This Inner Loop Header: Depth=2
	s_delay_alu instid0(VALU_DEP_1)
	v_cmp_gt_u64_e32 vcc_lo, s[22:23], v[42:43]
	v_mov_b32_e32 v4, 0
	v_mov_b32_e32 v5, 0
	s_and_saveexec_b32 s56, vcc_lo
	s_cbranch_execz .LBB165_209
; %bb.208:                              ;   in Loop: Header=BB165_207 Depth=2
	ds_load_b64 v[4:5], v18
.LBB165_209:                            ;   in Loop: Header=BB165_207 Depth=2
	s_or_b32 exec_lo, exec_lo, s56
	s_and_saveexec_b32 s56, vcc_lo
	s_cbranch_execz .LBB165_206
; %bb.210:                              ;   in Loop: Header=BB165_207 Depth=2
	s_waitcnt lgkmcnt(0)
	v_xor_b32_e32 v3, 0x80000000, v5
	v_and_b32_e32 v8, v4, v14
	s_delay_alu instid0(VALU_DEP_2) | instskip(NEXT) | instid1(VALU_DEP_1)
	v_and_b32_e32 v9, v3, v15
	v_cmp_eq_u64_e32 vcc_lo, v[8:9], v[12:13]
	s_and_b32 exec_lo, exec_lo, vcc_lo
	s_cbranch_execz .LBB165_206
; %bb.211:                              ;   in Loop: Header=BB165_207 Depth=2
	v_mov_b32_e32 v3, v19
	ds_store_b128 v19, v[2:5] offset:3072
	s_branch .LBB165_206
.LBB165_212:                            ;   in Loop: Header=BB165_31 Depth=1
                                        ; implicit-def: $vgpr3_vgpr4
	s_branch .LBB165_157
.LBB165_213:                            ;   in Loop: Header=BB165_31 Depth=1
                                        ; implicit-def: $vgpr3_vgpr4
	s_branch .LBB165_173
.LBB165_214:                            ;   in Loop: Header=BB165_31 Depth=1
	s_mov_b32 s78, -1
	s_mov_b32 s9, 0
                                        ; implicit-def: $sgpr79
                                        ; implicit-def: $vgpr10_vgpr11
	s_mov_b32 s58, s78
	s_cbranch_execnz .LBB165_217
	s_branch .LBB165_230
.LBB165_215:                            ;   in Loop: Header=BB165_31 Depth=1
	s_set_inst_prefetch_distance 0x2
	s_or_b32 exec_lo, exec_lo, s26
	s_delay_alu instid0(SALU_CYCLE_1)
	s_and_b32 s9, s9, exec_lo
.LBB165_216:                            ;   in Loop: Header=BB165_31 Depth=1
	s_or_b32 exec_lo, exec_lo, s8
	s_mov_b32 s79, -1
	s_mov_b32 s78, 0
	s_delay_alu instid0(SALU_CYCLE_1)
	s_mov_b32 s58, s78
	s_branch .LBB165_230
.LBB165_217:                            ;   in Loop: Header=BB165_31 Depth=1
	s_mov_b32 s26, s61
	s_delay_alu instid0(SALU_CYCLE_1)
	s_cmp_lg_u64 s[26:27], 0
	s_cbranch_scc0 .LBB165_250
; %bb.218:                              ;   in Loop: Header=BB165_31 Depth=1
	v_cvt_f32_u32_e32 v3, s33
	s_sub_u32 s22, 0, s33
	s_subb_u32 s23, 0, 0
	s_delay_alu instid0(VALU_DEP_1) | instskip(NEXT) | instid1(VALU_DEP_1)
	v_fmac_f32_e64 v3, 0, 0x4f800000
	v_rcp_f32_e32 v3, v3
	s_waitcnt_depctr 0xfff
	v_mul_f32_e32 v3, 0x5f7ffffc, v3
	s_delay_alu instid0(VALU_DEP_1) | instskip(NEXT) | instid1(VALU_DEP_1)
	v_mul_f32_e32 v4, 0x2f800000, v3
	v_trunc_f32_e32 v4, v4
	s_delay_alu instid0(VALU_DEP_1) | instskip(SKIP_1) | instid1(VALU_DEP_2)
	v_fmac_f32_e32 v3, 0xcf800000, v4
	v_cvt_u32_f32_e32 v4, v4
	v_cvt_u32_f32_e32 v3, v3
	s_delay_alu instid0(VALU_DEP_2) | instskip(NEXT) | instid1(VALU_DEP_2)
	v_readfirstlane_b32 s8, v4
	v_readfirstlane_b32 s9, v3
	s_delay_alu instid0(VALU_DEP_2) | instskip(NEXT) | instid1(VALU_DEP_1)
	s_mul_i32 s26, s22, s8
	s_mul_hi_u32 s43, s22, s9
	s_mul_i32 s42, s23, s9
	s_add_i32 s26, s43, s26
	s_mul_i32 s56, s22, s9
	s_add_i32 s26, s26, s42
	s_mul_hi_u32 s43, s9, s56
	s_mul_hi_u32 s57, s8, s56
	s_mul_i32 s42, s8, s56
	s_mul_hi_u32 s56, s9, s26
	s_mul_i32 s9, s9, s26
	s_mul_hi_u32 s58, s8, s26
	s_add_u32 s9, s43, s9
	s_addc_u32 s43, 0, s56
	s_add_u32 s9, s9, s42
	s_mul_i32 s26, s8, s26
	s_addc_u32 s9, s43, s57
	s_addc_u32 s42, s58, 0
	s_add_u32 s9, s9, s26
	s_addc_u32 s26, 0, s42
	v_add_co_u32 v3, s9, v3, s9
	s_delay_alu instid0(VALU_DEP_1) | instskip(SKIP_1) | instid1(VALU_DEP_1)
	s_cmp_lg_u32 s9, 0
	s_addc_u32 s8, s8, s26
	v_readfirstlane_b32 s9, v3
	s_mul_i32 s26, s22, s8
	s_delay_alu instid0(VALU_DEP_1)
	s_mul_hi_u32 s42, s22, s9
	s_mul_i32 s23, s23, s9
	s_add_i32 s26, s42, s26
	s_mul_i32 s22, s22, s9
	s_add_i32 s26, s26, s23
	s_mul_hi_u32 s42, s8, s22
	s_mul_i32 s43, s8, s22
	s_mul_hi_u32 s22, s9, s22
	s_mul_hi_u32 s56, s9, s26
	s_mul_i32 s9, s9, s26
	s_mul_hi_u32 s23, s8, s26
	s_add_u32 s9, s22, s9
	s_addc_u32 s22, 0, s56
	s_add_u32 s9, s9, s43
	s_mul_i32 s26, s8, s26
	s_addc_u32 s9, s22, s42
	s_addc_u32 s22, s23, 0
	s_add_u32 s9, s9, s26
	s_addc_u32 s22, 0, s22
	v_add_co_u32 v3, s9, v3, s9
	s_delay_alu instid0(VALU_DEP_1) | instskip(SKIP_1) | instid1(VALU_DEP_1)
	s_cmp_lg_u32 s9, 0
	s_addc_u32 s8, s8, s22
	v_readfirstlane_b32 s9, v3
	s_mul_i32 s23, s87, s8
	s_mul_hi_u32 s22, s87, s8
	s_mul_hi_u32 s26, s27, s8
	s_mul_i32 s8, s27, s8
	s_mul_hi_u32 s42, s87, s9
	s_mul_hi_u32 s43, s27, s9
	s_mul_i32 s9, s27, s9
	s_add_u32 s23, s42, s23
	s_addc_u32 s22, 0, s22
	s_add_u32 s9, s23, s9
	s_addc_u32 s9, s22, s43
	s_addc_u32 s22, s26, 0
	s_add_u32 s8, s9, s8
	s_addc_u32 s9, 0, s22
	s_mul_hi_u32 s22, s33, s8
	s_mul_i32 s8, s33, s8
	s_mul_i32 s9, s33, s9
	v_sub_co_u32 v3, s8, s87, s8
	s_add_i32 s22, s22, s9
	s_cmp_lg_u32 s8, 0
	s_delay_alu instid0(VALU_DEP_1) | instskip(SKIP_3) | instid1(VALU_DEP_2)
	v_sub_co_u32 v4, s8, v3, s33
	s_subb_u32 s9, s27, s22
	s_cmp_lg_u32 s8, 0
	v_cmp_le_u32_e32 vcc_lo, s33, v3
	v_cmp_le_u32_e64 s8, s33, v4
	v_sub_co_u32 v5, s22, v4, s33
	s_subb_u32 s23, s9, 0
	s_cmp_lg_u32 s22, 0
	s_delay_alu instid0(VALU_DEP_2)
	v_cndmask_b32_e64 v8, 0, -1, s8
	s_subb_u32 s22, s23, 0
	s_cmp_eq_u32 s23, 0
	v_mov_b32_e32 v10, s22
	v_cndmask_b32_e64 v9, 0, -1, vcc_lo
	s_cselect_b32 vcc_lo, -1, 0
	s_cmp_eq_u32 s9, 0
	v_cndmask_b32_e32 v8, -1, v8, vcc_lo
	s_cselect_b32 vcc_lo, -1, 0
	v_cndmask_b32_e32 v9, -1, v9, vcc_lo
	s_delay_alu instid0(VALU_DEP_2) | instskip(NEXT) | instid1(VALU_DEP_2)
	v_cmp_ne_u32_e32 vcc_lo, 0, v8
	v_cmp_ne_u32_e64 s8, 0, v9
	v_cndmask_b32_e32 v8, s23, v10, vcc_lo
	v_cndmask_b32_e32 v5, v4, v5, vcc_lo
	s_delay_alu instid0(VALU_DEP_2) | instskip(NEXT) | instid1(VALU_DEP_2)
	v_cndmask_b32_e64 v4, s9, v8, s8
	v_cndmask_b32_e64 v3, v3, v5, s8
	s_cbranch_execnz .LBB165_220
.LBB165_219:                            ;   in Loop: Header=BB165_31 Depth=1
	v_cvt_f32_u32_e32 v3, s33
	s_sub_i32 s8, 0, s33
	s_delay_alu instid0(VALU_DEP_1) | instskip(SKIP_2) | instid1(VALU_DEP_1)
	v_rcp_iflag_f32_e32 v3, v3
	s_waitcnt_depctr 0xfff
	v_mul_f32_e32 v3, 0x4f7ffffe, v3
	v_cvt_u32_f32_e32 v3, v3
	s_delay_alu instid0(VALU_DEP_1) | instskip(NEXT) | instid1(VALU_DEP_1)
	v_mul_lo_u32 v4, s8, v3
	v_mul_hi_u32 v4, v3, v4
	s_delay_alu instid0(VALU_DEP_1) | instskip(NEXT) | instid1(VALU_DEP_1)
	v_add_nc_u32_e32 v3, v3, v4
	v_mul_hi_u32 v3, s87, v3
	s_delay_alu instid0(VALU_DEP_1) | instskip(NEXT) | instid1(VALU_DEP_1)
	v_mul_lo_u32 v3, v3, s33
	v_sub_nc_u32_e32 v3, s87, v3
	s_delay_alu instid0(VALU_DEP_1) | instskip(SKIP_1) | instid1(VALU_DEP_2)
	v_subrev_nc_u32_e32 v4, s33, v3
	v_cmp_le_u32_e32 vcc_lo, s33, v3
	v_cndmask_b32_e32 v3, v3, v4, vcc_lo
	s_delay_alu instid0(VALU_DEP_1) | instskip(SKIP_1) | instid1(VALU_DEP_2)
	v_subrev_nc_u32_e32 v4, s33, v3
	v_cmp_le_u32_e32 vcc_lo, s33, v3
	v_cndmask_b32_e32 v18, v3, v4, vcc_lo
	s_delay_alu instid0(VALU_DEP_1)
	v_dual_mov_b32 v3, v18 :: v_dual_mov_b32 v4, v19
.LBB165_220:                            ;   in Loop: Header=BB165_31 Depth=1
	s_delay_alu instid0(VALU_DEP_1) | instskip(NEXT) | instid1(VALU_DEP_2)
	v_sub_co_u32 v38, vcc_lo, s87, v3
	v_sub_co_ci_u32_e32 v39, vcc_lo, s27, v4, vcc_lo
	s_mov_b32 s9, 0
	s_mov_b32 s8, exec_lo
                                        ; implicit-def: $vgpr10_vgpr11
	s_delay_alu instid0(VALU_DEP_1)
	v_cmpx_gt_u64_e64 v[38:39], v[0:1]
	s_cbranch_execz .LBB165_229
; %bb.221:                              ;   in Loop: Header=BB165_31 Depth=1
	v_dual_mov_b32 v43, v31 :: v_dual_mov_b32 v42, v30
	v_dual_mov_b32 v45, v1 :: v_dual_mov_b32 v44, v0
	s_mov_b32 s22, 0
                                        ; implicit-def: $sgpr9
	s_set_inst_prefetch_distance 0x1
	s_branch .LBB165_223
	.p2align	6
.LBB165_222:                            ;   in Loop: Header=BB165_223 Depth=2
	s_or_b32 exec_lo, exec_lo, s23
	s_waitcnt vmcnt(0) lgkmcnt(0)
	s_barrier
	buffer_gl0_inv
	ds_load_b128 v[8:11], v19 offset:3072
	v_add_co_u32 v44, vcc_lo, v44, s33
	v_add_co_ci_u32_e32 v45, vcc_lo, 0, v45, vcc_lo
	s_waitcnt lgkmcnt(0)
	s_barrier
	buffer_gl0_inv
	v_cmp_ge_u64_e32 vcc_lo, v[44:45], v[38:39]
	v_readfirstlane_b32 s57, v9
	v_readfirstlane_b32 s56, v8
	s_delay_alu instid0(VALU_DEP_1) | instskip(SKIP_1) | instid1(SALU_CYCLE_1)
	s_cmp_lg_u64 s[56:57], 0
	s_cselect_b32 s23, -1, 0
	s_or_b32 s26, vcc_lo, s23
	v_add_co_u32 v42, vcc_lo, v42, s34
	s_and_b32 s26, exec_lo, s26
	v_add_co_ci_u32_e32 v43, vcc_lo, s35, v43, vcc_lo
	s_or_b32 s22, s26, s22
	s_and_not1_b32 s9, s9, exec_lo
	s_and_b32 s23, s23, exec_lo
	s_delay_alu instid0(SALU_CYCLE_1)
	s_or_b32 s9, s9, s23
	s_and_not1_b32 exec_lo, exec_lo, s22
	s_cbranch_execz .LBB165_228
.LBB165_223:                            ;   Parent Loop BB165_31 Depth=1
                                        ; =>  This Inner Loop Header: Depth=2
	s_delay_alu instid0(VALU_DEP_1)
	v_cmp_gt_u64_e32 vcc_lo, s[36:37], v[44:45]
	v_mov_b32_e32 v4, 0
	v_mov_b32_e32 v5, 0
	s_and_saveexec_b32 s23, vcc_lo
	s_cbranch_execz .LBB165_225
; %bb.224:                              ;   in Loop: Header=BB165_223 Depth=2
	global_load_b64 v[4:5], v[42:43], off
.LBB165_225:                            ;   in Loop: Header=BB165_223 Depth=2
	s_or_b32 exec_lo, exec_lo, s23
	s_and_saveexec_b32 s23, vcc_lo
	s_cbranch_execz .LBB165_222
; %bb.226:                              ;   in Loop: Header=BB165_223 Depth=2
	s_waitcnt vmcnt(0)
	v_xor_b32_e32 v3, 0x80000000, v5
	v_and_b32_e32 v8, v4, v14
	s_delay_alu instid0(VALU_DEP_2) | instskip(NEXT) | instid1(VALU_DEP_1)
	v_and_b32_e32 v9, v3, v15
	v_cmp_eq_u64_e32 vcc_lo, v[8:9], v[12:13]
	s_and_b32 exec_lo, exec_lo, vcc_lo
	s_cbranch_execz .LBB165_222
; %bb.227:                              ;   in Loop: Header=BB165_223 Depth=2
	v_mov_b32_e32 v3, v19
	ds_store_b128 v19, v[2:5] offset:3072
	s_branch .LBB165_222
.LBB165_228:                            ;   in Loop: Header=BB165_31 Depth=1
	s_set_inst_prefetch_distance 0x2
	s_or_b32 exec_lo, exec_lo, s22
	s_delay_alu instid0(SALU_CYCLE_1)
	s_and_b32 s9, s9, exec_lo
.LBB165_229:                            ;   in Loop: Header=BB165_31 Depth=1
	s_or_b32 exec_lo, exec_lo, s8
	s_mov_b32 s58, -1
	s_mov_b32 s78, 0
	s_mov_b32 s79, 0
.LBB165_230:                            ;   in Loop: Header=BB165_31 Depth=1
	s_or_not1_b32 s8, s9, exec_lo
.LBB165_231:                            ;   in Loop: Header=BB165_31 Depth=1
	s_or_b32 exec_lo, exec_lo, s47
	s_mov_b32 s26, 0
                                        ; implicit-def: $vgpr5
	s_and_saveexec_b32 s59, s8
	s_cbranch_execz .LBB165_296
; %bb.232:                              ;   in Loop: Header=BB165_31 Depth=1
	v_dual_mov_b32 v38, 1 :: v_dual_mov_b32 v5, 1
	v_mov_b32_e32 v39, 0
	s_xor_b32 s9, s46, -1
	s_delay_alu instid0(SALU_CYCLE_1)
	s_and_saveexec_b32 s8, s9
	s_cbranch_execz .LBB165_242
; %bb.233:                              ;   in Loop: Header=BB165_31 Depth=1
	s_mov_b32 s22, exec_lo
                                        ; implicit-def: $sgpr23
                                        ; implicit-def: $sgpr9
	v_cmpx_ge_u64_e64 s[18:19], v[40:41]
	s_xor_b32 s22, exec_lo, s22
	s_cbranch_execz .LBB165_239
; %bb.234:                              ;   in Loop: Header=BB165_31 Depth=1
	ds_load_b64 v[3:4], v19 offset:5120
	s_waitcnt lgkmcnt(0)
	v_cmp_ne_u64_e32 vcc_lo, 0, v[3:4]
	s_cbranch_vccnz .LBB165_238
; %bb.235:                              ;   in Loop: Header=BB165_31 Depth=1
	s_and_saveexec_b32 s9, s5
	s_cbranch_execz .LBB165_237
; %bb.236:                              ;   in Loop: Header=BB165_31 Depth=1
	v_dual_mov_b32 v3, s18 :: v_dual_mov_b32 v4, s19
	ds_store_b64 v19, v[3:4] offset:5128
.LBB165_237:                            ;   in Loop: Header=BB165_31 Depth=1
	s_or_b32 exec_lo, exec_lo, s9
	s_waitcnt lgkmcnt(0)
	s_barrier
	buffer_gl0_inv
.LBB165_238:                            ;   in Loop: Header=BB165_31 Depth=1
	v_and_b32_e32 v3, s15, v13
	v_and_b32_e32 v4, s14, v12
	s_lshl_b64 s[46:47], 2, s24
	v_or_b32_e32 v15, s13, v15
	v_or_b32_e32 v14, s12, v14
	;; [unrolled: 1-line block ×4, first 2 shown]
	s_mov_b32 s9, 0
	s_mov_b32 s23, 8
.LBB165_239:                            ;   in Loop: Header=BB165_31 Depth=1
	s_or_saveexec_b32 s22, s22
	v_mov_b32_e32 v5, s23
	s_xor_b32 exec_lo, exec_lo, s22
; %bb.240:                              ;   in Loop: Header=BB165_31 Depth=1
	v_sub_co_u32 v40, vcc_lo, v40, s18
	v_subrev_co_ci_u32_e32 v41, vcc_lo, s19, v41, vcc_lo
	v_mov_b32_e32 v5, 0
	s_or_b32 s9, s9, exec_lo
; %bb.241:                              ;   in Loop: Header=BB165_31 Depth=1
	s_or_b32 exec_lo, exec_lo, s22
	s_delay_alu instid0(VALU_DEP_2)
	v_dual_mov_b32 v38, v40 :: v_dual_mov_b32 v39, v41
	s_and_b32 s26, s9, exec_lo
.LBB165_242:                            ;   in Loop: Header=BB165_31 Depth=1
	s_or_b32 exec_lo, exec_lo, s8
	s_mov_b32 s23, -1
                                        ; implicit-def: $sgpr8
                                        ; implicit-def: $sgpr22
                                        ; implicit-def: $sgpr9
	s_and_saveexec_b32 s46, s26
	s_cbranch_execz .LBB165_295
; %bb.243:                              ;   in Loop: Header=BB165_31 Depth=1
	v_cmp_eq_u64_e32 vcc_lo, 1, v[38:39]
	s_cmp_eq_u64 s[20:21], 1
	s_mov_b32 s26, -1
	s_cselect_b32 s8, -1, 0
                                        ; implicit-def: $sgpr22
                                        ; implicit-def: $sgpr9
	s_delay_alu instid0(SALU_CYCLE_1) | instskip(NEXT) | instid1(SALU_CYCLE_1)
	s_and_b32 s47, s8, vcc_lo
                                        ; implicit-def: $sgpr8
	s_and_saveexec_b32 s56, s47
	s_cbranch_execz .LBB165_282
; %bb.244:                              ;   in Loop: Header=BB165_31 Depth=1
	ds_load_b64 v[3:4], v19 offset:5120
	s_waitcnt lgkmcnt(0)
	s_barrier
	buffer_gl0_inv
	v_readfirstlane_b32 s22, v3
	v_readfirstlane_b32 s23, v4
	s_and_saveexec_b32 s8, s6
	s_cbranch_execz .LBB165_246
; %bb.245:                              ;   in Loop: Header=BB165_31 Depth=1
	v_mov_b32_e32 v18, v19
	ds_store_b64 v52, v[18:19]
.LBB165_246:                            ;   in Loop: Header=BB165_31 Depth=1
	s_or_b32 exec_lo, exec_lo, s8
	v_or_b32_e32 v13, s13, v13
	v_or_b32_e32 v12, s12, v12
	;; [unrolled: 1-line block ×4, first 2 shown]
	s_cmp_eq_u64 s[22:23], 0
	s_waitcnt lgkmcnt(0)
	s_barrier
	buffer_gl0_inv
	s_cbranch_scc1 .LBB165_251
; %bb.247:                              ;   in Loop: Header=BB165_31 Depth=1
	s_add_u32 s26, s85, s22
	s_addc_u32 s9, s86, s23
	s_mov_b32 s8, s61
	v_writelane_b32 v57, s88, 9
	s_cmp_lg_u64 s[8:9], 0
	s_cbranch_scc0 .LBB165_252
; %bb.248:                              ;   in Loop: Header=BB165_31 Depth=1
	v_cvt_f32_u32_e32 v3, s33
	s_sub_u32 s43, 0, s33
	s_subb_u32 s57, 0, 0
	s_delay_alu instid0(VALU_DEP_1) | instskip(NEXT) | instid1(VALU_DEP_1)
	v_fmac_f32_e64 v3, 0, 0x4f800000
	v_rcp_f32_e32 v3, v3
	s_waitcnt_depctr 0xfff
	v_mul_f32_e32 v3, 0x5f7ffffc, v3
	s_delay_alu instid0(VALU_DEP_1) | instskip(NEXT) | instid1(VALU_DEP_1)
	v_mul_f32_e32 v4, 0x2f800000, v3
	v_trunc_f32_e32 v4, v4
	s_delay_alu instid0(VALU_DEP_1) | instskip(SKIP_1) | instid1(VALU_DEP_2)
	v_fmac_f32_e32 v3, 0xcf800000, v4
	v_cvt_u32_f32_e32 v4, v4
	v_cvt_u32_f32_e32 v3, v3
	s_delay_alu instid0(VALU_DEP_2) | instskip(NEXT) | instid1(VALU_DEP_2)
	v_readfirstlane_b32 s8, v4
	v_readfirstlane_b32 s42, v3
	s_delay_alu instid0(VALU_DEP_2) | instskip(NEXT) | instid1(VALU_DEP_1)
	s_mul_i32 vcc_lo, s43, s8
	s_mul_hi_u32 s50, s43, s42
	s_mul_i32 s3, s57, s42
	s_add_i32 s50, s50, vcc_lo
	s_mul_i32 s51, s43, s42
	s_add_i32 s50, s50, s3
	s_mul_hi_u32 vcc_lo, s42, s51
	s_mul_hi_u32 s88, s8, s51
	s_mul_i32 s3, s8, s51
	s_mul_hi_u32 s51, s42, s50
	s_mul_i32 s42, s42, s50
	s_mul_hi_u32 s64, s8, s50
	s_add_u32 s42, vcc_lo, s42
	s_addc_u32 s51, 0, s51
	s_add_u32 s3, s42, s3
	s_mul_i32 s50, s8, s50
	s_addc_u32 s3, s51, s88
	s_addc_u32 s42, s64, 0
	s_add_u32 s3, s3, s50
	s_addc_u32 s42, 0, s42
	v_add_co_u32 v3, s3, v3, s3
	s_delay_alu instid0(VALU_DEP_1) | instskip(SKIP_1) | instid1(VALU_DEP_1)
	s_cmp_lg_u32 s3, 0
	s_addc_u32 s8, s8, s42
	v_readfirstlane_b32 s3, v3
	s_mul_i32 s42, s43, s8
	s_delay_alu instid0(VALU_DEP_1)
	s_mul_hi_u32 s50, s43, s3
	s_mul_i32 s57, s57, s3
	s_add_i32 s42, s50, s42
	s_mul_i32 s43, s43, s3
	s_add_i32 s42, s42, s57
	s_mul_hi_u32 s50, s8, s43
	s_mul_i32 s51, s8, s43
	s_mul_hi_u32 s43, s3, s43
	s_mul_hi_u32 s64, s3, s42
	s_mul_i32 s3, s3, s42
	s_mul_hi_u32 s57, s8, s42
	s_add_u32 s3, s43, s3
	s_addc_u32 s43, 0, s64
	s_add_u32 s3, s3, s51
	s_mul_i32 s42, s8, s42
	s_addc_u32 s3, s43, s50
	s_addc_u32 s43, s57, 0
	s_add_u32 s3, s3, s42
	s_addc_u32 s42, 0, s43
	v_add_co_u32 v3, s3, v3, s3
	s_delay_alu instid0(VALU_DEP_1) | instskip(SKIP_1) | instid1(VALU_DEP_1)
	s_cmp_lg_u32 s3, 0
	s_addc_u32 s3, s8, s42
	v_readfirstlane_b32 s8, v3
	s_mul_i32 s43, s26, s3
	s_mul_hi_u32 s42, s26, s3
	s_mul_hi_u32 s50, s9, s3
	s_mul_i32 s3, s9, s3
	s_mul_hi_u32 s51, s26, s8
	s_mul_hi_u32 s57, s9, s8
	s_mul_i32 s8, s9, s8
	s_add_u32 s43, s51, s43
	s_addc_u32 s42, 0, s42
	s_add_u32 s8, s43, s8
	s_addc_u32 s8, s42, s57
	s_addc_u32 s42, s50, 0
	s_add_u32 s3, s8, s3
	s_addc_u32 s8, 0, s42
	s_mul_hi_u32 s42, s33, s3
	s_mul_i32 s3, s33, s3
	s_mul_i32 s8, s33, s8
	v_sub_co_u32 v3, s3, s26, s3
	s_add_i32 s42, s42, s8
	s_cmp_lg_u32 s3, 0
	s_delay_alu instid0(VALU_DEP_1) | instskip(SKIP_3) | instid1(VALU_DEP_2)
	v_sub_co_u32 v4, s3, v3, s33
	s_subb_u32 s42, s9, s42
	s_cmp_lg_u32 s3, 0
	v_cmp_le_u32_e32 vcc_lo, s33, v3
	v_cmp_le_u32_e64 s8, s33, v4
	v_sub_co_u32 v5, s3, v4, s33
	s_subb_u32 s43, s42, 0
	s_cmp_lg_u32 s3, 0
	s_delay_alu instid0(VALU_DEP_2)
	v_cndmask_b32_e64 v8, 0, -1, s8
	s_subb_u32 s3, s43, 0
	s_cmp_eq_u32 s43, 0
	v_mov_b32_e32 v10, s3
	v_cndmask_b32_e64 v9, 0, -1, vcc_lo
	s_cselect_b32 vcc_lo, -1, 0
	s_cmp_eq_u32 s42, 0
	v_cndmask_b32_e32 v8, -1, v8, vcc_lo
	s_cselect_b32 vcc_lo, -1, 0
	v_cndmask_b32_e32 v9, -1, v9, vcc_lo
	s_delay_alu instid0(VALU_DEP_2) | instskip(NEXT) | instid1(VALU_DEP_2)
	v_cmp_ne_u32_e32 vcc_lo, 0, v8
	v_cmp_ne_u32_e64 s8, 0, v9
	v_cndmask_b32_e32 v8, s43, v10, vcc_lo
	v_cndmask_b32_e32 v5, v4, v5, vcc_lo
	s_delay_alu instid0(VALU_DEP_2) | instskip(NEXT) | instid1(VALU_DEP_2)
	v_cndmask_b32_e64 v4, s42, v8, s8
	v_cndmask_b32_e64 v3, v3, v5, s8
	s_mov_b32 s8, 0
	s_branch .LBB165_253
.LBB165_249:                            ;   in Loop: Header=BB165_31 Depth=1
                                        ; implicit-def: $vgpr3_vgpr4
	s_branch .LBB165_203
.LBB165_250:                            ;   in Loop: Header=BB165_31 Depth=1
                                        ; implicit-def: $vgpr3_vgpr4
	s_branch .LBB165_219
.LBB165_251:                            ;   in Loop: Header=BB165_31 Depth=1
	s_mov_b32 s8, -1
	s_mov_b32 s26, 0
                                        ; implicit-def: $sgpr9
                                        ; implicit-def: $vgpr10_vgpr11
	s_branch .LBB165_265
.LBB165_252:                            ;   in Loop: Header=BB165_31 Depth=1
	s_mov_b32 s8, -1
                                        ; implicit-def: $vgpr3_vgpr4
.LBB165_253:                            ;   in Loop: Header=BB165_31 Depth=1
	s_delay_alu instid0(SALU_CYCLE_1)
	s_and_not1_b32 vcc_lo, exec_lo, s8
	s_cbranch_vccnz .LBB165_255
; %bb.254:                              ;   in Loop: Header=BB165_31 Depth=1
	v_cvt_f32_u32_e32 v3, s33
	s_sub_i32 s8, 0, s33
	s_delay_alu instid0(VALU_DEP_1) | instskip(SKIP_2) | instid1(VALU_DEP_1)
	v_rcp_iflag_f32_e32 v3, v3
	s_waitcnt_depctr 0xfff
	v_mul_f32_e32 v3, 0x4f7ffffe, v3
	v_cvt_u32_f32_e32 v3, v3
	s_delay_alu instid0(VALU_DEP_1) | instskip(NEXT) | instid1(VALU_DEP_1)
	v_mul_lo_u32 v4, s8, v3
	v_mul_hi_u32 v4, v3, v4
	s_delay_alu instid0(VALU_DEP_1) | instskip(NEXT) | instid1(VALU_DEP_1)
	v_add_nc_u32_e32 v3, v3, v4
	v_mul_hi_u32 v3, s26, v3
	s_delay_alu instid0(VALU_DEP_1) | instskip(NEXT) | instid1(VALU_DEP_1)
	v_mul_lo_u32 v3, v3, s33
	v_sub_nc_u32_e32 v3, s26, v3
	s_delay_alu instid0(VALU_DEP_1) | instskip(SKIP_1) | instid1(VALU_DEP_2)
	v_subrev_nc_u32_e32 v4, s33, v3
	v_cmp_le_u32_e32 vcc_lo, s33, v3
	v_cndmask_b32_e32 v3, v3, v4, vcc_lo
	s_delay_alu instid0(VALU_DEP_1) | instskip(SKIP_1) | instid1(VALU_DEP_2)
	v_subrev_nc_u32_e32 v4, s33, v3
	v_cmp_le_u32_e32 vcc_lo, s33, v3
	v_cndmask_b32_e32 v18, v3, v4, vcc_lo
	s_delay_alu instid0(VALU_DEP_1)
	v_dual_mov_b32 v3, v18 :: v_dual_mov_b32 v4, v19
.LBB165_255:                            ;   in Loop: Header=BB165_31 Depth=1
	s_delay_alu instid0(VALU_DEP_1) | instskip(NEXT) | instid1(VALU_DEP_2)
	v_sub_co_u32 v40, vcc_lo, s26, v3
	v_sub_co_ci_u32_e32 v41, vcc_lo, s9, v4, vcc_lo
	s_mov_b32 s26, 0
	s_mov_b32 s8, exec_lo
                                        ; implicit-def: $vgpr10_vgpr11
	s_delay_alu instid0(VALU_DEP_1)
	v_cmpx_gt_u64_e64 v[40:41], v[0:1]
	s_load_b64 s[64:65], s[0:1], 0x0
	v_readlane_b32 s88, v57, 9
	s_cbranch_execz .LBB165_264
; %bb.256:                              ;   in Loop: Header=BB165_31 Depth=1
	v_dual_mov_b32 v18, v51 :: v_dual_mov_b32 v43, v1
	v_mov_b32_e32 v42, v0
                                        ; implicit-def: $sgpr9
	s_set_inst_prefetch_distance 0x1
	s_branch .LBB165_258
	.p2align	6
.LBB165_257:                            ;   in Loop: Header=BB165_258 Depth=2
	s_or_b32 exec_lo, exec_lo, s57
	s_waitcnt lgkmcnt(0)
	s_barrier
	buffer_gl0_inv
	ds_load_b128 v[8:11], v19 offset:3072
	v_add_co_u32 v42, vcc_lo, v42, s33
	v_add_co_ci_u32_e32 v43, vcc_lo, 0, v43, vcc_lo
	v_add_nc_u32_e32 v18, s93, v18
	s_waitcnt lgkmcnt(0)
	s_barrier
	s_delay_alu instid0(VALU_DEP_2) | instskip(SKIP_3) | instid1(VALU_DEP_1)
	v_cmp_ge_u64_e32 vcc_lo, v[42:43], v[40:41]
	buffer_gl0_inv
	v_readfirstlane_b32 s43, v9
	v_readfirstlane_b32 s42, v8
	s_cmp_lg_u64 s[42:43], 0
	s_cselect_b32 s3, -1, 0
	s_delay_alu instid0(SALU_CYCLE_1) | instskip(NEXT) | instid1(SALU_CYCLE_1)
	s_or_b32 s42, vcc_lo, s3
	s_and_b32 s42, exec_lo, s42
	s_delay_alu instid0(SALU_CYCLE_1) | instskip(SKIP_2) | instid1(SALU_CYCLE_1)
	s_or_b32 s26, s42, s26
	s_and_not1_b32 s9, s9, exec_lo
	s_and_b32 s3, s3, exec_lo
	s_or_b32 s9, s9, s3
	s_and_not1_b32 exec_lo, exec_lo, s26
	s_cbranch_execz .LBB165_263
.LBB165_258:                            ;   Parent Loop BB165_31 Depth=1
                                        ; =>  This Inner Loop Header: Depth=2
	s_delay_alu instid0(VALU_DEP_1)
	v_cmp_gt_u64_e32 vcc_lo, s[22:23], v[42:43]
	v_mov_b32_e32 v4, 0
	v_mov_b32_e32 v5, 0
	s_and_saveexec_b32 s57, vcc_lo
	s_cbranch_execz .LBB165_260
; %bb.259:                              ;   in Loop: Header=BB165_258 Depth=2
	ds_load_b64 v[4:5], v18
.LBB165_260:                            ;   in Loop: Header=BB165_258 Depth=2
	s_or_b32 exec_lo, exec_lo, s57
	s_and_saveexec_b32 s57, vcc_lo
	s_cbranch_execz .LBB165_257
; %bb.261:                              ;   in Loop: Header=BB165_258 Depth=2
	s_waitcnt lgkmcnt(0)
	v_xor_b32_e32 v3, 0x80000000, v5
	v_and_b32_e32 v8, v4, v14
	s_delay_alu instid0(VALU_DEP_2) | instskip(NEXT) | instid1(VALU_DEP_1)
	v_and_b32_e32 v9, v3, v15
	v_cmp_eq_u64_e32 vcc_lo, v[8:9], v[12:13]
	s_and_b32 exec_lo, exec_lo, vcc_lo
	s_cbranch_execz .LBB165_257
; %bb.262:                              ;   in Loop: Header=BB165_258 Depth=2
	v_mov_b32_e32 v3, v19
	ds_store_b128 v19, v[2:5] offset:3072
	s_branch .LBB165_257
.LBB165_263:                            ;   in Loop: Header=BB165_31 Depth=1
	s_set_inst_prefetch_distance 0x2
	s_or_b32 exec_lo, exec_lo, s26
	s_delay_alu instid0(SALU_CYCLE_1)
	s_and_b32 s26, s9, exec_lo
.LBB165_264:                            ;   in Loop: Header=BB165_31 Depth=1
	s_or_b32 exec_lo, exec_lo, s8
	s_mov_b32 s9, -1
	s_mov_b32 s8, 0
.LBB165_265:                            ;   in Loop: Header=BB165_31 Depth=1
	s_delay_alu instid0(SALU_CYCLE_1)
	s_and_b32 vcc_lo, exec_lo, s8
	s_mov_b32 s22, s8
	s_cbranch_vccz .LBB165_281
; %bb.266:                              ;   in Loop: Header=BB165_31 Depth=1
	s_mov_b32 s26, s61
	s_delay_alu instid0(SALU_CYCLE_1)
	s_cmp_lg_u64 s[26:27], 0
	s_cbranch_scc0 .LBB165_268
; %bb.267:                              ;   in Loop: Header=BB165_31 Depth=1
	v_cvt_f32_u32_e32 v3, s33
	s_sub_u32 s9, 0, s33
	s_subb_u32 s22, 0, 0
	s_delay_alu instid0(VALU_DEP_1) | instskip(NEXT) | instid1(VALU_DEP_1)
	v_fmac_f32_e64 v3, 0, 0x4f800000
	v_rcp_f32_e32 v3, v3
	s_waitcnt_depctr 0xfff
	v_mul_f32_e32 v3, 0x5f7ffffc, v3
	s_delay_alu instid0(VALU_DEP_1) | instskip(NEXT) | instid1(VALU_DEP_1)
	v_mul_f32_e32 v4, 0x2f800000, v3
	v_trunc_f32_e32 v4, v4
	s_delay_alu instid0(VALU_DEP_1) | instskip(SKIP_1) | instid1(VALU_DEP_2)
	v_fmac_f32_e32 v3, 0xcf800000, v4
	v_cvt_u32_f32_e32 v4, v4
	v_cvt_u32_f32_e32 v3, v3
	s_delay_alu instid0(VALU_DEP_2) | instskip(NEXT) | instid1(VALU_DEP_2)
	v_readfirstlane_b32 s3, v4
	v_readfirstlane_b32 s8, v3
	s_delay_alu instid0(VALU_DEP_2) | instskip(NEXT) | instid1(VALU_DEP_1)
	s_mul_i32 s23, s9, s3
	s_mul_hi_u32 s42, s9, s8
	s_mul_i32 s26, s22, s8
	s_add_i32 s23, s42, s23
	s_mul_i32 s43, s9, s8
	s_add_i32 s23, s23, s26
	s_mul_hi_u32 s42, s8, s43
	s_mul_hi_u32 s50, s3, s43
	s_mul_i32 s26, s3, s43
	s_mul_hi_u32 s43, s8, s23
	s_mul_i32 s8, s8, s23
	s_mul_hi_u32 s51, s3, s23
	s_add_u32 s8, s42, s8
	s_addc_u32 s42, 0, s43
	s_add_u32 s8, s8, s26
	s_mul_i32 s23, s3, s23
	s_addc_u32 s8, s42, s50
	s_addc_u32 s26, s51, 0
	s_add_u32 s8, s8, s23
	s_addc_u32 s23, 0, s26
	v_add_co_u32 v3, s8, v3, s8
	s_delay_alu instid0(VALU_DEP_1) | instskip(SKIP_1) | instid1(VALU_DEP_1)
	s_cmp_lg_u32 s8, 0
	s_addc_u32 s3, s3, s23
	v_readfirstlane_b32 s8, v3
	s_mul_i32 s23, s9, s3
	s_delay_alu instid0(VALU_DEP_1)
	s_mul_hi_u32 s26, s9, s8
	s_mul_i32 s22, s22, s8
	s_add_i32 s23, s26, s23
	s_mul_i32 s9, s9, s8
	s_add_i32 s23, s23, s22
	s_mul_hi_u32 s26, s3, s9
	s_mul_i32 s42, s3, s9
	s_mul_hi_u32 s9, s8, s9
	s_mul_hi_u32 s43, s8, s23
	s_mul_i32 s8, s8, s23
	s_mul_hi_u32 s22, s3, s23
	s_add_u32 s8, s9, s8
	s_addc_u32 s9, 0, s43
	s_add_u32 s8, s8, s42
	s_mul_i32 s23, s3, s23
	s_addc_u32 s8, s9, s26
	s_addc_u32 s9, s22, 0
	s_add_u32 s8, s8, s23
	s_addc_u32 s9, 0, s9
	v_add_co_u32 v3, s8, v3, s8
	s_delay_alu instid0(VALU_DEP_1) | instskip(SKIP_1) | instid1(VALU_DEP_1)
	s_cmp_lg_u32 s8, 0
	s_addc_u32 s3, s3, s9
	v_readfirstlane_b32 s8, v3
	s_mul_i32 s22, s87, s3
	s_mul_hi_u32 s9, s87, s3
	s_mul_hi_u32 s23, s27, s3
	s_mul_i32 s3, s27, s3
	s_mul_hi_u32 s26, s87, s8
	s_mul_hi_u32 s42, s27, s8
	s_mul_i32 s8, s27, s8
	s_add_u32 s22, s26, s22
	s_addc_u32 s9, 0, s9
	s_add_u32 s8, s22, s8
	s_addc_u32 s8, s9, s42
	s_addc_u32 s9, s23, 0
	s_add_u32 s3, s8, s3
	s_addc_u32 s8, 0, s9
	s_mul_hi_u32 s9, s33, s3
	s_mul_i32 s3, s33, s3
	s_mul_i32 s8, s33, s8
	v_sub_co_u32 v3, s3, s87, s3
	s_add_i32 s9, s9, s8
	s_cmp_lg_u32 s3, 0
	s_delay_alu instid0(VALU_DEP_1) | instskip(SKIP_3) | instid1(VALU_DEP_2)
	v_sub_co_u32 v4, s3, v3, s33
	s_subb_u32 s9, s27, s9
	s_cmp_lg_u32 s3, 0
	v_cmp_le_u32_e32 vcc_lo, s33, v3
	v_cmp_le_u32_e64 s8, s33, v4
	v_sub_co_u32 v5, s3, v4, s33
	s_subb_u32 s22, s9, 0
	s_cmp_lg_u32 s3, 0
	s_delay_alu instid0(VALU_DEP_2)
	v_cndmask_b32_e64 v8, 0, -1, s8
	s_subb_u32 s3, s22, 0
	s_cmp_eq_u32 s22, 0
	v_mov_b32_e32 v10, s3
	v_cndmask_b32_e64 v9, 0, -1, vcc_lo
	s_cselect_b32 vcc_lo, -1, 0
	s_cmp_eq_u32 s9, 0
	v_cndmask_b32_e32 v8, -1, v8, vcc_lo
	s_cselect_b32 vcc_lo, -1, 0
	v_cndmask_b32_e32 v9, -1, v9, vcc_lo
	s_delay_alu instid0(VALU_DEP_2) | instskip(NEXT) | instid1(VALU_DEP_2)
	v_cmp_ne_u32_e32 vcc_lo, 0, v8
	v_cmp_ne_u32_e64 s8, 0, v9
	v_cndmask_b32_e32 v8, s22, v10, vcc_lo
	v_cndmask_b32_e32 v5, v4, v5, vcc_lo
	s_delay_alu instid0(VALU_DEP_2) | instskip(NEXT) | instid1(VALU_DEP_2)
	v_cndmask_b32_e64 v4, s9, v8, s8
	v_cndmask_b32_e64 v3, v3, v5, s8
	s_mov_b32 s8, 0
	s_branch .LBB165_269
.LBB165_268:                            ;   in Loop: Header=BB165_31 Depth=1
	s_mov_b32 s8, -1
                                        ; implicit-def: $vgpr3_vgpr4
.LBB165_269:                            ;   in Loop: Header=BB165_31 Depth=1
	s_delay_alu instid0(SALU_CYCLE_1)
	s_and_not1_b32 vcc_lo, exec_lo, s8
	s_cbranch_vccnz .LBB165_271
; %bb.270:                              ;   in Loop: Header=BB165_31 Depth=1
	v_cvt_f32_u32_e32 v3, s33
	s_sub_i32 s3, 0, s33
	s_delay_alu instid0(VALU_DEP_1) | instskip(SKIP_2) | instid1(VALU_DEP_1)
	v_rcp_iflag_f32_e32 v3, v3
	s_waitcnt_depctr 0xfff
	v_mul_f32_e32 v3, 0x4f7ffffe, v3
	v_cvt_u32_f32_e32 v3, v3
	s_delay_alu instid0(VALU_DEP_1) | instskip(NEXT) | instid1(VALU_DEP_1)
	v_mul_lo_u32 v4, s3, v3
	v_mul_hi_u32 v4, v3, v4
	s_delay_alu instid0(VALU_DEP_1) | instskip(NEXT) | instid1(VALU_DEP_1)
	v_add_nc_u32_e32 v3, v3, v4
	v_mul_hi_u32 v3, s87, v3
	s_delay_alu instid0(VALU_DEP_1) | instskip(NEXT) | instid1(VALU_DEP_1)
	v_mul_lo_u32 v3, v3, s33
	v_sub_nc_u32_e32 v3, s87, v3
	s_delay_alu instid0(VALU_DEP_1) | instskip(SKIP_1) | instid1(VALU_DEP_2)
	v_subrev_nc_u32_e32 v4, s33, v3
	v_cmp_le_u32_e32 vcc_lo, s33, v3
	v_cndmask_b32_e32 v3, v3, v4, vcc_lo
	s_delay_alu instid0(VALU_DEP_1) | instskip(SKIP_1) | instid1(VALU_DEP_2)
	v_subrev_nc_u32_e32 v4, s33, v3
	v_cmp_le_u32_e32 vcc_lo, s33, v3
	v_cndmask_b32_e32 v18, v3, v4, vcc_lo
	s_delay_alu instid0(VALU_DEP_1)
	v_dual_mov_b32 v3, v18 :: v_dual_mov_b32 v4, v19
.LBB165_271:                            ;   in Loop: Header=BB165_31 Depth=1
	s_delay_alu instid0(VALU_DEP_1) | instskip(NEXT) | instid1(VALU_DEP_2)
	v_sub_co_u32 v40, vcc_lo, s87, v3
	v_sub_co_ci_u32_e32 v41, vcc_lo, s27, v4, vcc_lo
	s_mov_b32 s26, 0
	s_mov_b32 s8, exec_lo
                                        ; implicit-def: $vgpr10_vgpr11
	s_delay_alu instid0(VALU_DEP_1)
	v_cmpx_gt_u64_e64 v[40:41], v[0:1]
	s_cbranch_execz .LBB165_280
; %bb.272:                              ;   in Loop: Header=BB165_31 Depth=1
	v_dual_mov_b32 v43, v31 :: v_dual_mov_b32 v42, v30
	v_dual_mov_b32 v45, v1 :: v_dual_mov_b32 v44, v0
	s_mov_b32 s22, 0
                                        ; implicit-def: $sgpr9
	s_set_inst_prefetch_distance 0x1
	s_branch .LBB165_274
	.p2align	6
.LBB165_273:                            ;   in Loop: Header=BB165_274 Depth=2
	s_or_b32 exec_lo, exec_lo, s23
	s_waitcnt vmcnt(0) lgkmcnt(0)
	s_barrier
	buffer_gl0_inv
	ds_load_b128 v[8:11], v19 offset:3072
	v_add_co_u32 v44, vcc_lo, v44, s33
	v_add_co_ci_u32_e32 v45, vcc_lo, 0, v45, vcc_lo
	s_waitcnt lgkmcnt(0)
	s_barrier
	buffer_gl0_inv
	v_cmp_ge_u64_e32 vcc_lo, v[44:45], v[40:41]
	v_readfirstlane_b32 s43, v9
	v_readfirstlane_b32 s42, v8
	s_delay_alu instid0(VALU_DEP_1) | instskip(SKIP_1) | instid1(SALU_CYCLE_1)
	s_cmp_lg_u64 s[42:43], 0
	s_cselect_b32 s3, -1, 0
	s_or_b32 s23, vcc_lo, s3
	v_add_co_u32 v42, vcc_lo, v42, s34
	s_and_b32 s23, exec_lo, s23
	v_add_co_ci_u32_e32 v43, vcc_lo, s35, v43, vcc_lo
	s_or_b32 s22, s23, s22
	s_and_not1_b32 s9, s9, exec_lo
	s_and_b32 s3, s3, exec_lo
	s_delay_alu instid0(SALU_CYCLE_1)
	s_or_b32 s9, s9, s3
	s_and_not1_b32 exec_lo, exec_lo, s22
	s_cbranch_execz .LBB165_279
.LBB165_274:                            ;   Parent Loop BB165_31 Depth=1
                                        ; =>  This Inner Loop Header: Depth=2
	s_delay_alu instid0(VALU_DEP_1)
	v_cmp_gt_u64_e32 vcc_lo, s[36:37], v[44:45]
	v_mov_b32_e32 v4, 0
	v_mov_b32_e32 v5, 0
	s_and_saveexec_b32 s23, vcc_lo
	s_cbranch_execz .LBB165_276
; %bb.275:                              ;   in Loop: Header=BB165_274 Depth=2
	global_load_b64 v[4:5], v[42:43], off
.LBB165_276:                            ;   in Loop: Header=BB165_274 Depth=2
	s_or_b32 exec_lo, exec_lo, s23
	s_and_saveexec_b32 s23, vcc_lo
	s_cbranch_execz .LBB165_273
; %bb.277:                              ;   in Loop: Header=BB165_274 Depth=2
	s_waitcnt vmcnt(0)
	v_xor_b32_e32 v3, 0x80000000, v5
	v_and_b32_e32 v8, v4, v14
	s_delay_alu instid0(VALU_DEP_2) | instskip(NEXT) | instid1(VALU_DEP_1)
	v_and_b32_e32 v9, v3, v15
	v_cmp_eq_u64_e32 vcc_lo, v[8:9], v[12:13]
	s_and_b32 exec_lo, exec_lo, vcc_lo
	s_cbranch_execz .LBB165_273
; %bb.278:                              ;   in Loop: Header=BB165_274 Depth=2
	v_mov_b32_e32 v3, v19
	ds_store_b128 v19, v[2:5] offset:3072
	s_branch .LBB165_273
.LBB165_279:                            ;   in Loop: Header=BB165_31 Depth=1
	s_set_inst_prefetch_distance 0x2
	s_or_b32 exec_lo, exec_lo, s22
	s_delay_alu instid0(SALU_CYCLE_1)
	s_and_b32 s26, s9, exec_lo
.LBB165_280:                            ;   in Loop: Header=BB165_31 Depth=1
	s_or_b32 exec_lo, exec_lo, s8
	s_mov_b32 s22, -1
	s_mov_b32 s8, 0
	s_mov_b32 s9, 0
.LBB165_281:                            ;   in Loop: Header=BB165_31 Depth=1
	s_or_not1_b32 s26, s26, exec_lo
.LBB165_282:                            ;   in Loop: Header=BB165_31 Depth=1
	s_or_b32 exec_lo, exec_lo, s56
	s_mov_b32 s56, 0
                                        ; implicit-def: $vgpr5
                                        ; implicit-def: $vgpr3_vgpr4
	s_and_saveexec_b32 s23, s26
	s_cbranch_execz .LBB165_294
; %bb.283:                              ;   in Loop: Header=BB165_31 Depth=1
	v_mov_b32_e32 v3, 1
	v_dual_mov_b32 v4, 0 :: v_dual_mov_b32 v5, 1
	s_xor_b32 s3, s47, -1
	s_delay_alu instid0(SALU_CYCLE_1)
	s_and_saveexec_b32 s26, s3
	s_cbranch_execz .LBB165_293
; %bb.284:                              ;   in Loop: Header=BB165_31 Depth=1
                                        ; implicit-def: $sgpr56
	s_mov_b32 s3, exec_lo
	v_cmpx_ge_u64_e64 s[20:21], v[38:39]
	s_xor_b32 s47, exec_lo, s3
	s_cbranch_execz .LBB165_290
; %bb.285:                              ;   in Loop: Header=BB165_31 Depth=1
	ds_load_b64 v[3:4], v19 offset:5120
	s_waitcnt lgkmcnt(0)
	v_cmp_ne_u64_e32 vcc_lo, 0, v[3:4]
	s_cbranch_vccnz .LBB165_289
; %bb.286:                              ;   in Loop: Header=BB165_31 Depth=1
	s_and_saveexec_b32 s56, s5
	s_cbranch_execz .LBB165_288
; %bb.287:                              ;   in Loop: Header=BB165_31 Depth=1
	v_dual_mov_b32 v3, s20 :: v_dual_mov_b32 v4, s21
	ds_store_b64 v19, v[3:4] offset:5128
.LBB165_288:                            ;   in Loop: Header=BB165_31 Depth=1
	s_or_b32 exec_lo, exec_lo, s56
	s_waitcnt lgkmcnt(0)
	s_barrier
	buffer_gl0_inv
.LBB165_289:                            ;   in Loop: Header=BB165_31 Depth=1
	v_or_b32_e32 v13, s13, v13
	v_or_b32_e32 v12, s12, v12
	;; [unrolled: 1-line block ×4, first 2 shown]
	s_mov_b32 s56, 8
.LBB165_290:                            ;   in Loop: Header=BB165_31 Depth=1
	s_or_saveexec_b32 s47, s47
	v_mov_b32_e32 v5, s56
	s_xor_b32 exec_lo, exec_lo, s47
; %bb.291:                              ;   in Loop: Header=BB165_31 Depth=1
	v_sub_co_u32 v38, vcc_lo, v38, s20
	v_subrev_co_ci_u32_e32 v39, vcc_lo, s21, v39, vcc_lo
	v_mov_b32_e32 v5, 8
; %bb.292:                              ;   in Loop: Header=BB165_31 Depth=1
	s_or_b32 exec_lo, exec_lo, s47
	s_delay_alu instid0(VALU_DEP_2)
	v_dual_mov_b32 v3, v38 :: v_dual_mov_b32 v4, v39
.LBB165_293:                            ;   in Loop: Header=BB165_31 Depth=1
	s_or_b32 exec_lo, exec_lo, s26
	s_delay_alu instid0(SALU_CYCLE_1)
	s_mov_b32 s56, exec_lo
.LBB165_294:                            ;   in Loop: Header=BB165_31 Depth=1
	s_or_b32 exec_lo, exec_lo, s23
	s_delay_alu instid0(VALU_DEP_1)
	v_dual_mov_b32 v39, v4 :: v_dual_mov_b32 v38, v3
	s_or_not1_b32 s23, s56, exec_lo
.LBB165_295:                            ;   in Loop: Header=BB165_31 Depth=1
	s_or_b32 exec_lo, exec_lo, s46
	s_delay_alu instid0(SALU_CYCLE_1)
	s_and_not1_b32 s26, s78, exec_lo
	s_and_b32 s8, s8, exec_lo
	v_dual_mov_b32 v41, v39 :: v_dual_mov_b32 v40, v38
	s_or_b32 s78, s26, s8
	s_and_not1_b32 s8, s58, exec_lo
	s_and_b32 s22, s22, exec_lo
	s_and_not1_b32 s26, s79, exec_lo
	s_and_b32 s9, s9, exec_lo
	s_or_b32 s58, s8, s22
	s_or_b32 s79, s26, s9
	s_and_b32 s26, s23, exec_lo
.LBB165_296:                            ;   in Loop: Header=BB165_31 Depth=1
	s_or_b32 exec_lo, exec_lo, s59
	s_delay_alu instid0(SALU_CYCLE_1)
	s_and_b32 s23, s78, exec_lo
	s_and_b32 s22, s58, exec_lo
	;; [unrolled: 1-line block ×3, first 2 shown]
	s_or_not1_b32 s8, s26, exec_lo
.LBB165_297:                            ;   in Loop: Header=BB165_31 Depth=1
	s_or_b32 exec_lo, exec_lo, s77
	s_delay_alu instid0(SALU_CYCLE_1)
	s_and_not1_b32 s26, s60, exec_lo
	s_and_b32 s23, s23, exec_lo
	v_dual_mov_b32 v38, v40 :: v_dual_mov_b32 v39, v41
	s_or_b32 s60, s26, s23
	s_and_not1_b32 s23, s75, exec_lo
	s_and_b32 s22, s22, exec_lo
	s_and_not1_b32 s26, s74, exec_lo
	s_and_b32 s9, s9, exec_lo
	s_or_b32 s75, s23, s22
	s_or_b32 s74, s26, s9
	s_and_b32 s26, s8, exec_lo
.LBB165_298:                            ;   in Loop: Header=BB165_31 Depth=1
	s_or_b32 exec_lo, exec_lo, s76
	s_delay_alu instid0(SALU_CYCLE_1)
	s_and_b32 s23, s60, exec_lo
	s_and_b32 s22, s75, exec_lo
	;; [unrolled: 1-line block ×3, first 2 shown]
	s_or_not1_b32 s46, s26, exec_lo
.LBB165_299:                            ;   in Loop: Header=BB165_31 Depth=1
	s_or_b32 exec_lo, exec_lo, s55
	s_mov_b32 s8, 0
	s_mov_b32 s26, 0
	s_and_saveexec_b32 s42, s46
	s_delay_alu instid0(SALU_CYCLE_1)
	s_xor_b32 s46, exec_lo, s42
; %bb.300:                              ;   in Loop: Header=BB165_31 Depth=1
	v_cmp_ne_u32_e32 vcc_lo, 8, v5
	v_cmp_eq_u32_e64 s8, 8, v5
	s_and_not1_b32 s23, s23, exec_lo
	s_and_not1_b32 s22, s22, exec_lo
	;; [unrolled: 1-line block ×3, first 2 shown]
	s_and_b32 s26, vcc_lo, exec_lo
	s_and_b32 s8, s8, exec_lo
; %bb.301:                              ;   in Loop: Header=BB165_31 Depth=1
	s_or_b32 exec_lo, exec_lo, s46
	s_delay_alu instid0(SALU_CYCLE_1)
	s_and_not1_b32 s25, s25, exec_lo
	s_and_b32 s23, s23, exec_lo
	s_and_b32 s22, s22, exec_lo
	s_or_b32 s25, s25, s23
	s_and_not1_b32 s23, s71, exec_lo
	s_and_not1_b32 s42, s70, exec_lo
	s_and_b32 s9, s9, exec_lo
	s_or_b32 s71, s23, s22
	s_or_b32 s70, s42, s9
	s_and_b32 s55, s26, exec_lo
	s_and_b32 s60, s8, exec_lo
.LBB165_302:                            ;   in Loop: Header=BB165_31 Depth=1
	s_or_b32 exec_lo, exec_lo, s73
	s_delay_alu instid0(SALU_CYCLE_1)
	s_and_b32 vcc_lo, exec_lo, s72
	s_cbranch_vccz .LBB165_121
.LBB165_303:                            ;   in Loop: Header=BB165_31 Depth=1
	s_delay_alu instid0(VALU_DEP_1) | instskip(SKIP_1) | instid1(SALU_CYCLE_1)
	s_cmp_eq_u64 s[20:21], 1
                                        ; implicit-def: $sgpr22
                                        ; implicit-def: $sgpr23
                                        ; implicit-def: $sgpr25
	s_cselect_b32 s8, -1, 0
	s_and_b32 s46, s8, s7
	s_mov_b32 s7, -1
	s_and_saveexec_b32 s47, s46
	s_cbranch_execz .LBB165_335
; %bb.304:                              ;   in Loop: Header=BB165_31 Depth=1
	ds_load_b64 v[3:4], v19 offset:5120
	s_waitcnt lgkmcnt(0)
	s_barrier
	buffer_gl0_inv
	v_readfirstlane_b32 s8, v3
	v_readfirstlane_b32 s9, v4
	s_and_saveexec_b32 s7, s6
	s_cbranch_execz .LBB165_306
; %bb.305:                              ;   in Loop: Header=BB165_31 Depth=1
	v_mov_b32_e32 v18, v19
	ds_store_b64 v52, v[18:19]
.LBB165_306:                            ;   in Loop: Header=BB165_31 Depth=1
	s_or_b32 exec_lo, exec_lo, s7
	v_or_b32_e32 v35, s13, v35
	v_or_b32_e32 v34, s12, v34
	;; [unrolled: 1-line block ×4, first 2 shown]
	s_cmp_eq_u64 s[8:9], 0
	s_waitcnt lgkmcnt(0)
	s_barrier
	buffer_gl0_inv
	s_cbranch_scc1 .LBB165_318
; %bb.307:                              ;   in Loop: Header=BB165_31 Depth=1
	s_add_u32 s25, s85, s8
	s_addc_u32 s23, s86, s9
	s_mov_b32 s22, s61
	s_delay_alu instid0(SALU_CYCLE_1)
	s_cmp_lg_u64 s[22:23], 0
	s_cbranch_scc0 .LBB165_362
; %bb.308:                              ;   in Loop: Header=BB165_31 Depth=1
	v_cvt_f32_u32_e32 v3, s33
	s_sub_u32 s26, 0, s33
	s_subb_u32 s42, 0, 0
	s_delay_alu instid0(VALU_DEP_1) | instskip(NEXT) | instid1(VALU_DEP_1)
	v_fmac_f32_e64 v3, 0, 0x4f800000
	v_rcp_f32_e32 v3, v3
	s_waitcnt_depctr 0xfff
	v_mul_f32_e32 v3, 0x5f7ffffc, v3
	s_delay_alu instid0(VALU_DEP_1) | instskip(NEXT) | instid1(VALU_DEP_1)
	v_mul_f32_e32 v4, 0x2f800000, v3
	v_trunc_f32_e32 v4, v4
	s_delay_alu instid0(VALU_DEP_1) | instskip(SKIP_1) | instid1(VALU_DEP_2)
	v_fmac_f32_e32 v3, 0xcf800000, v4
	v_cvt_u32_f32_e32 v4, v4
	v_cvt_u32_f32_e32 v3, v3
	s_delay_alu instid0(VALU_DEP_2) | instskip(NEXT) | instid1(VALU_DEP_2)
	v_readfirstlane_b32 s7, v4
	v_readfirstlane_b32 s22, v3
	s_delay_alu instid0(VALU_DEP_2) | instskip(NEXT) | instid1(VALU_DEP_1)
	s_mul_i32 s43, s26, s7
	s_mul_hi_u32 s57, s26, s22
	s_mul_i32 s56, s42, s22
	s_add_i32 s43, s57, s43
	s_mul_i32 s58, s26, s22
	s_add_i32 s43, s43, s56
	s_mul_hi_u32 s57, s22, s58
	s_mul_hi_u32 s59, s7, s58
	s_mul_i32 s56, s7, s58
	s_mul_hi_u32 s58, s22, s43
	s_mul_i32 s22, s22, s43
	s_mul_hi_u32 s70, s7, s43
	s_add_u32 s22, s57, s22
	s_addc_u32 s57, 0, s58
	s_add_u32 s22, s22, s56
	s_mul_i32 s43, s7, s43
	s_addc_u32 s22, s57, s59
	s_addc_u32 s56, s70, 0
	s_add_u32 s22, s22, s43
	s_addc_u32 s43, 0, s56
	v_add_co_u32 v3, s22, v3, s22
	s_delay_alu instid0(VALU_DEP_1) | instskip(SKIP_1) | instid1(VALU_DEP_1)
	s_cmp_lg_u32 s22, 0
	s_addc_u32 s7, s7, s43
	v_readfirstlane_b32 s22, v3
	s_mul_i32 s43, s26, s7
	s_delay_alu instid0(VALU_DEP_1)
	s_mul_hi_u32 s56, s26, s22
	s_mul_i32 s42, s42, s22
	s_add_i32 s43, s56, s43
	s_mul_i32 s26, s26, s22
	s_add_i32 s43, s43, s42
	s_mul_hi_u32 s56, s7, s26
	s_mul_i32 s57, s7, s26
	s_mul_hi_u32 s26, s22, s26
	s_mul_hi_u32 s58, s22, s43
	s_mul_i32 s22, s22, s43
	s_mul_hi_u32 s42, s7, s43
	s_add_u32 s22, s26, s22
	s_addc_u32 s26, 0, s58
	s_add_u32 s22, s22, s57
	s_mul_i32 s43, s7, s43
	s_addc_u32 s22, s26, s56
	s_addc_u32 s26, s42, 0
	s_add_u32 s22, s22, s43
	s_addc_u32 s26, 0, s26
	v_add_co_u32 v3, s22, v3, s22
	s_delay_alu instid0(VALU_DEP_1) | instskip(SKIP_1) | instid1(VALU_DEP_1)
	s_cmp_lg_u32 s22, 0
	s_addc_u32 s7, s7, s26
	v_readfirstlane_b32 s22, v3
	s_mul_i32 s42, s25, s7
	s_mul_hi_u32 s26, s25, s7
	s_mul_hi_u32 s43, s23, s7
	s_mul_i32 s7, s23, s7
	s_mul_hi_u32 s56, s25, s22
	s_mul_hi_u32 s57, s23, s22
	s_mul_i32 s22, s23, s22
	s_add_u32 s42, s56, s42
	s_addc_u32 s26, 0, s26
	s_add_u32 s22, s42, s22
	s_addc_u32 s22, s26, s57
	s_addc_u32 s26, s43, 0
	s_add_u32 s7, s22, s7
	s_addc_u32 s22, 0, s26
	s_mul_hi_u32 s26, s33, s7
	s_mul_i32 s7, s33, s7
	s_mul_i32 s22, s33, s22
	v_sub_co_u32 v3, s7, s25, s7
	s_add_i32 s26, s26, s22
	s_cmp_lg_u32 s7, 0
	s_delay_alu instid0(VALU_DEP_1) | instskip(SKIP_3) | instid1(VALU_DEP_2)
	v_sub_co_u32 v4, s7, v3, s33
	s_subb_u32 s22, s23, s26
	s_cmp_lg_u32 s7, 0
	v_cmp_le_u32_e32 vcc_lo, s33, v3
	v_cmp_le_u32_e64 s7, s33, v4
	v_sub_co_u32 v5, s26, v4, s33
	s_subb_u32 s42, s22, 0
	s_cmp_lg_u32 s26, 0
	s_delay_alu instid0(VALU_DEP_2)
	v_cndmask_b32_e64 v6, 0, -1, s7
	s_subb_u32 s26, s42, 0
	s_cmp_eq_u32 s42, 0
	v_mov_b32_e32 v8, s26
	v_cndmask_b32_e64 v7, 0, -1, vcc_lo
	s_cselect_b32 vcc_lo, -1, 0
	s_cmp_eq_u32 s22, 0
	v_cndmask_b32_e32 v6, -1, v6, vcc_lo
	s_cselect_b32 vcc_lo, -1, 0
	v_cndmask_b32_e32 v7, -1, v7, vcc_lo
	s_delay_alu instid0(VALU_DEP_2) | instskip(NEXT) | instid1(VALU_DEP_2)
	v_cmp_ne_u32_e32 vcc_lo, 0, v6
	v_cmp_ne_u32_e64 s7, 0, v7
	v_cndmask_b32_e32 v6, s42, v8, vcc_lo
	v_cndmask_b32_e32 v5, v4, v5, vcc_lo
	s_delay_alu instid0(VALU_DEP_2) | instskip(NEXT) | instid1(VALU_DEP_2)
	v_cndmask_b32_e64 v4, s22, v6, s7
	v_cndmask_b32_e64 v3, v3, v5, s7
	s_cbranch_execnz .LBB165_310
.LBB165_309:                            ;   in Loop: Header=BB165_31 Depth=1
	v_cvt_f32_u32_e32 v3, s33
	s_sub_i32 s7, 0, s33
	s_delay_alu instid0(VALU_DEP_1) | instskip(SKIP_2) | instid1(VALU_DEP_1)
	v_rcp_iflag_f32_e32 v3, v3
	s_waitcnt_depctr 0xfff
	v_mul_f32_e32 v3, 0x4f7ffffe, v3
	v_cvt_u32_f32_e32 v3, v3
	s_delay_alu instid0(VALU_DEP_1) | instskip(NEXT) | instid1(VALU_DEP_1)
	v_mul_lo_u32 v4, s7, v3
	v_mul_hi_u32 v4, v3, v4
	s_delay_alu instid0(VALU_DEP_1) | instskip(NEXT) | instid1(VALU_DEP_1)
	v_add_nc_u32_e32 v3, v3, v4
	v_mul_hi_u32 v3, s25, v3
	s_delay_alu instid0(VALU_DEP_1) | instskip(NEXT) | instid1(VALU_DEP_1)
	v_mul_lo_u32 v3, v3, s33
	v_sub_nc_u32_e32 v3, s25, v3
	s_delay_alu instid0(VALU_DEP_1) | instskip(SKIP_1) | instid1(VALU_DEP_2)
	v_subrev_nc_u32_e32 v4, s33, v3
	v_cmp_le_u32_e32 vcc_lo, s33, v3
	v_cndmask_b32_e32 v3, v3, v4, vcc_lo
	s_delay_alu instid0(VALU_DEP_1) | instskip(SKIP_1) | instid1(VALU_DEP_2)
	v_subrev_nc_u32_e32 v4, s33, v3
	v_cmp_le_u32_e32 vcc_lo, s33, v3
	v_cndmask_b32_e32 v18, v3, v4, vcc_lo
	s_delay_alu instid0(VALU_DEP_1)
	v_dual_mov_b32 v3, v18 :: v_dual_mov_b32 v4, v19
.LBB165_310:                            ;   in Loop: Header=BB165_31 Depth=1
	s_delay_alu instid0(VALU_DEP_1) | instskip(NEXT) | instid1(VALU_DEP_2)
	v_sub_co_u32 v8, vcc_lo, s25, v3
	v_sub_co_ci_u32_e32 v9, vcc_lo, s23, v4, vcc_lo
	s_mov_b32 s26, 0
	s_mov_b32 s7, exec_lo
                                        ; implicit-def: $vgpr6_vgpr7
	s_delay_alu instid0(VALU_DEP_1)
	v_cmpx_gt_u64_e64 v[8:9], v[0:1]
	s_cbranch_execz .LBB165_320
; %bb.311:                              ;   in Loop: Header=BB165_31 Depth=1
	v_dual_mov_b32 v12, v51 :: v_dual_mov_b32 v11, v1
	v_mov_b32_e32 v10, v0
	s_mov_b32 s23, 0
                                        ; implicit-def: $sgpr22
	s_set_inst_prefetch_distance 0x1
	s_branch .LBB165_313
	.p2align	6
.LBB165_312:                            ;   in Loop: Header=BB165_313 Depth=2
	s_or_b32 exec_lo, exec_lo, s25
	s_waitcnt lgkmcnt(0)
	s_barrier
	buffer_gl0_inv
	ds_load_b128 v[4:7], v19 offset:3072
	v_add_co_u32 v10, vcc_lo, v10, s33
	v_add_co_ci_u32_e32 v11, vcc_lo, 0, v11, vcc_lo
	v_add_nc_u32_e32 v12, s93, v12
	s_waitcnt lgkmcnt(0)
	s_barrier
	s_delay_alu instid0(VALU_DEP_2) | instskip(SKIP_3) | instid1(VALU_DEP_1)
	v_cmp_ge_u64_e32 vcc_lo, v[10:11], v[8:9]
	buffer_gl0_inv
	v_readfirstlane_b32 s57, v5
	v_readfirstlane_b32 s56, v4
	s_cmp_lg_u64 s[56:57], 0
	s_cselect_b32 s25, -1, 0
	s_delay_alu instid0(SALU_CYCLE_1) | instskip(NEXT) | instid1(SALU_CYCLE_1)
	s_or_b32 s26, vcc_lo, s25
	s_and_b32 s26, exec_lo, s26
	s_delay_alu instid0(SALU_CYCLE_1) | instskip(SKIP_2) | instid1(SALU_CYCLE_1)
	s_or_b32 s23, s26, s23
	s_and_not1_b32 s22, s22, exec_lo
	s_and_b32 s25, s25, exec_lo
	s_or_b32 s22, s22, s25
	s_and_not1_b32 exec_lo, exec_lo, s23
	s_cbranch_execz .LBB165_319
.LBB165_313:                            ;   Parent Loop BB165_31 Depth=1
                                        ; =>  This Inner Loop Header: Depth=2
	s_delay_alu instid0(VALU_DEP_1)
	v_cmp_gt_u64_e32 vcc_lo, s[8:9], v[10:11]
	v_mov_b32_e32 v4, 0
	v_mov_b32_e32 v5, 0
	s_and_saveexec_b32 s25, vcc_lo
	s_cbranch_execz .LBB165_315
; %bb.314:                              ;   in Loop: Header=BB165_313 Depth=2
	ds_load_b64 v[4:5], v12
.LBB165_315:                            ;   in Loop: Header=BB165_313 Depth=2
	s_or_b32 exec_lo, exec_lo, s25
	s_and_saveexec_b32 s25, vcc_lo
	s_cbranch_execz .LBB165_312
; %bb.316:                              ;   in Loop: Header=BB165_313 Depth=2
	s_waitcnt lgkmcnt(0)
	v_xor_b32_e32 v3, 0x80000000, v5
	v_and_b32_e32 v6, v4, v32
	s_delay_alu instid0(VALU_DEP_2) | instskip(NEXT) | instid1(VALU_DEP_1)
	v_and_b32_e32 v7, v3, v33
	v_cmp_eq_u64_e32 vcc_lo, v[6:7], v[34:35]
	s_and_b32 exec_lo, exec_lo, vcc_lo
	s_cbranch_execz .LBB165_312
; %bb.317:                              ;   in Loop: Header=BB165_313 Depth=2
	v_mov_b32_e32 v3, v19
	ds_store_b128 v19, v[2:5] offset:3072
	s_branch .LBB165_312
.LBB165_318:                            ;   in Loop: Header=BB165_31 Depth=1
	s_mov_b32 s22, -1
	s_mov_b32 s26, 0
                                        ; implicit-def: $sgpr23
                                        ; implicit-def: $vgpr6_vgpr7
	s_mov_b32 s25, s22
	s_cbranch_execnz .LBB165_321
	s_branch .LBB165_334
.LBB165_319:                            ;   in Loop: Header=BB165_31 Depth=1
	s_set_inst_prefetch_distance 0x2
	s_or_b32 exec_lo, exec_lo, s23
	s_delay_alu instid0(SALU_CYCLE_1)
	s_and_b32 s26, s22, exec_lo
.LBB165_320:                            ;   in Loop: Header=BB165_31 Depth=1
	s_or_b32 exec_lo, exec_lo, s7
	s_mov_b32 s22, 0
	s_mov_b32 s23, -1
	s_mov_b32 s25, s22
	s_branch .LBB165_334
.LBB165_321:                            ;   in Loop: Header=BB165_31 Depth=1
	s_mov_b32 s26, s61
	s_delay_alu instid0(SALU_CYCLE_1)
	s_cmp_lg_u64 s[26:27], 0
	s_cbranch_scc0 .LBB165_363
; %bb.322:                              ;   in Loop: Header=BB165_31 Depth=1
	v_cvt_f32_u32_e32 v3, s33
	s_sub_u32 s9, 0, s33
	s_subb_u32 s22, 0, 0
	s_delay_alu instid0(VALU_DEP_1) | instskip(NEXT) | instid1(VALU_DEP_1)
	v_fmac_f32_e64 v3, 0, 0x4f800000
	v_rcp_f32_e32 v3, v3
	s_waitcnt_depctr 0xfff
	v_mul_f32_e32 v3, 0x5f7ffffc, v3
	s_delay_alu instid0(VALU_DEP_1) | instskip(NEXT) | instid1(VALU_DEP_1)
	v_mul_f32_e32 v4, 0x2f800000, v3
	v_trunc_f32_e32 v4, v4
	s_delay_alu instid0(VALU_DEP_1) | instskip(SKIP_1) | instid1(VALU_DEP_2)
	v_fmac_f32_e32 v3, 0xcf800000, v4
	v_cvt_u32_f32_e32 v4, v4
	v_cvt_u32_f32_e32 v3, v3
	s_delay_alu instid0(VALU_DEP_2) | instskip(NEXT) | instid1(VALU_DEP_2)
	v_readfirstlane_b32 s7, v4
	v_readfirstlane_b32 s8, v3
	s_delay_alu instid0(VALU_DEP_2) | instskip(NEXT) | instid1(VALU_DEP_1)
	s_mul_i32 s23, s9, s7
	s_mul_hi_u32 s26, s9, s8
	s_mul_i32 s25, s22, s8
	s_add_i32 s23, s26, s23
	s_mul_i32 s42, s9, s8
	s_add_i32 s23, s23, s25
	s_mul_hi_u32 s26, s8, s42
	s_mul_hi_u32 s43, s7, s42
	s_mul_i32 s25, s7, s42
	s_mul_hi_u32 s42, s8, s23
	s_mul_i32 s8, s8, s23
	s_mul_hi_u32 s56, s7, s23
	s_add_u32 s8, s26, s8
	s_addc_u32 s26, 0, s42
	s_add_u32 s8, s8, s25
	s_mul_i32 s23, s7, s23
	s_addc_u32 s8, s26, s43
	s_addc_u32 s25, s56, 0
	s_add_u32 s8, s8, s23
	s_addc_u32 s23, 0, s25
	v_add_co_u32 v3, s8, v3, s8
	s_delay_alu instid0(VALU_DEP_1) | instskip(SKIP_1) | instid1(VALU_DEP_1)
	s_cmp_lg_u32 s8, 0
	s_addc_u32 s7, s7, s23
	v_readfirstlane_b32 s8, v3
	s_mul_i32 s23, s9, s7
	s_delay_alu instid0(VALU_DEP_1)
	s_mul_hi_u32 s25, s9, s8
	s_mul_i32 s22, s22, s8
	s_add_i32 s23, s25, s23
	s_mul_i32 s9, s9, s8
	s_add_i32 s23, s23, s22
	s_mul_hi_u32 s25, s7, s9
	s_mul_i32 s26, s7, s9
	s_mul_hi_u32 s9, s8, s9
	s_mul_hi_u32 s42, s8, s23
	s_mul_i32 s8, s8, s23
	s_mul_hi_u32 s22, s7, s23
	s_add_u32 s8, s9, s8
	s_addc_u32 s9, 0, s42
	s_add_u32 s8, s8, s26
	s_mul_i32 s23, s7, s23
	s_addc_u32 s8, s9, s25
	s_addc_u32 s9, s22, 0
	s_add_u32 s8, s8, s23
	s_addc_u32 s9, 0, s9
	v_add_co_u32 v3, s8, v3, s8
	s_delay_alu instid0(VALU_DEP_1) | instskip(SKIP_1) | instid1(VALU_DEP_1)
	s_cmp_lg_u32 s8, 0
	s_addc_u32 s7, s7, s9
	v_readfirstlane_b32 s8, v3
	s_mul_i32 s22, s87, s7
	s_mul_hi_u32 s9, s87, s7
	s_mul_hi_u32 s23, s27, s7
	s_mul_i32 s7, s27, s7
	s_mul_hi_u32 s25, s87, s8
	s_mul_hi_u32 s26, s27, s8
	s_mul_i32 s8, s27, s8
	s_add_u32 s22, s25, s22
	s_addc_u32 s9, 0, s9
	s_add_u32 s8, s22, s8
	s_addc_u32 s8, s9, s26
	s_addc_u32 s9, s23, 0
	s_add_u32 s7, s8, s7
	s_addc_u32 s8, 0, s9
	s_mul_hi_u32 s9, s33, s7
	s_mul_i32 s7, s33, s7
	s_mul_i32 s8, s33, s8
	v_sub_co_u32 v3, s7, s87, s7
	s_add_i32 s9, s9, s8
	s_cmp_lg_u32 s7, 0
	s_delay_alu instid0(VALU_DEP_1) | instskip(SKIP_2) | instid1(VALU_DEP_1)
	v_sub_co_u32 v4, s7, v3, s33
	s_subb_u32 s8, s27, s9
	s_cmp_lg_u32 s7, 0
	v_cmp_le_u32_e32 vcc_lo, s33, v4
	v_sub_co_u32 v5, s7, v4, s33
	s_subb_u32 s9, s8, 0
	s_cmp_lg_u32 s7, 0
	v_cndmask_b32_e64 v6, 0, -1, vcc_lo
	s_subb_u32 s7, s9, 0
	s_cmp_eq_u32 s9, 0
	v_mov_b32_e32 v8, s7
	s_cselect_b32 vcc_lo, -1, 0
	s_cmp_eq_u32 s8, 0
	v_cndmask_b32_e32 v6, -1, v6, vcc_lo
	v_cmp_le_u32_e32 vcc_lo, s33, v3
	s_cselect_b32 s7, -1, 0
	v_cndmask_b32_e64 v7, 0, -1, vcc_lo
	s_delay_alu instid0(VALU_DEP_3) | instskip(NEXT) | instid1(VALU_DEP_2)
	v_cmp_ne_u32_e32 vcc_lo, 0, v6
	v_cndmask_b32_e64 v6, -1, v7, s7
	v_cndmask_b32_e32 v7, s9, v8, vcc_lo
	v_cndmask_b32_e32 v5, v4, v5, vcc_lo
	s_delay_alu instid0(VALU_DEP_3) | instskip(NEXT) | instid1(VALU_DEP_3)
	v_cmp_ne_u32_e32 vcc_lo, 0, v6
	v_cndmask_b32_e32 v4, s8, v7, vcc_lo
	s_delay_alu instid0(VALU_DEP_3)
	v_cndmask_b32_e32 v3, v3, v5, vcc_lo
	s_cbranch_execnz .LBB165_324
.LBB165_323:                            ;   in Loop: Header=BB165_31 Depth=1
	v_cvt_f32_u32_e32 v3, s33
	s_sub_i32 s7, 0, s33
	s_delay_alu instid0(VALU_DEP_1) | instskip(SKIP_2) | instid1(VALU_DEP_1)
	v_rcp_iflag_f32_e32 v3, v3
	s_waitcnt_depctr 0xfff
	v_mul_f32_e32 v3, 0x4f7ffffe, v3
	v_cvt_u32_f32_e32 v3, v3
	s_delay_alu instid0(VALU_DEP_1) | instskip(NEXT) | instid1(VALU_DEP_1)
	v_mul_lo_u32 v4, s7, v3
	v_mul_hi_u32 v4, v3, v4
	s_delay_alu instid0(VALU_DEP_1) | instskip(NEXT) | instid1(VALU_DEP_1)
	v_add_nc_u32_e32 v3, v3, v4
	v_mul_hi_u32 v3, s87, v3
	s_delay_alu instid0(VALU_DEP_1) | instskip(NEXT) | instid1(VALU_DEP_1)
	v_mul_lo_u32 v3, v3, s33
	v_sub_nc_u32_e32 v3, s87, v3
	s_delay_alu instid0(VALU_DEP_1) | instskip(SKIP_1) | instid1(VALU_DEP_2)
	v_subrev_nc_u32_e32 v4, s33, v3
	v_cmp_le_u32_e32 vcc_lo, s33, v3
	v_cndmask_b32_e32 v3, v3, v4, vcc_lo
	s_delay_alu instid0(VALU_DEP_1) | instskip(SKIP_1) | instid1(VALU_DEP_2)
	v_subrev_nc_u32_e32 v4, s33, v3
	v_cmp_le_u32_e32 vcc_lo, s33, v3
	v_cndmask_b32_e32 v18, v3, v4, vcc_lo
	s_delay_alu instid0(VALU_DEP_1)
	v_dual_mov_b32 v3, v18 :: v_dual_mov_b32 v4, v19
.LBB165_324:                            ;   in Loop: Header=BB165_31 Depth=1
	s_delay_alu instid0(VALU_DEP_1) | instskip(NEXT) | instid1(VALU_DEP_2)
	v_sub_co_u32 v8, vcc_lo, s87, v3
	v_sub_co_ci_u32_e32 v9, vcc_lo, s27, v4, vcc_lo
	s_mov_b32 s26, 0
	s_mov_b32 s7, exec_lo
                                        ; implicit-def: $vgpr6_vgpr7
	s_delay_alu instid0(VALU_DEP_1)
	v_cmpx_gt_u64_e64 v[8:9], v[0:1]
	s_cbranch_execz .LBB165_333
; %bb.325:                              ;   in Loop: Header=BB165_31 Depth=1
	v_dual_mov_b32 v10, v30 :: v_dual_mov_b32 v11, v31
	v_dual_mov_b32 v13, v1 :: v_dual_mov_b32 v12, v0
	s_mov_b32 s9, 0
                                        ; implicit-def: $sgpr8
	s_set_inst_prefetch_distance 0x1
	s_branch .LBB165_327
	.p2align	6
.LBB165_326:                            ;   in Loop: Header=BB165_327 Depth=2
	s_or_b32 exec_lo, exec_lo, s22
	s_waitcnt vmcnt(0) lgkmcnt(0)
	s_barrier
	buffer_gl0_inv
	ds_load_b128 v[4:7], v19 offset:3072
	v_add_co_u32 v12, vcc_lo, v12, s33
	v_add_co_ci_u32_e32 v13, vcc_lo, 0, v13, vcc_lo
	s_waitcnt lgkmcnt(0)
	s_barrier
	buffer_gl0_inv
	v_cmp_ge_u64_e32 vcc_lo, v[12:13], v[8:9]
	v_readfirstlane_b32 s23, v5
	v_readfirstlane_b32 s22, v4
	s_delay_alu instid0(VALU_DEP_1) | instskip(SKIP_1) | instid1(SALU_CYCLE_1)
	s_cmp_lg_u64 s[22:23], 0
	s_cselect_b32 s22, -1, 0
	s_or_b32 s23, vcc_lo, s22
	v_add_co_u32 v10, vcc_lo, v10, s34
	s_and_b32 s23, exec_lo, s23
	v_add_co_ci_u32_e32 v11, vcc_lo, s35, v11, vcc_lo
	s_or_b32 s9, s23, s9
	s_and_not1_b32 s8, s8, exec_lo
	s_and_b32 s22, s22, exec_lo
	s_delay_alu instid0(SALU_CYCLE_1)
	s_or_b32 s8, s8, s22
	s_and_not1_b32 exec_lo, exec_lo, s9
	s_cbranch_execz .LBB165_332
.LBB165_327:                            ;   Parent Loop BB165_31 Depth=1
                                        ; =>  This Inner Loop Header: Depth=2
	s_delay_alu instid0(VALU_DEP_1)
	v_cmp_gt_u64_e32 vcc_lo, s[36:37], v[12:13]
	v_mov_b32_e32 v4, 0
	v_mov_b32_e32 v5, 0
	s_and_saveexec_b32 s22, vcc_lo
	s_cbranch_execz .LBB165_329
; %bb.328:                              ;   in Loop: Header=BB165_327 Depth=2
	global_load_b64 v[4:5], v[10:11], off
.LBB165_329:                            ;   in Loop: Header=BB165_327 Depth=2
	s_or_b32 exec_lo, exec_lo, s22
	s_and_saveexec_b32 s22, vcc_lo
	s_cbranch_execz .LBB165_326
; %bb.330:                              ;   in Loop: Header=BB165_327 Depth=2
	s_waitcnt vmcnt(0)
	v_xor_b32_e32 v3, 0x80000000, v5
	v_and_b32_e32 v6, v4, v32
	s_delay_alu instid0(VALU_DEP_2) | instskip(NEXT) | instid1(VALU_DEP_1)
	v_and_b32_e32 v7, v3, v33
	v_cmp_eq_u64_e32 vcc_lo, v[6:7], v[34:35]
	s_and_b32 exec_lo, exec_lo, vcc_lo
	s_cbranch_execz .LBB165_326
; %bb.331:                              ;   in Loop: Header=BB165_327 Depth=2
	v_mov_b32_e32 v3, v19
	ds_store_b128 v19, v[2:5] offset:3072
	s_branch .LBB165_326
.LBB165_332:                            ;   in Loop: Header=BB165_31 Depth=1
	s_set_inst_prefetch_distance 0x2
	s_or_b32 exec_lo, exec_lo, s9
	s_delay_alu instid0(SALU_CYCLE_1)
	s_and_b32 s26, s8, exec_lo
.LBB165_333:                            ;   in Loop: Header=BB165_31 Depth=1
	s_or_b32 exec_lo, exec_lo, s7
	s_mov_b32 s23, 0
	s_mov_b32 s22, -1
	s_mov_b32 s25, 0
.LBB165_334:                            ;   in Loop: Header=BB165_31 Depth=1
	s_or_not1_b32 s7, s26, exec_lo
.LBB165_335:                            ;   in Loop: Header=BB165_31 Depth=1
	s_or_b32 exec_lo, exec_lo, s47
                                        ; implicit-def: $vgpr5
                                        ; implicit-def: $vgpr38_vgpr39
                                        ; implicit-def: $vgpr12_vgpr13
                                        ; implicit-def: $vgpr14_vgpr15
                                        ; implicit-def: $vgpr10_vgpr11
	s_and_saveexec_b32 s70, s7
	s_cbranch_execz .LBB165_498
; %bb.336:                              ;   in Loop: Header=BB165_31 Depth=1
	v_dual_mov_b32 v38, 1 :: v_dual_mov_b32 v5, 1
	v_mov_b32_e32 v39, 0
	s_xor_b32 s8, s46, -1
	s_mov_b32 s26, 0
	s_and_saveexec_b32 s7, s8
	s_cbranch_execz .LBB165_346
; %bb.337:                              ;   in Loop: Header=BB165_31 Depth=1
	s_mov_b32 s9, exec_lo
                                        ; implicit-def: $sgpr26
                                        ; implicit-def: $sgpr8
	v_cmpx_ge_u64_e64 s[20:21], v[36:37]
	s_xor_b32 s9, exec_lo, s9
	s_cbranch_execz .LBB165_343
; %bb.338:                              ;   in Loop: Header=BB165_31 Depth=1
	ds_load_b64 v[3:4], v19 offset:5120
	s_waitcnt lgkmcnt(0)
	v_cmp_ne_u64_e32 vcc_lo, 0, v[3:4]
	s_cbranch_vccnz .LBB165_342
; %bb.339:                              ;   in Loop: Header=BB165_31 Depth=1
	s_and_saveexec_b32 s8, s5
	s_cbranch_execz .LBB165_341
; %bb.340:                              ;   in Loop: Header=BB165_31 Depth=1
	v_dual_mov_b32 v3, s20 :: v_dual_mov_b32 v4, s21
	ds_store_b64 v19, v[3:4] offset:5128
.LBB165_341:                            ;   in Loop: Header=BB165_31 Depth=1
	s_or_b32 exec_lo, exec_lo, s8
	s_waitcnt lgkmcnt(0)
	s_barrier
	buffer_gl0_inv
.LBB165_342:                            ;   in Loop: Header=BB165_31 Depth=1
	v_or_b32_e32 v35, s13, v35
	v_or_b32_e32 v34, s12, v34
	;; [unrolled: 1-line block ×4, first 2 shown]
	s_mov_b32 s8, 0
	s_mov_b32 s26, 5
.LBB165_343:                            ;   in Loop: Header=BB165_31 Depth=1
	s_or_saveexec_b32 s9, s9
	v_mov_b32_e32 v5, s26
	s_xor_b32 exec_lo, exec_lo, s9
; %bb.344:                              ;   in Loop: Header=BB165_31 Depth=1
	v_sub_co_u32 v36, vcc_lo, v36, s20
	v_subrev_co_ci_u32_e32 v37, vcc_lo, s21, v37, vcc_lo
	v_mov_b32_e32 v5, 0
	s_or_b32 s8, s8, exec_lo
; %bb.345:                              ;   in Loop: Header=BB165_31 Depth=1
	s_or_b32 exec_lo, exec_lo, s9
	s_delay_alu instid0(VALU_DEP_2)
	v_dual_mov_b32 v39, v37 :: v_dual_mov_b32 v38, v36
	s_and_b32 s26, s8, exec_lo
.LBB165_346:                            ;   in Loop: Header=BB165_31 Depth=1
	s_or_b32 exec_lo, exec_lo, s7
	s_mov_b32 s21, -1
                                        ; implicit-def: $sgpr8
                                        ; implicit-def: $sgpr9
                                        ; implicit-def: $sgpr20
	s_and_saveexec_b32 s7, s26
	s_delay_alu instid0(SALU_CYCLE_1)
	s_xor_b32 s71, exec_lo, s7
	s_cbranch_execz .LBB165_495
; %bb.347:                              ;   in Loop: Header=BB165_31 Depth=1
	v_cmp_eq_u64_e32 vcc_lo, 1, v[38:39]
	s_cmp_eq_u64 s[18:19], 1
                                        ; implicit-def: $sgpr20
                                        ; implicit-def: $sgpr21
                                        ; implicit-def: $sgpr72
	s_cselect_b32 s7, -1, 0
	s_delay_alu instid0(SALU_CYCLE_1)
	s_and_b32 s46, s7, vcc_lo
	s_mov_b32 s7, -1
	s_and_saveexec_b32 s47, s46
	s_cbranch_execz .LBB165_381
; %bb.348:                              ;   in Loop: Header=BB165_31 Depth=1
	ds_load_b64 v[3:4], v19 offset:5120
	s_waitcnt lgkmcnt(0)
	s_barrier
	buffer_gl0_inv
	v_readfirstlane_b32 s8, v3
	v_readfirstlane_b32 s9, v4
	s_and_saveexec_b32 s7, s6
	s_cbranch_execz .LBB165_350
; %bb.349:                              ;   in Loop: Header=BB165_31 Depth=1
	v_mov_b32_e32 v18, v19
	ds_store_b64 v52, v[18:19]
.LBB165_350:                            ;   in Loop: Header=BB165_31 Depth=1
	s_or_b32 exec_lo, exec_lo, s7
	v_and_b32_e32 v3, s15, v35
	v_and_b32_e32 v4, s14, v34
	s_lshl_b64 s[20:21], 2, s24
	v_or_b32_e32 v33, s13, v33
	v_or_b32_e32 v32, s12, v32
	;; [unrolled: 1-line block ×4, first 2 shown]
	s_cmp_eq_u64 s[8:9], 0
	s_waitcnt lgkmcnt(0)
	s_barrier
	buffer_gl0_inv
	s_cbranch_scc1 .LBB165_364
; %bb.351:                              ;   in Loop: Header=BB165_31 Depth=1
	s_add_u32 s26, s85, s8
	s_addc_u32 s21, s86, s9
	s_mov_b32 s20, s61
	s_delay_alu instid0(SALU_CYCLE_1)
	s_cmp_lg_u64 s[20:21], 0
	s_cbranch_scc0 .LBB165_408
; %bb.352:                              ;   in Loop: Header=BB165_31 Depth=1
	v_cvt_f32_u32_e32 v3, s33
	s_sub_u32 s42, 0, s33
	s_subb_u32 s43, 0, 0
	s_delay_alu instid0(VALU_DEP_1) | instskip(NEXT) | instid1(VALU_DEP_1)
	v_fmac_f32_e64 v3, 0, 0x4f800000
	v_rcp_f32_e32 v3, v3
	s_waitcnt_depctr 0xfff
	v_mul_f32_e32 v3, 0x5f7ffffc, v3
	s_delay_alu instid0(VALU_DEP_1) | instskip(NEXT) | instid1(VALU_DEP_1)
	v_mul_f32_e32 v4, 0x2f800000, v3
	v_trunc_f32_e32 v4, v4
	s_delay_alu instid0(VALU_DEP_1) | instskip(SKIP_1) | instid1(VALU_DEP_2)
	v_fmac_f32_e32 v3, 0xcf800000, v4
	v_cvt_u32_f32_e32 v4, v4
	v_cvt_u32_f32_e32 v3, v3
	s_delay_alu instid0(VALU_DEP_2) | instskip(NEXT) | instid1(VALU_DEP_2)
	v_readfirstlane_b32 s7, v4
	v_readfirstlane_b32 s20, v3
	s_delay_alu instid0(VALU_DEP_2) | instskip(NEXT) | instid1(VALU_DEP_1)
	s_mul_i32 s56, s42, s7
	s_mul_hi_u32 s58, s42, s20
	s_mul_i32 s57, s43, s20
	s_add_i32 s56, s58, s56
	s_mul_i32 s59, s42, s20
	s_add_i32 s56, s56, s57
	s_mul_hi_u32 s58, s20, s59
	s_mul_hi_u32 s72, s7, s59
	s_mul_i32 s57, s7, s59
	s_mul_hi_u32 s59, s20, s56
	s_mul_i32 s20, s20, s56
	s_mul_hi_u32 s73, s7, s56
	s_add_u32 s20, s58, s20
	s_addc_u32 s58, 0, s59
	s_add_u32 s20, s20, s57
	s_mul_i32 s56, s7, s56
	s_addc_u32 s20, s58, s72
	s_addc_u32 s57, s73, 0
	s_add_u32 s20, s20, s56
	s_addc_u32 s56, 0, s57
	v_add_co_u32 v3, s20, v3, s20
	s_delay_alu instid0(VALU_DEP_1) | instskip(SKIP_1) | instid1(VALU_DEP_1)
	s_cmp_lg_u32 s20, 0
	s_addc_u32 s7, s7, s56
	v_readfirstlane_b32 s20, v3
	s_mul_i32 s56, s42, s7
	s_delay_alu instid0(VALU_DEP_1)
	s_mul_hi_u32 s57, s42, s20
	s_mul_i32 s43, s43, s20
	s_add_i32 s56, s57, s56
	s_mul_i32 s42, s42, s20
	s_add_i32 s56, s56, s43
	s_mul_hi_u32 s57, s7, s42
	s_mul_i32 s58, s7, s42
	s_mul_hi_u32 s42, s20, s42
	s_mul_hi_u32 s59, s20, s56
	s_mul_i32 s20, s20, s56
	s_mul_hi_u32 s43, s7, s56
	s_add_u32 s20, s42, s20
	s_addc_u32 s42, 0, s59
	s_add_u32 s20, s20, s58
	s_mul_i32 s56, s7, s56
	s_addc_u32 s20, s42, s57
	s_addc_u32 s42, s43, 0
	s_add_u32 s20, s20, s56
	s_addc_u32 s42, 0, s42
	v_add_co_u32 v3, s20, v3, s20
	s_delay_alu instid0(VALU_DEP_1) | instskip(SKIP_1) | instid1(VALU_DEP_1)
	s_cmp_lg_u32 s20, 0
	s_addc_u32 s7, s7, s42
	v_readfirstlane_b32 s20, v3
	s_mul_i32 s43, s26, s7
	s_mul_hi_u32 s42, s26, s7
	s_mul_hi_u32 s56, s21, s7
	s_mul_i32 s7, s21, s7
	s_mul_hi_u32 s57, s26, s20
	s_mul_hi_u32 s58, s21, s20
	s_mul_i32 s20, s21, s20
	s_add_u32 s43, s57, s43
	s_addc_u32 s42, 0, s42
	s_add_u32 s20, s43, s20
	s_addc_u32 s20, s42, s58
	s_addc_u32 s42, s56, 0
	s_add_u32 s7, s20, s7
	s_addc_u32 s20, 0, s42
	s_mul_hi_u32 s42, s33, s7
	s_mul_i32 s7, s33, s7
	s_mul_i32 s20, s33, s20
	v_sub_co_u32 v3, s7, s26, s7
	s_add_i32 s42, s42, s20
	s_cmp_lg_u32 s7, 0
	s_delay_alu instid0(VALU_DEP_1) | instskip(SKIP_3) | instid1(VALU_DEP_2)
	v_sub_co_u32 v4, s7, v3, s33
	s_subb_u32 s20, s21, s42
	s_cmp_lg_u32 s7, 0
	v_cmp_le_u32_e32 vcc_lo, s33, v3
	v_cmp_le_u32_e64 s7, s33, v4
	v_sub_co_u32 v5, s42, v4, s33
	s_subb_u32 s43, s20, 0
	s_cmp_lg_u32 s42, 0
	s_delay_alu instid0(VALU_DEP_2)
	v_cndmask_b32_e64 v6, 0, -1, s7
	s_subb_u32 s42, s43, 0
	s_cmp_eq_u32 s43, 0
	v_mov_b32_e32 v8, s42
	v_cndmask_b32_e64 v7, 0, -1, vcc_lo
	s_cselect_b32 vcc_lo, -1, 0
	s_cmp_eq_u32 s20, 0
	v_cndmask_b32_e32 v6, -1, v6, vcc_lo
	s_cselect_b32 vcc_lo, -1, 0
	v_cndmask_b32_e32 v7, -1, v7, vcc_lo
	s_delay_alu instid0(VALU_DEP_2) | instskip(NEXT) | instid1(VALU_DEP_2)
	v_cmp_ne_u32_e32 vcc_lo, 0, v6
	v_cmp_ne_u32_e64 s7, 0, v7
	v_cndmask_b32_e32 v6, s43, v8, vcc_lo
	v_cndmask_b32_e32 v5, v4, v5, vcc_lo
	s_delay_alu instid0(VALU_DEP_2) | instskip(NEXT) | instid1(VALU_DEP_2)
	v_cndmask_b32_e64 v4, s20, v6, s7
	v_cndmask_b32_e64 v3, v3, v5, s7
	s_cbranch_execnz .LBB165_354
.LBB165_353:                            ;   in Loop: Header=BB165_31 Depth=1
	v_cvt_f32_u32_e32 v3, s33
	s_sub_i32 s7, 0, s33
	s_delay_alu instid0(VALU_DEP_1) | instskip(SKIP_2) | instid1(VALU_DEP_1)
	v_rcp_iflag_f32_e32 v3, v3
	s_waitcnt_depctr 0xfff
	v_mul_f32_e32 v3, 0x4f7ffffe, v3
	v_cvt_u32_f32_e32 v3, v3
	s_delay_alu instid0(VALU_DEP_1) | instskip(NEXT) | instid1(VALU_DEP_1)
	v_mul_lo_u32 v4, s7, v3
	v_mul_hi_u32 v4, v3, v4
	s_delay_alu instid0(VALU_DEP_1) | instskip(NEXT) | instid1(VALU_DEP_1)
	v_add_nc_u32_e32 v3, v3, v4
	v_mul_hi_u32 v3, s26, v3
	s_delay_alu instid0(VALU_DEP_1) | instskip(NEXT) | instid1(VALU_DEP_1)
	v_mul_lo_u32 v3, v3, s33
	v_sub_nc_u32_e32 v3, s26, v3
	s_delay_alu instid0(VALU_DEP_1) | instskip(SKIP_1) | instid1(VALU_DEP_2)
	v_subrev_nc_u32_e32 v4, s33, v3
	v_cmp_le_u32_e32 vcc_lo, s33, v3
	v_cndmask_b32_e32 v3, v3, v4, vcc_lo
	s_delay_alu instid0(VALU_DEP_1) | instskip(SKIP_1) | instid1(VALU_DEP_2)
	v_subrev_nc_u32_e32 v4, s33, v3
	v_cmp_le_u32_e32 vcc_lo, s33, v3
	v_cndmask_b32_e32 v18, v3, v4, vcc_lo
	s_delay_alu instid0(VALU_DEP_1)
	v_dual_mov_b32 v3, v18 :: v_dual_mov_b32 v4, v19
.LBB165_354:                            ;   in Loop: Header=BB165_31 Depth=1
	s_delay_alu instid0(VALU_DEP_1) | instskip(NEXT) | instid1(VALU_DEP_2)
	v_sub_co_u32 v8, vcc_lo, s26, v3
	v_sub_co_ci_u32_e32 v9, vcc_lo, s21, v4, vcc_lo
	s_mov_b32 s26, 0
	s_mov_b32 s7, exec_lo
                                        ; implicit-def: $vgpr6_vgpr7
	s_delay_alu instid0(VALU_DEP_1)
	v_cmpx_gt_u64_e64 v[8:9], v[0:1]
	s_cbranch_execz .LBB165_366
; %bb.355:                              ;   in Loop: Header=BB165_31 Depth=1
	v_dual_mov_b32 v12, v51 :: v_dual_mov_b32 v11, v1
	v_mov_b32_e32 v10, v0
	s_mov_b32 s21, 0
                                        ; implicit-def: $sgpr20
	s_set_inst_prefetch_distance 0x1
	s_branch .LBB165_357
	.p2align	6
.LBB165_356:                            ;   in Loop: Header=BB165_357 Depth=2
	s_or_b32 exec_lo, exec_lo, s26
	s_waitcnt lgkmcnt(0)
	s_barrier
	buffer_gl0_inv
	ds_load_b128 v[4:7], v19 offset:3072
	v_add_co_u32 v10, vcc_lo, v10, s33
	v_add_co_ci_u32_e32 v11, vcc_lo, 0, v11, vcc_lo
	v_add_nc_u32_e32 v12, s93, v12
	s_waitcnt lgkmcnt(0)
	s_barrier
	s_delay_alu instid0(VALU_DEP_2) | instskip(SKIP_3) | instid1(VALU_DEP_1)
	v_cmp_ge_u64_e32 vcc_lo, v[10:11], v[8:9]
	buffer_gl0_inv
	v_readfirstlane_b32 s57, v5
	v_readfirstlane_b32 s56, v4
	s_cmp_lg_u64 s[56:57], 0
	s_cselect_b32 s26, -1, 0
	s_delay_alu instid0(SALU_CYCLE_1) | instskip(NEXT) | instid1(SALU_CYCLE_1)
	s_or_b32 s42, vcc_lo, s26
	s_and_b32 s42, exec_lo, s42
	s_delay_alu instid0(SALU_CYCLE_1) | instskip(SKIP_2) | instid1(SALU_CYCLE_1)
	s_or_b32 s21, s42, s21
	s_and_not1_b32 s20, s20, exec_lo
	s_and_b32 s26, s26, exec_lo
	s_or_b32 s20, s20, s26
	s_and_not1_b32 exec_lo, exec_lo, s21
	s_cbranch_execz .LBB165_365
.LBB165_357:                            ;   Parent Loop BB165_31 Depth=1
                                        ; =>  This Inner Loop Header: Depth=2
	s_delay_alu instid0(VALU_DEP_1)
	v_cmp_gt_u64_e32 vcc_lo, s[8:9], v[10:11]
	v_mov_b32_e32 v4, 0
	v_mov_b32_e32 v5, 0
	s_and_saveexec_b32 s26, vcc_lo
	s_cbranch_execz .LBB165_359
; %bb.358:                              ;   in Loop: Header=BB165_357 Depth=2
	ds_load_b64 v[4:5], v12
.LBB165_359:                            ;   in Loop: Header=BB165_357 Depth=2
	s_or_b32 exec_lo, exec_lo, s26
	s_and_saveexec_b32 s26, vcc_lo
	s_cbranch_execz .LBB165_356
; %bb.360:                              ;   in Loop: Header=BB165_357 Depth=2
	s_waitcnt lgkmcnt(0)
	v_xor_b32_e32 v3, 0x80000000, v5
	v_and_b32_e32 v6, v4, v32
	s_delay_alu instid0(VALU_DEP_2) | instskip(NEXT) | instid1(VALU_DEP_1)
	v_and_b32_e32 v7, v3, v33
	v_cmp_eq_u64_e32 vcc_lo, v[6:7], v[34:35]
	s_and_b32 exec_lo, exec_lo, vcc_lo
	s_cbranch_execz .LBB165_356
; %bb.361:                              ;   in Loop: Header=BB165_357 Depth=2
	v_mov_b32_e32 v3, v19
	ds_store_b128 v19, v[2:5] offset:3072
	s_branch .LBB165_356
.LBB165_362:                            ;   in Loop: Header=BB165_31 Depth=1
                                        ; implicit-def: $vgpr3_vgpr4
	s_branch .LBB165_309
.LBB165_363:                            ;   in Loop: Header=BB165_31 Depth=1
                                        ; implicit-def: $vgpr3_vgpr4
	s_branch .LBB165_323
.LBB165_364:                            ;   in Loop: Header=BB165_31 Depth=1
	s_mov_b32 s20, -1
	s_mov_b32 s26, 0
                                        ; implicit-def: $sgpr21
                                        ; implicit-def: $vgpr6_vgpr7
	s_mov_b32 s72, s20
	s_cbranch_execnz .LBB165_367
	s_branch .LBB165_380
.LBB165_365:                            ;   in Loop: Header=BB165_31 Depth=1
	s_set_inst_prefetch_distance 0x2
	s_or_b32 exec_lo, exec_lo, s21
	s_delay_alu instid0(SALU_CYCLE_1)
	s_and_b32 s26, s20, exec_lo
.LBB165_366:                            ;   in Loop: Header=BB165_31 Depth=1
	s_or_b32 exec_lo, exec_lo, s7
	s_mov_b32 s20, 0
	s_mov_b32 s21, -1
	s_mov_b32 s72, s20
	s_branch .LBB165_380
.LBB165_367:                            ;   in Loop: Header=BB165_31 Depth=1
	s_mov_b32 s26, s61
	s_delay_alu instid0(SALU_CYCLE_1)
	s_cmp_lg_u64 s[26:27], 0
	s_cbranch_scc0 .LBB165_409
; %bb.368:                              ;   in Loop: Header=BB165_31 Depth=1
	v_cvt_f32_u32_e32 v3, s33
	s_sub_u32 s9, 0, s33
	s_subb_u32 s20, 0, 0
	s_delay_alu instid0(VALU_DEP_1) | instskip(NEXT) | instid1(VALU_DEP_1)
	v_fmac_f32_e64 v3, 0, 0x4f800000
	v_rcp_f32_e32 v3, v3
	s_waitcnt_depctr 0xfff
	v_mul_f32_e32 v3, 0x5f7ffffc, v3
	s_delay_alu instid0(VALU_DEP_1) | instskip(NEXT) | instid1(VALU_DEP_1)
	v_mul_f32_e32 v4, 0x2f800000, v3
	v_trunc_f32_e32 v4, v4
	s_delay_alu instid0(VALU_DEP_1) | instskip(SKIP_1) | instid1(VALU_DEP_2)
	v_fmac_f32_e32 v3, 0xcf800000, v4
	v_cvt_u32_f32_e32 v4, v4
	v_cvt_u32_f32_e32 v3, v3
	s_delay_alu instid0(VALU_DEP_2) | instskip(NEXT) | instid1(VALU_DEP_2)
	v_readfirstlane_b32 s7, v4
	v_readfirstlane_b32 s8, v3
	s_delay_alu instid0(VALU_DEP_2) | instskip(NEXT) | instid1(VALU_DEP_1)
	s_mul_i32 s21, s9, s7
	s_mul_hi_u32 s42, s9, s8
	s_mul_i32 s26, s20, s8
	s_add_i32 s21, s42, s21
	s_mul_i32 s43, s9, s8
	s_add_i32 s21, s21, s26
	s_mul_hi_u32 s42, s8, s43
	s_mul_hi_u32 s56, s7, s43
	s_mul_i32 s26, s7, s43
	s_mul_hi_u32 s43, s8, s21
	s_mul_i32 s8, s8, s21
	s_mul_hi_u32 s57, s7, s21
	s_add_u32 s8, s42, s8
	s_addc_u32 s42, 0, s43
	s_add_u32 s8, s8, s26
	s_mul_i32 s21, s7, s21
	s_addc_u32 s8, s42, s56
	s_addc_u32 s26, s57, 0
	s_add_u32 s8, s8, s21
	s_addc_u32 s21, 0, s26
	v_add_co_u32 v3, s8, v3, s8
	s_delay_alu instid0(VALU_DEP_1) | instskip(SKIP_1) | instid1(VALU_DEP_1)
	s_cmp_lg_u32 s8, 0
	s_addc_u32 s7, s7, s21
	v_readfirstlane_b32 s8, v3
	s_mul_i32 s21, s9, s7
	s_delay_alu instid0(VALU_DEP_1)
	s_mul_hi_u32 s26, s9, s8
	s_mul_i32 s20, s20, s8
	s_add_i32 s21, s26, s21
	s_mul_i32 s9, s9, s8
	s_add_i32 s21, s21, s20
	s_mul_hi_u32 s26, s7, s9
	s_mul_i32 s42, s7, s9
	s_mul_hi_u32 s9, s8, s9
	s_mul_hi_u32 s43, s8, s21
	s_mul_i32 s8, s8, s21
	s_mul_hi_u32 s20, s7, s21
	s_add_u32 s8, s9, s8
	s_addc_u32 s9, 0, s43
	s_add_u32 s8, s8, s42
	s_mul_i32 s21, s7, s21
	s_addc_u32 s8, s9, s26
	s_addc_u32 s9, s20, 0
	s_add_u32 s8, s8, s21
	s_addc_u32 s9, 0, s9
	v_add_co_u32 v3, s8, v3, s8
	s_delay_alu instid0(VALU_DEP_1) | instskip(SKIP_1) | instid1(VALU_DEP_1)
	s_cmp_lg_u32 s8, 0
	s_addc_u32 s7, s7, s9
	v_readfirstlane_b32 s8, v3
	s_mul_i32 s20, s87, s7
	s_mul_hi_u32 s9, s87, s7
	s_mul_hi_u32 s21, s27, s7
	s_mul_i32 s7, s27, s7
	s_mul_hi_u32 s26, s87, s8
	s_mul_hi_u32 s42, s27, s8
	s_mul_i32 s8, s27, s8
	s_add_u32 s20, s26, s20
	s_addc_u32 s9, 0, s9
	s_add_u32 s8, s20, s8
	s_addc_u32 s8, s9, s42
	s_addc_u32 s9, s21, 0
	s_add_u32 s7, s8, s7
	s_addc_u32 s8, 0, s9
	s_mul_hi_u32 s9, s33, s7
	s_mul_i32 s7, s33, s7
	s_mul_i32 s8, s33, s8
	v_sub_co_u32 v3, s7, s87, s7
	s_add_i32 s9, s9, s8
	s_cmp_lg_u32 s7, 0
	s_delay_alu instid0(VALU_DEP_1) | instskip(SKIP_2) | instid1(VALU_DEP_1)
	v_sub_co_u32 v4, s7, v3, s33
	s_subb_u32 s8, s27, s9
	s_cmp_lg_u32 s7, 0
	v_cmp_le_u32_e32 vcc_lo, s33, v4
	v_sub_co_u32 v5, s7, v4, s33
	s_subb_u32 s9, s8, 0
	s_cmp_lg_u32 s7, 0
	v_cndmask_b32_e64 v6, 0, -1, vcc_lo
	s_subb_u32 s7, s9, 0
	s_cmp_eq_u32 s9, 0
	v_mov_b32_e32 v8, s7
	s_cselect_b32 vcc_lo, -1, 0
	s_cmp_eq_u32 s8, 0
	v_cndmask_b32_e32 v6, -1, v6, vcc_lo
	v_cmp_le_u32_e32 vcc_lo, s33, v3
	s_cselect_b32 s7, -1, 0
	v_cndmask_b32_e64 v7, 0, -1, vcc_lo
	s_delay_alu instid0(VALU_DEP_3) | instskip(NEXT) | instid1(VALU_DEP_2)
	v_cmp_ne_u32_e32 vcc_lo, 0, v6
	v_cndmask_b32_e64 v6, -1, v7, s7
	v_cndmask_b32_e32 v7, s9, v8, vcc_lo
	v_cndmask_b32_e32 v5, v4, v5, vcc_lo
	s_delay_alu instid0(VALU_DEP_3) | instskip(NEXT) | instid1(VALU_DEP_3)
	v_cmp_ne_u32_e32 vcc_lo, 0, v6
	v_cndmask_b32_e32 v4, s8, v7, vcc_lo
	s_delay_alu instid0(VALU_DEP_3)
	v_cndmask_b32_e32 v3, v3, v5, vcc_lo
	s_cbranch_execnz .LBB165_370
.LBB165_369:                            ;   in Loop: Header=BB165_31 Depth=1
	v_cvt_f32_u32_e32 v3, s33
	s_sub_i32 s7, 0, s33
	s_delay_alu instid0(VALU_DEP_1) | instskip(SKIP_2) | instid1(VALU_DEP_1)
	v_rcp_iflag_f32_e32 v3, v3
	s_waitcnt_depctr 0xfff
	v_mul_f32_e32 v3, 0x4f7ffffe, v3
	v_cvt_u32_f32_e32 v3, v3
	s_delay_alu instid0(VALU_DEP_1) | instskip(NEXT) | instid1(VALU_DEP_1)
	v_mul_lo_u32 v4, s7, v3
	v_mul_hi_u32 v4, v3, v4
	s_delay_alu instid0(VALU_DEP_1) | instskip(NEXT) | instid1(VALU_DEP_1)
	v_add_nc_u32_e32 v3, v3, v4
	v_mul_hi_u32 v3, s87, v3
	s_delay_alu instid0(VALU_DEP_1) | instskip(NEXT) | instid1(VALU_DEP_1)
	v_mul_lo_u32 v3, v3, s33
	v_sub_nc_u32_e32 v3, s87, v3
	s_delay_alu instid0(VALU_DEP_1) | instskip(SKIP_1) | instid1(VALU_DEP_2)
	v_subrev_nc_u32_e32 v4, s33, v3
	v_cmp_le_u32_e32 vcc_lo, s33, v3
	v_cndmask_b32_e32 v3, v3, v4, vcc_lo
	s_delay_alu instid0(VALU_DEP_1) | instskip(SKIP_1) | instid1(VALU_DEP_2)
	v_subrev_nc_u32_e32 v4, s33, v3
	v_cmp_le_u32_e32 vcc_lo, s33, v3
	v_cndmask_b32_e32 v18, v3, v4, vcc_lo
	s_delay_alu instid0(VALU_DEP_1)
	v_dual_mov_b32 v3, v18 :: v_dual_mov_b32 v4, v19
.LBB165_370:                            ;   in Loop: Header=BB165_31 Depth=1
	s_delay_alu instid0(VALU_DEP_1) | instskip(NEXT) | instid1(VALU_DEP_2)
	v_sub_co_u32 v8, vcc_lo, s87, v3
	v_sub_co_ci_u32_e32 v9, vcc_lo, s27, v4, vcc_lo
	s_mov_b32 s26, 0
	s_mov_b32 s7, exec_lo
                                        ; implicit-def: $vgpr6_vgpr7
	s_delay_alu instid0(VALU_DEP_1)
	v_cmpx_gt_u64_e64 v[8:9], v[0:1]
	s_cbranch_execz .LBB165_379
; %bb.371:                              ;   in Loop: Header=BB165_31 Depth=1
	v_dual_mov_b32 v10, v30 :: v_dual_mov_b32 v11, v31
	v_dual_mov_b32 v13, v1 :: v_dual_mov_b32 v12, v0
	s_mov_b32 s9, 0
                                        ; implicit-def: $sgpr8
	s_set_inst_prefetch_distance 0x1
	s_branch .LBB165_373
	.p2align	6
.LBB165_372:                            ;   in Loop: Header=BB165_373 Depth=2
	s_or_b32 exec_lo, exec_lo, s20
	s_waitcnt vmcnt(0) lgkmcnt(0)
	s_barrier
	buffer_gl0_inv
	ds_load_b128 v[4:7], v19 offset:3072
	v_add_co_u32 v12, vcc_lo, v12, s33
	v_add_co_ci_u32_e32 v13, vcc_lo, 0, v13, vcc_lo
	s_waitcnt lgkmcnt(0)
	s_barrier
	buffer_gl0_inv
	v_cmp_ge_u64_e32 vcc_lo, v[12:13], v[8:9]
	v_readfirstlane_b32 s21, v5
	v_readfirstlane_b32 s20, v4
	s_delay_alu instid0(VALU_DEP_1) | instskip(SKIP_1) | instid1(SALU_CYCLE_1)
	s_cmp_lg_u64 s[20:21], 0
	s_cselect_b32 s20, -1, 0
	s_or_b32 s21, vcc_lo, s20
	v_add_co_u32 v10, vcc_lo, v10, s34
	s_and_b32 s21, exec_lo, s21
	v_add_co_ci_u32_e32 v11, vcc_lo, s35, v11, vcc_lo
	s_or_b32 s9, s21, s9
	s_and_not1_b32 s8, s8, exec_lo
	s_and_b32 s20, s20, exec_lo
	s_delay_alu instid0(SALU_CYCLE_1)
	s_or_b32 s8, s8, s20
	s_and_not1_b32 exec_lo, exec_lo, s9
	s_cbranch_execz .LBB165_378
.LBB165_373:                            ;   Parent Loop BB165_31 Depth=1
                                        ; =>  This Inner Loop Header: Depth=2
	s_delay_alu instid0(VALU_DEP_1)
	v_cmp_gt_u64_e32 vcc_lo, s[36:37], v[12:13]
	v_mov_b32_e32 v4, 0
	v_mov_b32_e32 v5, 0
	s_and_saveexec_b32 s20, vcc_lo
	s_cbranch_execz .LBB165_375
; %bb.374:                              ;   in Loop: Header=BB165_373 Depth=2
	global_load_b64 v[4:5], v[10:11], off
.LBB165_375:                            ;   in Loop: Header=BB165_373 Depth=2
	s_or_b32 exec_lo, exec_lo, s20
	s_and_saveexec_b32 s20, vcc_lo
	s_cbranch_execz .LBB165_372
; %bb.376:                              ;   in Loop: Header=BB165_373 Depth=2
	s_waitcnt vmcnt(0)
	v_xor_b32_e32 v3, 0x80000000, v5
	v_and_b32_e32 v6, v4, v32
	s_delay_alu instid0(VALU_DEP_2) | instskip(NEXT) | instid1(VALU_DEP_1)
	v_and_b32_e32 v7, v3, v33
	v_cmp_eq_u64_e32 vcc_lo, v[6:7], v[34:35]
	s_and_b32 exec_lo, exec_lo, vcc_lo
	s_cbranch_execz .LBB165_372
; %bb.377:                              ;   in Loop: Header=BB165_373 Depth=2
	v_mov_b32_e32 v3, v19
	ds_store_b128 v19, v[2:5] offset:3072
	s_branch .LBB165_372
.LBB165_378:                            ;   in Loop: Header=BB165_31 Depth=1
	s_set_inst_prefetch_distance 0x2
	s_or_b32 exec_lo, exec_lo, s9
	s_delay_alu instid0(SALU_CYCLE_1)
	s_and_b32 s26, s8, exec_lo
.LBB165_379:                            ;   in Loop: Header=BB165_31 Depth=1
	s_or_b32 exec_lo, exec_lo, s7
	s_mov_b32 s21, 0
	s_mov_b32 s20, -1
	s_mov_b32 s72, 0
.LBB165_380:                            ;   in Loop: Header=BB165_31 Depth=1
	s_or_not1_b32 s7, s26, exec_lo
.LBB165_381:                            ;   in Loop: Header=BB165_31 Depth=1
	s_or_b32 exec_lo, exec_lo, s47
	s_mov_b32 s26, 0
                                        ; implicit-def: $vgpr5
	s_and_saveexec_b32 s73, s7
	s_cbranch_execz .LBB165_494
; %bb.382:                              ;   in Loop: Header=BB165_31 Depth=1
	v_dual_mov_b32 v8, 1 :: v_dual_mov_b32 v5, 1
	v_mov_b32_e32 v9, 0
	s_xor_b32 s8, s46, -1
	s_delay_alu instid0(SALU_CYCLE_1)
	s_and_saveexec_b32 s7, s8
	s_cbranch_execz .LBB165_392
; %bb.383:                              ;   in Loop: Header=BB165_31 Depth=1
	s_mov_b32 s9, exec_lo
                                        ; implicit-def: $sgpr26
                                        ; implicit-def: $sgpr8
	v_cmpx_ge_u64_e64 s[18:19], v[38:39]
	s_xor_b32 s9, exec_lo, s9
	s_cbranch_execz .LBB165_389
; %bb.384:                              ;   in Loop: Header=BB165_31 Depth=1
	ds_load_b64 v[3:4], v19 offset:5120
	s_waitcnt lgkmcnt(0)
	v_cmp_ne_u64_e32 vcc_lo, 0, v[3:4]
	s_cbranch_vccnz .LBB165_388
; %bb.385:                              ;   in Loop: Header=BB165_31 Depth=1
	s_and_saveexec_b32 s8, s5
	s_cbranch_execz .LBB165_387
; %bb.386:                              ;   in Loop: Header=BB165_31 Depth=1
	v_dual_mov_b32 v3, s18 :: v_dual_mov_b32 v4, s19
	ds_store_b64 v19, v[3:4] offset:5128
.LBB165_387:                            ;   in Loop: Header=BB165_31 Depth=1
	s_or_b32 exec_lo, exec_lo, s8
	s_waitcnt lgkmcnt(0)
	s_barrier
	buffer_gl0_inv
.LBB165_388:                            ;   in Loop: Header=BB165_31 Depth=1
	v_and_b32_e32 v3, s15, v35
	v_and_b32_e32 v4, s14, v34
	s_lshl_b64 s[46:47], 2, s24
	v_or_b32_e32 v33, s13, v33
	v_or_b32_e32 v32, s12, v32
	;; [unrolled: 1-line block ×4, first 2 shown]
	s_mov_b32 s8, 0
	s_mov_b32 s26, 5
.LBB165_389:                            ;   in Loop: Header=BB165_31 Depth=1
	s_or_saveexec_b32 s9, s9
	v_mov_b32_e32 v5, s26
	s_xor_b32 exec_lo, exec_lo, s9
; %bb.390:                              ;   in Loop: Header=BB165_31 Depth=1
	v_sub_co_u32 v38, vcc_lo, v38, s18
	v_subrev_co_ci_u32_e32 v39, vcc_lo, s19, v39, vcc_lo
	v_mov_b32_e32 v5, 0
	s_or_b32 s8, s8, exec_lo
; %bb.391:                              ;   in Loop: Header=BB165_31 Depth=1
	s_or_b32 exec_lo, exec_lo, s9
	s_delay_alu instid0(VALU_DEP_2)
	v_dual_mov_b32 v8, v38 :: v_dual_mov_b32 v9, v39
	s_and_b32 s26, s8, exec_lo
.LBB165_392:                            ;   in Loop: Header=BB165_31 Depth=1
	s_or_b32 exec_lo, exec_lo, s7
	s_mov_b32 s7, -1
                                        ; implicit-def: $sgpr8
                                        ; implicit-def: $sgpr9
                                        ; implicit-def: $sgpr18
	s_and_saveexec_b32 s74, s26
	s_cbranch_execz .LBB165_493
; %bb.393:                              ;   in Loop: Header=BB165_31 Depth=1
	v_cmp_eq_u64_e32 vcc_lo, 1, v[8:9]
	s_cmp_eq_u64 s[16:17], 1
                                        ; implicit-def: $sgpr18
                                        ; implicit-def: $sgpr19
                                        ; implicit-def: $sgpr58
	s_cselect_b32 s7, -1, 0
	s_delay_alu instid0(SALU_CYCLE_1)
	s_and_b32 s46, s7, vcc_lo
	s_mov_b32 s7, -1
	s_and_saveexec_b32 s47, s46
	s_cbranch_execz .LBB165_427
; %bb.394:                              ;   in Loop: Header=BB165_31 Depth=1
	ds_load_b64 v[3:4], v19 offset:5120
	s_waitcnt lgkmcnt(0)
	s_barrier
	buffer_gl0_inv
	v_readfirstlane_b32 s8, v3
	v_readfirstlane_b32 s9, v4
	s_and_saveexec_b32 s7, s6
	s_cbranch_execz .LBB165_396
; %bb.395:                              ;   in Loop: Header=BB165_31 Depth=1
	v_mov_b32_e32 v18, v19
	ds_store_b64 v52, v[18:19]
.LBB165_396:                            ;   in Loop: Header=BB165_31 Depth=1
	s_or_b32 exec_lo, exec_lo, s7
	v_and_b32_e32 v3, s15, v35
	v_and_b32_e32 v4, s14, v34
	s_lshl_b64 s[18:19], 1, s24
	v_or_b32_e32 v33, s13, v33
	v_or_b32_e32 v32, s12, v32
	;; [unrolled: 1-line block ×4, first 2 shown]
	s_cmp_eq_u64 s[8:9], 0
	s_waitcnt lgkmcnt(0)
	s_barrier
	buffer_gl0_inv
	s_cbranch_scc1 .LBB165_410
; %bb.397:                              ;   in Loop: Header=BB165_31 Depth=1
	s_add_u32 s26, s85, s8
	s_addc_u32 s19, s86, s9
	s_mov_b32 s18, s61
	s_delay_alu instid0(SALU_CYCLE_1)
	s_cmp_lg_u64 s[18:19], 0
	s_cbranch_scc0 .LBB165_445
; %bb.398:                              ;   in Loop: Header=BB165_31 Depth=1
	v_cvt_f32_u32_e32 v3, s33
	s_sub_u32 s42, 0, s33
	s_subb_u32 s43, 0, 0
	s_delay_alu instid0(VALU_DEP_1) | instskip(NEXT) | instid1(VALU_DEP_1)
	v_fmac_f32_e64 v3, 0, 0x4f800000
	v_rcp_f32_e32 v3, v3
	s_waitcnt_depctr 0xfff
	v_mul_f32_e32 v3, 0x5f7ffffc, v3
	s_delay_alu instid0(VALU_DEP_1) | instskip(NEXT) | instid1(VALU_DEP_1)
	v_mul_f32_e32 v4, 0x2f800000, v3
	v_trunc_f32_e32 v4, v4
	s_delay_alu instid0(VALU_DEP_1) | instskip(SKIP_1) | instid1(VALU_DEP_2)
	v_fmac_f32_e32 v3, 0xcf800000, v4
	v_cvt_u32_f32_e32 v4, v4
	v_cvt_u32_f32_e32 v3, v3
	s_delay_alu instid0(VALU_DEP_2) | instskip(NEXT) | instid1(VALU_DEP_2)
	v_readfirstlane_b32 s7, v4
	v_readfirstlane_b32 s18, v3
	s_delay_alu instid0(VALU_DEP_2) | instskip(NEXT) | instid1(VALU_DEP_1)
	s_mul_i32 s56, s42, s7
	s_mul_hi_u32 s58, s42, s18
	s_mul_i32 s57, s43, s18
	s_add_i32 s56, s58, s56
	s_mul_i32 s59, s42, s18
	s_add_i32 s56, s56, s57
	s_mul_hi_u32 s58, s18, s59
	s_mul_hi_u32 s75, s7, s59
	s_mul_i32 s57, s7, s59
	s_mul_hi_u32 s59, s18, s56
	s_mul_i32 s18, s18, s56
	s_mul_hi_u32 s76, s7, s56
	s_add_u32 s18, s58, s18
	s_addc_u32 s58, 0, s59
	s_add_u32 s18, s18, s57
	s_mul_i32 s56, s7, s56
	s_addc_u32 s18, s58, s75
	s_addc_u32 s57, s76, 0
	s_add_u32 s18, s18, s56
	s_addc_u32 s56, 0, s57
	v_add_co_u32 v3, s18, v3, s18
	s_delay_alu instid0(VALU_DEP_1) | instskip(SKIP_1) | instid1(VALU_DEP_1)
	s_cmp_lg_u32 s18, 0
	s_addc_u32 s7, s7, s56
	v_readfirstlane_b32 s18, v3
	s_mul_i32 s56, s42, s7
	s_delay_alu instid0(VALU_DEP_1)
	s_mul_hi_u32 s57, s42, s18
	s_mul_i32 s43, s43, s18
	s_add_i32 s56, s57, s56
	s_mul_i32 s42, s42, s18
	s_add_i32 s56, s56, s43
	s_mul_hi_u32 s57, s7, s42
	s_mul_i32 s58, s7, s42
	s_mul_hi_u32 s42, s18, s42
	s_mul_hi_u32 s59, s18, s56
	s_mul_i32 s18, s18, s56
	s_mul_hi_u32 s43, s7, s56
	s_add_u32 s18, s42, s18
	s_addc_u32 s42, 0, s59
	s_add_u32 s18, s18, s58
	s_mul_i32 s56, s7, s56
	s_addc_u32 s18, s42, s57
	s_addc_u32 s42, s43, 0
	s_add_u32 s18, s18, s56
	s_addc_u32 s42, 0, s42
	v_add_co_u32 v3, s18, v3, s18
	s_delay_alu instid0(VALU_DEP_1) | instskip(SKIP_1) | instid1(VALU_DEP_1)
	s_cmp_lg_u32 s18, 0
	s_addc_u32 s7, s7, s42
	v_readfirstlane_b32 s18, v3
	s_mul_i32 s43, s26, s7
	s_mul_hi_u32 s42, s26, s7
	s_mul_hi_u32 s56, s19, s7
	s_mul_i32 s7, s19, s7
	s_mul_hi_u32 s57, s26, s18
	s_mul_hi_u32 s58, s19, s18
	s_mul_i32 s18, s19, s18
	s_add_u32 s43, s57, s43
	s_addc_u32 s42, 0, s42
	s_add_u32 s18, s43, s18
	s_addc_u32 s18, s42, s58
	s_addc_u32 s42, s56, 0
	s_add_u32 s7, s18, s7
	s_addc_u32 s18, 0, s42
	s_mul_hi_u32 s42, s33, s7
	s_mul_i32 s7, s33, s7
	s_mul_i32 s18, s33, s18
	v_sub_co_u32 v3, s7, s26, s7
	s_add_i32 s42, s42, s18
	s_cmp_lg_u32 s7, 0
	s_delay_alu instid0(VALU_DEP_1) | instskip(SKIP_3) | instid1(VALU_DEP_2)
	v_sub_co_u32 v4, s7, v3, s33
	s_subb_u32 s18, s19, s42
	s_cmp_lg_u32 s7, 0
	v_cmp_le_u32_e32 vcc_lo, s33, v3
	v_cmp_le_u32_e64 s7, s33, v4
	v_sub_co_u32 v5, s42, v4, s33
	s_subb_u32 s43, s18, 0
	s_cmp_lg_u32 s42, 0
	s_delay_alu instid0(VALU_DEP_2)
	v_cndmask_b32_e64 v6, 0, -1, s7
	s_subb_u32 s42, s43, 0
	s_cmp_eq_u32 s43, 0
	v_mov_b32_e32 v10, s42
	v_cndmask_b32_e64 v7, 0, -1, vcc_lo
	s_cselect_b32 vcc_lo, -1, 0
	s_cmp_eq_u32 s18, 0
	v_cndmask_b32_e32 v6, -1, v6, vcc_lo
	s_cselect_b32 vcc_lo, -1, 0
	v_cndmask_b32_e32 v7, -1, v7, vcc_lo
	s_delay_alu instid0(VALU_DEP_2) | instskip(NEXT) | instid1(VALU_DEP_2)
	v_cmp_ne_u32_e32 vcc_lo, 0, v6
	v_cmp_ne_u32_e64 s7, 0, v7
	v_cndmask_b32_e32 v6, s43, v10, vcc_lo
	v_cndmask_b32_e32 v5, v4, v5, vcc_lo
	s_delay_alu instid0(VALU_DEP_2) | instskip(NEXT) | instid1(VALU_DEP_2)
	v_cndmask_b32_e64 v4, s18, v6, s7
	v_cndmask_b32_e64 v3, v3, v5, s7
	s_cbranch_execnz .LBB165_400
.LBB165_399:                            ;   in Loop: Header=BB165_31 Depth=1
	v_cvt_f32_u32_e32 v3, s33
	s_sub_i32 s7, 0, s33
	s_delay_alu instid0(VALU_DEP_1) | instskip(SKIP_2) | instid1(VALU_DEP_1)
	v_rcp_iflag_f32_e32 v3, v3
	s_waitcnt_depctr 0xfff
	v_mul_f32_e32 v3, 0x4f7ffffe, v3
	v_cvt_u32_f32_e32 v3, v3
	s_delay_alu instid0(VALU_DEP_1) | instskip(NEXT) | instid1(VALU_DEP_1)
	v_mul_lo_u32 v4, s7, v3
	v_mul_hi_u32 v4, v3, v4
	s_delay_alu instid0(VALU_DEP_1) | instskip(NEXT) | instid1(VALU_DEP_1)
	v_add_nc_u32_e32 v3, v3, v4
	v_mul_hi_u32 v3, s26, v3
	s_delay_alu instid0(VALU_DEP_1) | instskip(NEXT) | instid1(VALU_DEP_1)
	v_mul_lo_u32 v3, v3, s33
	v_sub_nc_u32_e32 v3, s26, v3
	s_delay_alu instid0(VALU_DEP_1) | instskip(SKIP_1) | instid1(VALU_DEP_2)
	v_subrev_nc_u32_e32 v4, s33, v3
	v_cmp_le_u32_e32 vcc_lo, s33, v3
	v_cndmask_b32_e32 v3, v3, v4, vcc_lo
	s_delay_alu instid0(VALU_DEP_1) | instskip(SKIP_1) | instid1(VALU_DEP_2)
	v_subrev_nc_u32_e32 v4, s33, v3
	v_cmp_le_u32_e32 vcc_lo, s33, v3
	v_cndmask_b32_e32 v18, v3, v4, vcc_lo
	s_delay_alu instid0(VALU_DEP_1)
	v_dual_mov_b32 v3, v18 :: v_dual_mov_b32 v4, v19
.LBB165_400:                            ;   in Loop: Header=BB165_31 Depth=1
	s_delay_alu instid0(VALU_DEP_1) | instskip(NEXT) | instid1(VALU_DEP_2)
	v_sub_co_u32 v10, vcc_lo, s26, v3
	v_sub_co_ci_u32_e32 v11, vcc_lo, s19, v4, vcc_lo
	s_mov_b32 s26, 0
	s_mov_b32 s7, exec_lo
                                        ; implicit-def: $vgpr6_vgpr7
	s_delay_alu instid0(VALU_DEP_1)
	v_cmpx_gt_u64_e64 v[10:11], v[0:1]
	s_cbranch_execz .LBB165_412
; %bb.401:                              ;   in Loop: Header=BB165_31 Depth=1
	v_dual_mov_b32 v14, v51 :: v_dual_mov_b32 v13, v1
	v_mov_b32_e32 v12, v0
	s_mov_b32 s19, 0
                                        ; implicit-def: $sgpr18
	s_set_inst_prefetch_distance 0x1
	s_branch .LBB165_403
	.p2align	6
.LBB165_402:                            ;   in Loop: Header=BB165_403 Depth=2
	s_or_b32 exec_lo, exec_lo, s26
	s_waitcnt lgkmcnt(0)
	s_barrier
	buffer_gl0_inv
	ds_load_b128 v[4:7], v19 offset:3072
	v_add_co_u32 v12, vcc_lo, v12, s33
	v_add_co_ci_u32_e32 v13, vcc_lo, 0, v13, vcc_lo
	v_add_nc_u32_e32 v14, s93, v14
	s_waitcnt lgkmcnt(0)
	s_barrier
	s_delay_alu instid0(VALU_DEP_2) | instskip(SKIP_3) | instid1(VALU_DEP_1)
	v_cmp_ge_u64_e32 vcc_lo, v[12:13], v[10:11]
	buffer_gl0_inv
	v_readfirstlane_b32 s57, v5
	v_readfirstlane_b32 s56, v4
	s_cmp_lg_u64 s[56:57], 0
	s_cselect_b32 s26, -1, 0
	s_delay_alu instid0(SALU_CYCLE_1) | instskip(NEXT) | instid1(SALU_CYCLE_1)
	s_or_b32 s42, vcc_lo, s26
	s_and_b32 s42, exec_lo, s42
	s_delay_alu instid0(SALU_CYCLE_1) | instskip(SKIP_2) | instid1(SALU_CYCLE_1)
	s_or_b32 s19, s42, s19
	s_and_not1_b32 s18, s18, exec_lo
	s_and_b32 s26, s26, exec_lo
	s_or_b32 s18, s18, s26
	s_and_not1_b32 exec_lo, exec_lo, s19
	s_cbranch_execz .LBB165_411
.LBB165_403:                            ;   Parent Loop BB165_31 Depth=1
                                        ; =>  This Inner Loop Header: Depth=2
	s_delay_alu instid0(VALU_DEP_1)
	v_cmp_gt_u64_e32 vcc_lo, s[8:9], v[12:13]
	v_mov_b32_e32 v4, 0
	v_mov_b32_e32 v5, 0
	s_and_saveexec_b32 s26, vcc_lo
	s_cbranch_execz .LBB165_405
; %bb.404:                              ;   in Loop: Header=BB165_403 Depth=2
	ds_load_b64 v[4:5], v14
.LBB165_405:                            ;   in Loop: Header=BB165_403 Depth=2
	s_or_b32 exec_lo, exec_lo, s26
	s_and_saveexec_b32 s26, vcc_lo
	s_cbranch_execz .LBB165_402
; %bb.406:                              ;   in Loop: Header=BB165_403 Depth=2
	s_waitcnt lgkmcnt(0)
	v_xor_b32_e32 v3, 0x80000000, v5
	v_and_b32_e32 v6, v4, v32
	s_delay_alu instid0(VALU_DEP_2) | instskip(NEXT) | instid1(VALU_DEP_1)
	v_and_b32_e32 v7, v3, v33
	v_cmp_eq_u64_e32 vcc_lo, v[6:7], v[34:35]
	s_and_b32 exec_lo, exec_lo, vcc_lo
	s_cbranch_execz .LBB165_402
; %bb.407:                              ;   in Loop: Header=BB165_403 Depth=2
	v_mov_b32_e32 v3, v19
	ds_store_b128 v19, v[2:5] offset:3072
	s_branch .LBB165_402
.LBB165_408:                            ;   in Loop: Header=BB165_31 Depth=1
                                        ; implicit-def: $vgpr3_vgpr4
	s_branch .LBB165_353
.LBB165_409:                            ;   in Loop: Header=BB165_31 Depth=1
                                        ; implicit-def: $vgpr3_vgpr4
	s_branch .LBB165_369
.LBB165_410:                            ;   in Loop: Header=BB165_31 Depth=1
	s_mov_b32 s18, -1
	s_mov_b32 s26, 0
                                        ; implicit-def: $sgpr19
                                        ; implicit-def: $vgpr6_vgpr7
	s_mov_b32 s58, s18
	s_cbranch_execnz .LBB165_413
	s_branch .LBB165_426
.LBB165_411:                            ;   in Loop: Header=BB165_31 Depth=1
	s_set_inst_prefetch_distance 0x2
	s_or_b32 exec_lo, exec_lo, s19
	s_delay_alu instid0(SALU_CYCLE_1)
	s_and_b32 s26, s18, exec_lo
.LBB165_412:                            ;   in Loop: Header=BB165_31 Depth=1
	s_or_b32 exec_lo, exec_lo, s7
	s_mov_b32 s18, 0
	s_mov_b32 s19, -1
	s_mov_b32 s58, s18
	s_branch .LBB165_426
.LBB165_413:                            ;   in Loop: Header=BB165_31 Depth=1
	s_mov_b32 s26, s61
	s_delay_alu instid0(SALU_CYCLE_1)
	s_cmp_lg_u64 s[26:27], 0
	s_cbranch_scc0 .LBB165_446
; %bb.414:                              ;   in Loop: Header=BB165_31 Depth=1
	v_cvt_f32_u32_e32 v3, s33
	s_sub_u32 s9, 0, s33
	s_subb_u32 s18, 0, 0
	s_delay_alu instid0(VALU_DEP_1) | instskip(NEXT) | instid1(VALU_DEP_1)
	v_fmac_f32_e64 v3, 0, 0x4f800000
	v_rcp_f32_e32 v3, v3
	s_waitcnt_depctr 0xfff
	v_mul_f32_e32 v3, 0x5f7ffffc, v3
	s_delay_alu instid0(VALU_DEP_1) | instskip(NEXT) | instid1(VALU_DEP_1)
	v_mul_f32_e32 v4, 0x2f800000, v3
	v_trunc_f32_e32 v4, v4
	s_delay_alu instid0(VALU_DEP_1) | instskip(SKIP_1) | instid1(VALU_DEP_2)
	v_fmac_f32_e32 v3, 0xcf800000, v4
	v_cvt_u32_f32_e32 v4, v4
	v_cvt_u32_f32_e32 v3, v3
	s_delay_alu instid0(VALU_DEP_2) | instskip(NEXT) | instid1(VALU_DEP_2)
	v_readfirstlane_b32 s7, v4
	v_readfirstlane_b32 s8, v3
	s_delay_alu instid0(VALU_DEP_2) | instskip(NEXT) | instid1(VALU_DEP_1)
	s_mul_i32 s19, s9, s7
	s_mul_hi_u32 s42, s9, s8
	s_mul_i32 s26, s18, s8
	s_add_i32 s19, s42, s19
	s_mul_i32 s43, s9, s8
	s_add_i32 s19, s19, s26
	s_mul_hi_u32 s42, s8, s43
	s_mul_hi_u32 s56, s7, s43
	s_mul_i32 s26, s7, s43
	s_mul_hi_u32 s43, s8, s19
	s_mul_i32 s8, s8, s19
	s_mul_hi_u32 s57, s7, s19
	s_add_u32 s8, s42, s8
	s_addc_u32 s42, 0, s43
	s_add_u32 s8, s8, s26
	s_mul_i32 s19, s7, s19
	s_addc_u32 s8, s42, s56
	s_addc_u32 s26, s57, 0
	s_add_u32 s8, s8, s19
	s_addc_u32 s19, 0, s26
	v_add_co_u32 v3, s8, v3, s8
	s_delay_alu instid0(VALU_DEP_1) | instskip(SKIP_1) | instid1(VALU_DEP_1)
	s_cmp_lg_u32 s8, 0
	s_addc_u32 s7, s7, s19
	v_readfirstlane_b32 s8, v3
	s_mul_i32 s19, s9, s7
	s_delay_alu instid0(VALU_DEP_1)
	s_mul_hi_u32 s26, s9, s8
	s_mul_i32 s18, s18, s8
	s_add_i32 s19, s26, s19
	s_mul_i32 s9, s9, s8
	s_add_i32 s19, s19, s18
	s_mul_hi_u32 s26, s7, s9
	s_mul_i32 s42, s7, s9
	s_mul_hi_u32 s9, s8, s9
	s_mul_hi_u32 s43, s8, s19
	s_mul_i32 s8, s8, s19
	s_mul_hi_u32 s18, s7, s19
	s_add_u32 s8, s9, s8
	s_addc_u32 s9, 0, s43
	s_add_u32 s8, s8, s42
	s_mul_i32 s19, s7, s19
	s_addc_u32 s8, s9, s26
	s_addc_u32 s9, s18, 0
	s_add_u32 s8, s8, s19
	s_addc_u32 s9, 0, s9
	v_add_co_u32 v3, s8, v3, s8
	s_delay_alu instid0(VALU_DEP_1) | instskip(SKIP_1) | instid1(VALU_DEP_1)
	s_cmp_lg_u32 s8, 0
	s_addc_u32 s7, s7, s9
	v_readfirstlane_b32 s8, v3
	s_mul_i32 s18, s87, s7
	s_mul_hi_u32 s9, s87, s7
	s_mul_hi_u32 s19, s27, s7
	s_mul_i32 s7, s27, s7
	s_mul_hi_u32 s26, s87, s8
	s_mul_hi_u32 s42, s27, s8
	s_mul_i32 s8, s27, s8
	s_add_u32 s18, s26, s18
	s_addc_u32 s9, 0, s9
	s_add_u32 s8, s18, s8
	s_addc_u32 s8, s9, s42
	s_addc_u32 s9, s19, 0
	s_add_u32 s7, s8, s7
	s_addc_u32 s8, 0, s9
	s_mul_hi_u32 s9, s33, s7
	s_mul_i32 s7, s33, s7
	s_mul_i32 s8, s33, s8
	v_sub_co_u32 v3, s7, s87, s7
	s_add_i32 s9, s9, s8
	s_cmp_lg_u32 s7, 0
	s_delay_alu instid0(VALU_DEP_1) | instskip(SKIP_3) | instid1(VALU_DEP_2)
	v_sub_co_u32 v4, s7, v3, s33
	s_subb_u32 s8, s27, s9
	s_cmp_lg_u32 s7, 0
	v_cmp_le_u32_e32 vcc_lo, s33, v3
	v_cmp_le_u32_e64 s7, s33, v4
	v_sub_co_u32 v5, s9, v4, s33
	s_subb_u32 s18, s8, 0
	s_cmp_lg_u32 s9, 0
	s_delay_alu instid0(VALU_DEP_2)
	v_cndmask_b32_e64 v6, 0, -1, s7
	s_subb_u32 s9, s18, 0
	s_cmp_eq_u32 s18, 0
	v_mov_b32_e32 v10, s9
	v_cndmask_b32_e64 v7, 0, -1, vcc_lo
	s_cselect_b32 vcc_lo, -1, 0
	s_cmp_eq_u32 s8, 0
	v_cndmask_b32_e32 v6, -1, v6, vcc_lo
	s_cselect_b32 vcc_lo, -1, 0
	v_cndmask_b32_e32 v7, -1, v7, vcc_lo
	s_delay_alu instid0(VALU_DEP_2) | instskip(NEXT) | instid1(VALU_DEP_2)
	v_cmp_ne_u32_e32 vcc_lo, 0, v6
	v_cmp_ne_u32_e64 s7, 0, v7
	v_cndmask_b32_e32 v6, s18, v10, vcc_lo
	v_cndmask_b32_e32 v5, v4, v5, vcc_lo
	s_delay_alu instid0(VALU_DEP_2) | instskip(NEXT) | instid1(VALU_DEP_2)
	v_cndmask_b32_e64 v4, s8, v6, s7
	v_cndmask_b32_e64 v3, v3, v5, s7
	s_cbranch_execnz .LBB165_416
.LBB165_415:                            ;   in Loop: Header=BB165_31 Depth=1
	v_cvt_f32_u32_e32 v3, s33
	s_sub_i32 s7, 0, s33
	s_delay_alu instid0(VALU_DEP_1) | instskip(SKIP_2) | instid1(VALU_DEP_1)
	v_rcp_iflag_f32_e32 v3, v3
	s_waitcnt_depctr 0xfff
	v_mul_f32_e32 v3, 0x4f7ffffe, v3
	v_cvt_u32_f32_e32 v3, v3
	s_delay_alu instid0(VALU_DEP_1) | instskip(NEXT) | instid1(VALU_DEP_1)
	v_mul_lo_u32 v4, s7, v3
	v_mul_hi_u32 v4, v3, v4
	s_delay_alu instid0(VALU_DEP_1) | instskip(NEXT) | instid1(VALU_DEP_1)
	v_add_nc_u32_e32 v3, v3, v4
	v_mul_hi_u32 v3, s87, v3
	s_delay_alu instid0(VALU_DEP_1) | instskip(NEXT) | instid1(VALU_DEP_1)
	v_mul_lo_u32 v3, v3, s33
	v_sub_nc_u32_e32 v3, s87, v3
	s_delay_alu instid0(VALU_DEP_1) | instskip(SKIP_1) | instid1(VALU_DEP_2)
	v_subrev_nc_u32_e32 v4, s33, v3
	v_cmp_le_u32_e32 vcc_lo, s33, v3
	v_cndmask_b32_e32 v3, v3, v4, vcc_lo
	s_delay_alu instid0(VALU_DEP_1) | instskip(SKIP_1) | instid1(VALU_DEP_2)
	v_subrev_nc_u32_e32 v4, s33, v3
	v_cmp_le_u32_e32 vcc_lo, s33, v3
	v_cndmask_b32_e32 v18, v3, v4, vcc_lo
	s_delay_alu instid0(VALU_DEP_1)
	v_dual_mov_b32 v3, v18 :: v_dual_mov_b32 v4, v19
.LBB165_416:                            ;   in Loop: Header=BB165_31 Depth=1
	s_delay_alu instid0(VALU_DEP_1) | instskip(NEXT) | instid1(VALU_DEP_2)
	v_sub_co_u32 v10, vcc_lo, s87, v3
	v_sub_co_ci_u32_e32 v11, vcc_lo, s27, v4, vcc_lo
	s_mov_b32 s26, 0
	s_mov_b32 s7, exec_lo
                                        ; implicit-def: $vgpr6_vgpr7
	s_delay_alu instid0(VALU_DEP_1)
	v_cmpx_gt_u64_e64 v[10:11], v[0:1]
	s_cbranch_execz .LBB165_425
; %bb.417:                              ;   in Loop: Header=BB165_31 Depth=1
	v_dual_mov_b32 v12, v30 :: v_dual_mov_b32 v13, v31
	v_dual_mov_b32 v15, v1 :: v_dual_mov_b32 v14, v0
	s_mov_b32 s9, 0
                                        ; implicit-def: $sgpr8
	s_set_inst_prefetch_distance 0x1
	s_branch .LBB165_419
	.p2align	6
.LBB165_418:                            ;   in Loop: Header=BB165_419 Depth=2
	s_or_b32 exec_lo, exec_lo, s18
	s_waitcnt vmcnt(0) lgkmcnt(0)
	s_barrier
	buffer_gl0_inv
	ds_load_b128 v[4:7], v19 offset:3072
	v_add_co_u32 v14, vcc_lo, v14, s33
	v_add_co_ci_u32_e32 v15, vcc_lo, 0, v15, vcc_lo
	s_waitcnt lgkmcnt(0)
	s_barrier
	buffer_gl0_inv
	v_cmp_ge_u64_e32 vcc_lo, v[14:15], v[10:11]
	v_readfirstlane_b32 s19, v5
	v_readfirstlane_b32 s18, v4
	s_delay_alu instid0(VALU_DEP_1) | instskip(SKIP_1) | instid1(SALU_CYCLE_1)
	s_cmp_lg_u64 s[18:19], 0
	s_cselect_b32 s18, -1, 0
	s_or_b32 s19, vcc_lo, s18
	v_add_co_u32 v12, vcc_lo, v12, s34
	s_and_b32 s19, exec_lo, s19
	v_add_co_ci_u32_e32 v13, vcc_lo, s35, v13, vcc_lo
	s_or_b32 s9, s19, s9
	s_and_not1_b32 s8, s8, exec_lo
	s_and_b32 s18, s18, exec_lo
	s_delay_alu instid0(SALU_CYCLE_1)
	s_or_b32 s8, s8, s18
	s_and_not1_b32 exec_lo, exec_lo, s9
	s_cbranch_execz .LBB165_424
.LBB165_419:                            ;   Parent Loop BB165_31 Depth=1
                                        ; =>  This Inner Loop Header: Depth=2
	s_delay_alu instid0(VALU_DEP_1)
	v_cmp_gt_u64_e32 vcc_lo, s[36:37], v[14:15]
	v_mov_b32_e32 v4, 0
	v_mov_b32_e32 v5, 0
	s_and_saveexec_b32 s18, vcc_lo
	s_cbranch_execz .LBB165_421
; %bb.420:                              ;   in Loop: Header=BB165_419 Depth=2
	global_load_b64 v[4:5], v[12:13], off
.LBB165_421:                            ;   in Loop: Header=BB165_419 Depth=2
	s_or_b32 exec_lo, exec_lo, s18
	s_and_saveexec_b32 s18, vcc_lo
	s_cbranch_execz .LBB165_418
; %bb.422:                              ;   in Loop: Header=BB165_419 Depth=2
	s_waitcnt vmcnt(0)
	v_xor_b32_e32 v3, 0x80000000, v5
	v_and_b32_e32 v6, v4, v32
	s_delay_alu instid0(VALU_DEP_2) | instskip(NEXT) | instid1(VALU_DEP_1)
	v_and_b32_e32 v7, v3, v33
	v_cmp_eq_u64_e32 vcc_lo, v[6:7], v[34:35]
	s_and_b32 exec_lo, exec_lo, vcc_lo
	s_cbranch_execz .LBB165_418
; %bb.423:                              ;   in Loop: Header=BB165_419 Depth=2
	v_mov_b32_e32 v3, v19
	ds_store_b128 v19, v[2:5] offset:3072
	s_branch .LBB165_418
.LBB165_424:                            ;   in Loop: Header=BB165_31 Depth=1
	s_set_inst_prefetch_distance 0x2
	s_or_b32 exec_lo, exec_lo, s9
	s_delay_alu instid0(SALU_CYCLE_1)
	s_and_b32 s26, s8, exec_lo
.LBB165_425:                            ;   in Loop: Header=BB165_31 Depth=1
	s_or_b32 exec_lo, exec_lo, s7
	s_mov_b32 s19, 0
	s_mov_b32 s18, -1
	s_mov_b32 s58, 0
.LBB165_426:                            ;   in Loop: Header=BB165_31 Depth=1
	s_or_not1_b32 s7, s26, exec_lo
.LBB165_427:                            ;   in Loop: Header=BB165_31 Depth=1
	s_or_b32 exec_lo, exec_lo, s47
	s_mov_b32 s26, 0
                                        ; implicit-def: $vgpr5
	s_and_saveexec_b32 s59, s7
	s_cbranch_execz .LBB165_492
; %bb.428:                              ;   in Loop: Header=BB165_31 Depth=1
	v_dual_mov_b32 v10, 1 :: v_dual_mov_b32 v5, 1
	v_mov_b32_e32 v11, 0
	s_xor_b32 s8, s46, -1
	s_delay_alu instid0(SALU_CYCLE_1)
	s_and_saveexec_b32 s7, s8
	s_cbranch_execz .LBB165_438
; %bb.429:                              ;   in Loop: Header=BB165_31 Depth=1
	s_mov_b32 s9, exec_lo
                                        ; implicit-def: $sgpr26
                                        ; implicit-def: $sgpr8
	v_cmpx_ge_u64_e64 s[16:17], v[8:9]
	s_xor_b32 s9, exec_lo, s9
	s_cbranch_execz .LBB165_435
; %bb.430:                              ;   in Loop: Header=BB165_31 Depth=1
	ds_load_b64 v[3:4], v19 offset:5120
	s_waitcnt lgkmcnt(0)
	v_cmp_ne_u64_e32 vcc_lo, 0, v[3:4]
	s_cbranch_vccnz .LBB165_434
; %bb.431:                              ;   in Loop: Header=BB165_31 Depth=1
	s_and_saveexec_b32 s8, s5
	s_cbranch_execz .LBB165_433
; %bb.432:                              ;   in Loop: Header=BB165_31 Depth=1
	v_dual_mov_b32 v3, s16 :: v_dual_mov_b32 v4, s17
	ds_store_b64 v19, v[3:4] offset:5128
.LBB165_433:                            ;   in Loop: Header=BB165_31 Depth=1
	s_or_b32 exec_lo, exec_lo, s8
	s_waitcnt lgkmcnt(0)
	s_barrier
	buffer_gl0_inv
.LBB165_434:                            ;   in Loop: Header=BB165_31 Depth=1
	v_and_b32_e32 v3, s15, v35
	v_and_b32_e32 v4, s14, v34
	s_lshl_b64 s[46:47], 1, s24
	v_or_b32_e32 v33, s13, v33
	v_or_b32_e32 v32, s12, v32
	;; [unrolled: 1-line block ×4, first 2 shown]
	s_mov_b32 s8, 0
	s_mov_b32 s26, 5
.LBB165_435:                            ;   in Loop: Header=BB165_31 Depth=1
	s_or_saveexec_b32 s9, s9
	v_mov_b32_e32 v5, s26
	s_xor_b32 exec_lo, exec_lo, s9
; %bb.436:                              ;   in Loop: Header=BB165_31 Depth=1
	v_sub_co_u32 v8, vcc_lo, v8, s16
	v_subrev_co_ci_u32_e32 v9, vcc_lo, s17, v9, vcc_lo
	v_mov_b32_e32 v5, 0
	s_or_b32 s8, s8, exec_lo
; %bb.437:                              ;   in Loop: Header=BB165_31 Depth=1
	s_or_b32 exec_lo, exec_lo, s9
	s_delay_alu instid0(VALU_DEP_2)
	v_dual_mov_b32 v11, v9 :: v_dual_mov_b32 v10, v8
	s_and_b32 s26, s8, exec_lo
.LBB165_438:                            ;   in Loop: Header=BB165_31 Depth=1
	s_or_b32 exec_lo, exec_lo, s7
	s_mov_b32 s16, -1
                                        ; implicit-def: $sgpr7
                                        ; implicit-def: $sgpr8
                                        ; implicit-def: $sgpr9
	s_and_saveexec_b32 s24, s26
	s_cbranch_execz .LBB165_491
; %bb.439:                              ;   in Loop: Header=BB165_31 Depth=1
	v_cmp_eq_u64_e32 vcc_lo, 1, v[10:11]
	s_cmp_eq_u64 s[10:11], 1
	s_mov_b32 s17, -1
	s_cselect_b32 s7, -1, 0
                                        ; implicit-def: $sgpr8
                                        ; implicit-def: $sgpr9
	s_delay_alu instid0(SALU_CYCLE_1) | instskip(NEXT) | instid1(SALU_CYCLE_1)
	s_and_b32 s46, s7, vcc_lo
                                        ; implicit-def: $sgpr7
	s_and_saveexec_b32 s47, s46
	s_cbranch_execz .LBB165_478
; %bb.440:                              ;   in Loop: Header=BB165_31 Depth=1
	ds_load_b64 v[3:4], v19 offset:5120
	s_waitcnt lgkmcnt(0)
	s_barrier
	buffer_gl0_inv
	v_readfirstlane_b32 s8, v3
	v_readfirstlane_b32 s9, v4
	s_and_saveexec_b32 s7, s6
	s_cbranch_execz .LBB165_442
; %bb.441:                              ;   in Loop: Header=BB165_31 Depth=1
	v_mov_b32_e32 v18, v19
	ds_store_b64 v52, v[18:19]
.LBB165_442:                            ;   in Loop: Header=BB165_31 Depth=1
	s_or_b32 exec_lo, exec_lo, s7
	v_and_b32_e32 v35, s15, v35
	v_and_b32_e32 v34, s14, v34
	v_or_b32_e32 v33, s13, v33
	v_or_b32_e32 v32, s12, v32
	s_cmp_eq_u64 s[8:9], 0
	s_waitcnt lgkmcnt(0)
	s_barrier
	buffer_gl0_inv
	s_cbranch_scc1 .LBB165_447
; %bb.443:                              ;   in Loop: Header=BB165_31 Depth=1
	s_add_u32 s26, s85, s8
	s_addc_u32 s17, s86, s9
	s_mov_b32 s16, s61
	s_delay_alu instid0(SALU_CYCLE_1)
	s_cmp_lg_u64 s[16:17], 0
	s_cbranch_scc0 .LBB165_448
; %bb.444:                              ;   in Loop: Header=BB165_31 Depth=1
	v_cvt_f32_u32_e32 v3, s33
	s_sub_u32 s42, 0, s33
	s_subb_u32 s43, 0, 0
	s_delay_alu instid0(VALU_DEP_1) | instskip(NEXT) | instid1(VALU_DEP_1)
	v_fmac_f32_e64 v3, 0, 0x4f800000
	v_rcp_f32_e32 v3, v3
	s_waitcnt_depctr 0xfff
	v_mul_f32_e32 v3, 0x5f7ffffc, v3
	s_delay_alu instid0(VALU_DEP_1) | instskip(NEXT) | instid1(VALU_DEP_1)
	v_mul_f32_e32 v4, 0x2f800000, v3
	v_trunc_f32_e32 v4, v4
	s_delay_alu instid0(VALU_DEP_1) | instskip(SKIP_1) | instid1(VALU_DEP_2)
	v_fmac_f32_e32 v3, 0xcf800000, v4
	v_cvt_u32_f32_e32 v4, v4
	v_cvt_u32_f32_e32 v3, v3
	s_delay_alu instid0(VALU_DEP_2) | instskip(NEXT) | instid1(VALU_DEP_2)
	v_readfirstlane_b32 s7, v4
	v_readfirstlane_b32 s16, v3
	s_delay_alu instid0(VALU_DEP_2) | instskip(NEXT) | instid1(VALU_DEP_1)
	s_mul_i32 s56, s42, s7
	s_mul_hi_u32 s75, s42, s16
	s_mul_i32 s57, s43, s16
	s_add_i32 s56, s75, s56
	s_mul_i32 s76, s42, s16
	s_add_i32 s56, s56, s57
	s_mul_hi_u32 s75, s16, s76
	s_mul_hi_u32 s77, s7, s76
	s_mul_i32 s57, s7, s76
	s_mul_hi_u32 s76, s16, s56
	s_mul_i32 s16, s16, s56
	s_mul_hi_u32 s78, s7, s56
	s_add_u32 s16, s75, s16
	s_addc_u32 s75, 0, s76
	s_add_u32 s16, s16, s57
	s_mul_i32 s56, s7, s56
	s_addc_u32 s16, s75, s77
	s_addc_u32 s57, s78, 0
	s_add_u32 s16, s16, s56
	s_addc_u32 s56, 0, s57
	v_add_co_u32 v3, s16, v3, s16
	s_delay_alu instid0(VALU_DEP_1) | instskip(SKIP_1) | instid1(VALU_DEP_1)
	s_cmp_lg_u32 s16, 0
	s_addc_u32 s7, s7, s56
	v_readfirstlane_b32 s16, v3
	s_mul_i32 s56, s42, s7
	s_delay_alu instid0(VALU_DEP_1)
	s_mul_hi_u32 s57, s42, s16
	s_mul_i32 s43, s43, s16
	s_add_i32 s56, s57, s56
	s_mul_i32 s42, s42, s16
	s_add_i32 s56, s56, s43
	s_mul_hi_u32 s57, s7, s42
	s_mul_i32 s75, s7, s42
	s_mul_hi_u32 s42, s16, s42
	s_mul_hi_u32 s76, s16, s56
	s_mul_i32 s16, s16, s56
	s_mul_hi_u32 s43, s7, s56
	s_add_u32 s16, s42, s16
	s_addc_u32 s42, 0, s76
	s_add_u32 s16, s16, s75
	s_mul_i32 s56, s7, s56
	s_addc_u32 s16, s42, s57
	s_addc_u32 s42, s43, 0
	s_add_u32 s16, s16, s56
	s_addc_u32 s42, 0, s42
	v_add_co_u32 v3, s16, v3, s16
	s_delay_alu instid0(VALU_DEP_1) | instskip(SKIP_1) | instid1(VALU_DEP_1)
	s_cmp_lg_u32 s16, 0
	s_addc_u32 s7, s7, s42
	v_readfirstlane_b32 s16, v3
	s_mul_i32 s43, s26, s7
	s_mul_hi_u32 s42, s26, s7
	s_mul_hi_u32 s56, s17, s7
	s_mul_i32 s7, s17, s7
	s_mul_hi_u32 s57, s26, s16
	s_mul_hi_u32 s75, s17, s16
	s_mul_i32 s16, s17, s16
	s_add_u32 s43, s57, s43
	s_addc_u32 s42, 0, s42
	s_add_u32 s16, s43, s16
	s_addc_u32 s16, s42, s75
	s_addc_u32 s42, s56, 0
	s_add_u32 s7, s16, s7
	s_addc_u32 s16, 0, s42
	s_mul_hi_u32 s42, s33, s7
	s_mul_i32 s7, s33, s7
	s_mul_i32 s16, s33, s16
	v_sub_co_u32 v3, s7, s26, s7
	s_add_i32 s42, s42, s16
	s_cmp_lg_u32 s7, 0
	s_delay_alu instid0(VALU_DEP_1) | instskip(SKIP_3) | instid1(VALU_DEP_2)
	v_sub_co_u32 v4, s7, v3, s33
	s_subb_u32 s16, s17, s42
	s_cmp_lg_u32 s7, 0
	v_cmp_le_u32_e32 vcc_lo, s33, v3
	v_cmp_le_u32_e64 s7, s33, v4
	v_sub_co_u32 v5, s42, v4, s33
	s_subb_u32 s43, s16, 0
	s_cmp_lg_u32 s42, 0
	s_delay_alu instid0(VALU_DEP_2)
	v_cndmask_b32_e64 v6, 0, -1, s7
	s_subb_u32 s42, s43, 0
	s_cmp_eq_u32 s43, 0
	v_mov_b32_e32 v8, s42
	v_cndmask_b32_e64 v7, 0, -1, vcc_lo
	s_cselect_b32 vcc_lo, -1, 0
	s_cmp_eq_u32 s16, 0
	v_cndmask_b32_e32 v6, -1, v6, vcc_lo
	s_cselect_b32 vcc_lo, -1, 0
	v_cndmask_b32_e32 v7, -1, v7, vcc_lo
	s_delay_alu instid0(VALU_DEP_2) | instskip(NEXT) | instid1(VALU_DEP_2)
	v_cmp_ne_u32_e32 vcc_lo, 0, v6
	v_cmp_ne_u32_e64 s7, 0, v7
	v_cndmask_b32_e32 v6, s43, v8, vcc_lo
	v_cndmask_b32_e32 v5, v4, v5, vcc_lo
	s_delay_alu instid0(VALU_DEP_2) | instskip(NEXT) | instid1(VALU_DEP_2)
	v_cndmask_b32_e64 v4, s16, v6, s7
	v_cndmask_b32_e64 v3, v3, v5, s7
	s_mov_b32 s7, 0
	s_branch .LBB165_449
.LBB165_445:                            ;   in Loop: Header=BB165_31 Depth=1
                                        ; implicit-def: $vgpr3_vgpr4
	s_branch .LBB165_399
.LBB165_446:                            ;   in Loop: Header=BB165_31 Depth=1
                                        ; implicit-def: $vgpr3_vgpr4
	s_branch .LBB165_415
.LBB165_447:                            ;   in Loop: Header=BB165_31 Depth=1
	s_mov_b32 s7, -1
	s_mov_b32 s16, 0
                                        ; implicit-def: $sgpr8
                                        ; implicit-def: $vgpr6_vgpr7
	s_branch .LBB165_461
.LBB165_448:                            ;   in Loop: Header=BB165_31 Depth=1
	s_mov_b32 s7, -1
                                        ; implicit-def: $vgpr3_vgpr4
.LBB165_449:                            ;   in Loop: Header=BB165_31 Depth=1
	s_delay_alu instid0(SALU_CYCLE_1)
	s_and_not1_b32 vcc_lo, exec_lo, s7
	s_cbranch_vccnz .LBB165_451
; %bb.450:                              ;   in Loop: Header=BB165_31 Depth=1
	v_cvt_f32_u32_e32 v3, s33
	s_sub_i32 s7, 0, s33
	s_delay_alu instid0(VALU_DEP_1) | instskip(SKIP_2) | instid1(VALU_DEP_1)
	v_rcp_iflag_f32_e32 v3, v3
	s_waitcnt_depctr 0xfff
	v_mul_f32_e32 v3, 0x4f7ffffe, v3
	v_cvt_u32_f32_e32 v3, v3
	s_delay_alu instid0(VALU_DEP_1) | instskip(NEXT) | instid1(VALU_DEP_1)
	v_mul_lo_u32 v4, s7, v3
	v_mul_hi_u32 v4, v3, v4
	s_delay_alu instid0(VALU_DEP_1) | instskip(NEXT) | instid1(VALU_DEP_1)
	v_add_nc_u32_e32 v3, v3, v4
	v_mul_hi_u32 v3, s26, v3
	s_delay_alu instid0(VALU_DEP_1) | instskip(NEXT) | instid1(VALU_DEP_1)
	v_mul_lo_u32 v3, v3, s33
	v_sub_nc_u32_e32 v3, s26, v3
	s_delay_alu instid0(VALU_DEP_1) | instskip(SKIP_1) | instid1(VALU_DEP_2)
	v_subrev_nc_u32_e32 v4, s33, v3
	v_cmp_le_u32_e32 vcc_lo, s33, v3
	v_cndmask_b32_e32 v3, v3, v4, vcc_lo
	s_delay_alu instid0(VALU_DEP_1) | instskip(SKIP_1) | instid1(VALU_DEP_2)
	v_subrev_nc_u32_e32 v4, s33, v3
	v_cmp_le_u32_e32 vcc_lo, s33, v3
	v_cndmask_b32_e32 v18, v3, v4, vcc_lo
	s_delay_alu instid0(VALU_DEP_1)
	v_dual_mov_b32 v3, v18 :: v_dual_mov_b32 v4, v19
.LBB165_451:                            ;   in Loop: Header=BB165_31 Depth=1
	s_delay_alu instid0(VALU_DEP_1) | instskip(NEXT) | instid1(VALU_DEP_2)
	v_sub_co_u32 v8, vcc_lo, s26, v3
	v_sub_co_ci_u32_e32 v9, vcc_lo, s17, v4, vcc_lo
	s_mov_b32 s16, 0
	s_mov_b32 s7, exec_lo
                                        ; implicit-def: $vgpr6_vgpr7
	s_delay_alu instid0(VALU_DEP_1)
	v_cmpx_gt_u64_e64 v[8:9], v[0:1]
	s_cbranch_execz .LBB165_460
; %bb.452:                              ;   in Loop: Header=BB165_31 Depth=1
	v_dual_mov_b32 v14, v51 :: v_dual_mov_b32 v13, v1
	v_mov_b32_e32 v12, v0
	s_mov_b32 s17, 0
                                        ; implicit-def: $sgpr16
	s_set_inst_prefetch_distance 0x1
	s_branch .LBB165_454
	.p2align	6
.LBB165_453:                            ;   in Loop: Header=BB165_454 Depth=2
	s_or_b32 exec_lo, exec_lo, s26
	s_waitcnt lgkmcnt(0)
	s_barrier
	buffer_gl0_inv
	ds_load_b128 v[4:7], v19 offset:3072
	v_add_co_u32 v12, vcc_lo, v12, s33
	v_add_co_ci_u32_e32 v13, vcc_lo, 0, v13, vcc_lo
	v_add_nc_u32_e32 v14, s93, v14
	s_waitcnt lgkmcnt(0)
	s_barrier
	s_delay_alu instid0(VALU_DEP_2) | instskip(SKIP_3) | instid1(VALU_DEP_1)
	v_cmp_ge_u64_e32 vcc_lo, v[12:13], v[8:9]
	buffer_gl0_inv
	v_readfirstlane_b32 s57, v5
	v_readfirstlane_b32 s56, v4
	s_cmp_lg_u64 s[56:57], 0
	s_cselect_b32 s26, -1, 0
	s_delay_alu instid0(SALU_CYCLE_1) | instskip(NEXT) | instid1(SALU_CYCLE_1)
	s_or_b32 s42, vcc_lo, s26
	s_and_b32 s42, exec_lo, s42
	s_delay_alu instid0(SALU_CYCLE_1) | instskip(SKIP_2) | instid1(SALU_CYCLE_1)
	s_or_b32 s17, s42, s17
	s_and_not1_b32 s16, s16, exec_lo
	s_and_b32 s26, s26, exec_lo
	s_or_b32 s16, s16, s26
	s_and_not1_b32 exec_lo, exec_lo, s17
	s_cbranch_execz .LBB165_459
.LBB165_454:                            ;   Parent Loop BB165_31 Depth=1
                                        ; =>  This Inner Loop Header: Depth=2
	s_delay_alu instid0(VALU_DEP_1)
	v_cmp_gt_u64_e32 vcc_lo, s[8:9], v[12:13]
	v_mov_b32_e32 v4, 0
	v_mov_b32_e32 v5, 0
	s_and_saveexec_b32 s26, vcc_lo
	s_cbranch_execz .LBB165_456
; %bb.455:                              ;   in Loop: Header=BB165_454 Depth=2
	ds_load_b64 v[4:5], v14
.LBB165_456:                            ;   in Loop: Header=BB165_454 Depth=2
	s_or_b32 exec_lo, exec_lo, s26
	s_and_saveexec_b32 s26, vcc_lo
	s_cbranch_execz .LBB165_453
; %bb.457:                              ;   in Loop: Header=BB165_454 Depth=2
	s_waitcnt lgkmcnt(0)
	v_xor_b32_e32 v3, 0x80000000, v5
	v_and_b32_e32 v6, v4, v32
	s_delay_alu instid0(VALU_DEP_2) | instskip(NEXT) | instid1(VALU_DEP_1)
	v_and_b32_e32 v7, v3, v33
	v_cmp_eq_u64_e32 vcc_lo, v[6:7], v[34:35]
	s_and_b32 exec_lo, exec_lo, vcc_lo
	s_cbranch_execz .LBB165_453
; %bb.458:                              ;   in Loop: Header=BB165_454 Depth=2
	v_mov_b32_e32 v3, v19
	ds_store_b128 v19, v[2:5] offset:3072
	s_branch .LBB165_453
.LBB165_459:                            ;   in Loop: Header=BB165_31 Depth=1
	s_set_inst_prefetch_distance 0x2
	s_or_b32 exec_lo, exec_lo, s17
	s_delay_alu instid0(SALU_CYCLE_1)
	s_and_b32 s16, s16, exec_lo
.LBB165_460:                            ;   in Loop: Header=BB165_31 Depth=1
	s_or_b32 exec_lo, exec_lo, s7
	s_mov_b32 s7, 0
	s_mov_b32 s8, -1
.LBB165_461:                            ;   in Loop: Header=BB165_31 Depth=1
	s_and_b32 vcc_lo, exec_lo, s7
	s_mov_b32 s9, s7
	s_cbranch_vccz .LBB165_477
; %bb.462:                              ;   in Loop: Header=BB165_31 Depth=1
	s_mov_b32 s26, s61
	s_delay_alu instid0(SALU_CYCLE_1)
	s_cmp_lg_u64 s[26:27], 0
	s_cbranch_scc0 .LBB165_464
; %bb.463:                              ;   in Loop: Header=BB165_31 Depth=1
	v_cvt_f32_u32_e32 v3, s33
	s_sub_u32 s9, 0, s33
	s_subb_u32 s16, 0, 0
	s_delay_alu instid0(VALU_DEP_1) | instskip(NEXT) | instid1(VALU_DEP_1)
	v_fmac_f32_e64 v3, 0, 0x4f800000
	v_rcp_f32_e32 v3, v3
	s_waitcnt_depctr 0xfff
	v_mul_f32_e32 v3, 0x5f7ffffc, v3
	s_delay_alu instid0(VALU_DEP_1) | instskip(NEXT) | instid1(VALU_DEP_1)
	v_mul_f32_e32 v4, 0x2f800000, v3
	v_trunc_f32_e32 v4, v4
	s_delay_alu instid0(VALU_DEP_1) | instskip(SKIP_1) | instid1(VALU_DEP_2)
	v_fmac_f32_e32 v3, 0xcf800000, v4
	v_cvt_u32_f32_e32 v4, v4
	v_cvt_u32_f32_e32 v3, v3
	s_delay_alu instid0(VALU_DEP_2) | instskip(NEXT) | instid1(VALU_DEP_2)
	v_readfirstlane_b32 s7, v4
	v_readfirstlane_b32 s8, v3
	s_delay_alu instid0(VALU_DEP_2) | instskip(NEXT) | instid1(VALU_DEP_1)
	s_mul_i32 s17, s9, s7
	s_mul_hi_u32 s42, s9, s8
	s_mul_i32 s26, s16, s8
	s_add_i32 s17, s42, s17
	s_mul_i32 s43, s9, s8
	s_add_i32 s17, s17, s26
	s_mul_hi_u32 s42, s8, s43
	s_mul_hi_u32 s56, s7, s43
	s_mul_i32 s26, s7, s43
	s_mul_hi_u32 s43, s8, s17
	s_mul_i32 s8, s8, s17
	s_mul_hi_u32 s57, s7, s17
	s_add_u32 s8, s42, s8
	s_addc_u32 s42, 0, s43
	s_add_u32 s8, s8, s26
	s_mul_i32 s17, s7, s17
	s_addc_u32 s8, s42, s56
	s_addc_u32 s26, s57, 0
	s_add_u32 s8, s8, s17
	s_addc_u32 s17, 0, s26
	v_add_co_u32 v3, s8, v3, s8
	s_delay_alu instid0(VALU_DEP_1) | instskip(SKIP_1) | instid1(VALU_DEP_1)
	s_cmp_lg_u32 s8, 0
	s_addc_u32 s7, s7, s17
	v_readfirstlane_b32 s8, v3
	s_mul_i32 s17, s9, s7
	s_delay_alu instid0(VALU_DEP_1)
	s_mul_hi_u32 s26, s9, s8
	s_mul_i32 s16, s16, s8
	s_add_i32 s17, s26, s17
	s_mul_i32 s9, s9, s8
	s_add_i32 s17, s17, s16
	s_mul_hi_u32 s26, s7, s9
	s_mul_i32 s42, s7, s9
	s_mul_hi_u32 s9, s8, s9
	s_mul_hi_u32 s43, s8, s17
	s_mul_i32 s8, s8, s17
	s_mul_hi_u32 s16, s7, s17
	s_add_u32 s8, s9, s8
	s_addc_u32 s9, 0, s43
	s_add_u32 s8, s8, s42
	s_mul_i32 s17, s7, s17
	s_addc_u32 s8, s9, s26
	s_addc_u32 s9, s16, 0
	s_add_u32 s8, s8, s17
	s_addc_u32 s9, 0, s9
	v_add_co_u32 v3, s8, v3, s8
	s_delay_alu instid0(VALU_DEP_1) | instskip(SKIP_1) | instid1(VALU_DEP_1)
	s_cmp_lg_u32 s8, 0
	s_addc_u32 s7, s7, s9
	v_readfirstlane_b32 s8, v3
	s_mul_i32 s16, s87, s7
	s_mul_hi_u32 s9, s87, s7
	s_mul_hi_u32 s17, s27, s7
	s_mul_i32 s7, s27, s7
	s_mul_hi_u32 s26, s87, s8
	s_mul_hi_u32 s42, s27, s8
	s_mul_i32 s8, s27, s8
	s_add_u32 s16, s26, s16
	s_addc_u32 s9, 0, s9
	s_add_u32 s8, s16, s8
	s_addc_u32 s8, s9, s42
	s_addc_u32 s9, s17, 0
	s_add_u32 s7, s8, s7
	s_addc_u32 s8, 0, s9
	s_mul_hi_u32 s9, s33, s7
	s_mul_i32 s7, s33, s7
	s_mul_i32 s8, s33, s8
	v_sub_co_u32 v3, s7, s87, s7
	s_add_i32 s9, s9, s8
	s_cmp_lg_u32 s7, 0
	s_delay_alu instid0(VALU_DEP_1) | instskip(SKIP_3) | instid1(VALU_DEP_2)
	v_sub_co_u32 v4, s7, v3, s33
	s_subb_u32 s8, s27, s9
	s_cmp_lg_u32 s7, 0
	v_cmp_le_u32_e32 vcc_lo, s33, v3
	v_cmp_le_u32_e64 s7, s33, v4
	v_sub_co_u32 v5, s9, v4, s33
	s_subb_u32 s16, s8, 0
	s_cmp_lg_u32 s9, 0
	s_delay_alu instid0(VALU_DEP_2)
	v_cndmask_b32_e64 v6, 0, -1, s7
	s_subb_u32 s9, s16, 0
	s_cmp_eq_u32 s16, 0
	v_mov_b32_e32 v8, s9
	v_cndmask_b32_e64 v7, 0, -1, vcc_lo
	s_cselect_b32 vcc_lo, -1, 0
	s_cmp_eq_u32 s8, 0
	v_cndmask_b32_e32 v6, -1, v6, vcc_lo
	s_cselect_b32 vcc_lo, -1, 0
	v_cndmask_b32_e32 v7, -1, v7, vcc_lo
	s_delay_alu instid0(VALU_DEP_2) | instskip(NEXT) | instid1(VALU_DEP_2)
	v_cmp_ne_u32_e32 vcc_lo, 0, v6
	v_cmp_ne_u32_e64 s7, 0, v7
	v_cndmask_b32_e32 v6, s16, v8, vcc_lo
	v_cndmask_b32_e32 v5, v4, v5, vcc_lo
	s_delay_alu instid0(VALU_DEP_2) | instskip(NEXT) | instid1(VALU_DEP_2)
	v_cndmask_b32_e64 v4, s8, v6, s7
	v_cndmask_b32_e64 v3, v3, v5, s7
	s_mov_b32 s7, 0
	s_branch .LBB165_465
.LBB165_464:                            ;   in Loop: Header=BB165_31 Depth=1
	s_mov_b32 s7, -1
                                        ; implicit-def: $vgpr3_vgpr4
.LBB165_465:                            ;   in Loop: Header=BB165_31 Depth=1
	s_delay_alu instid0(SALU_CYCLE_1)
	s_and_not1_b32 vcc_lo, exec_lo, s7
	s_cbranch_vccnz .LBB165_467
; %bb.466:                              ;   in Loop: Header=BB165_31 Depth=1
	v_cvt_f32_u32_e32 v3, s33
	s_sub_i32 s7, 0, s33
	s_delay_alu instid0(VALU_DEP_1) | instskip(SKIP_2) | instid1(VALU_DEP_1)
	v_rcp_iflag_f32_e32 v3, v3
	s_waitcnt_depctr 0xfff
	v_mul_f32_e32 v3, 0x4f7ffffe, v3
	v_cvt_u32_f32_e32 v3, v3
	s_delay_alu instid0(VALU_DEP_1) | instskip(NEXT) | instid1(VALU_DEP_1)
	v_mul_lo_u32 v4, s7, v3
	v_mul_hi_u32 v4, v3, v4
	s_delay_alu instid0(VALU_DEP_1) | instskip(NEXT) | instid1(VALU_DEP_1)
	v_add_nc_u32_e32 v3, v3, v4
	v_mul_hi_u32 v3, s87, v3
	s_delay_alu instid0(VALU_DEP_1) | instskip(NEXT) | instid1(VALU_DEP_1)
	v_mul_lo_u32 v3, v3, s33
	v_sub_nc_u32_e32 v3, s87, v3
	s_delay_alu instid0(VALU_DEP_1) | instskip(SKIP_1) | instid1(VALU_DEP_2)
	v_subrev_nc_u32_e32 v4, s33, v3
	v_cmp_le_u32_e32 vcc_lo, s33, v3
	v_cndmask_b32_e32 v3, v3, v4, vcc_lo
	s_delay_alu instid0(VALU_DEP_1) | instskip(SKIP_1) | instid1(VALU_DEP_2)
	v_subrev_nc_u32_e32 v4, s33, v3
	v_cmp_le_u32_e32 vcc_lo, s33, v3
	v_cndmask_b32_e32 v18, v3, v4, vcc_lo
	s_delay_alu instid0(VALU_DEP_1)
	v_dual_mov_b32 v3, v18 :: v_dual_mov_b32 v4, v19
.LBB165_467:                            ;   in Loop: Header=BB165_31 Depth=1
	s_delay_alu instid0(VALU_DEP_1) | instskip(NEXT) | instid1(VALU_DEP_2)
	v_sub_co_u32 v8, vcc_lo, s87, v3
	v_sub_co_ci_u32_e32 v9, vcc_lo, s27, v4, vcc_lo
	s_mov_b32 s16, 0
	s_mov_b32 s7, exec_lo
                                        ; implicit-def: $vgpr6_vgpr7
	s_delay_alu instid0(VALU_DEP_1)
	v_cmpx_gt_u64_e64 v[8:9], v[0:1]
	s_cbranch_execz .LBB165_476
; %bb.468:                              ;   in Loop: Header=BB165_31 Depth=1
	v_dual_mov_b32 v12, v30 :: v_dual_mov_b32 v13, v31
	v_dual_mov_b32 v15, v1 :: v_dual_mov_b32 v14, v0
	s_mov_b32 s9, 0
                                        ; implicit-def: $sgpr8
	s_set_inst_prefetch_distance 0x1
	s_branch .LBB165_470
	.p2align	6
.LBB165_469:                            ;   in Loop: Header=BB165_470 Depth=2
	s_or_b32 exec_lo, exec_lo, s16
	s_waitcnt vmcnt(0) lgkmcnt(0)
	s_barrier
	buffer_gl0_inv
	ds_load_b128 v[4:7], v19 offset:3072
	v_add_co_u32 v14, vcc_lo, v14, s33
	v_add_co_ci_u32_e32 v15, vcc_lo, 0, v15, vcc_lo
	s_waitcnt lgkmcnt(0)
	s_barrier
	buffer_gl0_inv
	v_cmp_ge_u64_e32 vcc_lo, v[14:15], v[8:9]
	v_readfirstlane_b32 s17, v5
	v_readfirstlane_b32 s16, v4
	s_delay_alu instid0(VALU_DEP_1) | instskip(SKIP_1) | instid1(SALU_CYCLE_1)
	s_cmp_lg_u64 s[16:17], 0
	s_cselect_b32 s16, -1, 0
	s_or_b32 s17, vcc_lo, s16
	v_add_co_u32 v12, vcc_lo, v12, s34
	s_and_b32 s17, exec_lo, s17
	v_add_co_ci_u32_e32 v13, vcc_lo, s35, v13, vcc_lo
	s_or_b32 s9, s17, s9
	s_and_not1_b32 s8, s8, exec_lo
	s_and_b32 s16, s16, exec_lo
	s_delay_alu instid0(SALU_CYCLE_1)
	s_or_b32 s8, s8, s16
	s_and_not1_b32 exec_lo, exec_lo, s9
	s_cbranch_execz .LBB165_475
.LBB165_470:                            ;   Parent Loop BB165_31 Depth=1
                                        ; =>  This Inner Loop Header: Depth=2
	s_delay_alu instid0(VALU_DEP_1)
	v_cmp_gt_u64_e32 vcc_lo, s[36:37], v[14:15]
	v_mov_b32_e32 v4, 0
	v_mov_b32_e32 v5, 0
	s_and_saveexec_b32 s16, vcc_lo
	s_cbranch_execz .LBB165_472
; %bb.471:                              ;   in Loop: Header=BB165_470 Depth=2
	global_load_b64 v[4:5], v[12:13], off
.LBB165_472:                            ;   in Loop: Header=BB165_470 Depth=2
	s_or_b32 exec_lo, exec_lo, s16
	s_and_saveexec_b32 s16, vcc_lo
	s_cbranch_execz .LBB165_469
; %bb.473:                              ;   in Loop: Header=BB165_470 Depth=2
	s_waitcnt vmcnt(0)
	v_xor_b32_e32 v3, 0x80000000, v5
	v_and_b32_e32 v6, v4, v32
	s_delay_alu instid0(VALU_DEP_2) | instskip(NEXT) | instid1(VALU_DEP_1)
	v_and_b32_e32 v7, v3, v33
	v_cmp_eq_u64_e32 vcc_lo, v[6:7], v[34:35]
	s_and_b32 exec_lo, exec_lo, vcc_lo
	s_cbranch_execz .LBB165_469
; %bb.474:                              ;   in Loop: Header=BB165_470 Depth=2
	v_mov_b32_e32 v3, v19
	ds_store_b128 v19, v[2:5] offset:3072
	s_branch .LBB165_469
.LBB165_475:                            ;   in Loop: Header=BB165_31 Depth=1
	s_set_inst_prefetch_distance 0x2
	s_or_b32 exec_lo, exec_lo, s9
	s_delay_alu instid0(SALU_CYCLE_1)
	s_and_b32 s16, s8, exec_lo
.LBB165_476:                            ;   in Loop: Header=BB165_31 Depth=1
	s_or_b32 exec_lo, exec_lo, s7
	s_mov_b32 s8, 0
	s_mov_b32 s7, -1
	s_mov_b32 s9, 0
.LBB165_477:                            ;   in Loop: Header=BB165_31 Depth=1
	s_or_not1_b32 s17, s16, exec_lo
.LBB165_478:                            ;   in Loop: Header=BB165_31 Depth=1
	s_or_b32 exec_lo, exec_lo, s47
	s_mov_b32 s26, 0
                                        ; implicit-def: $vgpr5
                                        ; implicit-def: $vgpr3_vgpr4
	s_and_saveexec_b32 s16, s17
	s_cbranch_execz .LBB165_490
; %bb.479:                              ;   in Loop: Header=BB165_31 Depth=1
	v_mov_b32_e32 v3, 1
	v_dual_mov_b32 v4, 0 :: v_dual_mov_b32 v5, 1
	s_xor_b32 s26, s46, -1
	s_delay_alu instid0(SALU_CYCLE_1)
	s_and_saveexec_b32 s17, s26
	s_cbranch_execz .LBB165_489
; %bb.480:                              ;   in Loop: Header=BB165_31 Depth=1
	s_mov_b32 s26, exec_lo
                                        ; implicit-def: $sgpr46
	v_cmpx_ge_u64_e64 s[10:11], v[10:11]
	s_xor_b32 s26, exec_lo, s26
	s_cbranch_execz .LBB165_486
; %bb.481:                              ;   in Loop: Header=BB165_31 Depth=1
	ds_load_b64 v[3:4], v19 offset:5120
	s_waitcnt lgkmcnt(0)
	v_cmp_ne_u64_e32 vcc_lo, 0, v[3:4]
	s_cbranch_vccnz .LBB165_485
; %bb.482:                              ;   in Loop: Header=BB165_31 Depth=1
	s_and_saveexec_b32 s46, s5
	s_cbranch_execz .LBB165_484
; %bb.483:                              ;   in Loop: Header=BB165_31 Depth=1
	v_dual_mov_b32 v3, s10 :: v_dual_mov_b32 v4, s11
	ds_store_b64 v19, v[3:4] offset:5128
.LBB165_484:                            ;   in Loop: Header=BB165_31 Depth=1
	s_or_b32 exec_lo, exec_lo, s46
	s_waitcnt lgkmcnt(0)
	s_barrier
	buffer_gl0_inv
.LBB165_485:                            ;   in Loop: Header=BB165_31 Depth=1
	v_and_b32_e32 v35, s15, v35
	v_and_b32_e32 v34, s14, v34
	v_or_b32_e32 v33, s13, v33
	v_or_b32_e32 v32, s12, v32
	s_mov_b32 s46, 5
.LBB165_486:                            ;   in Loop: Header=BB165_31 Depth=1
	s_or_saveexec_b32 s12, s26
	v_mov_b32_e32 v5, s46
	s_xor_b32 exec_lo, exec_lo, s12
; %bb.487:                              ;   in Loop: Header=BB165_31 Depth=1
	v_sub_co_u32 v10, vcc_lo, v10, s10
	v_subrev_co_ci_u32_e32 v11, vcc_lo, s11, v11, vcc_lo
	v_mov_b32_e32 v5, 5
; %bb.488:                              ;   in Loop: Header=BB165_31 Depth=1
	s_or_b32 exec_lo, exec_lo, s12
	s_delay_alu instid0(VALU_DEP_2)
	v_dual_mov_b32 v3, v10 :: v_dual_mov_b32 v4, v11
.LBB165_489:                            ;   in Loop: Header=BB165_31 Depth=1
	s_or_b32 exec_lo, exec_lo, s17
	s_delay_alu instid0(SALU_CYCLE_1)
	s_mov_b32 s26, exec_lo
.LBB165_490:                            ;   in Loop: Header=BB165_31 Depth=1
	s_or_b32 exec_lo, exec_lo, s16
	s_delay_alu instid0(VALU_DEP_1)
	v_dual_mov_b32 v11, v4 :: v_dual_mov_b32 v10, v3
	s_or_not1_b32 s16, s26, exec_lo
.LBB165_491:                            ;   in Loop: Header=BB165_31 Depth=1
	s_or_b32 exec_lo, exec_lo, s24
	s_delay_alu instid0(SALU_CYCLE_1)
	s_and_not1_b32 s10, s18, exec_lo
	s_and_b32 s7, s7, exec_lo
	s_and_b32 s8, s8, exec_lo
	s_or_b32 s18, s10, s7
	s_and_not1_b32 s7, s19, exec_lo
	s_and_not1_b32 s10, s58, exec_lo
	s_and_b32 s9, s9, exec_lo
	v_dual_mov_b32 v8, v10 :: v_dual_mov_b32 v9, v11
	s_or_b32 s19, s7, s8
	s_or_b32 s58, s10, s9
	s_and_b32 s26, s16, exec_lo
.LBB165_492:                            ;   in Loop: Header=BB165_31 Depth=1
	s_or_b32 exec_lo, exec_lo, s59
	s_delay_alu instid0(SALU_CYCLE_1)
	s_and_b32 s18, s18, exec_lo
	s_and_b32 s9, s19, exec_lo
	;; [unrolled: 1-line block ×3, first 2 shown]
	s_or_not1_b32 s7, s26, exec_lo
.LBB165_493:                            ;   in Loop: Header=BB165_31 Depth=1
	s_or_b32 exec_lo, exec_lo, s74
	s_delay_alu instid0(SALU_CYCLE_1)
	s_and_not1_b32 s10, s20, exec_lo
	s_and_b32 s11, s18, exec_lo
	s_and_b32 s9, s9, exec_lo
	s_or_b32 s20, s10, s11
	s_and_not1_b32 s10, s21, exec_lo
	s_and_not1_b32 s11, s72, exec_lo
	s_and_b32 s8, s8, exec_lo
	v_dual_mov_b32 v39, v9 :: v_dual_mov_b32 v38, v8
	s_or_b32 s21, s10, s9
	s_or_b32 s72, s11, s8
	s_and_b32 s26, s7, exec_lo
.LBB165_494:                            ;   in Loop: Header=BB165_31 Depth=1
	s_or_b32 exec_lo, exec_lo, s73
	s_delay_alu instid0(SALU_CYCLE_1)
	s_and_b32 s20, s20, exec_lo
	s_and_b32 s9, s21, exec_lo
	;; [unrolled: 1-line block ×3, first 2 shown]
	s_or_not1_b32 s21, s26, exec_lo
.LBB165_495:                            ;   in Loop: Header=BB165_31 Depth=1
	s_or_b32 exec_lo, exec_lo, s71
	s_mov_b32 s7, s60
	s_mov_b32 s10, s55
	s_and_saveexec_b32 s11, s21
; %bb.496:                              ;   in Loop: Header=BB165_31 Depth=1
	v_cmp_eq_u32_e32 vcc_lo, 5, v5
	v_cmp_ne_u32_e64 s7, 5, v5
	s_and_not1_b32 s10, s55, exec_lo
	s_and_not1_b32 s12, s60, exec_lo
	;; [unrolled: 1-line block ×3, first 2 shown]
	s_and_b32 s13, vcc_lo, exec_lo
	s_and_b32 s7, s7, exec_lo
	s_and_not1_b32 s9, s9, exec_lo
	s_and_not1_b32 s8, s8, exec_lo
	s_or_b32 s10, s10, s7
	s_or_b32 s7, s12, s13
; %bb.497:                              ;   in Loop: Header=BB165_31 Depth=1
	s_or_b32 exec_lo, exec_lo, s11
	s_delay_alu instid0(SALU_CYCLE_1)
	s_and_not1_b32 s3, s22, exec_lo
	s_and_b32 s11, s20, exec_lo
	s_and_b32 s9, s9, exec_lo
	s_or_b32 s22, s3, s11
	s_and_not1_b32 s3, s23, exec_lo
	s_and_not1_b32 s11, s25, exec_lo
	s_and_b32 s8, s8, exec_lo
	v_dual_mov_b32 v12, v34 :: v_dual_mov_b32 v13, v35
	v_dual_mov_b32 v14, v32 :: v_dual_mov_b32 v15, v33
	;; [unrolled: 1-line block ×3, first 2 shown]
	s_or_b32 s23, s3, s9
	s_or_b32 s25, s11, s8
	s_and_not1_b32 s3, s55, exec_lo
	s_and_b32 s8, s10, exec_lo
	s_and_not1_b32 s9, s60, exec_lo
	s_and_b32 s7, s7, exec_lo
	s_or_b32 s55, s3, s8
	s_or_b32 s60, s9, s7
.LBB165_498:                            ;   in Loop: Header=BB165_31 Depth=1
	s_or_b32 exec_lo, exec_lo, s70
	s_mov_b32 s71, s25
	s_mov_b32 s70, s25
	s_and_saveexec_b32 s7, s60
.LBB165_499:                            ;   in Loop: Header=BB165_31 Depth=1
	v_mov_b32_e32 v5, 0
	s_and_not1_b32 s25, s25, exec_lo
	s_and_not1_b32 s22, s22, exec_lo
	;; [unrolled: 1-line block ×5, first 2 shown]
	s_or_b32 s55, s55, exec_lo
.LBB165_500:                            ;   in Loop: Header=BB165_31 Depth=1
	s_or_b32 exec_lo, exec_lo, s7
	s_delay_alu instid0(SALU_CYCLE_1)
	s_and_not1_b32 s3, s54, exec_lo
	s_and_b32 s7, s25, exec_lo
	s_and_not1_b32 s9, s103, exec_lo
	s_or_b32 s54, s3, s7
	s_and_not1_b32 s3, vcc_hi, exec_lo
	s_and_b32 s7, s22, exec_lo
	s_and_b32 s10, s23, exec_lo
	s_or_b32 vcc_hi, s3, s7
	s_or_b32 s103, s9, s10
	s_and_not1_b32 s3, s104, exec_lo
	s_and_b32 s7, s71, exec_lo
	s_and_not1_b32 s9, s102, exec_lo
	s_and_b32 s10, s70, exec_lo
	s_mov_b32 s8, -1
	s_or_b32 s104, s3, s7
	s_or_b32 s102, s9, s10
                                        ; implicit-def: $vgpr32_vgpr33
                                        ; implicit-def: $vgpr34_vgpr35
                                        ; implicit-def: $vgpr36_vgpr37
                                        ; implicit-def: $vgpr6_vgpr7
	s_and_saveexec_b32 s3, s55
	s_delay_alu instid0(SALU_CYCLE_1)
	s_xor_b32 s7, exec_lo, s3
	s_cbranch_execz .LBB165_30
; %bb.501:                              ;   in Loop: Header=BB165_31 Depth=1
	s_mov_b32 s9, -1
	s_mov_b32 s10, exec_lo
	v_cmpx_eq_u32_e32 0, v5
	s_cbranch_execz .LBB165_29
; %bb.502:                              ;   in Loop: Header=BB165_31 Depth=1
	s_xor_b32 s96, s96, 1
	s_add_i32 s11, s100, -2
	s_cmp_eq_u32 s100, 0
	s_mov_b32 s100, s11
	s_cselect_b32 s8, -1, 0
	s_xor_b32 s9, exec_lo, -1
	s_or_not1_b32 s8, s8, exec_lo
	s_branch .LBB165_29
.LBB165_503:
	s_or_b32 exec_lo, exec_lo, s94
	s_xor_b32 s7, s101, -1
	s_xor_b32 s9, s98, -1
	s_xor_b32 s10, s99, -1
	s_xor_b32 s3, s95, -1
	s_xor_b32 s6, s97, -1
	s_mov_b32 s8, 0
	s_and_saveexec_b32 s11, s3
	s_delay_alu instid0(SALU_CYCLE_1)
	s_xor_b32 s12, exec_lo, s11
	s_cbranch_execz .LBB165_560
; %bb.504:
	s_and_saveexec_b32 s3, s10
	s_delay_alu instid0(SALU_CYCLE_1)
	s_xor_b32 s13, exec_lo, s3
	s_cbranch_execz .LBB165_558
; %bb.505:
	;; [unrolled: 5-line block ×4, first 2 shown]
	s_and_saveexec_b32 s3, s6
	s_delay_alu instid0(SALU_CYCLE_1)
	s_xor_b32 s6, exec_lo, s3
; %bb.508:
	v_xor_b32_e32 v13, 0x80000000, v13
	s_delay_alu instid0(VALU_DEP_1)
	v_dual_mov_b32 v10, v12 :: v_dual_mov_b32 v11, v13
; %bb.509:
	s_or_b32 exec_lo, exec_lo, s6
	s_and_saveexec_b32 s6, s5
	s_cbranch_execz .LBB165_511
; %bb.510:
	v_mov_b32_e32 v2, 0
	s_delay_alu instid0(VALU_DEP_1)
	v_mov_b32_e32 v3, v2
	ds_store_b64 v2, v[2:3] offset:5136
.LBB165_511:
	s_or_b32 exec_lo, exec_lo, s6
	v_mov_b32_e32 v2, 0
	v_mov_b32_e32 v3, 0
	s_waitcnt lgkmcnt(0)
	s_barrier
	buffer_gl0_inv
	s_and_saveexec_b32 s5, s4
	s_cbranch_execz .LBB165_513
; %bb.512:
	global_load_b64 v[2:3], v[16:17], off
.LBB165_513:
	s_or_b32 exec_lo, exec_lo, s5
	s_clause 0x1
	s_load_b64 s[18:19], s[0:1], 0x440
	s_load_b64 s[20:21], s[0:1], 0x1c8
	v_readlane_b32 s10, v57, 0
	v_readlane_b32 s11, v57, 1
	s_add_u32 s3, s36, 31
	s_addc_u32 s7, s37, 0
	v_add_nc_u32_e32 v24, s33, v0
	s_mul_i32 s5, s10, s41
	s_mul_hi_u32 s6, s10, s40
	s_mul_i32 s8, s11, s40
	s_add_i32 s5, s6, s5
	s_and_b32 s6, s3, 0xffffffe0
	s_add_i32 s9, s5, s8
	s_mul_i32 s8, s10, s40
	s_delay_alu instid0(SALU_CYCLE_1)
	s_lshl_b64 s[16:17], s[8:9], 3
	s_clause 0x1
	s_load_b64 s[8:9], s[0:1], 0x368
	s_load_b64 s[10:11], s[0:1], 0x510
	s_waitcnt lgkmcnt(0)
	s_mul_i32 s3, s18, s53
	s_mul_hi_u32 s5, s18, s52
	s_mul_i32 s18, s18, s52
	s_add_i32 s3, s5, s3
	s_mul_i32 s5, s19, s52
	s_delay_alu instid0(SALU_CYCLE_1)
	s_add_i32 s19, s3, s5
	s_add_u32 s3, s20, s16
	s_addc_u32 s0, s21, s17
	s_lshl_b64 s[16:17], s[28:29], 3
	s_mov_b32 s20, exec_lo
	s_add_u32 s1, s3, s16
	s_addc_u32 s5, s0, s17
	s_lshl_b64 s[16:17], s[18:19], 3
	v_readlane_b32 s18, v57, 2
	v_readlane_b32 s19, v57, 3
	s_delay_alu instid0(VALU_DEP_2) | instskip(NEXT) | instid1(VALU_DEP_1)
	s_add_u32 s0, s18, s16
	s_addc_u32 s3, s19, s17
	s_lshl_b64 s[16:17], s[44:45], 3
	s_mov_b32 s19, 0
	s_add_u32 s16, s0, s16
	s_addc_u32 s17, s3, s17
	s_mov_b32 s0, -1
	s_mov_b32 s18, 0
	v_cmpx_gt_u64_e64 s[6:7], v[0:1]
	s_cbranch_execz .LBB165_529
; %bb.514:
	v_mad_u64_u32 v[6:7], null, s30, v24, 0
	v_readlane_b32 s22, v57, 7
	v_readlane_b32 s23, v57, 8
	s_add_u32 s0, s64, s48
	s_addc_u32 s3, s65, s49
                                        ; implicit-def: $sgpr21
                                        ; implicit-def: $vgpr18_vgpr19
	v_mov_b32_e32 v21, v1
	s_add_u32 s0, s0, s22
	s_delay_alu instid0(VALU_DEP_4) | instskip(SKIP_2) | instid1(VALU_DEP_2)
	v_mov_b32_e32 v4, v7
	s_addc_u32 s3, s3, s23
	v_mov_b32_e32 v20, v0
	v_mad_u64_u32 v[7:8], null, s31, v24, v[4:5]
	v_mov_b32_e32 v4, v10
	v_xor_b32_e32 v5, 0x80000000, v11
	s_delay_alu instid0(VALU_DEP_3) | instskip(SKIP_1) | instid1(VALU_DEP_2)
	v_lshlrev_b64 v[8:9], 3, v[6:7]
	v_mov_b32_e32 v7, 0
	v_add_co_u32 v8, vcc_lo, s0, v8
	s_delay_alu instid0(VALU_DEP_3)
	v_add_co_ci_u32_e32 v9, vcc_lo, s3, v9, vcc_lo
	s_branch .LBB165_516
.LBB165_515:                            ;   in Loop: Header=BB165_516 Depth=1
	s_or_b32 exec_lo, exec_lo, s22
	s_xor_b32 s3, s24, -1
	s_and_b32 s0, exec_lo, s0
	v_dual_mov_b32 v2, v14 :: v_dual_mov_b32 v3, v15
	s_or_b32 s18, s0, s18
	v_dual_mov_b32 v21, v13 :: v_dual_mov_b32 v20, v12
	s_and_not1_b32 s0, s21, exec_lo
	s_and_b32 s3, s3, exec_lo
	s_delay_alu instid0(SALU_CYCLE_1)
	s_or_b32 s21, s0, s3
	s_and_not1_b32 exec_lo, exec_lo, s18
	s_cbranch_execz .LBB165_528
.LBB165_516:                            ; =>This Inner Loop Header: Depth=1
	v_add_co_u32 v12, vcc_lo, v20, s33
	v_mov_b32_e32 v14, 0
	v_add_co_ci_u32_e32 v13, vcc_lo, 0, v21, vcc_lo
	v_mov_b32_e32 v15, 0
	s_mov_b32 s0, exec_lo
	s_delay_alu instid0(VALU_DEP_2)
	v_cmpx_gt_u64_e64 s[36:37], v[12:13]
	s_cbranch_execz .LBB165_518
; %bb.517:                              ;   in Loop: Header=BB165_516 Depth=1
	global_load_b64 v[14:15], v[8:9], off
.LBB165_518:                            ;   in Loop: Header=BB165_516 Depth=1
	s_or_b32 exec_lo, exec_lo, s0
	s_waitcnt vmcnt(0)
	v_xor_b32_e32 v23, 0x80000000, v3
	v_mov_b32_e32 v22, v2
	s_delay_alu instid0(VALU_DEP_1) | instskip(SKIP_4) | instid1(VALU_DEP_2)
	v_cmp_gt_u64_e32 vcc_lo, v[22:23], v[4:5]
	v_cndmask_b32_e64 v6, 0, 1, vcc_lo
	v_cmp_lt_u64_e32 vcc_lo, v[22:23], v[4:5]
	v_cndmask_b32_e64 v22, 0, 1, vcc_lo
	v_cmp_gt_u64_e32 vcc_lo, s[36:37], v[20:21]
	v_cndmask_b32_e64 v6, v22, v6, s88
	s_delay_alu instid0(VALU_DEP_1) | instskip(NEXT) | instid1(VALU_DEP_1)
	v_and_b32_e32 v6, 1, v6
	v_cmp_eq_u32_e64 s0, 1, v6
	s_delay_alu instid0(VALU_DEP_1) | instskip(NEXT) | instid1(SALU_CYCLE_1)
	s_and_b32 s23, vcc_lo, s0
	v_cndmask_b32_e64 v6, 0, 1, s23
	s_delay_alu instid0(VALU_DEP_1) | instskip(SKIP_2) | instid1(SALU_CYCLE_1)
	v_cmp_ne_u32_e32 vcc_lo, 0, v6
	s_cmp_lg_u32 vcc_lo, 0
	s_cselect_b32 s0, -1, 0
	s_and_b32 s0, s2, s0
	s_delay_alu instid0(SALU_CYCLE_1)
	s_and_saveexec_b32 s22, s0
	s_cbranch_execz .LBB165_522
; %bb.519:                              ;   in Loop: Header=BB165_516 Depth=1
	s_mov_b32 s26, exec_lo
	s_bcnt1_i32_b32 s24, vcc_lo
	v_mbcnt_lo_u32_b32 v22, s26, 0
	s_mov_b32 s25, exec_lo
                                        ; implicit-def: $vgpr18_vgpr19
	s_delay_alu instid0(VALU_DEP_1)
	v_cmpx_eq_u32_e32 0, v22
	s_cbranch_execz .LBB165_521
; %bb.520:                              ;   in Loop: Header=BB165_516 Depth=1
	s_bcnt1_i32_b32 s0, s26
	s_delay_alu instid0(SALU_CYCLE_1) | instskip(NEXT) | instid1(SALU_CYCLE_1)
	s_mul_i32 s0, s24, s0
	v_mov_b32_e32 v6, s0
	s_waitcnt lgkmcnt(0)
	ds_add_rtn_u64 v[18:19], v7, v[6:7] offset:5136
.LBB165_521:                            ;   in Loop: Header=BB165_516 Depth=1
	s_or_b32 exec_lo, exec_lo, s25
	s_waitcnt lgkmcnt(0)
	v_readfirstlane_b32 s27, v19
	v_readfirstlane_b32 s26, v18
	s_delay_alu instid0(VALU_DEP_1)
	v_mad_u64_u32 v[18:19], null, s24, v22, s[26:27]
.LBB165_522:                            ;   in Loop: Header=BB165_516 Depth=1
	s_or_b32 exec_lo, exec_lo, s22
	s_waitcnt lgkmcnt(1)
	ds_bpermute_b32 v18, v7, v18
	s_waitcnt lgkmcnt(1)
	ds_bpermute_b32 v19, v7, v19
	s_mov_b32 s0, -1
	s_mov_b32 s25, -1
                                        ; implicit-def: $sgpr24
	s_and_saveexec_b32 s22, s23
	s_cbranch_execz .LBB165_526
; %bb.523:                              ;   in Loop: Header=BB165_516 Depth=1
	v_and_b32_e32 v6, vcc_lo, v48
	s_mov_b32 s23, 0
	s_mov_b32 s24, exec_lo
	s_delay_alu instid0(VALU_DEP_1) | instskip(SKIP_1) | instid1(VALU_DEP_1)
	v_bcnt_u32_b32 v6, v6, 0
	s_waitcnt lgkmcnt(1)
	v_add_co_u32 v22, vcc_lo, v18, v6
	s_waitcnt lgkmcnt(0)
	v_add_co_ci_u32_e32 v23, vcc_lo, 0, v19, vcc_lo
	s_delay_alu instid0(VALU_DEP_1)
	v_cmpx_gt_u64_e64 s[38:39], v[22:23]
	s_cbranch_execz .LBB165_525
; %bb.524:                              ;   in Loop: Header=BB165_516 Depth=1
	v_mul_lo_u32 v6, v23, s8
	v_mul_lo_u32 v29, v22, s9
	v_mad_u64_u32 v[25:26], null, v22, s8, 0
	v_mul_lo_u32 v23, v23, s10
	v_mul_lo_u32 v30, v22, s11
	v_mad_u64_u32 v[27:28], null, v22, s10, 0
	s_mov_b32 s23, exec_lo
	s_delay_alu instid0(VALU_DEP_4) | instskip(NEXT) | instid1(VALU_DEP_2)
	v_add3_u32 v26, v26, v29, v6
	v_add3_u32 v28, v28, v30, v23
	s_delay_alu instid0(VALU_DEP_2) | instskip(NEXT) | instid1(VALU_DEP_2)
	v_lshlrev_b64 v[22:23], 3, v[25:26]
	v_lshlrev_b64 v[25:26], 3, v[27:28]
	s_delay_alu instid0(VALU_DEP_2) | instskip(NEXT) | instid1(VALU_DEP_3)
	v_add_co_u32 v22, vcc_lo, s1, v22
	v_add_co_ci_u32_e32 v23, vcc_lo, s5, v23, vcc_lo
	s_delay_alu instid0(VALU_DEP_3) | instskip(NEXT) | instid1(VALU_DEP_4)
	v_add_co_u32 v25, vcc_lo, s16, v25
	v_add_co_ci_u32_e32 v26, vcc_lo, s17, v26, vcc_lo
	global_store_b64 v[22:23], v[2:3], off
	global_store_b64 v[25:26], v[20:21], off
.LBB165_525:                            ;   in Loop: Header=BB165_516 Depth=1
	s_or_b32 exec_lo, exec_lo, s24
	s_mov_b32 s24, -1
	s_or_not1_b32 s25, s23, exec_lo
.LBB165_526:                            ;   in Loop: Header=BB165_516 Depth=1
	s_or_b32 exec_lo, exec_lo, s22
	s_and_saveexec_b32 s22, s25
	s_cbranch_execz .LBB165_515
; %bb.527:                              ;   in Loop: Header=BB165_516 Depth=1
	v_cmp_le_u64_e32 vcc_lo, s[6:7], v[12:13]
	v_add_co_u32 v8, s0, v8, s34
	s_delay_alu instid0(VALU_DEP_1)
	v_add_co_ci_u32_e64 v9, s0, s35, v9, s0
	s_and_not1_b32 s24, s24, exec_lo
	s_or_not1_b32 s0, vcc_lo, exec_lo
	s_branch .LBB165_515
.LBB165_528:
	s_or_b32 exec_lo, exec_lo, s18
	s_delay_alu instid0(SALU_CYCLE_1)
	s_mov_b32 s18, exec_lo
	s_or_not1_b32 s0, s21, exec_lo
.LBB165_529:
	s_or_b32 exec_lo, exec_lo, s20
	s_and_saveexec_b32 s3, s0
	s_cbranch_execz .LBB165_552
; %bb.530:
	v_mov_b32_e32 v8, 0
	v_mov_b32_e32 v9, 0
	s_waitcnt vmcnt(0) lgkmcnt(0)
	s_waitcnt_vscnt null, 0x0
	s_barrier
	buffer_gl0_inv
	s_and_saveexec_b32 s0, s4
	s_cbranch_execz .LBB165_532
; %bb.531:
	global_load_b64 v[8:9], v[16:17], off
.LBB165_532:
	s_or_b32 exec_lo, exec_lo, s0
	v_mad_u64_u32 v[2:3], null, s30, v24, 0
	v_readlane_b32 s20, v57, 7
	v_readlane_b32 s21, v57, 8
	s_add_u32 s0, s64, s48
	s_addc_u32 s4, s65, s49
	s_mov_b32 s19, 0
	s_add_u32 s0, s0, s20
	s_delay_alu instid0(VALU_DEP_3) | instskip(SKIP_2) | instid1(VALU_DEP_2)
	v_mad_u64_u32 v[4:5], null, s31, v24, v[3:4]
	s_addc_u32 s4, s4, s21
	v_mov_b32_e32 v5, 0
                                        ; implicit-def: $sgpr20
                                        ; implicit-def: $sgpr21
                                        ; implicit-def: $vgpr6_vgpr7
	v_mov_b32_e32 v3, v4
	s_delay_alu instid0(VALU_DEP_1) | instskip(NEXT) | instid1(VALU_DEP_1)
	v_lshlrev_b64 v[2:3], 3, v[2:3]
	v_add_co_u32 v2, vcc_lo, s0, v2
	s_delay_alu instid0(VALU_DEP_2)
	v_add_co_ci_u32_e32 v3, vcc_lo, s4, v3, vcc_lo
                                        ; implicit-def: $sgpr4
	s_branch .LBB165_535
.LBB165_533:                            ;   in Loop: Header=BB165_535 Depth=1
	s_or_b32 exec_lo, exec_lo, s24
	v_dual_mov_b32 v0, v12 :: v_dual_mov_b32 v1, v13
	s_and_not1_b32 s21, s21, exec_lo
	s_and_b32 s23, s26, exec_lo
	s_and_not1_b32 s20, s20, exec_lo
	s_and_b32 s0, s0, exec_lo
	s_or_b32 s21, s21, s23
	s_or_b32 s20, s20, s0
.LBB165_534:                            ;   in Loop: Header=BB165_535 Depth=1
	s_or_b32 exec_lo, exec_lo, s22
	s_xor_b32 s0, s21, -1
	s_and_b32 s22, exec_lo, s20
	s_delay_alu instid0(SALU_CYCLE_1) | instskip(SKIP_2) | instid1(SALU_CYCLE_1)
	s_or_b32 s19, s22, s19
	s_and_not1_b32 s4, s4, exec_lo
	s_and_b32 s0, s0, exec_lo
	s_or_b32 s4, s4, s0
	s_and_not1_b32 exec_lo, exec_lo, s19
	s_cbranch_execz .LBB165_550
.LBB165_535:                            ; =>This Inner Loop Header: Depth=1
	s_or_b32 s21, s21, exec_lo
	s_or_b32 s20, s20, exec_lo
	s_mov_b32 s22, exec_lo
	v_cmpx_gt_u64_e64 s[6:7], v[0:1]
	s_cbranch_execz .LBB165_534
; %bb.536:                              ;   in Loop: Header=BB165_535 Depth=1
	v_add_co_u32 v12, vcc_lo, v0, s33
	v_mov_b32_e32 v14, 0
	v_add_co_ci_u32_e32 v13, vcc_lo, 0, v1, vcc_lo
	v_mov_b32_e32 v15, 0
	s_mov_b32 s0, exec_lo
	s_delay_alu instid0(VALU_DEP_2)
	v_cmpx_gt_u64_e64 s[36:37], v[12:13]
	s_cbranch_execz .LBB165_538
; %bb.537:                              ;   in Loop: Header=BB165_535 Depth=1
	global_load_b64 v[14:15], v[2:3], off
.LBB165_538:                            ;   in Loop: Header=BB165_535 Depth=1
	s_or_b32 exec_lo, exec_lo, s0
	v_cmp_gt_u64_e32 vcc_lo, s[36:37], v[0:1]
	s_waitcnt vmcnt(0)
	v_cmp_eq_u64_e64 s0, v[8:9], v[10:11]
	s_delay_alu instid0(VALU_DEP_1) | instskip(NEXT) | instid1(SALU_CYCLE_1)
	s_and_b32 s24, vcc_lo, s0
	v_cndmask_b32_e64 v4, 0, 1, s24
	s_delay_alu instid0(VALU_DEP_1) | instskip(SKIP_2) | instid1(SALU_CYCLE_1)
	v_cmp_ne_u32_e32 vcc_lo, 0, v4
	s_cmp_lg_u32 vcc_lo, 0
	s_cselect_b32 s0, -1, 0
	s_and_b32 s0, s2, s0
	s_delay_alu instid0(SALU_CYCLE_1)
	s_and_saveexec_b32 s23, s0
	s_cbranch_execz .LBB165_542
; %bb.539:                              ;   in Loop: Header=BB165_535 Depth=1
	s_mov_b32 s27, exec_lo
	s_bcnt1_i32_b32 s25, vcc_lo
	v_mbcnt_lo_u32_b32 v16, s27, 0
	s_mov_b32 s26, exec_lo
                                        ; implicit-def: $vgpr6_vgpr7
	s_delay_alu instid0(VALU_DEP_1)
	v_cmpx_eq_u32_e32 0, v16
	s_cbranch_execz .LBB165_541
; %bb.540:                              ;   in Loop: Header=BB165_535 Depth=1
	s_bcnt1_i32_b32 s0, s27
	s_delay_alu instid0(SALU_CYCLE_1) | instskip(NEXT) | instid1(SALU_CYCLE_1)
	s_mul_i32 s0, s25, s0
	v_mov_b32_e32 v4, s0
	ds_add_rtn_u64 v[6:7], v5, v[4:5] offset:5136
.LBB165_541:                            ;   in Loop: Header=BB165_535 Depth=1
	s_or_b32 exec_lo, exec_lo, s26
	s_waitcnt lgkmcnt(0)
	v_readfirstlane_b32 s27, v7
	v_readfirstlane_b32 s26, v6
	s_delay_alu instid0(VALU_DEP_1)
	v_mad_u64_u32 v[6:7], null, s25, v16, s[26:27]
.LBB165_542:                            ;   in Loop: Header=BB165_535 Depth=1
	s_or_b32 exec_lo, exec_lo, s23
	ds_bpermute_b32 v6, v5, v6
	ds_bpermute_b32 v7, v5, v7
	s_cmp_eq_u32 vcc_lo, 0
	s_mov_b32 s25, -1
	s_cselect_b32 s23, -1, 0
	s_mov_b32 s26, -1
	s_waitcnt lgkmcnt(0)
	v_cmp_gt_u64_e64 s0, s[38:39], v[6:7]
	s_delay_alu instid0(VALU_DEP_1) | instskip(SKIP_4) | instid1(SALU_CYCLE_1)
	s_or_b32 s23, s23, s0
	s_mov_b32 s0, -1
	v_cndmask_b32_e64 v9, v9, v15, s23
	v_cndmask_b32_e64 v8, v8, v14, s23
	s_and_b32 s27, s24, s23
	s_and_saveexec_b32 s24, s27
	s_cbranch_execz .LBB165_548
; %bb.543:                              ;   in Loop: Header=BB165_535 Depth=1
	v_and_b32_e32 v4, vcc_lo, v48
	v_sub_co_u32 v8, vcc_lo, s38, v6
	v_sub_co_ci_u32_e32 v9, vcc_lo, s39, v7, vcc_lo
	s_delay_alu instid0(VALU_DEP_3) | instskip(SKIP_2) | instid1(VALU_DEP_1)
	v_bcnt_u32_b32 v4, v4, 0
	s_mov_b32 s27, -1
	s_mov_b32 s26, exec_lo
	v_cmp_le_u64_e64 s25, v[8:9], v[4:5]
	v_cmpx_gt_u64_e64 v[8:9], v[4:5]
	s_cbranch_execz .LBB165_547
; %bb.544:                              ;   in Loop: Header=BB165_535 Depth=1
	v_add_co_u32 v8, vcc_lo, v6, v4
	v_add_co_ci_u32_e32 v9, vcc_lo, 0, v7, vcc_lo
	s_delay_alu instid0(VALU_DEP_4) | instskip(SKIP_1) | instid1(VALU_DEP_1)
	s_mov_b32 s28, s25
	s_mov_b32 s27, exec_lo
	v_cmpx_gt_u64_e64 s[38:39], v[8:9]
	s_cbranch_execz .LBB165_546
; %bb.545:                              ;   in Loop: Header=BB165_535 Depth=1
	v_mul_lo_u32 v4, v9, s8
	v_mul_lo_u32 v20, v8, s9
	v_mad_u64_u32 v[16:17], null, v8, s8, 0
	v_mul_lo_u32 v9, v9, s10
	v_mul_lo_u32 v21, v8, s11
	v_mad_u64_u32 v[18:19], null, v8, s10, 0
	s_or_b32 s28, s25, exec_lo
	s_delay_alu instid0(VALU_DEP_4) | instskip(NEXT) | instid1(VALU_DEP_2)
	v_add3_u32 v17, v17, v20, v4
	v_add3_u32 v19, v19, v21, v9
	s_delay_alu instid0(VALU_DEP_2) | instskip(NEXT) | instid1(VALU_DEP_2)
	v_lshlrev_b64 v[8:9], 3, v[16:17]
	v_lshlrev_b64 v[16:17], 3, v[18:19]
	s_delay_alu instid0(VALU_DEP_2) | instskip(NEXT) | instid1(VALU_DEP_3)
	v_add_co_u32 v8, vcc_lo, s1, v8
	v_add_co_ci_u32_e32 v9, vcc_lo, s5, v9, vcc_lo
	s_delay_alu instid0(VALU_DEP_3) | instskip(NEXT) | instid1(VALU_DEP_4)
	v_add_co_u32 v16, vcc_lo, s16, v16
	v_add_co_ci_u32_e32 v17, vcc_lo, s17, v17, vcc_lo
	global_store_b64 v[8:9], v[10:11], off
	global_store_b64 v[16:17], v[0:1], off
.LBB165_546:                            ;   in Loop: Header=BB165_535 Depth=1
	s_or_b32 exec_lo, exec_lo, s27
	s_delay_alu instid0(SALU_CYCLE_1)
	s_and_not1_b32 s25, s25, exec_lo
	s_and_b32 s28, s28, exec_lo
	s_xor_b32 s27, exec_lo, -1
	s_or_b32 s25, s25, s28
.LBB165_547:                            ;   in Loop: Header=BB165_535 Depth=1
	s_or_b32 exec_lo, exec_lo, s26
	v_dual_mov_b32 v8, v14 :: v_dual_mov_b32 v9, v15
	s_or_not1_b32 s26, s27, exec_lo
	s_or_b32 s23, s23, exec_lo
	s_or_not1_b32 s25, s25, exec_lo
.LBB165_548:                            ;   in Loop: Header=BB165_535 Depth=1
	s_or_b32 exec_lo, exec_lo, s24
	s_and_saveexec_b32 s24, s25
	s_cbranch_execz .LBB165_533
; %bb.549:                              ;   in Loop: Header=BB165_535 Depth=1
	v_add_co_u32 v2, vcc_lo, v2, s34
	v_add_co_ci_u32_e32 v3, vcc_lo, s35, v3, vcc_lo
	s_xor_b32 s0, s23, -1
	s_or_b32 s26, s26, exec_lo
	s_or_not1_b32 s0, s0, exec_lo
	s_branch .LBB165_533
.LBB165_550:
	s_or_b32 exec_lo, exec_lo, s19
	s_mov_b32 s0, 0
	s_and_saveexec_b32 s1, s4
	s_delay_alu instid0(SALU_CYCLE_1)
	s_xor_b32 s1, exec_lo, s1
	s_cbranch_execnz .LBB165_582
.LBB165_551:
	s_or_b32 exec_lo, exec_lo, s1
	s_delay_alu instid0(SALU_CYCLE_1)
	s_and_b32 s19, s0, exec_lo
	s_and_not1_b32 s18, s18, exec_lo
.LBB165_552:
	s_or_b32 exec_lo, exec_lo, s3
	s_and_saveexec_b32 s0, s18
	s_delay_alu instid0(SALU_CYCLE_1)
	s_xor_b32 s0, exec_lo, s0
	s_cbranch_execnz .LBB165_578
.LBB165_553:
	s_or_b32 exec_lo, exec_lo, s0
	s_delay_alu instid0(SALU_CYCLE_1)
	s_and_b32 s8, s19, exec_lo
.LBB165_554:
	s_and_not1_saveexec_b32 s0, s15
	s_cbranch_execnz .LBB165_574
.LBB165_555:
	s_or_b32 exec_lo, exec_lo, s0
	s_delay_alu instid0(SALU_CYCLE_1)
	s_and_b32 s8, s8, exec_lo
.LBB165_556:
	s_and_not1_saveexec_b32 s0, s14
	s_cbranch_execnz .LBB165_570
.LBB165_557:
	s_or_b32 exec_lo, exec_lo, s0
	s_delay_alu instid0(SALU_CYCLE_1)
	s_and_b32 s8, s8, exec_lo
.LBB165_558:
	s_and_not1_saveexec_b32 s0, s13
	s_cbranch_execnz .LBB165_566
.LBB165_559:
	s_or_b32 exec_lo, exec_lo, s0
	s_delay_alu instid0(SALU_CYCLE_1)
	s_and_b32 s8, s8, exec_lo
.LBB165_560:
	s_and_not1_saveexec_b32 s0, s12
	s_cbranch_execnz .LBB165_564
; %bb.561:
	s_or_b32 exec_lo, exec_lo, s0
	s_and_saveexec_b32 s0, s8
.LBB165_562:
	; divergent unreachable
.LBB165_563:
	s_nop 0
	s_sendmsg sendmsg(MSG_DEALLOC_VGPRS)
	s_endpgm
.LBB165_564:
	s_cbranch_execnz .LBB165_568
; %bb.565:
	s_or_b32 s8, s8, exec_lo
	s_or_b32 exec_lo, exec_lo, s0
	s_and_saveexec_b32 s0, s8
	s_cbranch_execnz .LBB165_562
	s_branch .LBB165_563
.LBB165_566:
	s_cbranch_execnz .LBB165_572
; %bb.567:
	s_or_b32 s8, s8, exec_lo
	s_branch .LBB165_559
.LBB165_568:
	s_trap 2
	s_sendmsg_rtn_b32 s0, sendmsg(MSG_RTN_GET_DOORBELL)
	s_mov_b32 ttmp2, m0
	s_waitcnt lgkmcnt(0)
	s_and_b32 s0, s0, 0x3ff
	s_delay_alu instid0(SALU_CYCLE_1) | instskip(NEXT) | instid1(SALU_CYCLE_1)
	s_bitset1_b32 s0, 10
	s_mov_b32 m0, s0
	s_sendmsg sendmsg(MSG_INTERRUPT)
	s_mov_b32 m0, ttmp2
.LBB165_569:                            ; =>This Inner Loop Header: Depth=1
	s_sethalt 5
	s_branch .LBB165_569
.LBB165_570:
	s_cbranch_execnz .LBB165_576
; %bb.571:
	s_or_b32 s8, s8, exec_lo
	s_branch .LBB165_557
.LBB165_572:
	s_trap 2
	s_sendmsg_rtn_b32 s0, sendmsg(MSG_RTN_GET_DOORBELL)
	s_mov_b32 ttmp2, m0
	s_waitcnt lgkmcnt(0)
	s_and_b32 s0, s0, 0x3ff
	s_delay_alu instid0(SALU_CYCLE_1) | instskip(NEXT) | instid1(SALU_CYCLE_1)
	s_bitset1_b32 s0, 10
	s_mov_b32 m0, s0
	s_sendmsg sendmsg(MSG_INTERRUPT)
	s_mov_b32 m0, ttmp2
.LBB165_573:                            ; =>This Inner Loop Header: Depth=1
	s_sethalt 5
	s_branch .LBB165_573
.LBB165_574:
	s_cbranch_execnz .LBB165_580
; %bb.575:
	s_or_b32 s8, s8, exec_lo
	s_branch .LBB165_555
.LBB165_576:
	s_trap 2
	s_sendmsg_rtn_b32 s0, sendmsg(MSG_RTN_GET_DOORBELL)
	s_mov_b32 ttmp2, m0
	s_waitcnt lgkmcnt(0)
	s_and_b32 s0, s0, 0x3ff
	s_delay_alu instid0(SALU_CYCLE_1) | instskip(NEXT) | instid1(SALU_CYCLE_1)
	s_bitset1_b32 s0, 10
	s_mov_b32 m0, s0
	s_sendmsg sendmsg(MSG_INTERRUPT)
	s_mov_b32 m0, ttmp2
.LBB165_577:                            ; =>This Inner Loop Header: Depth=1
	s_sethalt 5
	s_branch .LBB165_577
.LBB165_578:
	s_cbranch_execnz .LBB165_584
; %bb.579:
	s_or_b32 s19, s19, exec_lo
	s_branch .LBB165_553
.LBB165_580:
	s_trap 2
	s_sendmsg_rtn_b32 s0, sendmsg(MSG_RTN_GET_DOORBELL)
	s_mov_b32 ttmp2, m0
	s_waitcnt lgkmcnt(0)
	s_and_b32 s0, s0, 0x3ff
	s_delay_alu instid0(SALU_CYCLE_1) | instskip(NEXT) | instid1(SALU_CYCLE_1)
	s_bitset1_b32 s0, 10
	s_mov_b32 m0, s0
	s_sendmsg sendmsg(MSG_INTERRUPT)
	s_mov_b32 m0, ttmp2
.LBB165_581:                            ; =>This Inner Loop Header: Depth=1
	s_sethalt 5
	s_branch .LBB165_581
.LBB165_582:
	s_cbranch_execnz .LBB165_586
; %bb.583:
	s_mov_b32 s0, exec_lo
	s_branch .LBB165_551
.LBB165_584:
	s_trap 2
	s_sendmsg_rtn_b32 s0, sendmsg(MSG_RTN_GET_DOORBELL)
	s_mov_b32 ttmp2, m0
	s_waitcnt lgkmcnt(0)
	s_and_b32 s0, s0, 0x3ff
	s_delay_alu instid0(SALU_CYCLE_1) | instskip(NEXT) | instid1(SALU_CYCLE_1)
	s_bitset1_b32 s0, 10
	s_mov_b32 m0, s0
	s_sendmsg sendmsg(MSG_INTERRUPT)
	s_mov_b32 m0, ttmp2
.LBB165_585:                            ; =>This Inner Loop Header: Depth=1
	s_sethalt 5
	s_branch .LBB165_585
.LBB165_586:
	s_trap 2
	s_sendmsg_rtn_b32 s0, sendmsg(MSG_RTN_GET_DOORBELL)
	s_mov_b32 ttmp2, m0
	s_waitcnt lgkmcnt(0)
	s_and_b32 s0, s0, 0x3ff
	s_delay_alu instid0(SALU_CYCLE_1) | instskip(NEXT) | instid1(SALU_CYCLE_1)
	s_bitset1_b32 s0, 10
	s_mov_b32 m0, s0
	s_sendmsg sendmsg(MSG_INTERRUPT)
	s_mov_b32 m0, ttmp2
.LBB165_587:                            ; =>This Inner Loop Header: Depth=1
	s_sethalt 5
	s_branch .LBB165_587
	.section	.rodata,"a",@progbits
	.p2align	6, 0x0
	.amdhsa_kernel _ZN2at6native6sbtopk10gatherTopKIlmLin1ELb0EEEvNS_4cuda6detail10TensorInfoIKT_T0_EES8_S8_bS8_S8_NS5_IS6_S8_EES8_NS5_IlS8_EES8_PS6_
		.amdhsa_group_segment_fixed_size 5152
		.amdhsa_private_segment_fixed_size 0
		.amdhsa_kernarg_size 1568
		.amdhsa_user_sgpr_count 13
		.amdhsa_user_sgpr_dispatch_ptr 0
		.amdhsa_user_sgpr_queue_ptr 0
		.amdhsa_user_sgpr_kernarg_segment_ptr 1
		.amdhsa_user_sgpr_dispatch_id 0
		.amdhsa_user_sgpr_private_segment_size 0
		.amdhsa_wavefront_size32 1
		.amdhsa_uses_dynamic_stack 0
		.amdhsa_enable_private_segment 0
		.amdhsa_system_sgpr_workgroup_id_x 1
		.amdhsa_system_sgpr_workgroup_id_y 1
		.amdhsa_system_sgpr_workgroup_id_z 1
		.amdhsa_system_sgpr_workgroup_info 0
		.amdhsa_system_vgpr_workitem_id 0
		.amdhsa_next_free_vgpr 58
		.amdhsa_next_free_sgpr 105
		.amdhsa_reserve_vcc 1
		.amdhsa_float_round_mode_32 0
		.amdhsa_float_round_mode_16_64 0
		.amdhsa_float_denorm_mode_32 3
		.amdhsa_float_denorm_mode_16_64 3
		.amdhsa_dx10_clamp 1
		.amdhsa_ieee_mode 1
		.amdhsa_fp16_overflow 0
		.amdhsa_workgroup_processor_mode 1
		.amdhsa_memory_ordered 1
		.amdhsa_forward_progress 0
		.amdhsa_shared_vgpr_count 0
		.amdhsa_exception_fp_ieee_invalid_op 0
		.amdhsa_exception_fp_denorm_src 0
		.amdhsa_exception_fp_ieee_div_zero 0
		.amdhsa_exception_fp_ieee_overflow 0
		.amdhsa_exception_fp_ieee_underflow 0
		.amdhsa_exception_fp_ieee_inexact 0
		.amdhsa_exception_int_div_zero 0
	.end_amdhsa_kernel
	.section	.text._ZN2at6native6sbtopk10gatherTopKIlmLin1ELb0EEEvNS_4cuda6detail10TensorInfoIKT_T0_EES8_S8_bS8_S8_NS5_IS6_S8_EES8_NS5_IlS8_EES8_PS6_,"axG",@progbits,_ZN2at6native6sbtopk10gatherTopKIlmLin1ELb0EEEvNS_4cuda6detail10TensorInfoIKT_T0_EES8_S8_bS8_S8_NS5_IS6_S8_EES8_NS5_IlS8_EES8_PS6_,comdat
.Lfunc_end165:
	.size	_ZN2at6native6sbtopk10gatherTopKIlmLin1ELb0EEEvNS_4cuda6detail10TensorInfoIKT_T0_EES8_S8_bS8_S8_NS5_IS6_S8_EES8_NS5_IlS8_EES8_PS6_, .Lfunc_end165-_ZN2at6native6sbtopk10gatherTopKIlmLin1ELb0EEEvNS_4cuda6detail10TensorInfoIKT_T0_EES8_S8_bS8_S8_NS5_IS6_S8_EES8_NS5_IlS8_EES8_PS6_
                                        ; -- End function
	.section	.AMDGPU.csdata,"",@progbits
; Kernel info:
; codeLenInByte = 32164
; NumSgprs: 107
; NumVgprs: 58
; ScratchSize: 0
; MemoryBound: 0
; FloatMode: 240
; IeeeMode: 1
; LDSByteSize: 5152 bytes/workgroup (compile time only)
; SGPRBlocks: 13
; VGPRBlocks: 7
; NumSGPRsForWavesPerEU: 107
; NumVGPRsForWavesPerEU: 58
; Occupancy: 16
; WaveLimiterHint : 1
; COMPUTE_PGM_RSRC2:SCRATCH_EN: 0
; COMPUTE_PGM_RSRC2:USER_SGPR: 13
; COMPUTE_PGM_RSRC2:TRAP_HANDLER: 0
; COMPUTE_PGM_RSRC2:TGID_X_EN: 1
; COMPUTE_PGM_RSRC2:TGID_Y_EN: 1
; COMPUTE_PGM_RSRC2:TGID_Z_EN: 1
; COMPUTE_PGM_RSRC2:TIDIG_COMP_CNT: 0
	.section	.text._ZN2at6native6mbtopk23computeBlockDigitCountsIsmjLi1EEEvNS_4cuda6detail10TensorInfoIKT_T0_EEjPjjS8_iijT1_PSB_Ps,"axG",@progbits,_ZN2at6native6mbtopk23computeBlockDigitCountsIsmjLi1EEEvNS_4cuda6detail10TensorInfoIKT_T0_EEjPjjS8_iijT1_PSB_Ps,comdat
	.protected	_ZN2at6native6mbtopk23computeBlockDigitCountsIsmjLi1EEEvNS_4cuda6detail10TensorInfoIKT_T0_EEjPjjS8_iijT1_PSB_Ps ; -- Begin function _ZN2at6native6mbtopk23computeBlockDigitCountsIsmjLi1EEEvNS_4cuda6detail10TensorInfoIKT_T0_EEjPjjS8_iijT1_PSB_Ps
	.globl	_ZN2at6native6mbtopk23computeBlockDigitCountsIsmjLi1EEEvNS_4cuda6detail10TensorInfoIKT_T0_EEjPjjS8_iijT1_PSB_Ps
	.p2align	8
	.type	_ZN2at6native6mbtopk23computeBlockDigitCountsIsmjLi1EEEvNS_4cuda6detail10TensorInfoIKT_T0_EEjPjjS8_iijT1_PSB_Ps,@function
_ZN2at6native6mbtopk23computeBlockDigitCountsIsmjLi1EEEvNS_4cuda6detail10TensorInfoIKT_T0_EEjPjjS8_iijT1_PSB_Ps: ; @_ZN2at6native6mbtopk23computeBlockDigitCountsIsmjLi1EEEvNS_4cuda6detail10TensorInfoIKT_T0_EEjPjjS8_iijT1_PSB_Ps
; %bb.0:
	s_clause 0x2
	s_load_b128 s[8:11], s[0:1], 0x1c0
	s_load_b32 s5, s[0:1], 0x1b0
	s_load_b64 s[2:3], s[0:1], 0x1e0
	s_waitcnt lgkmcnt(0)
	v_cvt_f32_u32_e32 v1, s10
	s_sub_i32 s6, 0, s10
	s_mul_i32 s3, s3, s15
	s_delay_alu instid0(SALU_CYCLE_1) | instskip(NEXT) | instid1(VALU_DEP_1)
	s_add_i32 s3, s3, s14
	v_rcp_iflag_f32_e32 v1, v1
	s_mul_i32 s14, s3, s2
	s_delay_alu instid0(SALU_CYCLE_1) | instskip(SKIP_3) | instid1(VALU_DEP_1)
	s_add_i32 s14, s14, s13
	s_mov_b32 s13, 0
	s_waitcnt_depctr 0xfff
	v_mul_f32_e32 v1, 0x4f7ffffe, v1
	v_cvt_u32_f32_e32 v1, v1
	s_delay_alu instid0(VALU_DEP_1) | instskip(NEXT) | instid1(VALU_DEP_1)
	v_readfirstlane_b32 s4, v1
	s_mul_i32 s6, s6, s4
	s_delay_alu instid0(SALU_CYCLE_1) | instskip(NEXT) | instid1(SALU_CYCLE_1)
	s_mul_hi_u32 s2, s4, s6
	s_add_i32 s4, s4, s2
	s_delay_alu instid0(SALU_CYCLE_1) | instskip(NEXT) | instid1(SALU_CYCLE_1)
	s_mul_hi_u32 s2, s14, s4
	s_mul_i32 s3, s2, s10
	s_add_i32 s4, s2, 1
	s_sub_i32 s3, s14, s3
	s_delay_alu instid0(SALU_CYCLE_1)
	s_sub_i32 s6, s3, s10
	s_cmp_ge_u32 s3, s10
	s_cselect_b32 s2, s4, s2
	s_cselect_b32 s3, s6, s3
	s_add_i32 s4, s2, 1
	s_cmp_ge_u32 s3, s10
	s_cselect_b32 s12, s4, s2
	s_delay_alu instid0(SALU_CYCLE_1)
	s_cmp_ge_u32 s12, s5
	s_cbranch_scc1 .LBB166_23
; %bb.1:
	s_load_b128 s[4:7], s[0:1], 0x1d0
	s_lshl_b64 s[2:3], s[12:13], 2
	v_cmp_gt_u32_e32 vcc_lo, 0x100, v0
	v_lshlrev_b32_e32 v1, 2, v0
	s_waitcnt lgkmcnt(0)
	s_add_u32 s4, s4, s2
	s_addc_u32 s5, s5, s3
	s_and_saveexec_b32 s2, vcc_lo
	s_cbranch_execz .LBB166_3
; %bb.2:
	v_mov_b32_e32 v2, 0
	ds_store_b32 v1, v2
.LBB166_3:
	s_or_b32 exec_lo, exec_lo, s2
	s_load_b32 s13, s[0:1], 0x1a0
	s_mul_i32 s2, s12, s10
	s_waitcnt lgkmcnt(0)
	s_sub_i32 s2, s14, s2
	s_barrier
	s_mul_i32 s3, s9, s2
	s_add_i32 s2, s2, 1
	s_lshl_b32 s16, s3, 8
	buffer_gl0_inv
	s_sub_i32 s3, s13, s16
	s_delay_alu instid0(SALU_CYCLE_1) | instskip(SKIP_4) | instid1(VALU_DEP_1)
	s_add_u32 s3, s3, 0xff
	s_addc_u32 s15, 0, 0
	s_cmp_lt_u32 s2, s10
	v_alignbit_b32 v2, s15, s3, 8
	s_mov_b32 s15, 0
	v_readfirstlane_b32 s3, v2
	s_delay_alu instid0(VALU_DEP_1) | instskip(NEXT) | instid1(SALU_CYCLE_1)
	s_cselect_b32 s9, s9, s3
	s_cmp_lt_i32 s9, 1
	s_cbranch_scc1 .LBB166_19
; %bb.4:
	s_clause 0x2
	s_load_b64 s[18:19], s[0:1], 0xd0
	s_load_b64 s[2:3], s[0:1], 0x1b8
	;; [unrolled: 1-line block ×3, first 2 shown]
	s_load_b32 s1, s[4:5], 0x0
	v_add_nc_u32_e32 v2, s16, v0
	s_waitcnt lgkmcnt(0)
	s_mul_i32 s0, s19, s12
	s_mul_hi_u32 s5, s18, s12
	s_mul_i32 s4, s18, s12
	s_add_i32 s5, s5, s0
	s_delay_alu instid0(SALU_CYCLE_1) | instskip(NEXT) | instid1(SALU_CYCLE_1)
	s_lshl_b64 s[18:19], s[4:5], 1
	s_add_u32 s5, s20, s18
	s_addc_u32 s10, s21, s19
	s_and_b32 s4, s8, 0xff
	s_cmp_eq_u32 s9, 1
	s_cbranch_scc1 .LBB166_14
; %bb.5:
	v_dual_mov_b32 v3, 1 :: v_dual_mov_b32 v4, v2
	s_and_b32 s8, s9, 0x7ffffffe
	s_mov_b32 s12, 0
	s_branch .LBB166_7
.LBB166_6:                              ;   in Loop: Header=BB166_7 Depth=1
	s_or_b32 exec_lo, exec_lo, s15
	v_add_nc_u32_e32 v4, 0x200, v4
	s_add_i32 s12, s12, 2
	s_delay_alu instid0(SALU_CYCLE_1)
	s_cmp_eq_u32 s8, s12
	s_cbranch_scc1 .LBB166_13
.LBB166_7:                              ; =>This Inner Loop Header: Depth=1
	s_mov_b32 s15, exec_lo
	v_cmpx_gt_u32_e64 s13, v4
	s_cbranch_execz .LBB166_10
; %bb.8:                                ;   in Loop: Header=BB166_7 Depth=1
	v_mad_u64_u32 v[5:6], null, v4, s2, 0
	s_delay_alu instid0(VALU_DEP_1) | instskip(NEXT) | instid1(VALU_DEP_1)
	v_mad_u64_u32 v[7:8], null, v4, s3, v[6:7]
	v_mov_b32_e32 v6, v7
	s_delay_alu instid0(VALU_DEP_1) | instskip(NEXT) | instid1(VALU_DEP_1)
	v_lshlrev_b64 v[5:6], 1, v[5:6]
	v_add_co_u32 v5, s0, s5, v5
	s_delay_alu instid0(VALU_DEP_1) | instskip(SKIP_3) | instid1(VALU_DEP_1)
	v_add_co_ci_u32_e64 v6, s0, s10, v6, s0
	global_load_i16 v5, v[5:6], off
	s_waitcnt vmcnt(0)
	v_add_nc_u32_e32 v5, 0x8000, v5
	v_xor_b32_e32 v6, s1, v5
	s_delay_alu instid0(VALU_DEP_1) | instskip(NEXT) | instid1(VALU_DEP_1)
	v_and_b32_e32 v6, s11, v6
	v_cmp_eq_u32_e64 s0, 0, v6
	s_delay_alu instid0(VALU_DEP_1)
	s_and_b32 exec_lo, exec_lo, s0
	s_cbranch_execz .LBB166_10
; %bb.9:                                ;   in Loop: Header=BB166_7 Depth=1
	v_bfe_u32 v5, v5, s4, 8
	s_delay_alu instid0(VALU_DEP_1)
	v_lshlrev_b32_e32 v5, 2, v5
	ds_add_u32 v5, v3
.LBB166_10:                             ;   in Loop: Header=BB166_7 Depth=1
	s_or_b32 exec_lo, exec_lo, s15
	v_add_nc_u32_e32 v5, 0x100, v4
	s_mov_b32 s15, exec_lo
	s_delay_alu instid0(VALU_DEP_1)
	v_cmpx_gt_u32_e64 s13, v5
	s_cbranch_execz .LBB166_6
; %bb.11:                               ;   in Loop: Header=BB166_7 Depth=1
	v_mad_u64_u32 v[6:7], null, v5, s2, 0
	s_delay_alu instid0(VALU_DEP_1) | instskip(NEXT) | instid1(VALU_DEP_1)
	v_mad_u64_u32 v[8:9], null, v5, s3, v[7:8]
	v_mov_b32_e32 v7, v8
	s_delay_alu instid0(VALU_DEP_1) | instskip(NEXT) | instid1(VALU_DEP_1)
	v_lshlrev_b64 v[5:6], 1, v[6:7]
	v_add_co_u32 v5, s0, s5, v5
	s_delay_alu instid0(VALU_DEP_1) | instskip(SKIP_3) | instid1(VALU_DEP_1)
	v_add_co_ci_u32_e64 v6, s0, s10, v6, s0
	global_load_i16 v5, v[5:6], off
	s_waitcnt vmcnt(0)
	v_add_nc_u32_e32 v5, 0x8000, v5
	v_xor_b32_e32 v6, s1, v5
	s_delay_alu instid0(VALU_DEP_1) | instskip(NEXT) | instid1(VALU_DEP_1)
	v_and_b32_e32 v6, s11, v6
	v_cmp_eq_u32_e64 s0, 0, v6
	s_delay_alu instid0(VALU_DEP_1)
	s_and_b32 exec_lo, exec_lo, s0
	s_cbranch_execz .LBB166_6
; %bb.12:                               ;   in Loop: Header=BB166_7 Depth=1
	v_bfe_u32 v5, v5, s4, 8
	s_delay_alu instid0(VALU_DEP_1)
	v_lshlrev_b32_e32 v5, 2, v5
	ds_add_u32 v5, v3
	s_branch .LBB166_6
.LBB166_13:
	s_lshl_b32 s15, s8, 8
.LBB166_14:
	s_bitcmp0_b32 s9, 0
	s_cbranch_scc1 .LBB166_19
; %bb.15:
	v_add_nc_u32_e32 v2, s15, v2
	s_mov_b32 s8, exec_lo
	s_delay_alu instid0(VALU_DEP_1)
	v_cmpx_gt_u32_e64 s13, v2
	s_cbranch_execz .LBB166_18
; %bb.16:
	v_mad_u64_u32 v[3:4], null, v2, s2, 0
	s_delay_alu instid0(VALU_DEP_1) | instskip(NEXT) | instid1(VALU_DEP_1)
	v_mad_u64_u32 v[5:6], null, v2, s3, v[4:5]
	v_mov_b32_e32 v4, v5
	s_delay_alu instid0(VALU_DEP_1) | instskip(NEXT) | instid1(VALU_DEP_1)
	v_lshlrev_b64 v[2:3], 1, v[3:4]
	v_add_co_u32 v2, s0, s5, v2
	s_delay_alu instid0(VALU_DEP_1) | instskip(SKIP_3) | instid1(VALU_DEP_1)
	v_add_co_ci_u32_e64 v3, s0, s10, v3, s0
	global_load_i16 v2, v[2:3], off
	s_waitcnt vmcnt(0)
	v_add_nc_u32_e32 v2, 0x8000, v2
	v_xor_b32_e32 v3, s1, v2
	s_delay_alu instid0(VALU_DEP_1) | instskip(NEXT) | instid1(VALU_DEP_1)
	v_and_b32_e32 v3, s11, v3
	v_cmp_eq_u32_e64 s0, 0, v3
	s_delay_alu instid0(VALU_DEP_1)
	s_and_b32 exec_lo, exec_lo, s0
	s_cbranch_execz .LBB166_18
; %bb.17:
	v_bfe_u32 v2, v2, s4, 8
	s_delay_alu instid0(VALU_DEP_1)
	v_dual_mov_b32 v3, 1 :: v_dual_lshlrev_b32 v2, 2, v2
	ds_add_u32 v2, v3
.LBB166_18:
	s_or_b32 exec_lo, exec_lo, s8
.LBB166_19:
	v_mov_b32_e32 v2, 0
	s_waitcnt lgkmcnt(0)
	s_barrier
	buffer_gl0_inv
	s_and_saveexec_b32 s0, vcc_lo
	s_cbranch_execz .LBB166_21
; %bb.20:
	ds_load_b32 v2, v1
.LBB166_21:
	s_or_b32 exec_lo, exec_lo, s0
	s_and_saveexec_b32 s0, vcc_lo
	s_cbranch_execz .LBB166_23
; %bb.22:
	v_lshl_or_b32 v0, s14, 8, v0
	v_mov_b32_e32 v1, 0
	s_delay_alu instid0(VALU_DEP_1) | instskip(NEXT) | instid1(VALU_DEP_1)
	v_lshlrev_b64 v[0:1], 1, v[0:1]
	v_add_co_u32 v0, vcc_lo, s6, v0
	s_delay_alu instid0(VALU_DEP_2)
	v_add_co_ci_u32_e32 v1, vcc_lo, s7, v1, vcc_lo
	s_waitcnt lgkmcnt(0)
	global_store_b16 v[0:1], v2, off
.LBB166_23:
	s_nop 0
	s_sendmsg sendmsg(MSG_DEALLOC_VGPRS)
	s_endpgm
	.section	.rodata,"a",@progbits
	.p2align	6, 0x0
	.amdhsa_kernel _ZN2at6native6mbtopk23computeBlockDigitCountsIsmjLi1EEEvNS_4cuda6detail10TensorInfoIKT_T0_EEjPjjS8_iijT1_PSB_Ps
		.amdhsa_group_segment_fixed_size 1024
		.amdhsa_private_segment_fixed_size 0
		.amdhsa_kernarg_size 736
		.amdhsa_user_sgpr_count 13
		.amdhsa_user_sgpr_dispatch_ptr 0
		.amdhsa_user_sgpr_queue_ptr 0
		.amdhsa_user_sgpr_kernarg_segment_ptr 1
		.amdhsa_user_sgpr_dispatch_id 0
		.amdhsa_user_sgpr_private_segment_size 0
		.amdhsa_wavefront_size32 1
		.amdhsa_uses_dynamic_stack 0
		.amdhsa_enable_private_segment 0
		.amdhsa_system_sgpr_workgroup_id_x 1
		.amdhsa_system_sgpr_workgroup_id_y 1
		.amdhsa_system_sgpr_workgroup_id_z 1
		.amdhsa_system_sgpr_workgroup_info 0
		.amdhsa_system_vgpr_workitem_id 0
		.amdhsa_next_free_vgpr 10
		.amdhsa_next_free_sgpr 22
		.amdhsa_reserve_vcc 1
		.amdhsa_float_round_mode_32 0
		.amdhsa_float_round_mode_16_64 0
		.amdhsa_float_denorm_mode_32 3
		.amdhsa_float_denorm_mode_16_64 3
		.amdhsa_dx10_clamp 1
		.amdhsa_ieee_mode 1
		.amdhsa_fp16_overflow 0
		.amdhsa_workgroup_processor_mode 1
		.amdhsa_memory_ordered 1
		.amdhsa_forward_progress 0
		.amdhsa_shared_vgpr_count 0
		.amdhsa_exception_fp_ieee_invalid_op 0
		.amdhsa_exception_fp_denorm_src 0
		.amdhsa_exception_fp_ieee_div_zero 0
		.amdhsa_exception_fp_ieee_overflow 0
		.amdhsa_exception_fp_ieee_underflow 0
		.amdhsa_exception_fp_ieee_inexact 0
		.amdhsa_exception_int_div_zero 0
	.end_amdhsa_kernel
	.section	.text._ZN2at6native6mbtopk23computeBlockDigitCountsIsmjLi1EEEvNS_4cuda6detail10TensorInfoIKT_T0_EEjPjjS8_iijT1_PSB_Ps,"axG",@progbits,_ZN2at6native6mbtopk23computeBlockDigitCountsIsmjLi1EEEvNS_4cuda6detail10TensorInfoIKT_T0_EEjPjjS8_iijT1_PSB_Ps,comdat
.Lfunc_end166:
	.size	_ZN2at6native6mbtopk23computeBlockDigitCountsIsmjLi1EEEvNS_4cuda6detail10TensorInfoIKT_T0_EEjPjjS8_iijT1_PSB_Ps, .Lfunc_end166-_ZN2at6native6mbtopk23computeBlockDigitCountsIsmjLi1EEEvNS_4cuda6detail10TensorInfoIKT_T0_EEjPjjS8_iijT1_PSB_Ps
                                        ; -- End function
	.section	.AMDGPU.csdata,"",@progbits
; Kernel info:
; codeLenInByte = 1084
; NumSgprs: 24
; NumVgprs: 10
; ScratchSize: 0
; MemoryBound: 0
; FloatMode: 240
; IeeeMode: 1
; LDSByteSize: 1024 bytes/workgroup (compile time only)
; SGPRBlocks: 2
; VGPRBlocks: 1
; NumSGPRsForWavesPerEU: 24
; NumVGPRsForWavesPerEU: 10
; Occupancy: 16
; WaveLimiterHint : 1
; COMPUTE_PGM_RSRC2:SCRATCH_EN: 0
; COMPUTE_PGM_RSRC2:USER_SGPR: 13
; COMPUTE_PGM_RSRC2:TRAP_HANDLER: 0
; COMPUTE_PGM_RSRC2:TGID_X_EN: 1
; COMPUTE_PGM_RSRC2:TGID_Y_EN: 1
; COMPUTE_PGM_RSRC2:TGID_Z_EN: 1
; COMPUTE_PGM_RSRC2:TIDIG_COMP_CNT: 0
	.section	.text._ZN2at6native6mbtopk10gatherTopKIsmLi1EEEvNS_4cuda6detail10TensorInfoIKT_T0_EES8_S8_bjS8_NS5_IS6_S8_EES8_NS5_IlS8_EES8_jjPS6_PjSD_j,"axG",@progbits,_ZN2at6native6mbtopk10gatherTopKIsmLi1EEEvNS_4cuda6detail10TensorInfoIKT_T0_EES8_S8_bjS8_NS5_IS6_S8_EES8_NS5_IlS8_EES8_jjPS6_PjSD_j,comdat
	.protected	_ZN2at6native6mbtopk10gatherTopKIsmLi1EEEvNS_4cuda6detail10TensorInfoIKT_T0_EES8_S8_bjS8_NS5_IS6_S8_EES8_NS5_IlS8_EES8_jjPS6_PjSD_j ; -- Begin function _ZN2at6native6mbtopk10gatherTopKIsmLi1EEEvNS_4cuda6detail10TensorInfoIKT_T0_EES8_S8_bjS8_NS5_IS6_S8_EES8_NS5_IlS8_EES8_jjPS6_PjSD_j
	.globl	_ZN2at6native6mbtopk10gatherTopKIsmLi1EEEvNS_4cuda6detail10TensorInfoIKT_T0_EES8_S8_bjS8_NS5_IS6_S8_EES8_NS5_IlS8_EES8_jjPS6_PjSD_j
	.p2align	8
	.type	_ZN2at6native6mbtopk10gatherTopKIsmLi1EEEvNS_4cuda6detail10TensorInfoIKT_T0_EES8_S8_bjS8_NS5_IS6_S8_EES8_NS5_IlS8_EES8_jjPS6_PjSD_j,@function
_ZN2at6native6mbtopk10gatherTopKIsmLi1EEEvNS_4cuda6detail10TensorInfoIKT_T0_EES8_S8_bjS8_NS5_IS6_S8_EES8_NS5_IlS8_EES8_jjPS6_PjSD_j: ; @_ZN2at6native6mbtopk10gatherTopKIsmLi1EEEvNS_4cuda6detail10TensorInfoIKT_T0_EES8_S8_bjS8_NS5_IS6_S8_EES8_NS5_IlS8_EES8_jjPS6_PjSD_j
; %bb.0:
	s_clause 0x1
	s_load_b64 s[2:3], s[0:1], 0x538
	s_load_b32 s4, s[0:1], 0x530
	s_waitcnt lgkmcnt(0)
	s_mul_i32 s3, s3, s15
	s_delay_alu instid0(SALU_CYCLE_1) | instskip(NEXT) | instid1(SALU_CYCLE_1)
	s_add_i32 s3, s3, s14
	s_mul_i32 s2, s3, s2
	s_delay_alu instid0(SALU_CYCLE_1) | instskip(NEXT) | instid1(SALU_CYCLE_1)
	s_add_i32 s2, s2, s13
	s_cmp_ge_u32 s2, s4
	s_cbranch_scc1 .LBB167_42
; %bb.1:
	s_load_b64 s[16:17], s[0:1], 0x510
	s_mov_b32 s19, 0
	s_waitcnt lgkmcnt(0)
	v_cvt_f32_u32_e32 v1, s17
	s_sub_i32 s4, 0, s17
	s_lshl_b32 s33, s16, 8
	s_delay_alu instid0(VALU_DEP_1) | instskip(SKIP_2) | instid1(VALU_DEP_1)
	v_rcp_iflag_f32_e32 v1, v1
	s_waitcnt_depctr 0xfff
	v_mul_f32_e32 v1, 0x4f7ffffe, v1
	v_cvt_u32_f32_e32 v1, v1
	s_delay_alu instid0(VALU_DEP_1) | instskip(NEXT) | instid1(VALU_DEP_1)
	v_readfirstlane_b32 s3, v1
	s_mul_i32 s4, s4, s3
	s_delay_alu instid0(SALU_CYCLE_1) | instskip(NEXT) | instid1(SALU_CYCLE_1)
	s_mul_hi_u32 s4, s3, s4
	s_add_i32 s3, s3, s4
	s_load_b128 s[4:7], s[0:1], 0x1a0
	s_mul_hi_u32 s3, s2, s3
	s_delay_alu instid0(SALU_CYCLE_1) | instskip(SKIP_2) | instid1(SALU_CYCLE_1)
	s_mul_i32 s8, s3, s17
	s_add_i32 s9, s3, 1
	s_sub_i32 s8, s2, s8
	s_sub_i32 s10, s8, s17
	s_cmp_ge_u32 s8, s17
	s_cselect_b32 s3, s9, s3
	s_cselect_b32 s8, s10, s8
	s_add_i32 s9, s3, 1
	s_cmp_ge_u32 s8, s17
	s_cselect_b32 s18, s9, s3
	s_delay_alu instid0(SALU_CYCLE_1) | instskip(NEXT) | instid1(SALU_CYCLE_1)
	s_mul_i32 s28, s18, s17
	s_sub_i32 s36, s2, s28
	s_delay_alu instid0(SALU_CYCLE_1) | instskip(NEXT) | instid1(SALU_CYCLE_1)
	s_add_i32 s2, s36, 1
	s_cmp_lt_u32 s2, s17
	s_cbranch_scc1 .LBB167_3
; %bb.2:
	s_mul_i32 s2, s36, s33
	s_waitcnt lgkmcnt(0)
	s_sub_u32 s2, s4, s2
	s_subb_u32 s3, s5, 0
	s_add_u32 s2, s2, 0xff
	s_addc_u32 s3, s3, 0
	s_delay_alu instid0(SALU_CYCLE_1) | instskip(NEXT) | instid1(SALU_CYCLE_1)
	s_ashr_i32 s8, s3, 31
	s_lshr_b32 s8, s8, 24
	s_delay_alu instid0(SALU_CYCLE_1) | instskip(SKIP_1) | instid1(SALU_CYCLE_1)
	s_add_u32 s2, s2, s8
	s_addc_u32 s3, s3, 0
	v_alignbit_b32 v1, s3, s2, 8
	s_delay_alu instid0(VALU_DEP_1)
	v_readfirstlane_b32 s16, v1
.LBB167_3:
	s_load_b128 s[8:11], s[0:1], 0x518
	s_lshl_b64 s[2:3], s[18:19], 1
	v_mov_b32_e32 v1, 0
	s_waitcnt lgkmcnt(0)
	s_add_u32 s2, s8, s2
	s_addc_u32 s3, s9, s3
	global_load_u16 v8, v1, s[2:3]
	s_clause 0x3
	s_load_b64 s[20:21], s[0:1], 0x0
	s_load_b64 s[26:27], s[0:1], 0xd0
	;; [unrolled: 1-line block ×4, first 2 shown]
	v_cmp_ne_u32_e64 s2, 0, v0
	v_cmp_eq_u32_e64 s3, 0, v0
	s_delay_alu instid0(VALU_DEP_1)
	s_and_saveexec_b32 s19, s3
	s_cbranch_execz .LBB167_19
; %bb.4:
	s_load_b64 s[8:9], s[0:1], 0x528
	s_mov_b32 s29, 0
	s_mov_b32 s37, 0
	s_lshl_b64 s[30:31], s[28:29], 2
	s_mov_b32 s28, 0
	s_add_u32 s12, s10, s30
	s_addc_u32 s13, s11, s31
	s_waitcnt lgkmcnt(0)
	s_add_u32 s14, s8, s30
	s_addc_u32 s15, s9, s31
	s_cmp_lt_u32 s17, 4
	s_cbranch_scc1 .LBB167_16
; %bb.5:
	s_mov_b32 s38, 0
.LBB167_6:                              ; =>This Inner Loop Header: Depth=1
	s_add_u32 s12, s10, s30
	s_addc_u32 s13, s11, s31
	s_add_u32 s34, s8, s30
	s_load_b128 s[12:15], s[12:13], 0x0
	s_addc_u32 s35, s9, s31
	s_cmp_ge_u32 s38, s36
	s_cbranch_scc0 .LBB167_13
; %bb.7:                                ;   in Loop: Header=BB167_6 Depth=1
	s_add_i32 s39, s38, 1
	s_delay_alu instid0(SALU_CYCLE_1)
	s_cmp_ge_u32 s39, s36
	s_cbranch_scc0 .LBB167_14
.LBB167_8:                              ;   in Loop: Header=BB167_6 Depth=1
	s_add_i32 s39, s39, 1
	s_delay_alu instid0(SALU_CYCLE_1)
	s_cmp_ge_u32 s39, s36
	s_cbranch_scc0 .LBB167_15
.LBB167_9:                              ;   in Loop: Header=BB167_6 Depth=1
	s_add_i32 s39, s39, 1
	s_delay_alu instid0(SALU_CYCLE_1)
	s_cmp_ge_u32 s39, s36
	s_cbranch_scc1 .LBB167_11
.LBB167_10:                             ;   in Loop: Header=BB167_6 Depth=1
	s_load_b32 s34, s[34:35], 0xc
	s_waitcnt lgkmcnt(0)
	s_add_i32 s29, s29, s15
	s_add_i32 s28, s34, s28
.LBB167_11:                             ;   in Loop: Header=BB167_6 Depth=1
	s_waitcnt lgkmcnt(0)
	s_add_i32 s12, s12, s37
	s_delay_alu instid0(SALU_CYCLE_1) | instskip(NEXT) | instid1(SALU_CYCLE_1)
	s_add_i32 s12, s12, s13
	s_add_i32 s12, s12, s14
	s_delay_alu instid0(SALU_CYCLE_1)
	s_add_i32 s37, s12, s15
	s_add_u32 s10, s10, 16
	s_addc_u32 s11, s11, 0
	s_add_u32 s8, s8, 16
	s_addc_u32 s9, s9, 0
	s_add_i32 s35, s39, 4
	s_add_u32 s14, s8, s30
	s_addc_u32 s15, s9, s31
	s_add_u32 s12, s10, s30
	s_addc_u32 s13, s11, s31
	s_add_i32 s34, s39, 1
	s_cmp_ge_u32 s35, s17
	s_cbranch_scc1 .LBB167_17
; %bb.12:                               ;   in Loop: Header=BB167_6 Depth=1
	s_mov_b32 s38, s34
	s_branch .LBB167_6
.LBB167_13:                             ;   in Loop: Header=BB167_6 Depth=1
	s_load_b32 s39, s[34:35], 0x0
	s_waitcnt lgkmcnt(0)
	s_add_i32 s29, s12, s29
	s_add_i32 s28, s39, s28
	s_add_i32 s39, s38, 1
	s_delay_alu instid0(SALU_CYCLE_1)
	s_cmp_ge_u32 s39, s36
	s_cbranch_scc1 .LBB167_8
.LBB167_14:                             ;   in Loop: Header=BB167_6 Depth=1
	s_load_b32 s40, s[34:35], 0x4
	s_waitcnt lgkmcnt(0)
	s_add_i32 s29, s29, s13
	s_add_i32 s28, s40, s28
	;; [unrolled: 1-line block ×3, first 2 shown]
	s_delay_alu instid0(SALU_CYCLE_1)
	s_cmp_ge_u32 s39, s36
	s_cbranch_scc1 .LBB167_9
.LBB167_15:                             ;   in Loop: Header=BB167_6 Depth=1
	s_load_b32 s40, s[34:35], 0x8
	s_waitcnt lgkmcnt(0)
	s_add_i32 s29, s29, s14
	s_add_i32 s28, s40, s28
	;; [unrolled: 1-line block ×3, first 2 shown]
	s_delay_alu instid0(SALU_CYCLE_1)
	s_cmp_ge_u32 s39, s36
	s_cbranch_scc0 .LBB167_10
	s_branch .LBB167_11
.LBB167_16:
	s_mov_b32 s8, 0
	s_delay_alu instid0(SALU_CYCLE_1)
	s_cmp_ge_u32 s8, s17
	s_cbranch_scc0 .LBB167_40
	s_branch .LBB167_18
.LBB167_17:
	s_add_i32 s8, s38, 4
	s_delay_alu instid0(SALU_CYCLE_1)
	s_cmp_ge_u32 s8, s17
	s_cbranch_scc0 .LBB167_40
.LBB167_18:
	v_dual_mov_b32 v1, s28 :: v_dual_mov_b32 v2, s37
	v_dual_mov_b32 v3, s29 :: v_dual_mov_b32 v4, 0
	ds_store_b96 v4, v[1:3] offset:1056
.LBB167_19:
	s_or_b32 exec_lo, exec_lo, s19
	s_clause 0x1
	s_load_b128 s[8:11], s[0:1], 0x1b8
	s_load_b128 s[12:15], s[0:1], 0x360
	s_cmp_eq_u32 s16, 0
	s_waitcnt vmcnt(0) lgkmcnt(0)
	s_barrier
	buffer_gl0_inv
	s_cbranch_scc1 .LBB167_42
; %bb.20:
	v_mov_b32_e32 v5, 0
	v_bfe_i32 v4, v8, 0, 16
	s_mul_i32 s17, s27, s18
	s_mul_hi_u32 s19, s26, s18
	s_mul_i32 s26, s26, s18
	s_add_i32 s27, s19, s17
	v_add_nc_u32_e32 v9, 0x8000, v4
	v_add_nc_u32_e32 v4, -1, v0
	ds_load_b96 v[1:3], v5 offset:1056
	s_mul_i32 s17, s25, s18
	s_mul_hi_u32 s19, s24, s18
	s_lshl_b64 s[26:27], s[26:27], 1
	s_add_i32 s25, s19, s17
	s_mul_i32 s17, s23, s18
	s_mul_hi_u32 s19, s22, s18
	s_mul_i32 s24, s24, s18
	s_add_i32 s23, s19, s17
	s_add_u32 s17, s20, s26
	s_addc_u32 s19, s21, s27
	s_lshl_b64 s[20:21], s[24:25], 1
	s_mul_i32 s22, s22, s18
	s_add_u32 s18, s10, s20
	s_addc_u32 s20, s11, s21
	s_load_b32 s21, s[0:1], 0x1b0
	s_lshl_b64 s[10:11], s[22:23], 3
	v_lshlrev_b32_e32 v12, 3, v0
	s_add_u32 s14, s14, s10
	s_addc_u32 s15, s15, s11
	s_load_b64 s[10:11], s[0:1], 0x508
	s_waitcnt lgkmcnt(0)
	v_add_nc_u32_e32 v1, v1, v2
	v_lshrrev_b32_e32 v2, 5, v0
	v_lshrrev_b32_e32 v13, 2, v0
	;; [unrolled: 1-line block ×3, first 2 shown]
	v_mbcnt_lo_u32_b32 v10, -1, 0
	v_mad_u64_u32 v[6:7], null, s36, s33, v[0:1]
	v_add_lshl_u32 v11, v2, v0, 2
	v_cmp_gt_u32_e64 s0, 32, v0
	v_add_lshl_u32 v0, v13, v12, 2
	v_add_lshl_u32 v12, v14, v4, 2
	v_and_b32_e32 v13, 15, v10
	v_bfe_i32 v14, v10, 4, 1
	v_dual_mov_b32 v4, v6 :: v_dual_add_nc_u32 v15, -1, v10
	s_bitcmp1_b32 s21, 0
                                        ; implicit-def: $vgpr16
	s_cselect_b32 s1, -1, 0
	s_branch .LBB167_23
.LBB167_21:                             ;   in Loop: Header=BB167_23 Depth=1
	s_or_b32 exec_lo, exec_lo, s21
	v_add_nc_u32_e32 v1, v2, v1
.LBB167_22:                             ;   in Loop: Header=BB167_23 Depth=1
	v_add_nc_u32_e32 v3, v17, v3
	v_add_nc_u32_e32 v4, 0x100, v4
	s_add_i32 s16, s16, -1
	s_delay_alu instid0(SALU_CYCLE_1)
	s_cmp_lg_u32 s16, 0
	s_cbranch_scc0 .LBB167_42
.LBB167_23:                             ; =>This Inner Loop Header: Depth=1
	v_mov_b32_e32 v2, v5
	v_mov_b32_e32 v6, v5
	s_mov_b32 s21, exec_lo
	v_cmpx_gt_u64_e64 s[4:5], v[4:5]
	s_cbranch_execz .LBB167_25
; %bb.24:                               ;   in Loop: Header=BB167_23 Depth=1
	v_mad_u64_u32 v[6:7], null, v4, s8, 0
	s_delay_alu instid0(VALU_DEP_1) | instskip(NEXT) | instid1(VALU_DEP_1)
	v_mov_b32_e32 v2, v7
	v_mad_u64_u32 v[16:17], null, v4, s9, v[2:3]
	s_delay_alu instid0(VALU_DEP_1) | instskip(NEXT) | instid1(VALU_DEP_1)
	v_mov_b32_e32 v7, v16
	v_lshlrev_b64 v[6:7], 1, v[6:7]
	s_delay_alu instid0(VALU_DEP_1) | instskip(NEXT) | instid1(VALU_DEP_2)
	v_add_co_u32 v6, vcc_lo, s17, v6
	v_add_co_ci_u32_e32 v7, vcc_lo, s19, v7, vcc_lo
	global_load_u16 v16, v[6:7], off
	s_waitcnt vmcnt(0)
	v_bfe_i32 v2, v16, 0, 16
	s_delay_alu instid0(VALU_DEP_1) | instskip(NEXT) | instid1(VALU_DEP_1)
	v_add_nc_u32_e32 v2, 0x8000, v2
	v_cmp_gt_u32_e32 vcc_lo, v2, v9
	v_cndmask_b32_e64 v6, 0, 1, vcc_lo
	v_cmp_lt_u32_e32 vcc_lo, v2, v9
	v_cndmask_b32_e64 v2, 0, 1, vcc_lo
	v_cmp_eq_u16_e32 vcc_lo, v16, v8
	s_delay_alu instid0(VALU_DEP_2) | instskip(SKIP_1) | instid1(VALU_DEP_2)
	v_cndmask_b32_e64 v2, v2, v6, s1
	v_cndmask_b32_e64 v6, 0, 1, vcc_lo
	v_and_b32_e32 v2, 1, v2
.LBB167_25:                             ;   in Loop: Header=BB167_23 Depth=1
	s_or_b32 exec_lo, exec_lo, s21
	ds_store_b32 v11, v2
	s_waitcnt lgkmcnt(0)
	s_waitcnt_vscnt null, 0x0
	s_barrier
	buffer_gl0_inv
	s_and_saveexec_b32 s21, s0
	s_cbranch_execz .LBB167_27
; %bb.26:                               ;   in Loop: Header=BB167_23 Depth=1
	ds_load_2addr_b32 v[17:18], v0 offset1:1
	ds_load_2addr_b32 v[19:20], v0 offset0:2 offset1:3
	ds_load_2addr_b32 v[21:22], v0 offset0:4 offset1:5
	;; [unrolled: 1-line block ×3, first 2 shown]
	v_cmp_ne_u32_e32 vcc_lo, 0, v13
	; wave barrier
	s_waitcnt lgkmcnt(3)
	v_add_nc_u32_e32 v7, v18, v17
	s_waitcnt lgkmcnt(2)
	s_delay_alu instid0(VALU_DEP_1) | instskip(SKIP_1) | instid1(VALU_DEP_1)
	v_add3_u32 v7, v7, v19, v20
	s_waitcnt lgkmcnt(1)
	v_add3_u32 v7, v7, v21, v22
	s_waitcnt lgkmcnt(0)
	s_delay_alu instid0(VALU_DEP_1) | instskip(NEXT) | instid1(VALU_DEP_1)
	v_add3_u32 v7, v7, v23, v24
	v_mov_b32_dpp v18, v7 row_shr:1 row_mask:0xf bank_mask:0xf
	s_delay_alu instid0(VALU_DEP_1) | instskip(SKIP_1) | instid1(VALU_DEP_2)
	v_cndmask_b32_e32 v18, 0, v18, vcc_lo
	v_cmp_lt_u32_e32 vcc_lo, 1, v13
	v_add_nc_u32_e32 v7, v18, v7
	s_delay_alu instid0(VALU_DEP_1) | instskip(NEXT) | instid1(VALU_DEP_1)
	v_mov_b32_dpp v18, v7 row_shr:2 row_mask:0xf bank_mask:0xf
	v_cndmask_b32_e32 v18, 0, v18, vcc_lo
	v_cmp_lt_u32_e32 vcc_lo, 3, v13
	s_delay_alu instid0(VALU_DEP_2) | instskip(NEXT) | instid1(VALU_DEP_1)
	v_add_nc_u32_e32 v7, v7, v18
	v_mov_b32_dpp v18, v7 row_shr:4 row_mask:0xf bank_mask:0xf
	s_delay_alu instid0(VALU_DEP_1) | instskip(SKIP_1) | instid1(VALU_DEP_2)
	v_cndmask_b32_e32 v18, 0, v18, vcc_lo
	v_cmp_lt_u32_e32 vcc_lo, 7, v13
	v_add_nc_u32_e32 v7, v7, v18
	s_delay_alu instid0(VALU_DEP_1) | instskip(NEXT) | instid1(VALU_DEP_1)
	v_mov_b32_dpp v18, v7 row_shr:8 row_mask:0xf bank_mask:0xf
	v_cndmask_b32_e32 v18, 0, v18, vcc_lo
	v_cmp_gt_i32_e32 vcc_lo, 0, v15
	s_delay_alu instid0(VALU_DEP_2)
	v_add_nc_u32_e32 v7, v7, v18
	v_cndmask_b32_e32 v19, v15, v10, vcc_lo
	ds_swizzle_b32 v18, v7 offset:swizzle(BROADCAST,32,15)
	v_lshlrev_b32_e32 v19, 2, v19
	s_waitcnt lgkmcnt(0)
	v_and_b32_e32 v18, v14, v18
	s_delay_alu instid0(VALU_DEP_1) | instskip(SKIP_3) | instid1(VALU_DEP_1)
	v_add_nc_u32_e32 v7, v7, v18
	ds_bpermute_b32 v7, v19, v7
	s_waitcnt lgkmcnt(0)
	v_add_nc_u32_e32 v7, v7, v17
	v_cndmask_b32_e64 v7, v7, v2, s3
	ds_store_b32 v0, v7
	; wave barrier
	ds_load_2addr_b32 v[17:18], v0 offset0:1 offset1:2
	ds_load_2addr_b32 v[19:20], v0 offset0:3 offset1:4
	ds_load_2addr_b32 v[21:22], v0 offset0:5 offset1:6
	ds_load_b32 v23, v0 offset:28
	s_waitcnt lgkmcnt(3)
	v_add_nc_u32_e32 v7, v17, v7
	s_delay_alu instid0(VALU_DEP_1) | instskip(SKIP_1) | instid1(VALU_DEP_1)
	v_add_nc_u32_e32 v17, v18, v7
	s_waitcnt lgkmcnt(2)
	v_add_nc_u32_e32 v18, v19, v17
	s_delay_alu instid0(VALU_DEP_1) | instskip(SKIP_1) | instid1(VALU_DEP_1)
	v_add_nc_u32_e32 v19, v20, v18
	;; [unrolled: 4-line block ×3, first 2 shown]
	s_waitcnt lgkmcnt(0)
	v_add_nc_u32_e32 v22, v23, v21
	ds_store_2addr_b32 v0, v7, v17 offset0:1 offset1:2
	ds_store_2addr_b32 v0, v18, v19 offset0:3 offset1:4
	ds_store_2addr_b32 v0, v20, v21 offset0:5 offset1:6
	ds_store_b32 v0, v22 offset:28
.LBB167_27:                             ;   in Loop: Header=BB167_23 Depth=1
	s_or_b32 exec_lo, exec_lo, s21
	v_mov_b32_e32 v7, 0
	s_waitcnt lgkmcnt(0)
	s_barrier
	buffer_gl0_inv
	s_and_saveexec_b32 s21, s2
	s_cbranch_execz .LBB167_29
; %bb.28:                               ;   in Loop: Header=BB167_23 Depth=1
	ds_load_b32 v7, v12
.LBB167_29:                             ;   in Loop: Header=BB167_23 Depth=1
	s_or_b32 exec_lo, exec_lo, s21
	ds_load_b32 v17, v5 offset:1048
	s_mov_b32 s21, exec_lo
	s_waitcnt lgkmcnt(0)
	s_barrier
	buffer_gl0_inv
	v_cmpx_ne_u32_e32 0, v2
	s_cbranch_execz .LBB167_31
; %bb.30:                               ;   in Loop: Header=BB167_23 Depth=1
	v_add_nc_u32_e32 v24, v7, v3
	s_delay_alu instid0(VALU_DEP_1) | instskip(NEXT) | instid1(VALU_DEP_1)
	v_mad_u64_u32 v[20:21], null, v24, s10, 0
	v_mov_b32_e32 v7, v21
	v_mad_u64_u32 v[18:19], null, v24, s12, 0
	s_delay_alu instid0(VALU_DEP_1) | instskip(NEXT) | instid1(VALU_DEP_1)
	v_mov_b32_e32 v2, v19
	v_mad_u64_u32 v[21:22], null, v24, s13, v[2:3]
	s_delay_alu instid0(VALU_DEP_4) | instskip(NEXT) | instid1(VALU_DEP_2)
	v_mad_u64_u32 v[22:23], null, v24, s11, v[7:8]
	v_mov_b32_e32 v19, v21
	s_delay_alu instid0(VALU_DEP_2) | instskip(NEXT) | instid1(VALU_DEP_2)
	v_mov_b32_e32 v21, v22
	v_lshlrev_b64 v[18:19], 1, v[18:19]
	s_delay_alu instid0(VALU_DEP_2) | instskip(NEXT) | instid1(VALU_DEP_2)
	v_lshlrev_b64 v[20:21], 3, v[20:21]
	v_add_co_u32 v18, vcc_lo, s18, v18
	s_delay_alu instid0(VALU_DEP_3) | instskip(NEXT) | instid1(VALU_DEP_3)
	v_add_co_ci_u32_e32 v19, vcc_lo, s20, v19, vcc_lo
	v_add_co_u32 v20, vcc_lo, s14, v20
	s_delay_alu instid0(VALU_DEP_4)
	v_add_co_ci_u32_e32 v21, vcc_lo, s15, v21, vcc_lo
	global_store_b16 v[18:19], v16, off
	global_store_b64 v[20:21], v[4:5], off
.LBB167_31:                             ;   in Loop: Header=BB167_23 Depth=1
	s_or_b32 exec_lo, exec_lo, s21
	v_mov_b32_e32 v2, v5
	s_delay_alu instid0(VALU_DEP_1)
	v_cmp_le_u64_e32 vcc_lo, s[6:7], v[1:2]
	s_cbranch_vccnz .LBB167_22
; %bb.32:                               ;   in Loop: Header=BB167_23 Depth=1
	ds_store_b32 v11, v6
	s_waitcnt lgkmcnt(0)
	s_waitcnt_vscnt null, 0x0
	s_barrier
	buffer_gl0_inv
	s_and_saveexec_b32 s21, s0
	s_cbranch_execz .LBB167_34
; %bb.33:                               ;   in Loop: Header=BB167_23 Depth=1
	ds_load_2addr_b32 v[18:19], v0 offset1:1
	ds_load_2addr_b32 v[20:21], v0 offset0:2 offset1:3
	ds_load_2addr_b32 v[22:23], v0 offset0:4 offset1:5
	;; [unrolled: 1-line block ×3, first 2 shown]
	v_cmp_ne_u32_e32 vcc_lo, 0, v13
	; wave barrier
	s_waitcnt lgkmcnt(3)
	v_add_nc_u32_e32 v2, v19, v18
	s_waitcnt lgkmcnt(2)
	s_delay_alu instid0(VALU_DEP_1) | instskip(SKIP_1) | instid1(VALU_DEP_1)
	v_add3_u32 v2, v2, v20, v21
	s_waitcnt lgkmcnt(1)
	v_add3_u32 v2, v2, v22, v23
	s_waitcnt lgkmcnt(0)
	s_delay_alu instid0(VALU_DEP_1) | instskip(NEXT) | instid1(VALU_DEP_1)
	v_add3_u32 v2, v2, v24, v25
	v_mov_b32_dpp v7, v2 row_shr:1 row_mask:0xf bank_mask:0xf
	s_delay_alu instid0(VALU_DEP_1) | instskip(SKIP_1) | instid1(VALU_DEP_2)
	v_cndmask_b32_e32 v7, 0, v7, vcc_lo
	v_cmp_lt_u32_e32 vcc_lo, 1, v13
	v_add_nc_u32_e32 v2, v7, v2
	s_delay_alu instid0(VALU_DEP_1) | instskip(NEXT) | instid1(VALU_DEP_1)
	v_mov_b32_dpp v7, v2 row_shr:2 row_mask:0xf bank_mask:0xf
	v_cndmask_b32_e32 v7, 0, v7, vcc_lo
	v_cmp_lt_u32_e32 vcc_lo, 3, v13
	s_delay_alu instid0(VALU_DEP_2) | instskip(NEXT) | instid1(VALU_DEP_1)
	v_add_nc_u32_e32 v2, v2, v7
	v_mov_b32_dpp v7, v2 row_shr:4 row_mask:0xf bank_mask:0xf
	s_delay_alu instid0(VALU_DEP_1) | instskip(SKIP_1) | instid1(VALU_DEP_2)
	v_cndmask_b32_e32 v7, 0, v7, vcc_lo
	v_cmp_lt_u32_e32 vcc_lo, 7, v13
	v_add_nc_u32_e32 v2, v2, v7
	s_delay_alu instid0(VALU_DEP_1) | instskip(NEXT) | instid1(VALU_DEP_1)
	v_mov_b32_dpp v7, v2 row_shr:8 row_mask:0xf bank_mask:0xf
	v_cndmask_b32_e32 v7, 0, v7, vcc_lo
	v_cmp_gt_i32_e32 vcc_lo, 0, v15
	s_delay_alu instid0(VALU_DEP_2) | instskip(SKIP_4) | instid1(VALU_DEP_1)
	v_dual_cndmask_b32 v19, v15, v10 :: v_dual_add_nc_u32 v2, v2, v7
	ds_swizzle_b32 v7, v2 offset:swizzle(BROADCAST,32,15)
	v_lshlrev_b32_e32 v19, 2, v19
	s_waitcnt lgkmcnt(0)
	v_and_b32_e32 v7, v14, v7
	v_add_nc_u32_e32 v2, v2, v7
	ds_bpermute_b32 v2, v19, v2
	s_waitcnt lgkmcnt(0)
	v_add_nc_u32_e32 v2, v2, v18
	s_delay_alu instid0(VALU_DEP_1)
	v_cndmask_b32_e64 v2, v2, v6, s3
	ds_store_b32 v0, v2
	; wave barrier
	ds_load_2addr_b32 v[18:19], v0 offset0:1 offset1:2
	ds_load_2addr_b32 v[20:21], v0 offset0:3 offset1:4
	;; [unrolled: 1-line block ×3, first 2 shown]
	ds_load_b32 v7, v0 offset:28
	s_waitcnt lgkmcnt(3)
	v_add_nc_u32_e32 v2, v18, v2
	s_delay_alu instid0(VALU_DEP_1) | instskip(SKIP_1) | instid1(VALU_DEP_1)
	v_add_nc_u32_e32 v18, v19, v2
	s_waitcnt lgkmcnt(2)
	v_add_nc_u32_e32 v19, v20, v18
	s_delay_alu instid0(VALU_DEP_1) | instskip(SKIP_1) | instid1(VALU_DEP_1)
	v_add_nc_u32_e32 v20, v21, v19
	s_waitcnt lgkmcnt(1)
	v_add_nc_u32_e32 v21, v22, v20
	s_delay_alu instid0(VALU_DEP_1) | instskip(SKIP_1) | instid1(VALU_DEP_1)
	v_add_nc_u32_e32 v22, v23, v21
	s_waitcnt lgkmcnt(0)
	v_add_nc_u32_e32 v7, v7, v22
	ds_store_2addr_b32 v0, v2, v18 offset0:1 offset1:2
	ds_store_2addr_b32 v0, v19, v20 offset0:3 offset1:4
	;; [unrolled: 1-line block ×3, first 2 shown]
	ds_store_b32 v0, v7 offset:28
.LBB167_34:                             ;   in Loop: Header=BB167_23 Depth=1
	s_or_b32 exec_lo, exec_lo, s21
	v_mov_b32_e32 v7, 0
	s_waitcnt lgkmcnt(0)
	s_barrier
	buffer_gl0_inv
	s_and_saveexec_b32 s21, s2
	s_cbranch_execz .LBB167_36
; %bb.35:                               ;   in Loop: Header=BB167_23 Depth=1
	ds_load_b32 v7, v12
.LBB167_36:                             ;   in Loop: Header=BB167_23 Depth=1
	s_or_b32 exec_lo, exec_lo, s21
	ds_load_b32 v2, v5 offset:1048
	s_mov_b32 s21, exec_lo
	s_waitcnt lgkmcnt(0)
	s_barrier
	buffer_gl0_inv
	v_cmpx_ne_u32_e32 0, v6
	s_cbranch_execz .LBB167_21
; %bb.37:                               ;   in Loop: Header=BB167_23 Depth=1
	v_dual_mov_b32 v7, v5 :: v_dual_add_nc_u32 v6, v7, v1
	s_delay_alu instid0(VALU_DEP_1)
	v_cmp_gt_u64_e32 vcc_lo, s[6:7], v[6:7]
	s_and_b32 exec_lo, exec_lo, vcc_lo
	s_cbranch_execz .LBB167_21
; %bb.38:                               ;   in Loop: Header=BB167_23 Depth=1
	v_mad_u64_u32 v[18:19], null, v6, s12, 0
	v_mad_u64_u32 v[20:21], null, v6, s10, 0
	s_delay_alu instid0(VALU_DEP_2) | instskip(NEXT) | instid1(VALU_DEP_2)
	v_mov_b32_e32 v7, v19
	v_mov_b32_e32 v19, v21
	s_delay_alu instid0(VALU_DEP_2) | instskip(NEXT) | instid1(VALU_DEP_2)
	v_mad_u64_u32 v[21:22], null, v6, s13, v[7:8]
	v_mad_u64_u32 v[22:23], null, v6, s11, v[19:20]
	s_delay_alu instid0(VALU_DEP_2) | instskip(NEXT) | instid1(VALU_DEP_2)
	v_mov_b32_e32 v19, v21
	v_mov_b32_e32 v21, v22
	s_delay_alu instid0(VALU_DEP_2) | instskip(NEXT) | instid1(VALU_DEP_2)
	v_lshlrev_b64 v[6:7], 1, v[18:19]
	v_lshlrev_b64 v[18:19], 3, v[20:21]
	s_delay_alu instid0(VALU_DEP_2) | instskip(NEXT) | instid1(VALU_DEP_3)
	v_add_co_u32 v6, vcc_lo, s18, v6
	v_add_co_ci_u32_e32 v7, vcc_lo, s20, v7, vcc_lo
	s_delay_alu instid0(VALU_DEP_3) | instskip(NEXT) | instid1(VALU_DEP_4)
	v_add_co_u32 v18, vcc_lo, s14, v18
	v_add_co_ci_u32_e32 v19, vcc_lo, s15, v19, vcc_lo
	global_store_b16 v[6:7], v16, off
	global_store_b64 v[18:19], v[4:5], off
	s_branch .LBB167_21
	.p2align	6
.LBB167_39:                             ;   in Loop: Header=BB167_40 Depth=1
	s_add_u32 s12, s12, 4
	s_addc_u32 s13, s13, 0
	s_waitcnt lgkmcnt(0)
	s_add_i32 s37, s9, s37
	s_add_u32 s14, s14, 4
	s_addc_u32 s15, s15, 0
	s_add_i32 s8, s8, 1
	s_delay_alu instid0(SALU_CYCLE_1)
	s_cmp_lt_u32 s8, s17
	s_cbranch_scc0 .LBB167_18
.LBB167_40:                             ; =>This Inner Loop Header: Depth=1
	s_load_b32 s9, s[12:13], 0x0
	s_cmp_ge_u32 s8, s36
	s_cbranch_scc1 .LBB167_39
; %bb.41:                               ;   in Loop: Header=BB167_40 Depth=1
	s_load_b32 s10, s[14:15], 0x0
	s_waitcnt lgkmcnt(0)
	s_add_i32 s29, s9, s29
	s_add_i32 s28, s10, s28
	s_branch .LBB167_39
.LBB167_42:
	s_nop 0
	s_sendmsg sendmsg(MSG_DEALLOC_VGPRS)
	s_endpgm
	.section	.rodata,"a",@progbits
	.p2align	6, 0x0
	.amdhsa_kernel _ZN2at6native6mbtopk10gatherTopKIsmLi1EEEvNS_4cuda6detail10TensorInfoIKT_T0_EES8_S8_bjS8_NS5_IS6_S8_EES8_NS5_IlS8_EES8_jjPS6_PjSD_j
		.amdhsa_group_segment_fixed_size 1068
		.amdhsa_private_segment_fixed_size 0
		.amdhsa_kernarg_size 1592
		.amdhsa_user_sgpr_count 13
		.amdhsa_user_sgpr_dispatch_ptr 0
		.amdhsa_user_sgpr_queue_ptr 0
		.amdhsa_user_sgpr_kernarg_segment_ptr 1
		.amdhsa_user_sgpr_dispatch_id 0
		.amdhsa_user_sgpr_private_segment_size 0
		.amdhsa_wavefront_size32 1
		.amdhsa_uses_dynamic_stack 0
		.amdhsa_enable_private_segment 0
		.amdhsa_system_sgpr_workgroup_id_x 1
		.amdhsa_system_sgpr_workgroup_id_y 1
		.amdhsa_system_sgpr_workgroup_id_z 1
		.amdhsa_system_sgpr_workgroup_info 0
		.amdhsa_system_vgpr_workitem_id 0
		.amdhsa_next_free_vgpr 26
		.amdhsa_next_free_sgpr 41
		.amdhsa_reserve_vcc 1
		.amdhsa_float_round_mode_32 0
		.amdhsa_float_round_mode_16_64 0
		.amdhsa_float_denorm_mode_32 3
		.amdhsa_float_denorm_mode_16_64 3
		.amdhsa_dx10_clamp 1
		.amdhsa_ieee_mode 1
		.amdhsa_fp16_overflow 0
		.amdhsa_workgroup_processor_mode 1
		.amdhsa_memory_ordered 1
		.amdhsa_forward_progress 0
		.amdhsa_shared_vgpr_count 0
		.amdhsa_exception_fp_ieee_invalid_op 0
		.amdhsa_exception_fp_denorm_src 0
		.amdhsa_exception_fp_ieee_div_zero 0
		.amdhsa_exception_fp_ieee_overflow 0
		.amdhsa_exception_fp_ieee_underflow 0
		.amdhsa_exception_fp_ieee_inexact 0
		.amdhsa_exception_int_div_zero 0
	.end_amdhsa_kernel
	.section	.text._ZN2at6native6mbtopk10gatherTopKIsmLi1EEEvNS_4cuda6detail10TensorInfoIKT_T0_EES8_S8_bjS8_NS5_IS6_S8_EES8_NS5_IlS8_EES8_jjPS6_PjSD_j,"axG",@progbits,_ZN2at6native6mbtopk10gatherTopKIsmLi1EEEvNS_4cuda6detail10TensorInfoIKT_T0_EES8_S8_bjS8_NS5_IS6_S8_EES8_NS5_IlS8_EES8_jjPS6_PjSD_j,comdat
.Lfunc_end167:
	.size	_ZN2at6native6mbtopk10gatherTopKIsmLi1EEEvNS_4cuda6detail10TensorInfoIKT_T0_EES8_S8_bjS8_NS5_IS6_S8_EES8_NS5_IlS8_EES8_jjPS6_PjSD_j, .Lfunc_end167-_ZN2at6native6mbtopk10gatherTopKIsmLi1EEEvNS_4cuda6detail10TensorInfoIKT_T0_EES8_S8_bjS8_NS5_IS6_S8_EES8_NS5_IlS8_EES8_jjPS6_PjSD_j
                                        ; -- End function
	.section	.AMDGPU.csdata,"",@progbits
; Kernel info:
; codeLenInByte = 2672
; NumSgprs: 43
; NumVgprs: 26
; ScratchSize: 0
; MemoryBound: 0
; FloatMode: 240
; IeeeMode: 1
; LDSByteSize: 1068 bytes/workgroup (compile time only)
; SGPRBlocks: 5
; VGPRBlocks: 3
; NumSGPRsForWavesPerEU: 43
; NumVGPRsForWavesPerEU: 26
; Occupancy: 16
; WaveLimiterHint : 1
; COMPUTE_PGM_RSRC2:SCRATCH_EN: 0
; COMPUTE_PGM_RSRC2:USER_SGPR: 13
; COMPUTE_PGM_RSRC2:TRAP_HANDLER: 0
; COMPUTE_PGM_RSRC2:TGID_X_EN: 1
; COMPUTE_PGM_RSRC2:TGID_Y_EN: 1
; COMPUTE_PGM_RSRC2:TGID_Z_EN: 1
; COMPUTE_PGM_RSRC2:TIDIG_COMP_CNT: 0
	.section	.text._ZN2at6native6sbtopk10gatherTopKIsmLi1ELb0EEEvNS_4cuda6detail10TensorInfoIKT_T0_EES8_S8_bS8_S8_NS5_IS6_S8_EES8_NS5_IlS8_EES8_PS6_,"axG",@progbits,_ZN2at6native6sbtopk10gatherTopKIsmLi1ELb0EEEvNS_4cuda6detail10TensorInfoIKT_T0_EES8_S8_bS8_S8_NS5_IS6_S8_EES8_NS5_IlS8_EES8_PS6_,comdat
	.protected	_ZN2at6native6sbtopk10gatherTopKIsmLi1ELb0EEEvNS_4cuda6detail10TensorInfoIKT_T0_EES8_S8_bS8_S8_NS5_IS6_S8_EES8_NS5_IlS8_EES8_PS6_ ; -- Begin function _ZN2at6native6sbtopk10gatherTopKIsmLi1ELb0EEEvNS_4cuda6detail10TensorInfoIKT_T0_EES8_S8_bS8_S8_NS5_IS6_S8_EES8_NS5_IlS8_EES8_PS6_
	.globl	_ZN2at6native6sbtopk10gatherTopKIsmLi1ELb0EEEvNS_4cuda6detail10TensorInfoIKT_T0_EES8_S8_bS8_S8_NS5_IS6_S8_EES8_NS5_IlS8_EES8_PS6_
	.p2align	8
	.type	_ZN2at6native6sbtopk10gatherTopKIsmLi1ELb0EEEvNS_4cuda6detail10TensorInfoIKT_T0_EES8_S8_bS8_S8_NS5_IS6_S8_EES8_NS5_IlS8_EES8_PS6_,@function
_ZN2at6native6sbtopk10gatherTopKIsmLi1ELb0EEEvNS_4cuda6detail10TensorInfoIKT_T0_EES8_S8_bS8_S8_NS5_IS6_S8_EES8_NS5_IlS8_EES8_PS6_: ; @_ZN2at6native6sbtopk10gatherTopKIsmLi1ELb0EEEvNS_4cuda6detail10TensorInfoIKT_T0_EES8_S8_bS8_S8_NS5_IS6_S8_EES8_NS5_IlS8_EES8_PS6_
; %bb.0:
	s_clause 0x1
	s_load_b64 s[10:11], s[0:1], 0x520
	s_load_b128 s[36:39], s[0:1], 0x1b8
	s_add_u32 s8, s0, 0x520
	s_addc_u32 s9, s1, 0
	s_mov_b32 s43, 0
	s_waitcnt lgkmcnt(0)
	s_mul_i32 s2, s11, s15
	s_delay_alu instid0(SALU_CYCLE_1) | instskip(NEXT) | instid1(SALU_CYCLE_1)
	s_add_i32 s2, s2, s14
	s_mul_i32 s2, s2, s10
	s_delay_alu instid0(SALU_CYCLE_1) | instskip(NEXT) | instid1(SALU_CYCLE_1)
	s_add_i32 s42, s2, s13
	v_cmp_ge_u64_e64 s2, s[42:43], s[36:37]
	s_delay_alu instid0(VALU_DEP_1)
	s_and_b32 vcc_lo, exec_lo, s2
	s_cbranch_vccnz .LBB168_535
; %bb.1:
	s_clause 0x1
	s_load_b64 s[46:47], s[0:1], 0x440
	s_load_b64 s[2:3], s[0:1], 0x370
                                        ; implicit-def: $vgpr44 : SGPR spill to VGPR lane
	v_cmp_eq_u32_e64 s5, 0, v0
	s_waitcnt lgkmcnt(0)
	v_writelane_b32 v44, s2, 0
	v_writelane_b32 v44, s3, 1
	s_clause 0x4
	s_load_b64 s[50:51], s[0:1], 0x298
	s_load_b128 s[28:31], s[0:1], 0x1a0
	s_load_b64 s[48:49], s[0:1], 0x1c8
	s_load_b64 s[2:3], s[0:1], 0xd0
	;; [unrolled: 1-line block ×3, first 2 shown]
	s_and_saveexec_b32 s4, s5
	s_cbranch_execz .LBB168_3
; %bb.2:
	s_waitcnt lgkmcnt(0)
	v_dual_mov_b32 v1, 0 :: v_dual_mov_b32 v4, s29
	s_delay_alu instid0(VALU_DEP_1)
	v_dual_mov_b32 v3, s28 :: v_dual_mov_b32 v2, v1
	ds_store_b32 v1, v1 offset:5144
	ds_store_b128 v1, v[1:4] offset:5120
.LBB168_3:
	s_or_b32 exec_lo, exec_lo, s4
	v_mad_u64_u32 v[2:3], null, v0, s38, 0
	s_load_b32 s6, s[0:1], 0x1b0
	s_waitcnt lgkmcnt(0)
	s_mul_i32 s3, s3, s42
	s_mul_hi_u32 s4, s2, s42
	v_mbcnt_lo_u32_b32 v30, -1, 0
	s_mul_i32 s2, s2, s42
	s_add_i32 s3, s4, s3
	v_dual_mov_b32 v1, v3 :: v_dual_lshlrev_b32 v14, 2, v0
	s_lshl_b64 s[40:41], s[2:3], 1
	v_cmp_gt_u32_e32 vcc_lo, 32, v0
	v_cmp_gt_i32_e64 s3, 4, v30
	s_delay_alu instid0(VALU_DEP_3)
	v_mad_u64_u32 v[3:4], null, v0, s39, v[1:2]
	s_add_u32 s54, s36, s40
	s_addc_u32 s55, s37, s41
	s_barrier
	buffer_gl0_inv
	s_load_b32 s7, s[8:9], 0xc
	v_lshlrev_b64 v[4:5], 1, v[2:3]
	s_bitcmp1_b32 s6, 0
	v_cmp_lt_u64_e64 s43, 0x600, s[28:29]
	s_cselect_b32 s4, -1, 0
	s_and_b32 s74, vcc_lo, s3
	s_xor_b32 s75, s4, -1
	v_add_co_u32 v10, vcc_lo, s54, v4
	v_lshrrev_b32_e32 v4, 3, v0
	v_mov_b32_e32 v13, 0
	v_add_co_ci_u32_e32 v11, vcc_lo, s55, v5, vcc_lo
	v_lshlrev_b32_e32 v34, 3, v0
	s_delay_alu instid0(VALU_DEP_3) | instskip(SKIP_2) | instid1(VALU_DEP_4)
	v_dual_mov_b32 v1, v13 :: v_dual_and_b32 v32, 0x7c, v4
	v_lshlrev_b64 v[4:5], v30, -1
	v_mov_b32_e32 v23, s30
	v_or_b32_e32 v9, 6, v34
	v_or_b32_e32 v12, 4, v34
	;; [unrolled: 1-line block ×3, first 2 shown]
	s_waitcnt lgkmcnt(0)
	s_and_b32 s33, s7, 0xffff
	v_not_b32_e32 v29, v4
	v_mad_u64_u32 v[16:17], null, s38, v9, 0
	v_mad_u64_u32 v[18:19], null, s38, v12, 0
	v_lshlrev_b32_e32 v31, 1, v0
	v_mad_u64_u32 v[20:21], null, s38, v22, 0
	s_bfe_u32 s11, s7, 0xb0005
	s_delay_alu instid0(VALU_DEP_4) | instskip(NEXT) | instid1(VALU_DEP_4)
	v_mov_b32_e32 v4, v17
	v_dual_mov_b32 v38, 0 :: v_dual_mov_b32 v5, v19
	s_add_u32 s76, s33, -1
	s_addc_u32 s77, 0, -1
	s_delay_alu instid0(VALU_DEP_3) | instskip(NEXT) | instid1(VALU_DEP_2)
	v_dual_mov_b32 v6, v21 :: v_dual_add_nc_u32 v33, 0xc00, v31
	v_mad_u64_u32 v[7:8], null, s39, v9, v[4:5]
	s_add_u32 s78, s76, s28
	s_addc_u32 s27, s77, s29
	s_cmp_lt_u32 s13, s10
	v_mad_u64_u32 v[8:9], null, s39, v12, v[5:6]
	s_cselect_b32 s10, 12, 18
	s_delay_alu instid0(VALU_DEP_2)
	v_mad_u64_u32 v[4:5], null, s39, v22, v[6:7]
	s_add_u32 s56, s8, s10
	s_addc_u32 s57, s9, 0
	s_add_i32 s8, s11, -1
	s_bfe_u32 s79, s33, 0x30005
	s_cmp_gt_u32 s8, 6
	v_cmp_gt_u64_e64 s3, s[28:29], v[0:1]
	s_cselect_b32 s80, -1, 0
	s_and_b32 s81, s11, 0x7f8
	s_cmp_lg_u32 s79, 0
	v_cmp_gt_u16_e64 s82, s7, 31
	v_lshlrev_b64 v[21:22], 3, v[2:3]
	s_mul_i32 s7, s39, s33
	s_mul_hi_u32 s8, s38, s33
	v_cmp_eq_u32_e64 s2, 0, v30
	v_dual_mov_b32 v15, v13 :: v_dual_mov_b32 v24, s31
	v_cmp_gt_u32_e64 s6, 2, v0
	v_mov_b32_e32 v17, v7
	v_mov_b32_e32 v19, v8
	v_mov_b32_e32 v35, v4
	v_lshl_or_b32 v36, v30, 3, 0xc00
	v_mov_b32_e32 v39, 0
	v_mov_b32_e32 v37, 0
	s_cselect_b32 s83, -1, 0
	s_add_i32 s9, s8, s7
	s_mul_i32 s8, s38, s33
	s_mov_b32 s53, 0
	s_lshl_b64 s[58:59], s[38:39], 1
	s_lshl_b64 s[60:61], s[38:39], 3
	s_lshl_b32 s84, s33, 1
	s_lshl_b64 s[34:35], s[8:9], 1
	s_mov_b32 s91, 14
	s_mov_b32 s85, 0
	;; [unrolled: 1-line block ×3, first 2 shown]
                                        ; implicit-def: $sgpr86
                                        ; implicit-def: $sgpr90
                                        ; implicit-def: $sgpr89
                                        ; implicit-def: $sgpr92
                                        ; implicit-def: $sgpr88
                                        ; implicit-def: $sgpr93
                                        ; implicit-def: $sgpr95
                                        ; implicit-def: $sgpr94
                                        ; implicit-def: $sgpr96
                                        ; implicit-def: $sgpr97
	s_branch .LBB168_6
.LBB168_4:                              ;   in Loop: Header=BB168_6 Depth=1
	s_or_b32 exec_lo, exec_lo, s10
	v_dual_mov_b32 v37, v26 :: v_dual_mov_b32 v38, v25
	v_dual_mov_b32 v24, v3 :: v_dual_mov_b32 v23, v2
	v_mov_b32_e32 v39, v27
	s_and_not1_b32 s10, s97, exec_lo
	s_and_b32 s9, s9, exec_lo
	s_and_not1_b32 s96, s96, exec_lo
	s_or_b32 s97, s10, s9
	s_and_not1_b32 s94, s94, exec_lo
	s_and_not1_b32 s95, s95, exec_lo
	;; [unrolled: 1-line block ×3, first 2 shown]
	s_or_not1_b32 s8, s8, exec_lo
.LBB168_5:                              ;   in Loop: Header=BB168_6 Depth=1
	s_or_b32 exec_lo, exec_lo, s7
	s_delay_alu instid0(SALU_CYCLE_1) | instskip(NEXT) | instid1(SALU_CYCLE_1)
	s_and_b32 s7, exec_lo, s8
	s_or_b32 s85, s7, s85
	s_and_not1_b32 s7, s88, exec_lo
	s_and_b32 s8, s97, exec_lo
	s_and_not1_b32 s9, s92, exec_lo
	s_or_b32 s88, s7, s8
	s_and_b32 s7, s96, exec_lo
	s_and_not1_b32 s8, s89, exec_lo
	s_and_b32 s10, s94, exec_lo
	s_or_b32 s92, s9, s7
	s_or_b32 s89, s8, s10
	s_and_not1_b32 s7, s90, exec_lo
	s_and_b32 s8, s95, exec_lo
	s_and_not1_b32 s9, s86, exec_lo
	s_and_b32 s10, s93, exec_lo
	s_or_b32 s90, s7, s8
	s_or_b32 s86, s9, s10
	s_and_not1_b32 exec_lo, exec_lo, s85
	s_cbranch_execz .LBB168_475
.LBB168_6:                              ; =>This Loop Header: Depth=1
                                        ;     Child Loop BB168_11 Depth 2
                                        ;     Child Loop BB168_29 Depth 2
	;; [unrolled: 1-line block ×24, first 2 shown]
	ds_load_b128 v[2:5], v13 offset:5120
	s_waitcnt lgkmcnt(0)
	v_readfirstlane_b32 s63, v3
	v_readfirstlane_b32 s62, v2
	s_delay_alu instid0(VALU_DEP_1)
	s_cmp_lg_u64 s[62:63], 0
	s_cbranch_scc1 .LBB168_36
; %bb.7:                                ;   in Loop: Header=BB168_6 Depth=1
	s_and_b32 vcc_lo, exec_lo, s43
	s_cbranch_vccz .LBB168_19
; %bb.8:                                ;   in Loop: Header=BB168_6 Depth=1
	v_cmp_gt_u64_e32 vcc_lo, 0x601, v[4:5]
	s_mov_b32 s9, 0
	s_mov_b32 s7, 0
	s_cbranch_vccz .LBB168_20
; %bb.9:                                ;   in Loop: Header=BB168_6 Depth=1
	global_load_u16 v6, v13, s[56:57]
	global_load_u16 v7, v[10:11], off
	s_mov_b32 s11, 0
	s_waitcnt vmcnt(1)
	v_readfirstlane_b32 s7, v6
	v_and_b32_e32 v6, 0xffff, v6
	s_delay_alu instid0(VALU_DEP_2) | instskip(NEXT) | instid1(SALU_CYCLE_1)
	s_and_b32 s7, 0xffff, s7
	v_add_nc_u32_e32 v8, s7, v0
	s_mul_i32 s8, s59, s7
	s_mul_hi_u32 s10, s58, s7
	s_mul_i32 s12, s58, s7
	s_add_i32 s10, s10, s8
	v_mad_u64_u32 v[2:3], null, s58, v8, s[54:55]
	s_delay_alu instid0(VALU_DEP_1) | instskip(NEXT) | instid1(VALU_DEP_1)
	v_mad_u64_u32 v[4:5], null, s59, v8, v[3:4]
	v_mov_b32_e32 v3, v4
	v_dual_mov_b32 v5, v1 :: v_dual_mov_b32 v4, v0
	s_branch .LBB168_11
.LBB168_10:                             ;   in Loop: Header=BB168_11 Depth=2
	s_or_b32 exec_lo, exec_lo, s8
	v_add_co_u32 v2, vcc_lo, v2, s12
	v_add_co_ci_u32_e32 v3, vcc_lo, s10, v3, vcc_lo
	v_mov_b32_e32 v7, v8
	s_and_not1_b32 exec_lo, exec_lo, s11
	s_cbranch_execz .LBB168_21
.LBB168_11:                             ;   Parent Loop BB168_6 Depth=1
                                        ; =>  This Inner Loop Header: Depth=2
	s_delay_alu instid0(VALU_DEP_1) | instskip(NEXT) | instid1(VALU_DEP_2)
	v_add_co_u32 v4, vcc_lo, v4, v6
	v_add_co_ci_u32_e32 v5, vcc_lo, 0, v5, vcc_lo
	s_waitcnt lgkmcnt(0)
	v_dual_mov_b32 v9, 0 :: v_dual_mov_b32 v8, 0
	s_mov_b32 s8, exec_lo
	s_delay_alu instid0(VALU_DEP_2)
	v_cmp_le_u64_e32 vcc_lo, s[28:29], v[4:5]
	v_cmpx_gt_u64_e64 s[28:29], v[4:5]
	s_cbranch_execz .LBB168_13
; %bb.12:                               ;   in Loop: Header=BB168_11 Depth=2
	global_load_u16 v8, v[2:3], off
.LBB168_13:                             ;   in Loop: Header=BB168_11 Depth=2
	s_or_b32 exec_lo, exec_lo, s8
	s_waitcnt vmcnt(0)
	v_bfe_i32 v12, v7, 0, 16
	s_delay_alu instid0(VALU_DEP_1) | instskip(NEXT) | instid1(VALU_DEP_1)
	v_add_nc_u32_e32 v12, 0x8000, v12
	v_and_b32_e32 v12, v12, v37
	s_delay_alu instid0(VALU_DEP_1) | instskip(NEXT) | instid1(VALU_DEP_1)
	v_cmp_eq_u32_e64 s7, v12, v38
	s_cmp_lg_u32 s7, 0
	s_cselect_b32 s8, -1, 0
	s_delay_alu instid0(SALU_CYCLE_1) | instskip(NEXT) | instid1(SALU_CYCLE_1)
	s_and_b32 s8, s2, s8
	s_and_saveexec_b32 s13, s8
	s_cbranch_execz .LBB168_17
; %bb.14:                               ;   in Loop: Header=BB168_11 Depth=2
	s_mov_b32 s16, exec_lo
	s_bcnt1_i32_b32 s14, s7
	v_mbcnt_lo_u32_b32 v9, s16, 0
	s_mov_b32 s15, exec_lo
                                        ; implicit-def: $vgpr12
	s_delay_alu instid0(VALU_DEP_1)
	v_cmpx_eq_u32_e32 0, v9
	s_cbranch_execz .LBB168_16
; %bb.15:                               ;   in Loop: Header=BB168_11 Depth=2
	s_bcnt1_i32_b32 s8, s16
	s_delay_alu instid0(SALU_CYCLE_1) | instskip(NEXT) | instid1(SALU_CYCLE_1)
	s_mul_i32 s8, s14, s8
	v_mov_b32_e32 v12, s8
	ds_add_rtn_u32 v12, v13, v12 offset:5144
.LBB168_16:                             ;   in Loop: Header=BB168_11 Depth=2
	s_or_b32 exec_lo, exec_lo, s15
	s_waitcnt lgkmcnt(0)
	v_readfirstlane_b32 s8, v12
	s_delay_alu instid0(VALU_DEP_1)
	v_mad_u32_u24 v9, s14, v9, s8
.LBB168_17:                             ;   in Loop: Header=BB168_11 Depth=2
	s_or_b32 exec_lo, exec_lo, s13
	ds_bpermute_b32 v9, v13, v9
	s_and_b32 s8, exec_lo, vcc_lo
	s_delay_alu instid0(SALU_CYCLE_1)
	s_or_b32 s11, s8, s11
	s_and_saveexec_b32 s8, s7
	s_cbranch_execz .LBB168_10
; %bb.18:                               ;   in Loop: Header=BB168_11 Depth=2
	v_and_b32_e32 v12, s7, v29
	s_delay_alu instid0(VALU_DEP_1) | instskip(NEXT) | instid1(VALU_DEP_1)
	v_bcnt_u32_b32 v12, v12, 0
	v_lshlrev_b32_e32 v12, 1, v12
	s_waitcnt lgkmcnt(0)
	s_delay_alu instid0(VALU_DEP_1)
	v_lshl_add_u32 v9, v9, 1, v12
	ds_store_b16 v9, v7
	s_branch .LBB168_10
.LBB168_19:                             ;   in Loop: Header=BB168_6 Depth=1
	s_mov_b32 s7, 0
                                        ; implicit-def: $sgpr62_sgpr63
	s_cbranch_execnz .LBB168_24
	s_branch .LBB168_34
.LBB168_20:                             ;   in Loop: Header=BB168_6 Depth=1
	s_mov_b64 s[62:63], 0
	s_and_b32 vcc_lo, exec_lo, s9
	s_cbranch_vccnz .LBB168_24
	s_branch .LBB168_34
.LBB168_21:                             ;   in Loop: Header=BB168_6 Depth=1
	s_or_b32 exec_lo, exec_lo, s11
	s_waitcnt lgkmcnt(0)
	s_barrier
	buffer_gl0_inv
	s_and_saveexec_b32 s7, s5
	s_cbranch_execz .LBB168_23
; %bb.22:                               ;   in Loop: Header=BB168_6 Depth=1
	ds_load_b32 v2, v13 offset:5144
	s_waitcnt lgkmcnt(0)
	v_ashrrev_i32_e32 v3, 31, v2
	ds_store_b64 v13, v[2:3] offset:5120
.LBB168_23:                             ;   in Loop: Header=BB168_6 Depth=1
	s_or_b32 exec_lo, exec_lo, s7
	s_waitcnt lgkmcnt(0)
	s_mov_b32 s7, -1
	s_barrier
	s_mov_b64 s[62:63], 0
	s_and_b32 vcc_lo, exec_lo, s9
	s_cbranch_vccz .LBB168_34
.LBB168_24:                             ;   in Loop: Header=BB168_6 Depth=1
	v_mov_b32_e32 v6, 0
	s_and_saveexec_b32 s7, s3
	s_cbranch_execz .LBB168_26
; %bb.25:                               ;   in Loop: Header=BB168_6 Depth=1
	global_load_u16 v6, v[10:11], off
.LBB168_26:                             ;   in Loop: Header=BB168_6 Depth=1
	s_or_b32 exec_lo, exec_lo, s7
	s_and_saveexec_b32 s8, s3
	s_cbranch_execz .LBB168_31
; %bb.27:                               ;   in Loop: Header=BB168_6 Depth=1
	global_load_u16 v8, v13, s[56:57]
	s_mov_b32 s12, 0
	s_waitcnt vmcnt(0)
	v_readfirstlane_b32 s7, v8
	v_and_b32_e32 v8, 0xffff, v8
	s_delay_alu instid0(VALU_DEP_2) | instskip(NEXT) | instid1(SALU_CYCLE_1)
	s_and_b32 s7, 0xffff, s7
	v_add_nc_u32_e32 v7, s7, v0
	s_mul_i32 s10, s59, s7
	s_mul_hi_u32 s11, s58, s7
	s_lshl_b32 s9, s7, 1
	s_add_i32 s10, s11, s10
	v_mad_u64_u32 v[2:3], null, s58, v7, s[54:55]
	s_mul_i32 s11, s58, s7
	s_delay_alu instid0(VALU_DEP_1) | instskip(SKIP_1) | instid1(VALU_DEP_2)
	v_mad_u64_u32 v[4:5], null, s59, v7, v[3:4]
	v_mov_b32_e32 v7, v31
	v_mov_b32_e32 v3, v4
	v_dual_mov_b32 v5, v1 :: v_dual_mov_b32 v4, v0
	s_branch .LBB168_29
	.p2align	6
.LBB168_28:                             ;   in Loop: Header=BB168_29 Depth=2
	s_or_b32 exec_lo, exec_lo, s13
	s_delay_alu instid0(SALU_CYCLE_1)
	s_and_b32 s7, exec_lo, vcc_lo
	v_add_co_u32 v2, vcc_lo, v2, s11
	ds_store_b16 v7, v6
	s_waitcnt vmcnt(0)
	v_dual_mov_b32 v6, v9 :: v_dual_add_nc_u32 v7, s9, v7
	v_add_co_ci_u32_e32 v3, vcc_lo, s10, v3, vcc_lo
	s_or_b32 s12, s7, s12
	s_delay_alu instid0(SALU_CYCLE_1)
	s_and_not1_b32 exec_lo, exec_lo, s12
	s_cbranch_execz .LBB168_31
.LBB168_29:                             ;   Parent Loop BB168_6 Depth=1
                                        ; =>  This Inner Loop Header: Depth=2
	s_delay_alu instid0(VALU_DEP_1) | instskip(NEXT) | instid1(VALU_DEP_2)
	v_add_co_u32 v4, vcc_lo, v4, v8
	v_add_co_ci_u32_e32 v5, vcc_lo, 0, v5, vcc_lo
	v_mov_b32_e32 v9, 0
	s_mov_b32 s13, exec_lo
	s_delay_alu instid0(VALU_DEP_2)
	v_cmp_le_u64_e32 vcc_lo, s[28:29], v[4:5]
	v_cmpx_gt_u64_e64 s[28:29], v[4:5]
	s_cbranch_execz .LBB168_28
; %bb.30:                               ;   in Loop: Header=BB168_29 Depth=2
	global_load_u16 v9, v[2:3], off
	s_branch .LBB168_28
.LBB168_31:                             ;   in Loop: Header=BB168_6 Depth=1
	s_or_b32 exec_lo, exec_lo, s8
	s_waitcnt vmcnt(0) lgkmcnt(0)
	s_barrier
	buffer_gl0_inv
	s_and_saveexec_b32 s7, s5
	s_cbranch_execz .LBB168_33
; %bb.32:                               ;   in Loop: Header=BB168_6 Depth=1
	v_dual_mov_b32 v2, s28 :: v_dual_mov_b32 v3, s29
	ds_store_b64 v13, v[2:3] offset:5120
.LBB168_33:                             ;   in Loop: Header=BB168_6 Depth=1
	s_or_b32 exec_lo, exec_lo, s7
	s_mov_b32 s7, -1
	s_waitcnt lgkmcnt(0)
	s_barrier
                                        ; implicit-def: $sgpr62_sgpr63
.LBB168_34:                             ;   in Loop: Header=BB168_6 Depth=1
	s_and_b32 vcc_lo, exec_lo, s7
	s_cbranch_vccz .LBB168_36
; %bb.35:                               ;   in Loop: Header=BB168_6 Depth=1
	buffer_gl0_inv
	ds_load_b64 v[2:3], v13 offset:5120
	s_waitcnt lgkmcnt(0)
	v_readfirstlane_b32 s62, v2
.LBB168_36:                             ;   in Loop: Header=BB168_6 Depth=1
	s_delay_alu instid0(VALU_DEP_1)
	s_cmp_lt_i32 s62, 1
	s_cbranch_scc0 .LBB168_51
; %bb.37:                               ;   in Loop: Header=BB168_6 Depth=1
	global_load_u16 v2, v13, s[56:57]
	s_mov_b32 s8, s53
	s_mov_b32 s9, s29
	s_waitcnt vmcnt(0)
	v_readfirstlane_b32 s7, v2
	s_delay_alu instid0(VALU_DEP_1) | instskip(NEXT) | instid1(SALU_CYCLE_1)
	s_and_b32 s52, s7, 0xffff
	s_lshl_b32 s63, s52, 2
	s_cmp_lg_u64 s[8:9], 0
	s_cbranch_scc0 .LBB168_71
; %bb.38:                               ;   in Loop: Header=BB168_6 Depth=1
	v_cvt_f32_u32_e32 v2, s63
	s_sub_u32 s9, 0, s63
	s_subb_u32 s10, 0, 0
	s_delay_alu instid0(VALU_DEP_1) | instskip(NEXT) | instid1(VALU_DEP_1)
	v_fmac_f32_e64 v2, 0, 0x4f800000
	v_rcp_f32_e32 v2, v2
	s_waitcnt_depctr 0xfff
	v_mul_f32_e32 v2, 0x5f7ffffc, v2
	s_delay_alu instid0(VALU_DEP_1) | instskip(NEXT) | instid1(VALU_DEP_1)
	v_mul_f32_e32 v3, 0x2f800000, v2
	v_trunc_f32_e32 v3, v3
	s_delay_alu instid0(VALU_DEP_1) | instskip(SKIP_1) | instid1(VALU_DEP_2)
	v_fmac_f32_e32 v2, 0xcf800000, v3
	v_cvt_u32_f32_e32 v3, v3
	v_cvt_u32_f32_e32 v2, v2
	s_delay_alu instid0(VALU_DEP_2) | instskip(NEXT) | instid1(VALU_DEP_2)
	v_readfirstlane_b32 s7, v3
	v_readfirstlane_b32 s8, v2
	s_delay_alu instid0(VALU_DEP_2) | instskip(NEXT) | instid1(VALU_DEP_1)
	s_mul_i32 s11, s9, s7
	s_mul_hi_u32 s13, s9, s8
	s_mul_i32 s12, s10, s8
	s_add_i32 s11, s13, s11
	s_mul_i32 s14, s9, s8
	s_add_i32 s11, s11, s12
	s_mul_hi_u32 s13, s8, s14
	s_mul_hi_u32 s15, s7, s14
	s_mul_i32 s12, s7, s14
	s_mul_hi_u32 s14, s8, s11
	s_mul_i32 s8, s8, s11
	s_mul_hi_u32 s16, s7, s11
	s_add_u32 s8, s13, s8
	s_addc_u32 s13, 0, s14
	s_add_u32 s8, s8, s12
	s_mul_i32 s11, s7, s11
	s_addc_u32 s8, s13, s15
	s_addc_u32 s12, s16, 0
	s_add_u32 s8, s8, s11
	s_addc_u32 s11, 0, s12
	v_add_co_u32 v2, s8, v2, s8
	s_delay_alu instid0(VALU_DEP_1) | instskip(SKIP_1) | instid1(VALU_DEP_1)
	s_cmp_lg_u32 s8, 0
	s_addc_u32 s7, s7, s11
	v_readfirstlane_b32 s8, v2
	s_mul_i32 s11, s9, s7
	s_delay_alu instid0(VALU_DEP_1)
	s_mul_hi_u32 s12, s9, s8
	s_mul_i32 s10, s10, s8
	s_add_i32 s11, s12, s11
	s_mul_i32 s9, s9, s8
	s_add_i32 s11, s11, s10
	s_mul_hi_u32 s12, s7, s9
	s_mul_i32 s13, s7, s9
	s_mul_hi_u32 s9, s8, s9
	s_mul_hi_u32 s14, s8, s11
	s_mul_i32 s8, s8, s11
	s_mul_hi_u32 s10, s7, s11
	s_add_u32 s8, s9, s8
	s_addc_u32 s9, 0, s14
	s_add_u32 s8, s8, s13
	s_mul_i32 s11, s7, s11
	s_addc_u32 s8, s9, s12
	s_addc_u32 s9, s10, 0
	s_add_u32 s8, s8, s11
	s_addc_u32 s9, 0, s9
	v_add_co_u32 v2, s8, v2, s8
	s_delay_alu instid0(VALU_DEP_1) | instskip(SKIP_1) | instid1(VALU_DEP_1)
	s_cmp_lg_u32 s8, 0
	s_addc_u32 s7, s7, s9
	v_readfirstlane_b32 s8, v2
	s_mul_i32 s10, s28, s7
	s_mul_hi_u32 s9, s28, s7
	s_mul_hi_u32 s11, s29, s7
	s_mul_i32 s7, s29, s7
	s_mul_hi_u32 s12, s28, s8
	s_mul_hi_u32 s13, s29, s8
	s_mul_i32 s8, s29, s8
	s_add_u32 s10, s12, s10
	s_addc_u32 s9, 0, s9
	s_add_u32 s8, s10, s8
	s_addc_u32 s8, s9, s13
	s_addc_u32 s9, s11, 0
	s_add_u32 s7, s8, s7
	s_addc_u32 s8, 0, s9
	s_mul_hi_u32 s9, s63, s7
	s_mul_i32 s7, s63, s7
	s_mul_i32 s8, s63, s8
	v_sub_co_u32 v2, s7, s28, s7
	s_add_i32 s9, s9, s8
	s_cmp_lg_u32 s7, 0
	s_delay_alu instid0(VALU_DEP_1) | instskip(SKIP_2) | instid1(VALU_DEP_1)
	v_sub_co_u32 v3, s7, v2, s63
	s_subb_u32 s8, s29, s9
	s_cmp_lg_u32 s7, 0
	v_cmp_le_u32_e32 vcc_lo, s63, v3
	v_sub_co_u32 v4, s7, v3, s63
	s_subb_u32 s9, s8, 0
	s_cmp_lg_u32 s7, 0
	v_cndmask_b32_e64 v5, 0, -1, vcc_lo
	s_subb_u32 s7, s9, 0
	s_cmp_eq_u32 s9, 0
	v_mov_b32_e32 v7, s7
	s_cselect_b32 vcc_lo, -1, 0
	s_cmp_eq_u32 s8, 0
	v_cndmask_b32_e32 v5, -1, v5, vcc_lo
	v_cmp_le_u32_e32 vcc_lo, s63, v2
	s_cselect_b32 s7, -1, 0
	v_cndmask_b32_e64 v6, 0, -1, vcc_lo
	s_delay_alu instid0(VALU_DEP_3) | instskip(NEXT) | instid1(VALU_DEP_2)
	v_cmp_ne_u32_e32 vcc_lo, 0, v5
	v_cndmask_b32_e64 v5, -1, v6, s7
	v_cndmask_b32_e32 v6, s9, v7, vcc_lo
	v_cndmask_b32_e32 v4, v3, v4, vcc_lo
	s_delay_alu instid0(VALU_DEP_3) | instskip(NEXT) | instid1(VALU_DEP_3)
	v_cmp_ne_u32_e32 vcc_lo, 0, v5
	v_cndmask_b32_e32 v3, s8, v6, vcc_lo
	s_delay_alu instid0(VALU_DEP_3)
	v_cndmask_b32_e32 v2, v2, v4, vcc_lo
	s_cbranch_execnz .LBB168_40
.LBB168_39:                             ;   in Loop: Header=BB168_6 Depth=1
	v_cvt_f32_u32_e32 v2, s63
	s_sub_i32 s7, 0, s63
	s_delay_alu instid0(VALU_DEP_1) | instskip(SKIP_2) | instid1(VALU_DEP_1)
	v_rcp_iflag_f32_e32 v2, v2
	s_waitcnt_depctr 0xfff
	v_mul_f32_e32 v2, 0x4f7ffffe, v2
	v_cvt_u32_f32_e32 v2, v2
	s_delay_alu instid0(VALU_DEP_1) | instskip(NEXT) | instid1(VALU_DEP_1)
	v_mul_lo_u32 v3, s7, v2
	v_mul_hi_u32 v3, v2, v3
	s_delay_alu instid0(VALU_DEP_1) | instskip(NEXT) | instid1(VALU_DEP_1)
	v_add_nc_u32_e32 v2, v2, v3
	v_mul_hi_u32 v2, s28, v2
	s_delay_alu instid0(VALU_DEP_1) | instskip(NEXT) | instid1(VALU_DEP_1)
	v_mul_lo_u32 v2, v2, s63
	v_sub_nc_u32_e32 v2, s28, v2
	s_delay_alu instid0(VALU_DEP_1) | instskip(SKIP_1) | instid1(VALU_DEP_2)
	v_subrev_nc_u32_e32 v3, s63, v2
	v_cmp_le_u32_e32 vcc_lo, s63, v2
	v_cndmask_b32_e32 v2, v2, v3, vcc_lo
	s_delay_alu instid0(VALU_DEP_1) | instskip(SKIP_1) | instid1(VALU_DEP_2)
	v_subrev_nc_u32_e32 v3, s63, v2
	v_cmp_le_u32_e32 vcc_lo, s63, v2
	v_cndmask_b32_e32 v12, v2, v3, vcc_lo
	s_delay_alu instid0(VALU_DEP_1)
	v_dual_mov_b32 v2, v12 :: v_dual_mov_b32 v3, v13
.LBB168_40:                             ;   in Loop: Header=BB168_6 Depth=1
	s_delay_alu instid0(VALU_DEP_1) | instskip(NEXT) | instid1(VALU_DEP_2)
	v_sub_co_u32 v25, vcc_lo, s28, v2
	v_sub_co_ci_u32_e32 v26, vcc_lo, s29, v3, vcc_lo
	v_mov_b32_e32 v2, 0
	v_mov_b32_e32 v3, 0
	s_mov_b64 s[64:65], 0
	s_mov_b32 s98, exec_lo
	s_delay_alu instid0(VALU_DEP_1)
	v_dual_mov_b32 v5, v3 :: v_dual_mov_b32 v4, v2
	v_dual_mov_b32 v7, v3 :: v_dual_mov_b32 v6, v2
	;; [unrolled: 1-line block ×3, first 2 shown]
	v_cmpx_gt_u64_e64 v[25:26], v[14:15]
	s_cbranch_execz .LBB168_44
; %bb.41:                               ;   in Loop: Header=BB168_6 Depth=1
	v_dual_mov_b32 v28, v15 :: v_dual_mov_b32 v27, v14
	s_mul_i32 s7, s61, s52
	s_mul_hi_u32 s8, s60, s52
	s_and_b32 s99, s91, 0xfe
	s_add_i32 s100, s8, s7
	s_mul_i32 s101, s60, s52
	s_mov_b32 s102, 0
	s_mov_b64 s[66:67], s[54:55]
	s_mov_b64 s[68:69], 0
	;; [unrolled: 1-line block ×4, first 2 shown]
.LBB168_42:                             ;   Parent Loop BB168_6 Depth=1
                                        ; =>  This Inner Loop Header: Depth=2
	v_add_co_u32 v2, vcc_lo, s66, v21
	v_add_co_ci_u32_e32 v3, vcc_lo, s67, v22, vcc_lo
	v_add_co_u32 v4, vcc_lo, s66, v20
	v_add_co_ci_u32_e32 v5, vcc_lo, s67, v35, vcc_lo
	;; [unrolled: 2-line block ×4, first 2 shown]
	s_clause 0x3
	global_load_i16 v2, v[2:3], off
	global_load_i16 v3, v[4:5], off
	;; [unrolled: 1-line block ×4, first 2 shown]
	v_add_co_u32 v27, vcc_lo, v27, s63
	v_add_co_ci_u32_e32 v28, vcc_lo, 0, v28, vcc_lo
	s_delay_alu instid0(VALU_DEP_1)
	v_cmp_ge_u64_e32 vcc_lo, v[27:28], v[25:26]
	s_waitcnt vmcnt(3)
	v_add_nc_u32_e32 v2, 0x8000, v2
	s_waitcnt vmcnt(2)
	v_add_nc_u32_e32 v3, 0x8000, v3
	;; [unrolled: 2-line block ×4, first 2 shown]
	v_and_b32_e32 v6, v2, v37
	v_bfe_u32 v2, v2, s99, 2
	v_and_b32_e32 v7, v3, v37
	v_bfe_u32 v3, v3, s99, 2
	;; [unrolled: 2-line block ×3, first 2 shown]
	v_cmp_eq_u32_e64 s7, v6, v38
	v_cmp_eq_u32_e64 s11, 0, v2
	v_and_b32_e32 v9, v5, v37
	v_bfe_u32 v5, v5, s99, 2
	v_cmp_eq_u32_e64 s8, v7, v38
	v_cmp_eq_u32_e64 s12, 0, v3
	;; [unrolled: 1-line block ×4, first 2 shown]
	s_and_b32 s11, s7, s11
	v_cmp_eq_u32_e64 s10, v9, v38
	v_cmp_eq_u32_e64 s14, 0, v5
	;; [unrolled: 1-line block ×5, first 2 shown]
	v_cndmask_b32_e64 v2, 0, 1, s11
	s_and_b32 s11, s8, s12
	v_cmp_eq_u32_e64 s16, 1, v3
	v_cmp_eq_u32_e64 s20, 2, v3
	v_cmp_eq_u32_e64 s24, 3, v3
	v_cndmask_b32_e64 v3, 0, 1, s11
	s_and_b32 s11, s9, s13
	v_cmp_eq_u32_e64 s17, 1, v4
	v_cmp_eq_u32_e64 s21, 2, v4
	v_cmp_eq_u32_e64 s25, 3, v4
	;; [unrolled: 5-line block ×3, first 2 shown]
	v_cndmask_b32_e64 v5, 0, 1, s11
	v_cmp_ne_u32_e64 s11, 0, v2
	v_cmp_ne_u32_e64 s12, 0, v3
	;; [unrolled: 1-line block ×3, first 2 shown]
	s_delay_alu instid0(VALU_DEP_4) | instskip(NEXT) | instid1(VALU_DEP_4)
	v_cmp_ne_u32_e64 s14, 0, v5
	s_bcnt1_i32_b32 s11, s11
	s_delay_alu instid0(VALU_DEP_3) | instskip(NEXT) | instid1(VALU_DEP_2)
	s_bcnt1_i32_b32 s12, s12
	s_bcnt1_i32_b32 s13, s13
	s_add_i32 s11, s12, s11
	s_bcnt1_i32_b32 s14, s14
	s_add_i32 s11, s11, s13
	s_delay_alu instid0(SALU_CYCLE_1) | instskip(NEXT) | instid1(SALU_CYCLE_1)
	s_add_i32 s11, s11, s14
	s_add_u32 s72, s72, s11
	s_addc_u32 s73, s73, 0
	s_and_b32 s11, s7, s15
	v_mov_b32_e32 v2, s72
	v_cndmask_b32_e64 v4, 0, 1, s11
	s_and_b32 s11, s8, s16
	v_mov_b32_e32 v3, s73
	v_cndmask_b32_e64 v5, 0, 1, s11
	s_and_b32 s11, s9, s17
	s_delay_alu instid0(SALU_CYCLE_1) | instskip(SKIP_1) | instid1(VALU_DEP_2)
	v_cndmask_b32_e64 v6, 0, 1, s11
	s_and_b32 s11, s10, s18
	v_cmp_ne_u32_e64 s12, 0, v5
	v_cndmask_b32_e64 v7, 0, 1, s11
	v_cmp_ne_u32_e64 s11, 0, v4
	v_cmp_ne_u32_e64 s13, 0, v6
	s_delay_alu instid0(VALU_DEP_4) | instskip(NEXT) | instid1(VALU_DEP_3)
	s_bcnt1_i32_b32 s12, s12
	v_cmp_ne_u32_e64 s14, 0, v7
	s_delay_alu instid0(VALU_DEP_3) | instskip(NEXT) | instid1(VALU_DEP_2)
	s_bcnt1_i32_b32 s11, s11
	s_bcnt1_i32_b32 s13, s13
	s_add_i32 s11, s12, s11
	s_delay_alu instid0(VALU_DEP_1) | instskip(SKIP_1) | instid1(SALU_CYCLE_1)
	s_bcnt1_i32_b32 s14, s14
	s_add_i32 s11, s11, s13
	s_add_i32 s11, s11, s14
	s_delay_alu instid0(SALU_CYCLE_1) | instskip(SKIP_2) | instid1(SALU_CYCLE_1)
	s_add_u32 s70, s70, s11
	s_addc_u32 s71, s71, 0
	s_and_b32 s11, s7, s19
	v_cndmask_b32_e64 v4, 0, 1, s11
	s_and_b32 s11, s8, s20
	s_delay_alu instid0(SALU_CYCLE_1) | instskip(SKIP_1) | instid1(SALU_CYCLE_1)
	v_cndmask_b32_e64 v5, 0, 1, s11
	s_and_b32 s11, s9, s21
	v_cndmask_b32_e64 v6, 0, 1, s11
	s_and_b32 s11, s10, s22
	s_delay_alu instid0(VALU_DEP_2) | instskip(SKIP_3) | instid1(VALU_DEP_4)
	v_cmp_ne_u32_e64 s12, 0, v5
	v_cndmask_b32_e64 v7, 0, 1, s11
	v_cmp_ne_u32_e64 s11, 0, v4
	v_cmp_ne_u32_e64 s13, 0, v6
	s_bcnt1_i32_b32 s12, s12
	s_delay_alu instid0(VALU_DEP_3) | instskip(NEXT) | instid1(VALU_DEP_3)
	v_cmp_ne_u32_e64 s14, 0, v7
	s_bcnt1_i32_b32 s11, s11
	s_delay_alu instid0(VALU_DEP_2) | instskip(SKIP_1) | instid1(VALU_DEP_1)
	s_bcnt1_i32_b32 s13, s13
	s_add_i32 s11, s12, s11
	s_bcnt1_i32_b32 s14, s14
	s_add_i32 s11, s11, s13
	s_delay_alu instid0(SALU_CYCLE_1) | instskip(NEXT) | instid1(SALU_CYCLE_1)
	s_add_i32 s11, s11, s14
	s_add_u32 s68, s68, s11
	s_addc_u32 s69, s69, 0
	s_and_b32 s7, s7, s23
	s_delay_alu instid0(SALU_CYCLE_1) | instskip(SKIP_1) | instid1(SALU_CYCLE_1)
	v_cndmask_b32_e64 v4, 0, 1, s7
	s_and_b32 s7, s8, s24
	v_cndmask_b32_e64 v5, 0, 1, s7
	s_and_b32 s7, s9, s25
	s_delay_alu instid0(SALU_CYCLE_1) | instskip(SKIP_1) | instid1(VALU_DEP_2)
	v_cndmask_b32_e64 v6, 0, 1, s7
	s_and_b32 s7, s10, s26
	v_cmp_ne_u32_e64 s8, 0, v5
	v_cndmask_b32_e64 v7, 0, 1, s7
	v_cmp_ne_u32_e64 s7, 0, v4
	v_cmp_ne_u32_e64 s9, 0, v6
	v_mov_b32_e32 v4, s70
	s_bcnt1_i32_b32 s8, s8
	v_cmp_ne_u32_e64 s10, 0, v7
	v_mov_b32_e32 v6, s68
	s_bcnt1_i32_b32 s7, s7
	s_bcnt1_i32_b32 s9, s9
	s_add_i32 s7, s8, s7
	s_bcnt1_i32_b32 s8, s10
	s_add_i32 s7, s7, s9
	v_mov_b32_e32 v5, s71
	s_add_i32 s7, s7, s8
	v_mov_b32_e32 v7, s69
	s_add_u32 s64, s64, s7
	s_addc_u32 s65, s65, 0
	s_delay_alu instid0(SALU_CYCLE_1) | instskip(SKIP_3) | instid1(SALU_CYCLE_1)
	v_dual_mov_b32 v8, s64 :: v_dual_mov_b32 v9, s65
	s_add_u32 s66, s66, s101
	s_addc_u32 s67, s67, s100
	s_or_b32 s102, vcc_lo, s102
	s_and_not1_b32 exec_lo, exec_lo, s102
	s_cbranch_execnz .LBB168_42
; %bb.43:                               ;   in Loop: Header=BB168_6 Depth=1
	s_or_b32 exec_lo, exec_lo, s102
.LBB168_44:                             ;   in Loop: Header=BB168_6 Depth=1
	s_delay_alu instid0(SALU_CYCLE_1) | instskip(SKIP_3) | instid1(VALU_DEP_2)
	s_or_b32 exec_lo, exec_lo, s98
	v_add_co_u32 v25, vcc_lo, v25, v0
	v_add_co_ci_u32_e32 v26, vcc_lo, 0, v26, vcc_lo
	v_mov_b32_e32 v27, 0
	v_cmp_gt_u64_e32 vcc_lo, s[28:29], v[25:26]
	s_and_saveexec_b32 s8, vcc_lo
	s_cbranch_execz .LBB168_46
; %bb.45:                               ;   in Loop: Header=BB168_6 Depth=1
	v_mul_lo_u32 v12, v26, s38
	v_mul_lo_u32 v40, v25, s39
	v_mad_u64_u32 v[27:28], null, v25, s38, 0
	s_delay_alu instid0(VALU_DEP_1) | instskip(NEXT) | instid1(VALU_DEP_1)
	v_add3_u32 v28, v28, v40, v12
	v_lshlrev_b64 v[27:28], 1, v[27:28]
	s_delay_alu instid0(VALU_DEP_1) | instskip(NEXT) | instid1(VALU_DEP_1)
	v_add_co_u32 v27, s7, s54, v27
	v_add_co_ci_u32_e64 v28, s7, s55, v28, s7
	global_load_u16 v27, v[27:28], off
.LBB168_46:                             ;   in Loop: Header=BB168_6 Depth=1
	s_or_b32 exec_lo, exec_lo, s8
	s_and_saveexec_b32 s11, vcc_lo
	s_cbranch_execz .LBB168_53
; %bb.47:                               ;   in Loop: Header=BB168_6 Depth=1
	s_and_b32 s13, s91, 0xfe
	s_mov_b32 s12, 0
	s_branch .LBB168_49
.LBB168_48:                             ;   in Loop: Header=BB168_49 Depth=2
	s_or_b32 exec_lo, exec_lo, s8
	s_waitcnt vmcnt(0)
	v_bfe_i32 v27, v27, 0, 16
	s_and_b32 s9, exec_lo, vcc_lo
	s_delay_alu instid0(SALU_CYCLE_1) | instskip(NEXT) | instid1(VALU_DEP_1)
	s_or_b32 s12, s9, s12
	v_add_nc_u32_e32 v27, 0x8000, v27
	s_delay_alu instid0(VALU_DEP_1) | instskip(SKIP_1) | instid1(VALU_DEP_2)
	v_and_b32_e32 v28, v27, v37
	v_bfe_u32 v27, v27, s13, 2
	v_cmp_eq_u32_e64 s7, v28, v38
	s_delay_alu instid0(VALU_DEP_2) | instskip(SKIP_2) | instid1(VALU_DEP_3)
	v_cmp_eq_u32_e64 s8, 0, v27
	v_cmp_eq_u32_e32 vcc_lo, 1, v27
	v_cmp_eq_u32_e64 s9, 2, v27
	s_and_b32 s8, s7, s8
	s_delay_alu instid0(SALU_CYCLE_1) | instskip(SKIP_4) | instid1(SALU_CYCLE_1)
	v_cndmask_b32_e64 v28, 0, 1, s8
	s_and_b32 s8, s7, vcc_lo
	v_cmp_eq_u32_e32 vcc_lo, 3, v27
	v_cndmask_b32_e64 v40, 0, 1, s8
	s_and_b32 s8, s7, s9
	v_cndmask_b32_e64 v41, 0, 1, s8
	v_cmp_ne_u32_e64 s8, 0, v28
	s_delay_alu instid0(VALU_DEP_3) | instskip(SKIP_1) | instid1(SALU_CYCLE_1)
	v_cmp_ne_u32_e64 s9, 0, v40
	s_and_b32 s7, s7, vcc_lo
	v_cndmask_b32_e64 v27, 0, 1, s7
	s_delay_alu instid0(VALU_DEP_3)
	s_bcnt1_i32_b32 s7, s8
	v_cmp_ne_u32_e64 s10, 0, v41
	v_add_co_u32 v2, vcc_lo, v2, s7
	s_bcnt1_i32_b32 s8, s9
	v_add_co_ci_u32_e32 v3, vcc_lo, 0, v3, vcc_lo
	v_add_co_u32 v4, vcc_lo, v4, s8
	v_add_co_ci_u32_e32 v5, vcc_lo, 0, v5, vcc_lo
	s_bcnt1_i32_b32 s9, s10
	v_cmp_ne_u32_e32 vcc_lo, 0, v27
	v_mov_b32_e32 v27, v12
	v_add_co_u32 v6, s7, v6, s9
	s_delay_alu instid0(VALU_DEP_1) | instskip(SKIP_1) | instid1(SALU_CYCLE_1)
	v_add_co_ci_u32_e64 v7, s7, 0, v7, s7
	s_bcnt1_i32_b32 s7, vcc_lo
	v_add_co_u32 v8, vcc_lo, v8, s7
	v_add_co_ci_u32_e32 v9, vcc_lo, 0, v9, vcc_lo
	s_and_not1_b32 exec_lo, exec_lo, s12
	s_cbranch_execz .LBB168_52
.LBB168_49:                             ;   Parent Loop BB168_6 Depth=1
                                        ; =>  This Inner Loop Header: Depth=2
	v_add_co_u32 v25, vcc_lo, v25, s52
	v_add_co_ci_u32_e32 v26, vcc_lo, 0, v26, vcc_lo
	v_mov_b32_e32 v12, 0
	s_mov_b32 s8, exec_lo
	s_delay_alu instid0(VALU_DEP_2)
	v_cmp_le_u64_e32 vcc_lo, s[28:29], v[25:26]
	v_cmpx_gt_u64_e64 s[28:29], v[25:26]
	s_cbranch_execz .LBB168_48
; %bb.50:                               ;   in Loop: Header=BB168_49 Depth=2
	v_mul_lo_u32 v12, v26, s38
	v_mul_lo_u32 v28, v25, s39
	v_mad_u64_u32 v[40:41], null, v25, s38, 0
	s_delay_alu instid0(VALU_DEP_1) | instskip(NEXT) | instid1(VALU_DEP_1)
	v_add3_u32 v41, v41, v28, v12
	v_lshlrev_b64 v[40:41], 1, v[40:41]
	s_delay_alu instid0(VALU_DEP_1) | instskip(NEXT) | instid1(VALU_DEP_1)
	v_add_co_u32 v40, s7, s54, v40
	v_add_co_ci_u32_e64 v41, s7, s55, v41, s7
	global_load_u16 v12, v[40:41], off
	s_branch .LBB168_48
.LBB168_51:                             ;   in Loop: Header=BB168_6 Depth=1
                                        ; implicit-def: $vgpr8_vgpr9
                                        ; implicit-def: $vgpr4_vgpr5
	s_cbranch_execnz .LBB168_54
	s_branch .LBB168_63
.LBB168_52:                             ;   in Loop: Header=BB168_6 Depth=1
	s_or_b32 exec_lo, exec_lo, s12
.LBB168_53:                             ;   in Loop: Header=BB168_6 Depth=1
	s_delay_alu instid0(SALU_CYCLE_1)
	s_or_b32 exec_lo, exec_lo, s11
	s_branch .LBB168_63
.LBB168_54:                             ;   in Loop: Header=BB168_6 Depth=1
	global_load_u16 v8, v13, s[56:57]
	s_mov_b64 s[64:65], 0
	s_mov_b32 s72, exec_lo
	s_waitcnt vmcnt(0)
	v_readfirstlane_b32 s7, v8
	v_and_b32_e32 v27, 0xffff, v8
	s_delay_alu instid0(VALU_DEP_2) | instskip(NEXT) | instid1(SALU_CYCLE_1)
	s_and_b32 s7, 0xffff, s7
	s_lshl_b32 s63, s7, 2
	s_delay_alu instid0(SALU_CYCLE_1) | instskip(SKIP_1) | instid1(VALU_DEP_1)
	v_cvt_f32_u32_e32 v2, s63
	s_sub_i32 s8, 0, s63
	v_rcp_iflag_f32_e32 v2, v2
	s_waitcnt_depctr 0xfff
	v_mul_f32_e32 v2, 0x4f7ffffe, v2
	s_delay_alu instid0(VALU_DEP_1) | instskip(NEXT) | instid1(VALU_DEP_1)
	v_cvt_u32_f32_e32 v2, v2
	v_readfirstlane_b32 s7, v2
	v_mov_b32_e32 v2, 0
	v_mov_b32_e32 v3, 0
	s_delay_alu instid0(VALU_DEP_3) | instskip(NEXT) | instid1(VALU_DEP_1)
	s_mul_i32 s8, s8, s7
	v_dual_mov_b32 v5, v3 :: v_dual_mov_b32 v4, v2
	s_mul_hi_u32 s8, s7, s8
	v_dual_mov_b32 v7, v3 :: v_dual_mov_b32 v6, v2
	s_add_i32 s7, s7, s8
	v_dual_mov_b32 v9, v3 :: v_dual_mov_b32 v8, v2
	s_mul_hi_u32 s7, s62, s7
	s_delay_alu instid0(SALU_CYCLE_1) | instskip(NEXT) | instid1(SALU_CYCLE_1)
	s_mul_i32 s7, s7, s63
	s_sub_i32 s7, s62, s7
	s_delay_alu instid0(SALU_CYCLE_1) | instskip(SKIP_2) | instid1(SALU_CYCLE_1)
	s_sub_i32 s8, s7, s63
	s_cmp_ge_u32 s7, s63
	s_cselect_b32 s7, s8, s7
	s_sub_i32 s8, s7, s63
	s_cmp_ge_u32 s7, s63
	s_cselect_b32 s7, s8, s7
	s_delay_alu instid0(SALU_CYCLE_1) | instskip(NEXT) | instid1(SALU_CYCLE_1)
	s_sub_i32 s52, s62, s7
	v_cmpx_gt_u32_e64 s52, v14
	s_cbranch_execz .LBB168_58
; %bb.55:                               ;   in Loop: Header=BB168_6 Depth=1
	v_mov_b32_e32 v26, v15
	v_dual_mov_b32 v25, v14 :: v_dual_lshlrev_b32 v12, 3, v27
	v_mov_b32_e32 v28, v34
	s_and_b32 s73, s91, 0xfe
	s_mov_b32 s98, 0
	s_mov_b64 s[66:67], 0
	s_mov_b64 s[68:69], 0
	;; [unrolled: 1-line block ×3, first 2 shown]
.LBB168_56:                             ;   Parent Loop BB168_6 Depth=1
                                        ; =>  This Inner Loop Header: Depth=2
	ds_load_b64 v[2:3], v28
	v_add_co_u32 v25, vcc_lo, v25, s63
	v_add_co_ci_u32_e32 v26, vcc_lo, 0, v26, vcc_lo
	s_delay_alu instid0(VALU_DEP_1)
	v_cmp_le_u64_e32 vcc_lo, s[52:53], v[25:26]
	s_waitcnt lgkmcnt(0)
	v_bfe_i32 v4, v2, 0, 16
	v_ashrrev_i32_e32 v2, 16, v2
	v_bfe_i32 v5, v3, 0, 16
	v_ashrrev_i32_e32 v3, 16, v3
	s_delay_alu instid0(VALU_DEP_4) | instskip(NEXT) | instid1(VALU_DEP_4)
	v_add_nc_u32_e32 v4, 0x8000, v4
	v_add_nc_u32_e32 v2, 0x8000, v2
	s_delay_alu instid0(VALU_DEP_4) | instskip(NEXT) | instid1(VALU_DEP_4)
	v_add_nc_u32_e32 v5, 0x8000, v5
	v_add_nc_u32_e32 v3, 0x8000, v3
	s_delay_alu instid0(VALU_DEP_4)
	v_and_b32_e32 v6, v4, v37
	v_bfe_u32 v4, v4, s73, 2
	v_and_b32_e32 v7, v2, v37
	v_bfe_u32 v2, v2, s73, 2
	;; [unrolled: 2-line block ×3, first 2 shown]
	v_cmp_eq_u32_e64 s7, v6, v38
	v_cmp_eq_u32_e64 s11, 0, v4
	v_and_b32_e32 v9, v3, v37
	v_bfe_u32 v3, v3, s73, 2
	v_cmp_eq_u32_e64 s8, v7, v38
	v_cmp_eq_u32_e64 s12, 0, v2
	;; [unrolled: 1-line block ×4, first 2 shown]
	s_and_b32 s11, s7, s11
	v_cmp_eq_u32_e64 s10, v9, v38
	v_cmp_eq_u32_e64 s14, 0, v3
	;; [unrolled: 1-line block ×5, first 2 shown]
	v_cndmask_b32_e64 v2, 0, 1, s11
	s_and_b32 s11, s8, s12
	v_cmp_eq_u32_e64 s18, 1, v3
	v_cmp_eq_u32_e64 s22, 2, v3
	v_cmp_eq_u32_e64 s26, 3, v3
	v_cndmask_b32_e64 v3, 0, 1, s11
	s_and_b32 s11, s9, s13
	v_cmp_eq_u32_e64 s15, 1, v4
	v_cmp_eq_u32_e64 s19, 2, v4
	v_cmp_eq_u32_e64 s23, 3, v4
	;; [unrolled: 5-line block ×3, first 2 shown]
	v_cndmask_b32_e64 v5, 0, 1, s11
	v_cmp_ne_u32_e64 s11, 0, v2
	v_cmp_ne_u32_e64 s12, 0, v3
	;; [unrolled: 1-line block ×3, first 2 shown]
	s_delay_alu instid0(VALU_DEP_4) | instskip(NEXT) | instid1(VALU_DEP_4)
	v_cmp_ne_u32_e64 s14, 0, v5
	s_bcnt1_i32_b32 s11, s11
	s_delay_alu instid0(VALU_DEP_3) | instskip(NEXT) | instid1(VALU_DEP_2)
	s_bcnt1_i32_b32 s12, s12
	s_bcnt1_i32_b32 s13, s13
	s_add_i32 s11, s12, s11
	s_bcnt1_i32_b32 s14, s14
	s_add_i32 s11, s11, s13
	s_delay_alu instid0(SALU_CYCLE_1) | instskip(NEXT) | instid1(SALU_CYCLE_1)
	s_add_i32 s11, s11, s14
	s_add_u32 s70, s70, s11
	s_addc_u32 s71, s71, 0
	s_and_b32 s11, s7, s15
	v_add_nc_u32_e32 v28, v28, v12
	v_cndmask_b32_e64 v2, 0, 1, s11
	s_and_b32 s11, s8, s16
	s_delay_alu instid0(SALU_CYCLE_1) | instskip(SKIP_1) | instid1(SALU_CYCLE_1)
	v_cndmask_b32_e64 v3, 0, 1, s11
	s_and_b32 s11, s9, s17
	v_cndmask_b32_e64 v4, 0, 1, s11
	s_and_b32 s11, s10, s18
	s_delay_alu instid0(VALU_DEP_2) | instskip(SKIP_3) | instid1(VALU_DEP_4)
	v_cmp_ne_u32_e64 s12, 0, v3
	v_cndmask_b32_e64 v5, 0, 1, s11
	v_cmp_ne_u32_e64 s11, 0, v2
	v_cmp_ne_u32_e64 s13, 0, v4
	s_bcnt1_i32_b32 s12, s12
	s_delay_alu instid0(VALU_DEP_3) | instskip(NEXT) | instid1(VALU_DEP_3)
	v_cmp_ne_u32_e64 s14, 0, v5
	s_bcnt1_i32_b32 s11, s11
	s_delay_alu instid0(VALU_DEP_2) | instskip(SKIP_1) | instid1(VALU_DEP_1)
	s_bcnt1_i32_b32 s13, s13
	s_add_i32 s11, s12, s11
	s_bcnt1_i32_b32 s14, s14
	s_add_i32 s11, s11, s13
	s_delay_alu instid0(SALU_CYCLE_1) | instskip(NEXT) | instid1(SALU_CYCLE_1)
	s_add_i32 s11, s11, s14
	s_add_u32 s68, s68, s11
	s_addc_u32 s69, s69, 0
	s_and_b32 s11, s7, s19
	s_delay_alu instid0(SALU_CYCLE_1) | instskip(SKIP_1) | instid1(SALU_CYCLE_1)
	v_cndmask_b32_e64 v2, 0, 1, s11
	s_and_b32 s11, s8, s20
	v_cndmask_b32_e64 v3, 0, 1, s11
	s_and_b32 s11, s9, s21
	s_delay_alu instid0(SALU_CYCLE_1) | instskip(SKIP_1) | instid1(VALU_DEP_2)
	v_cndmask_b32_e64 v4, 0, 1, s11
	s_and_b32 s11, s10, s22
	v_cmp_ne_u32_e64 s12, 0, v3
	v_cndmask_b32_e64 v5, 0, 1, s11
	v_cmp_ne_u32_e64 s11, 0, v2
	v_cmp_ne_u32_e64 s13, 0, v4
	s_delay_alu instid0(VALU_DEP_4) | instskip(NEXT) | instid1(VALU_DEP_3)
	s_bcnt1_i32_b32 s12, s12
	v_cmp_ne_u32_e64 s14, 0, v5
	s_delay_alu instid0(VALU_DEP_3) | instskip(NEXT) | instid1(VALU_DEP_2)
	s_bcnt1_i32_b32 s11, s11
	s_bcnt1_i32_b32 s13, s13
	s_add_i32 s11, s12, s11
	s_delay_alu instid0(VALU_DEP_1) | instskip(SKIP_1) | instid1(SALU_CYCLE_1)
	s_bcnt1_i32_b32 s14, s14
	s_add_i32 s11, s11, s13
	s_add_i32 s11, s11, s14
	s_delay_alu instid0(SALU_CYCLE_1)
	s_add_u32 s66, s66, s11
	s_addc_u32 s67, s67, 0
	s_and_b32 s7, s7, s23
	v_mov_b32_e32 v6, s66
	v_cndmask_b32_e64 v2, 0, 1, s7
	s_and_b32 s7, s8, s24
	v_mov_b32_e32 v7, s67
	v_cndmask_b32_e64 v3, 0, 1, s7
	s_and_b32 s7, s9, s25
	s_delay_alu instid0(SALU_CYCLE_1) | instskip(SKIP_1) | instid1(VALU_DEP_2)
	v_cndmask_b32_e64 v4, 0, 1, s7
	s_and_b32 s7, s10, s26
	v_cmp_ne_u32_e64 s8, 0, v3
	v_cndmask_b32_e64 v5, 0, 1, s7
	v_cmp_ne_u32_e64 s7, 0, v2
	v_cmp_ne_u32_e64 s9, 0, v4
	v_dual_mov_b32 v2, s70 :: v_dual_mov_b32 v3, s71
	s_delay_alu instid0(VALU_DEP_4) | instskip(NEXT) | instid1(VALU_DEP_4)
	v_cmp_ne_u32_e64 s10, 0, v5
	s_bcnt1_i32_b32 s7, s7
	s_bcnt1_i32_b32 s8, s8
	;; [unrolled: 1-line block ×3, first 2 shown]
	s_add_i32 s7, s8, s7
	s_bcnt1_i32_b32 s8, s10
	s_add_i32 s7, s7, s9
	v_mov_b32_e32 v4, s68
	s_add_i32 s7, s7, s8
	v_mov_b32_e32 v5, s69
	s_add_u32 s64, s64, s7
	s_addc_u32 s65, s65, 0
	s_delay_alu instid0(SALU_CYCLE_1) | instskip(SKIP_1) | instid1(SALU_CYCLE_1)
	v_dual_mov_b32 v8, s64 :: v_dual_mov_b32 v9, s65
	s_or_b32 s98, vcc_lo, s98
	s_and_not1_b32 exec_lo, exec_lo, s98
	s_cbranch_execnz .LBB168_56
; %bb.57:                               ;   in Loop: Header=BB168_6 Depth=1
	s_or_b32 exec_lo, exec_lo, s98
.LBB168_58:                             ;   in Loop: Header=BB168_6 Depth=1
	s_delay_alu instid0(SALU_CYCLE_1) | instskip(SKIP_2) | instid1(VALU_DEP_1)
	s_or_b32 exec_lo, exec_lo, s72
	v_add_nc_u32_e32 v12, s52, v0
	s_mov_b32 s14, exec_lo
	v_cmpx_gt_u32_e64 s62, v12
	s_cbranch_execz .LBB168_62
; %bb.59:                               ;   in Loop: Header=BB168_6 Depth=1
	v_mov_b32_e32 v26, v13
	v_dual_mov_b32 v25, v12 :: v_dual_lshlrev_b32 v28, 1, v12
	v_lshlrev_b32_e32 v40, 1, v27
	s_mov_b32 s13, 0
	s_and_b32 s12, s62, 0x7fffffff
	s_and_b32 s16, s91, 0xfe
	s_mov_b32 s15, s13
.LBB168_60:                             ;   Parent Loop BB168_6 Depth=1
                                        ; =>  This Inner Loop Header: Depth=2
	ds_load_i16 v12, v28
	v_add_co_u32 v25, vcc_lo, v25, v27
	v_add_co_ci_u32_e32 v26, vcc_lo, 0, v26, vcc_lo
	v_add_nc_u32_e32 v28, v28, v40
	s_delay_alu instid0(VALU_DEP_2) | instskip(SKIP_2) | instid1(VALU_DEP_1)
	v_cmp_le_u64_e32 vcc_lo, s[12:13], v[25:26]
	s_waitcnt lgkmcnt(0)
	v_add_nc_u32_e32 v12, 0x8000, v12
	v_and_b32_e32 v41, v12, v37
	v_bfe_u32 v12, v12, s16, 2
	s_delay_alu instid0(VALU_DEP_2) | instskip(NEXT) | instid1(VALU_DEP_2)
	v_cmp_eq_u32_e64 s7, v41, v38
	v_cmp_eq_u32_e64 s8, 0, v12
	;; [unrolled: 1-line block ×5, first 2 shown]
	s_delay_alu instid0(VALU_DEP_4) | instskip(NEXT) | instid1(SALU_CYCLE_1)
	s_and_b32 s8, s7, s8
	v_cndmask_b32_e64 v12, 0, 1, s8
	s_and_b32 s8, s7, s9
	s_delay_alu instid0(SALU_CYCLE_1)
	v_cndmask_b32_e64 v41, 0, 1, s8
	s_and_b32 s8, s7, s10
	s_and_b32 s7, s7, s11
	v_cndmask_b32_e64 v42, 0, 1, s8
	v_cndmask_b32_e64 v43, 0, 1, s7
	v_cmp_ne_u32_e64 s7, 0, v12
	v_cmp_ne_u32_e64 s8, 0, v41
	s_delay_alu instid0(VALU_DEP_4) | instskip(NEXT) | instid1(VALU_DEP_4)
	v_cmp_ne_u32_e64 s9, 0, v42
	v_cmp_ne_u32_e64 s10, 0, v43
	s_delay_alu instid0(VALU_DEP_4) | instskip(NEXT) | instid1(VALU_DEP_3)
	s_bcnt1_i32_b32 s7, s7
	s_bcnt1_i32_b32 s8, s8
	v_add_co_u32 v2, s7, v2, s7
	s_delay_alu instid0(VALU_DEP_1)
	v_add_co_ci_u32_e64 v3, s7, 0, v3, s7
	v_add_co_u32 v4, s7, v4, s8
	s_bcnt1_i32_b32 s9, s9
	v_add_co_ci_u32_e64 v5, s7, 0, v5, s7
	v_add_co_u32 v6, s7, v6, s9
	s_bcnt1_i32_b32 s10, s10
	v_add_co_ci_u32_e64 v7, s7, 0, v7, s7
	v_add_co_u32 v8, s7, v8, s10
	s_delay_alu instid0(VALU_DEP_1) | instskip(SKIP_1) | instid1(SALU_CYCLE_1)
	v_add_co_ci_u32_e64 v9, s7, 0, v9, s7
	s_or_b32 s15, vcc_lo, s15
	s_and_not1_b32 exec_lo, exec_lo, s15
	s_cbranch_execnz .LBB168_60
; %bb.61:                               ;   in Loop: Header=BB168_6 Depth=1
	s_or_b32 exec_lo, exec_lo, s15
.LBB168_62:                             ;   in Loop: Header=BB168_6 Depth=1
	s_delay_alu instid0(SALU_CYCLE_1)
	s_or_b32 exec_lo, exec_lo, s14
.LBB168_63:                             ;   in Loop: Header=BB168_6 Depth=1
	s_lshl_b32 s7, s87, 7
	s_and_saveexec_b32 s8, s2
	s_cbranch_execz .LBB168_65
; %bb.64:                               ;   in Loop: Header=BB168_6 Depth=1
	v_or_b32_e32 v12, s7, v32
	s_delay_alu instid0(VALU_DEP_1)
	v_lshlrev_b32_e32 v12, 3, v12
	ds_store_b128 v12, v[2:5] offset:3072
	ds_store_b128 v12, v[6:9] offset:3088
.LBB168_65:                             ;   in Loop: Header=BB168_6 Depth=1
	s_or_b32 exec_lo, exec_lo, s8
	s_waitcnt vmcnt(0) lgkmcnt(0)
	s_barrier
	buffer_gl0_inv
	s_and_saveexec_b32 s8, s74
	s_cbranch_execz .LBB168_76
; %bb.66:                               ;   in Loop: Header=BB168_6 Depth=1
	v_mov_b32_e32 v2, 0
	v_mov_b32_e32 v3, 0
	s_and_not1_b32 vcc_lo, exec_lo, s82
	s_cbranch_vccnz .LBB168_75
; %bb.67:                               ;   in Loop: Header=BB168_6 Depth=1
	v_mov_b32_e32 v2, 0
	v_mov_b32_e32 v3, 0
	s_and_not1_b32 vcc_lo, exec_lo, s80
	s_cbranch_vccnz .LBB168_72
; %bb.68:                               ;   in Loop: Header=BB168_6 Depth=1
	v_lshl_add_u32 v4, s87, 10, v36
	s_mov_b32 s9, 0
	s_set_inst_prefetch_distance 0x1
	.p2align	6
.LBB168_69:                             ;   Parent Loop BB168_6 Depth=1
                                        ; =>  This Inner Loop Header: Depth=2
	ds_load_2addr_b64 v[5:8], v4 offset1:4
	ds_load_2addr_b64 v[25:28], v4 offset0:8 offset1:12
	ds_load_2addr_b64 v[40:43], v4 offset0:16 offset1:20
	s_add_i32 s9, s9, 8
	s_delay_alu instid0(SALU_CYCLE_1) | instskip(SKIP_3) | instid1(VALU_DEP_2)
	s_cmp_eq_u32 s81, s9
	s_waitcnt lgkmcnt(2)
	v_add_co_u32 v2, vcc_lo, v5, v2
	v_add_co_ci_u32_e32 v3, vcc_lo, v6, v3, vcc_lo
	v_add_co_u32 v2, vcc_lo, v7, v2
	s_delay_alu instid0(VALU_DEP_2)
	v_add_co_ci_u32_e32 v3, vcc_lo, v8, v3, vcc_lo
	ds_load_2addr_b64 v[5:8], v4 offset0:24 offset1:28
	s_waitcnt lgkmcnt(2)
	v_add_co_u32 v2, vcc_lo, v25, v2
	v_add_co_ci_u32_e32 v3, vcc_lo, v26, v3, vcc_lo
	v_add_nc_u32_e32 v4, 0x100, v4
	s_delay_alu instid0(VALU_DEP_3) | instskip(NEXT) | instid1(VALU_DEP_3)
	v_add_co_u32 v2, vcc_lo, v27, v2
	v_add_co_ci_u32_e32 v3, vcc_lo, v28, v3, vcc_lo
	s_waitcnt lgkmcnt(1)
	s_delay_alu instid0(VALU_DEP_2) | instskip(NEXT) | instid1(VALU_DEP_2)
	v_add_co_u32 v2, vcc_lo, v40, v2
	v_add_co_ci_u32_e32 v3, vcc_lo, v41, v3, vcc_lo
	s_delay_alu instid0(VALU_DEP_2) | instskip(NEXT) | instid1(VALU_DEP_2)
	v_add_co_u32 v2, vcc_lo, v42, v2
	v_add_co_ci_u32_e32 v3, vcc_lo, v43, v3, vcc_lo
	s_waitcnt lgkmcnt(0)
	s_delay_alu instid0(VALU_DEP_2) | instskip(NEXT) | instid1(VALU_DEP_2)
	v_add_co_u32 v2, vcc_lo, v5, v2
	v_add_co_ci_u32_e32 v3, vcc_lo, v6, v3, vcc_lo
	s_delay_alu instid0(VALU_DEP_2) | instskip(NEXT) | instid1(VALU_DEP_2)
	v_add_co_u32 v2, vcc_lo, v7, v2
	v_add_co_ci_u32_e32 v3, vcc_lo, v8, v3, vcc_lo
	s_cbranch_scc0 .LBB168_69
; %bb.70:                               ;   in Loop: Header=BB168_6 Depth=1
	s_set_inst_prefetch_distance 0x2
	s_mov_b32 s9, s81
	s_and_not1_b32 vcc_lo, exec_lo, s83
	s_cbranch_vccz .LBB168_73
	s_branch .LBB168_75
.LBB168_71:                             ;   in Loop: Header=BB168_6 Depth=1
                                        ; implicit-def: $vgpr2_vgpr3
	s_branch .LBB168_39
.LBB168_72:                             ;   in Loop: Header=BB168_6 Depth=1
	s_mov_b32 s9, 0
	s_and_not1_b32 vcc_lo, exec_lo, s83
	s_cbranch_vccnz .LBB168_75
.LBB168_73:                             ;   in Loop: Header=BB168_6 Depth=1
	s_lshl_b32 s10, s87, 10
	s_lshl_b32 s9, s9, 5
	s_delay_alu instid0(SALU_CYCLE_1)
	v_add3_u32 v4, s10, s9, v36
	s_mov_b32 s9, s79
.LBB168_74:                             ;   Parent Loop BB168_6 Depth=1
                                        ; =>  This Inner Loop Header: Depth=2
	ds_load_b64 v[5:6], v4
	v_add_nc_u32_e32 v4, 32, v4
	s_add_i32 s9, s9, -1
	s_delay_alu instid0(SALU_CYCLE_1)
	s_cmp_lg_u32 s9, 0
	s_waitcnt lgkmcnt(0)
	v_add_co_u32 v2, vcc_lo, v5, v2
	v_add_co_ci_u32_e32 v3, vcc_lo, v6, v3, vcc_lo
	s_cbranch_scc1 .LBB168_74
.LBB168_75:                             ;   in Loop: Header=BB168_6 Depth=1
	v_add_lshl_u32 v4, s7, v30, 3
	ds_store_b64 v4, v[2:3] offset:3072
.LBB168_76:                             ;   in Loop: Header=BB168_6 Depth=1
	s_or_b32 exec_lo, exec_lo, s8
	s_lshl_b32 s7, s7, 3
	s_waitcnt lgkmcnt(0)
	v_mov_b32_e32 v6, s7
	s_barrier
	buffer_gl0_inv
	s_and_b32 s22, s91, 0xfe
	v_cmp_eq_u64_e64 s7, 1, v[23:24]
	ds_load_b128 v[2:5], v6 offset:3072
	ds_load_b128 v[6:9], v6 offset:3088
	s_lshl_b32 s20, 3, s22
	s_and_not1_b32 vcc_lo, exec_lo, s75
	s_not_b32 s21, s20
	s_waitcnt lgkmcnt(1)
	v_readfirstlane_b32 s11, v3
	v_readfirstlane_b32 s10, v2
	;; [unrolled: 1-line block ×4, first 2 shown]
	s_waitcnt lgkmcnt(0)
	v_readfirstlane_b32 s15, v7
	v_readfirstlane_b32 s14, v6
	;; [unrolled: 1-line block ×4, first 2 shown]
	s_cbranch_vccnz .LBB168_92
; %bb.77:                               ;   in Loop: Header=BB168_6 Depth=1
	s_cmp_eq_u64 s[10:11], 1
	v_dual_mov_b32 v25, v38 :: v_dual_mov_b32 v26, v37
	v_mov_b32_e32 v27, v39
	s_cselect_b32 s8, -1, 0
                                        ; implicit-def: $sgpr23
                                        ; implicit-def: $sgpr62
                                        ; implicit-def: $sgpr52
	s_delay_alu instid0(SALU_CYCLE_1)
	s_and_b32 s65, s8, s7
	s_mov_b32 s8, -1
	s_and_saveexec_b32 s24, s65
	s_cbranch_execz .LBB168_111
; %bb.78:                               ;   in Loop: Header=BB168_6 Depth=1
	ds_load_b64 v[2:3], v13 offset:5120
	s_waitcnt lgkmcnt(0)
	s_barrier
	buffer_gl0_inv
	v_readfirstlane_b32 s18, v2
	v_readfirstlane_b32 s19, v3
	s_and_saveexec_b32 s8, s6
	s_cbranch_execz .LBB168_80
; %bb.79:                               ;   in Loop: Header=BB168_6 Depth=1
	ds_store_b16 v33, v13
.LBB168_80:                             ;   in Loop: Header=BB168_6 Depth=1
	s_or_b32 exec_lo, exec_lo, s8
	v_and_b32_e32 v25, s21, v38
	v_or_b32_e32 v26, s20, v37
	s_cmp_eq_u64 s[18:19], 0
	s_waitcnt lgkmcnt(0)
	s_barrier
	buffer_gl0_inv
	s_cbranch_scc1 .LBB168_94
; %bb.81:                               ;   in Loop: Header=BB168_6 Depth=1
	s_add_u32 s23, s76, s18
	s_addc_u32 s9, s77, s19
	s_mov_b32 s8, s53
	s_delay_alu instid0(SALU_CYCLE_1)
	s_cmp_lg_u64 s[8:9], 0
	s_cbranch_scc0 .LBB168_138
; %bb.82:                               ;   in Loop: Header=BB168_6 Depth=1
	v_cvt_f32_u32_e32 v2, s33
	s_sub_u32 s26, 0, s33
	s_subb_u32 s44, 0, 0
	s_delay_alu instid0(VALU_DEP_1) | instskip(NEXT) | instid1(VALU_DEP_1)
	v_fmac_f32_e64 v2, 0, 0x4f800000
	v_rcp_f32_e32 v2, v2
	s_waitcnt_depctr 0xfff
	v_mul_f32_e32 v2, 0x5f7ffffc, v2
	s_delay_alu instid0(VALU_DEP_1) | instskip(NEXT) | instid1(VALU_DEP_1)
	v_mul_f32_e32 v3, 0x2f800000, v2
	v_trunc_f32_e32 v3, v3
	s_delay_alu instid0(VALU_DEP_1) | instskip(SKIP_1) | instid1(VALU_DEP_2)
	v_fmac_f32_e32 v2, 0xcf800000, v3
	v_cvt_u32_f32_e32 v3, v3
	v_cvt_u32_f32_e32 v2, v2
	s_delay_alu instid0(VALU_DEP_2) | instskip(NEXT) | instid1(VALU_DEP_2)
	v_readfirstlane_b32 s8, v3
	v_readfirstlane_b32 s25, v2
	s_delay_alu instid0(VALU_DEP_2) | instskip(NEXT) | instid1(VALU_DEP_1)
	s_mul_i32 s45, s26, s8
	s_mul_hi_u32 s62, s26, s25
	s_mul_i32 s52, s44, s25
	s_add_i32 s45, s62, s45
	s_mul_i32 s63, s26, s25
	s_add_i32 s45, s45, s52
	s_mul_hi_u32 s62, s25, s63
	s_mul_hi_u32 s64, s8, s63
	s_mul_i32 s52, s8, s63
	s_mul_hi_u32 s63, s25, s45
	s_mul_i32 s25, s25, s45
	s_mul_hi_u32 s66, s8, s45
	s_add_u32 s25, s62, s25
	s_addc_u32 s62, 0, s63
	s_add_u32 s25, s25, s52
	s_mul_i32 s45, s8, s45
	s_addc_u32 s25, s62, s64
	s_addc_u32 s52, s66, 0
	s_add_u32 s25, s25, s45
	s_addc_u32 s45, 0, s52
	v_add_co_u32 v2, s25, v2, s25
	s_delay_alu instid0(VALU_DEP_1) | instskip(SKIP_1) | instid1(VALU_DEP_1)
	s_cmp_lg_u32 s25, 0
	s_addc_u32 s8, s8, s45
	v_readfirstlane_b32 s25, v2
	s_mul_i32 s45, s26, s8
	s_delay_alu instid0(VALU_DEP_1)
	s_mul_hi_u32 s52, s26, s25
	s_mul_i32 s44, s44, s25
	s_add_i32 s45, s52, s45
	s_mul_i32 s26, s26, s25
	s_add_i32 s45, s45, s44
	s_mul_hi_u32 s52, s8, s26
	s_mul_i32 s62, s8, s26
	s_mul_hi_u32 s26, s25, s26
	s_mul_hi_u32 s63, s25, s45
	s_mul_i32 s25, s25, s45
	s_mul_hi_u32 s44, s8, s45
	s_add_u32 s25, s26, s25
	s_addc_u32 s26, 0, s63
	s_add_u32 s25, s25, s62
	s_mul_i32 s45, s8, s45
	s_addc_u32 s25, s26, s52
	s_addc_u32 s26, s44, 0
	s_add_u32 s25, s25, s45
	s_addc_u32 s26, 0, s26
	v_add_co_u32 v2, s25, v2, s25
	s_delay_alu instid0(VALU_DEP_1) | instskip(SKIP_1) | instid1(VALU_DEP_1)
	s_cmp_lg_u32 s25, 0
	s_addc_u32 s8, s8, s26
	v_readfirstlane_b32 s25, v2
	s_mul_i32 s44, s23, s8
	s_mul_hi_u32 s26, s23, s8
	s_mul_hi_u32 s45, s9, s8
	s_mul_i32 s8, s9, s8
	s_mul_hi_u32 s52, s23, s25
	s_mul_hi_u32 s62, s9, s25
	s_mul_i32 s25, s9, s25
	s_add_u32 s44, s52, s44
	s_addc_u32 s26, 0, s26
	s_add_u32 s25, s44, s25
	s_addc_u32 s25, s26, s62
	s_addc_u32 s26, s45, 0
	s_add_u32 s8, s25, s8
	s_addc_u32 s25, 0, s26
	s_mul_hi_u32 s26, s33, s8
	s_mul_i32 s8, s33, s8
	s_mul_i32 s25, s33, s25
	v_sub_co_u32 v2, s8, s23, s8
	s_add_i32 s26, s26, s25
	s_cmp_lg_u32 s8, 0
	s_delay_alu instid0(VALU_DEP_1) | instskip(SKIP_2) | instid1(VALU_DEP_1)
	v_sub_co_u32 v3, s8, v2, s33
	s_subb_u32 s25, s9, s26
	s_cmp_lg_u32 s8, 0
	v_cmp_le_u32_e32 vcc_lo, s33, v3
	v_sub_co_u32 v4, s8, v3, s33
	s_subb_u32 s26, s25, 0
	s_cmp_lg_u32 s8, 0
	v_cndmask_b32_e64 v5, 0, -1, vcc_lo
	s_subb_u32 s8, s26, 0
	s_cmp_eq_u32 s26, 0
	v_mov_b32_e32 v7, s8
	s_cselect_b32 vcc_lo, -1, 0
	s_cmp_eq_u32 s25, 0
	v_cndmask_b32_e32 v5, -1, v5, vcc_lo
	v_cmp_le_u32_e32 vcc_lo, s33, v2
	s_cselect_b32 s8, -1, 0
	v_cndmask_b32_e64 v6, 0, -1, vcc_lo
	s_delay_alu instid0(VALU_DEP_3) | instskip(NEXT) | instid1(VALU_DEP_2)
	v_cmp_ne_u32_e32 vcc_lo, 0, v5
	v_cndmask_b32_e64 v5, -1, v6, s8
	v_cndmask_b32_e32 v6, s26, v7, vcc_lo
	v_cndmask_b32_e32 v4, v3, v4, vcc_lo
	s_delay_alu instid0(VALU_DEP_3) | instskip(NEXT) | instid1(VALU_DEP_3)
	v_cmp_ne_u32_e32 vcc_lo, 0, v5
	v_cndmask_b32_e32 v3, s25, v6, vcc_lo
	s_delay_alu instid0(VALU_DEP_3)
	v_cndmask_b32_e32 v2, v2, v4, vcc_lo
	s_cbranch_execnz .LBB168_84
.LBB168_83:                             ;   in Loop: Header=BB168_6 Depth=1
	v_cvt_f32_u32_e32 v2, s33
	s_sub_i32 s8, 0, s33
	s_delay_alu instid0(VALU_DEP_1) | instskip(SKIP_2) | instid1(VALU_DEP_1)
	v_rcp_iflag_f32_e32 v2, v2
	s_waitcnt_depctr 0xfff
	v_mul_f32_e32 v2, 0x4f7ffffe, v2
	v_cvt_u32_f32_e32 v2, v2
	s_delay_alu instid0(VALU_DEP_1) | instskip(NEXT) | instid1(VALU_DEP_1)
	v_mul_lo_u32 v3, s8, v2
	v_mul_hi_u32 v3, v2, v3
	s_delay_alu instid0(VALU_DEP_1) | instskip(NEXT) | instid1(VALU_DEP_1)
	v_add_nc_u32_e32 v2, v2, v3
	v_mul_hi_u32 v2, s23, v2
	s_delay_alu instid0(VALU_DEP_1) | instskip(NEXT) | instid1(VALU_DEP_1)
	v_mul_lo_u32 v2, v2, s33
	v_sub_nc_u32_e32 v2, s23, v2
	s_delay_alu instid0(VALU_DEP_1) | instskip(SKIP_1) | instid1(VALU_DEP_2)
	v_subrev_nc_u32_e32 v3, s33, v2
	v_cmp_le_u32_e32 vcc_lo, s33, v2
	v_cndmask_b32_e32 v2, v2, v3, vcc_lo
	s_delay_alu instid0(VALU_DEP_1) | instskip(SKIP_1) | instid1(VALU_DEP_2)
	v_subrev_nc_u32_e32 v3, s33, v2
	v_cmp_le_u32_e32 vcc_lo, s33, v2
	v_cndmask_b32_e32 v12, v2, v3, vcc_lo
	s_delay_alu instid0(VALU_DEP_1)
	v_dual_mov_b32 v2, v12 :: v_dual_mov_b32 v3, v13
.LBB168_84:                             ;   in Loop: Header=BB168_6 Depth=1
	s_delay_alu instid0(VALU_DEP_1) | instskip(NEXT) | instid1(VALU_DEP_2)
	v_sub_co_u32 v2, vcc_lo, s23, v2
	v_sub_co_ci_u32_e32 v3, vcc_lo, s9, v3, vcc_lo
	s_mov_b32 s8, 0
	s_mov_b32 s9, exec_lo
                                        ; implicit-def: $vgpr27
	s_delay_alu instid0(VALU_DEP_1)
	v_cmpx_gt_u64_e64 v[2:3], v[0:1]
	s_cbranch_execz .LBB168_96
; %bb.85:                               ;   in Loop: Header=BB168_6 Depth=1
	v_dual_mov_b32 v6, v31 :: v_dual_mov_b32 v5, v1
	v_mov_b32_e32 v4, v0
	s_mov_b32 s23, 0
                                        ; implicit-def: $sgpr25
	s_set_inst_prefetch_distance 0x1
	s_branch .LBB168_87
	.p2align	6
.LBB168_86:                             ;   in Loop: Header=BB168_87 Depth=2
	s_or_b32 exec_lo, exec_lo, s8
	s_waitcnt lgkmcnt(0)
	s_barrier
	buffer_gl0_inv
	ds_load_b32 v7, v13 offset:3072
	v_add_co_u32 v4, vcc_lo, v4, s33
	v_add_co_ci_u32_e32 v5, vcc_lo, 0, v5, vcc_lo
	v_add_nc_u32_e32 v6, s84, v6
	s_waitcnt lgkmcnt(0)
	s_barrier
	s_delay_alu instid0(VALU_DEP_2) | instskip(SKIP_2) | instid1(VALU_DEP_1)
	v_cmp_ge_u64_e32 vcc_lo, v[4:5], v[2:3]
	buffer_gl0_inv
	v_cmp_ne_u16_e64 s8, 0, v7
	s_or_b32 s26, vcc_lo, s8
	s_delay_alu instid0(SALU_CYCLE_1) | instskip(NEXT) | instid1(SALU_CYCLE_1)
	s_and_b32 s26, exec_lo, s26
	s_or_b32 s23, s26, s23
	s_and_not1_b32 s25, s25, exec_lo
	s_and_b32 s8, s8, exec_lo
	s_delay_alu instid0(SALU_CYCLE_1)
	s_or_b32 s25, s25, s8
	s_and_not1_b32 exec_lo, exec_lo, s23
	s_cbranch_execz .LBB168_95
.LBB168_87:                             ;   Parent Loop BB168_6 Depth=1
                                        ; =>  This Inner Loop Header: Depth=2
	s_delay_alu instid0(VALU_DEP_1)
	v_cmp_gt_u64_e32 vcc_lo, s[18:19], v[4:5]
	v_mov_b32_e32 v7, 0
	s_and_saveexec_b32 s8, vcc_lo
	s_cbranch_execz .LBB168_89
; %bb.88:                               ;   in Loop: Header=BB168_87 Depth=2
	ds_load_u16 v7, v6
.LBB168_89:                             ;   in Loop: Header=BB168_87 Depth=2
	s_or_b32 exec_lo, exec_lo, s8
	s_and_saveexec_b32 s8, vcc_lo
	s_cbranch_execz .LBB168_86
; %bb.90:                               ;   in Loop: Header=BB168_87 Depth=2
	s_waitcnt lgkmcnt(0)
	v_bfe_i32 v8, v7, 0, 16
	s_delay_alu instid0(VALU_DEP_1) | instskip(NEXT) | instid1(VALU_DEP_1)
	v_add_nc_u32_e32 v8, 0x8000, v8
	v_and_b32_e32 v8, v8, v26
	s_delay_alu instid0(VALU_DEP_1)
	v_cmp_eq_u32_e32 vcc_lo, v8, v25
	s_and_b32 exec_lo, exec_lo, vcc_lo
	s_cbranch_execz .LBB168_86
; %bb.91:                               ;   in Loop: Header=BB168_87 Depth=2
	v_perm_b32 v7, v7, 1, 0x5040100
	ds_store_b32 v13, v7 offset:3072
	s_branch .LBB168_86
.LBB168_92:                             ;   in Loop: Header=BB168_6 Depth=1
	s_mov_b32 s25, 0
	s_mov_b32 s24, 0
                                        ; implicit-def: $sgpr52
                                        ; implicit-def: $sgpr62
                                        ; implicit-def: $sgpr23
                                        ; implicit-def: $vgpr6
                                        ; implicit-def: $vgpr2_vgpr3
                                        ; implicit-def: $vgpr25
                                        ; implicit-def: $vgpr26
                                        ; implicit-def: $vgpr27
	s_cbranch_execnz .LBB168_275
.LBB168_93:                             ;   in Loop: Header=BB168_6 Depth=1
	s_mov_b32 s18, s23
	s_mov_b32 s19, s23
	s_and_saveexec_b32 s7, s25
	s_cbranch_execnz .LBB168_471
	s_branch .LBB168_472
.LBB168_94:                             ;   in Loop: Header=BB168_6 Depth=1
	s_mov_b32 s23, -1
	s_mov_b32 s8, 0
                                        ; implicit-def: $sgpr52
                                        ; implicit-def: $vgpr27
	s_mov_b32 s62, s23
	s_cbranch_execnz .LBB168_97
	s_branch .LBB168_110
.LBB168_95:                             ;   in Loop: Header=BB168_6 Depth=1
	s_set_inst_prefetch_distance 0x2
	s_or_b32 exec_lo, exec_lo, s23
	v_lshrrev_b32_e32 v27, 16, v7
	s_and_b32 s8, s25, exec_lo
.LBB168_96:                             ;   in Loop: Header=BB168_6 Depth=1
	s_or_b32 exec_lo, exec_lo, s9
	s_mov_b32 s52, -1
	s_mov_b32 s23, 0
	s_delay_alu instid0(SALU_CYCLE_1)
	s_mov_b32 s62, s23
	s_branch .LBB168_110
.LBB168_97:                             ;   in Loop: Header=BB168_6 Depth=1
	s_mov_b32 s26, s53
	s_delay_alu instid0(SALU_CYCLE_1)
	s_cmp_lg_u64 s[26:27], 0
	s_cbranch_scc0 .LBB168_139
; %bb.98:                               ;   in Loop: Header=BB168_6 Depth=1
	v_cvt_f32_u32_e32 v2, s33
	s_sub_u32 s18, 0, s33
	s_subb_u32 s19, 0, 0
	s_delay_alu instid0(VALU_DEP_1) | instskip(NEXT) | instid1(VALU_DEP_1)
	v_fmac_f32_e64 v2, 0, 0x4f800000
	v_rcp_f32_e32 v2, v2
	s_waitcnt_depctr 0xfff
	v_mul_f32_e32 v2, 0x5f7ffffc, v2
	s_delay_alu instid0(VALU_DEP_1) | instskip(NEXT) | instid1(VALU_DEP_1)
	v_mul_f32_e32 v3, 0x2f800000, v2
	v_trunc_f32_e32 v3, v3
	s_delay_alu instid0(VALU_DEP_1) | instskip(SKIP_1) | instid1(VALU_DEP_2)
	v_fmac_f32_e32 v2, 0xcf800000, v3
	v_cvt_u32_f32_e32 v3, v3
	v_cvt_u32_f32_e32 v2, v2
	s_delay_alu instid0(VALU_DEP_2) | instskip(NEXT) | instid1(VALU_DEP_2)
	v_readfirstlane_b32 s8, v3
	v_readfirstlane_b32 s9, v2
	s_delay_alu instid0(VALU_DEP_2) | instskip(NEXT) | instid1(VALU_DEP_1)
	s_mul_i32 s23, s18, s8
	s_mul_hi_u32 s26, s18, s9
	s_mul_i32 s25, s19, s9
	s_add_i32 s23, s26, s23
	s_mul_i32 s44, s18, s9
	s_add_i32 s23, s23, s25
	s_mul_hi_u32 s26, s9, s44
	s_mul_hi_u32 s45, s8, s44
	s_mul_i32 s25, s8, s44
	s_mul_hi_u32 s44, s9, s23
	s_mul_i32 s9, s9, s23
	s_mul_hi_u32 s52, s8, s23
	s_add_u32 s9, s26, s9
	s_addc_u32 s26, 0, s44
	s_add_u32 s9, s9, s25
	s_mul_i32 s23, s8, s23
	s_addc_u32 s9, s26, s45
	s_addc_u32 s25, s52, 0
	s_add_u32 s9, s9, s23
	s_addc_u32 s23, 0, s25
	v_add_co_u32 v2, s9, v2, s9
	s_delay_alu instid0(VALU_DEP_1) | instskip(SKIP_1) | instid1(VALU_DEP_1)
	s_cmp_lg_u32 s9, 0
	s_addc_u32 s8, s8, s23
	v_readfirstlane_b32 s9, v2
	s_mul_i32 s23, s18, s8
	s_delay_alu instid0(VALU_DEP_1)
	s_mul_hi_u32 s25, s18, s9
	s_mul_i32 s19, s19, s9
	s_add_i32 s23, s25, s23
	s_mul_i32 s18, s18, s9
	s_add_i32 s23, s23, s19
	s_mul_hi_u32 s25, s8, s18
	s_mul_i32 s26, s8, s18
	s_mul_hi_u32 s18, s9, s18
	s_mul_hi_u32 s44, s9, s23
	s_mul_i32 s9, s9, s23
	s_mul_hi_u32 s19, s8, s23
	s_add_u32 s9, s18, s9
	s_addc_u32 s18, 0, s44
	s_add_u32 s9, s9, s26
	s_mul_i32 s23, s8, s23
	s_addc_u32 s9, s18, s25
	s_addc_u32 s18, s19, 0
	s_add_u32 s9, s9, s23
	s_addc_u32 s18, 0, s18
	v_add_co_u32 v2, s9, v2, s9
	s_delay_alu instid0(VALU_DEP_1) | instskip(SKIP_1) | instid1(VALU_DEP_1)
	s_cmp_lg_u32 s9, 0
	s_addc_u32 s8, s8, s18
	v_readfirstlane_b32 s9, v2
	s_mul_i32 s19, s78, s8
	s_mul_hi_u32 s18, s78, s8
	s_mul_hi_u32 s23, s27, s8
	s_mul_i32 s8, s27, s8
	s_mul_hi_u32 s25, s78, s9
	s_mul_hi_u32 s26, s27, s9
	s_mul_i32 s9, s27, s9
	s_add_u32 s19, s25, s19
	s_addc_u32 s18, 0, s18
	s_add_u32 s9, s19, s9
	s_addc_u32 s9, s18, s26
	s_addc_u32 s18, s23, 0
	s_add_u32 s8, s9, s8
	s_addc_u32 s9, 0, s18
	s_mul_hi_u32 s18, s33, s8
	s_mul_i32 s8, s33, s8
	s_mul_i32 s9, s33, s9
	v_sub_co_u32 v2, s8, s78, s8
	s_add_i32 s18, s18, s9
	s_cmp_lg_u32 s8, 0
	s_delay_alu instid0(VALU_DEP_1) | instskip(SKIP_2) | instid1(VALU_DEP_1)
	v_sub_co_u32 v3, s8, v2, s33
	s_subb_u32 s9, s27, s18
	s_cmp_lg_u32 s8, 0
	v_cmp_le_u32_e32 vcc_lo, s33, v3
	v_sub_co_u32 v4, s8, v3, s33
	s_subb_u32 s18, s9, 0
	s_cmp_lg_u32 s8, 0
	v_cndmask_b32_e64 v5, 0, -1, vcc_lo
	s_subb_u32 s8, s18, 0
	s_cmp_eq_u32 s18, 0
	v_mov_b32_e32 v7, s8
	s_cselect_b32 vcc_lo, -1, 0
	s_cmp_eq_u32 s9, 0
	v_cndmask_b32_e32 v5, -1, v5, vcc_lo
	v_cmp_le_u32_e32 vcc_lo, s33, v2
	s_cselect_b32 s8, -1, 0
	v_cndmask_b32_e64 v6, 0, -1, vcc_lo
	s_delay_alu instid0(VALU_DEP_3) | instskip(NEXT) | instid1(VALU_DEP_2)
	v_cmp_ne_u32_e32 vcc_lo, 0, v5
	v_cndmask_b32_e64 v5, -1, v6, s8
	v_cndmask_b32_e32 v6, s18, v7, vcc_lo
	v_cndmask_b32_e32 v4, v3, v4, vcc_lo
	s_delay_alu instid0(VALU_DEP_3) | instskip(NEXT) | instid1(VALU_DEP_3)
	v_cmp_ne_u32_e32 vcc_lo, 0, v5
	v_cndmask_b32_e32 v3, s9, v6, vcc_lo
	s_delay_alu instid0(VALU_DEP_3)
	v_cndmask_b32_e32 v2, v2, v4, vcc_lo
	s_cbranch_execnz .LBB168_100
.LBB168_99:                             ;   in Loop: Header=BB168_6 Depth=1
	v_cvt_f32_u32_e32 v2, s33
	s_sub_i32 s8, 0, s33
	s_delay_alu instid0(VALU_DEP_1) | instskip(SKIP_2) | instid1(VALU_DEP_1)
	v_rcp_iflag_f32_e32 v2, v2
	s_waitcnt_depctr 0xfff
	v_mul_f32_e32 v2, 0x4f7ffffe, v2
	v_cvt_u32_f32_e32 v2, v2
	s_delay_alu instid0(VALU_DEP_1) | instskip(NEXT) | instid1(VALU_DEP_1)
	v_mul_lo_u32 v3, s8, v2
	v_mul_hi_u32 v3, v2, v3
	s_delay_alu instid0(VALU_DEP_1) | instskip(NEXT) | instid1(VALU_DEP_1)
	v_add_nc_u32_e32 v2, v2, v3
	v_mul_hi_u32 v2, s78, v2
	s_delay_alu instid0(VALU_DEP_1) | instskip(NEXT) | instid1(VALU_DEP_1)
	v_mul_lo_u32 v2, v2, s33
	v_sub_nc_u32_e32 v2, s78, v2
	s_delay_alu instid0(VALU_DEP_1) | instskip(SKIP_1) | instid1(VALU_DEP_2)
	v_subrev_nc_u32_e32 v3, s33, v2
	v_cmp_le_u32_e32 vcc_lo, s33, v2
	v_cndmask_b32_e32 v2, v2, v3, vcc_lo
	s_delay_alu instid0(VALU_DEP_1) | instskip(SKIP_1) | instid1(VALU_DEP_2)
	v_subrev_nc_u32_e32 v3, s33, v2
	v_cmp_le_u32_e32 vcc_lo, s33, v2
	v_cndmask_b32_e32 v12, v2, v3, vcc_lo
	s_delay_alu instid0(VALU_DEP_1)
	v_dual_mov_b32 v2, v12 :: v_dual_mov_b32 v3, v13
.LBB168_100:                            ;   in Loop: Header=BB168_6 Depth=1
	s_delay_alu instid0(VALU_DEP_1) | instskip(NEXT) | instid1(VALU_DEP_2)
	v_sub_co_u32 v2, vcc_lo, s78, v2
	v_sub_co_ci_u32_e32 v3, vcc_lo, s27, v3, vcc_lo
	s_mov_b32 s8, 0
	s_mov_b32 s9, exec_lo
                                        ; implicit-def: $vgpr27
	s_delay_alu instid0(VALU_DEP_1)
	v_cmpx_gt_u64_e64 v[2:3], v[0:1]
	s_cbranch_execz .LBB168_109
; %bb.101:                              ;   in Loop: Header=BB168_6 Depth=1
	v_dual_mov_b32 v4, v10 :: v_dual_mov_b32 v5, v11
	v_dual_mov_b32 v7, v1 :: v_dual_mov_b32 v6, v0
	s_mov_b32 s18, 0
                                        ; implicit-def: $sgpr19
	s_set_inst_prefetch_distance 0x1
	s_branch .LBB168_103
	.p2align	6
.LBB168_102:                            ;   in Loop: Header=BB168_103 Depth=2
	s_or_b32 exec_lo, exec_lo, s8
	s_waitcnt vmcnt(0) lgkmcnt(0)
	s_barrier
	buffer_gl0_inv
	ds_load_b32 v8, v13 offset:3072
	v_add_co_u32 v6, vcc_lo, v6, s33
	v_add_co_ci_u32_e32 v7, vcc_lo, 0, v7, vcc_lo
	s_waitcnt lgkmcnt(0)
	s_barrier
	buffer_gl0_inv
	v_cmp_ge_u64_e32 vcc_lo, v[6:7], v[2:3]
	v_cmp_ne_u16_e64 s8, 0, v8
	s_delay_alu instid0(VALU_DEP_1)
	s_or_b32 s23, vcc_lo, s8
	v_add_co_u32 v4, vcc_lo, v4, s34
	s_and_b32 s23, exec_lo, s23
	v_add_co_ci_u32_e32 v5, vcc_lo, s35, v5, vcc_lo
	s_or_b32 s18, s23, s18
	s_and_not1_b32 s19, s19, exec_lo
	s_and_b32 s8, s8, exec_lo
	s_delay_alu instid0(SALU_CYCLE_1)
	s_or_b32 s19, s19, s8
	s_and_not1_b32 exec_lo, exec_lo, s18
	s_cbranch_execz .LBB168_108
.LBB168_103:                            ;   Parent Loop BB168_6 Depth=1
                                        ; =>  This Inner Loop Header: Depth=2
	s_delay_alu instid0(VALU_DEP_1)
	v_cmp_gt_u64_e32 vcc_lo, s[28:29], v[6:7]
	v_mov_b32_e32 v8, 0
	s_and_saveexec_b32 s8, vcc_lo
	s_cbranch_execz .LBB168_105
; %bb.104:                              ;   in Loop: Header=BB168_103 Depth=2
	global_load_u16 v8, v[4:5], off
.LBB168_105:                            ;   in Loop: Header=BB168_103 Depth=2
	s_or_b32 exec_lo, exec_lo, s8
	s_and_saveexec_b32 s8, vcc_lo
	s_cbranch_execz .LBB168_102
; %bb.106:                              ;   in Loop: Header=BB168_103 Depth=2
	s_waitcnt vmcnt(0)
	v_bfe_i32 v9, v8, 0, 16
	s_delay_alu instid0(VALU_DEP_1) | instskip(NEXT) | instid1(VALU_DEP_1)
	v_add_nc_u32_e32 v9, 0x8000, v9
	v_and_b32_e32 v9, v9, v26
	s_delay_alu instid0(VALU_DEP_1)
	v_cmp_eq_u32_e32 vcc_lo, v9, v25
	s_and_b32 exec_lo, exec_lo, vcc_lo
	s_cbranch_execz .LBB168_102
; %bb.107:                              ;   in Loop: Header=BB168_103 Depth=2
	v_perm_b32 v8, v8, 1, 0x5040100
	ds_store_b32 v13, v8 offset:3072
	s_branch .LBB168_102
.LBB168_108:                            ;   in Loop: Header=BB168_6 Depth=1
	s_set_inst_prefetch_distance 0x2
	s_or_b32 exec_lo, exec_lo, s18
	v_lshrrev_b32_e32 v27, 16, v8
	s_and_b32 s8, s19, exec_lo
.LBB168_109:                            ;   in Loop: Header=BB168_6 Depth=1
	s_or_b32 exec_lo, exec_lo, s9
	s_mov_b32 s62, -1
	s_mov_b32 s23, 0
	s_mov_b32 s52, 0
.LBB168_110:                            ;   in Loop: Header=BB168_6 Depth=1
	s_or_not1_b32 s8, s8, exec_lo
.LBB168_111:                            ;   in Loop: Header=BB168_6 Depth=1
	s_or_b32 exec_lo, exec_lo, s24
	s_mov_b32 s63, 0
	s_mov_b32 s25, 0
	;; [unrolled: 1-line block ×3, first 2 shown]
                                        ; implicit-def: $vgpr6
                                        ; implicit-def: $vgpr2_vgpr3
	s_and_saveexec_b32 s64, s8
	s_cbranch_execz .LBB168_274
; %bb.112:                              ;   in Loop: Header=BB168_6 Depth=1
	v_mov_b32_e32 v2, 1
	v_dual_mov_b32 v3, 0 :: v_dual_mov_b32 v6, 1
	s_xor_b32 s9, s65, -1
	s_delay_alu instid0(SALU_CYCLE_1)
	s_and_saveexec_b32 s8, s9
	s_cbranch_execz .LBB168_122
; %bb.113:                              ;   in Loop: Header=BB168_6 Depth=1
	s_mov_b32 s18, exec_lo
                                        ; implicit-def: $sgpr19
                                        ; implicit-def: $sgpr9
	v_cmpx_ge_u64_e64 s[10:11], v[23:24]
	s_xor_b32 s18, exec_lo, s18
	s_cbranch_execz .LBB168_119
; %bb.114:                              ;   in Loop: Header=BB168_6 Depth=1
	ds_load_b64 v[2:3], v13 offset:5120
	s_waitcnt lgkmcnt(0)
	v_cmp_ne_u64_e32 vcc_lo, 0, v[2:3]
	s_cbranch_vccnz .LBB168_118
; %bb.115:                              ;   in Loop: Header=BB168_6 Depth=1
	s_and_saveexec_b32 s9, s5
	s_cbranch_execz .LBB168_117
; %bb.116:                              ;   in Loop: Header=BB168_6 Depth=1
	v_dual_mov_b32 v2, s10 :: v_dual_mov_b32 v3, s11
	ds_store_b64 v13, v[2:3] offset:5128
.LBB168_117:                            ;   in Loop: Header=BB168_6 Depth=1
	s_or_b32 exec_lo, exec_lo, s9
	s_waitcnt lgkmcnt(0)
	s_barrier
	buffer_gl0_inv
.LBB168_118:                            ;   in Loop: Header=BB168_6 Depth=1
	v_and_b32_e32 v25, s21, v25
	v_or_b32_e32 v26, s20, v26
	s_mov_b32 s9, 0
	s_mov_b32 s19, 8
.LBB168_119:                            ;   in Loop: Header=BB168_6 Depth=1
	s_or_saveexec_b32 s18, s18
	v_mov_b32_e32 v2, v23
	v_dual_mov_b32 v6, s19 :: v_dual_mov_b32 v3, v24
	s_xor_b32 exec_lo, exec_lo, s18
; %bb.120:                              ;   in Loop: Header=BB168_6 Depth=1
	v_sub_co_u32 v2, vcc_lo, v23, s10
	v_subrev_co_ci_u32_e32 v3, vcc_lo, s11, v24, vcc_lo
	v_mov_b32_e32 v6, 0
	s_or_b32 s9, s9, exec_lo
; %bb.121:                              ;   in Loop: Header=BB168_6 Depth=1
	s_or_b32 exec_lo, exec_lo, s18
	s_delay_alu instid0(SALU_CYCLE_1)
	s_and_b32 s24, s9, exec_lo
.LBB168_122:                            ;   in Loop: Header=BB168_6 Depth=1
	s_or_b32 exec_lo, exec_lo, s8
	s_mov_b32 s25, -1
                                        ; implicit-def: $sgpr9
                                        ; implicit-def: $sgpr18
                                        ; implicit-def: $sgpr19
	s_and_saveexec_b32 s8, s24
	s_delay_alu instid0(SALU_CYCLE_1)
	s_xor_b32 s24, exec_lo, s8
	s_cbranch_execz .LBB168_271
; %bb.123:                              ;   in Loop: Header=BB168_6 Depth=1
	v_cmp_eq_u64_e32 vcc_lo, 1, v[2:3]
	s_cmp_eq_u64 s[12:13], 1
                                        ; implicit-def: $sgpr25
                                        ; implicit-def: $sgpr66
                                        ; implicit-def: $sgpr65
	s_cselect_b32 s8, -1, 0
	s_delay_alu instid0(SALU_CYCLE_1)
	s_and_b32 s68, s8, vcc_lo
	s_mov_b32 s8, -1
	s_and_saveexec_b32 s67, s68
	s_cbranch_execz .LBB168_157
; %bb.124:                              ;   in Loop: Header=BB168_6 Depth=1
	ds_load_b64 v[4:5], v13 offset:5120
	s_waitcnt lgkmcnt(0)
	s_barrier
	buffer_gl0_inv
	v_readfirstlane_b32 s18, v4
	v_readfirstlane_b32 s19, v5
	s_and_saveexec_b32 s8, s6
	s_cbranch_execz .LBB168_126
; %bb.125:                              ;   in Loop: Header=BB168_6 Depth=1
	ds_store_b16 v33, v13
.LBB168_126:                            ;   in Loop: Header=BB168_6 Depth=1
	s_or_b32 exec_lo, exec_lo, s8
	s_lshl_b32 s8, 1, s22
	v_or_b32_e32 v26, s20, v26
	v_and_or_b32 v25, v25, s21, s8
	s_cmp_eq_u64 s[18:19], 0
	s_waitcnt lgkmcnt(0)
	s_barrier
	buffer_gl0_inv
	s_cbranch_scc1 .LBB168_140
; %bb.127:                              ;   in Loop: Header=BB168_6 Depth=1
	s_add_u32 s25, s76, s18
	s_addc_u32 s9, s77, s19
	s_mov_b32 s8, s53
	s_delay_alu instid0(SALU_CYCLE_1)
	s_cmp_lg_u64 s[8:9], 0
	s_cbranch_scc0 .LBB168_184
; %bb.128:                              ;   in Loop: Header=BB168_6 Depth=1
	v_cvt_f32_u32_e32 v4, s33
	s_sub_u32 s65, 0, s33
	s_subb_u32 s66, 0, 0
	s_delay_alu instid0(VALU_DEP_1) | instskip(NEXT) | instid1(VALU_DEP_1)
	v_fmac_f32_e64 v4, 0, 0x4f800000
	v_rcp_f32_e32 v4, v4
	s_waitcnt_depctr 0xfff
	v_mul_f32_e32 v4, 0x5f7ffffc, v4
	s_delay_alu instid0(VALU_DEP_1) | instskip(NEXT) | instid1(VALU_DEP_1)
	v_mul_f32_e32 v5, 0x2f800000, v4
	v_trunc_f32_e32 v5, v5
	s_delay_alu instid0(VALU_DEP_1) | instskip(SKIP_1) | instid1(VALU_DEP_2)
	v_fmac_f32_e32 v4, 0xcf800000, v5
	v_cvt_u32_f32_e32 v5, v5
	v_cvt_u32_f32_e32 v4, v4
	s_delay_alu instid0(VALU_DEP_2) | instskip(NEXT) | instid1(VALU_DEP_2)
	v_readfirstlane_b32 s8, v5
	v_readfirstlane_b32 s26, v4
	s_delay_alu instid0(VALU_DEP_2) | instskip(NEXT) | instid1(VALU_DEP_1)
	s_mul_i32 s69, s65, s8
	s_mul_hi_u32 s71, s65, s26
	s_mul_i32 s70, s66, s26
	s_add_i32 s69, s71, s69
	s_mul_i32 s72, s65, s26
	s_add_i32 s69, s69, s70
	s_mul_hi_u32 s71, s26, s72
	s_mul_hi_u32 s73, s8, s72
	s_mul_i32 s70, s8, s72
	s_mul_hi_u32 s72, s26, s69
	s_mul_i32 s26, s26, s69
	s_mul_hi_u32 s98, s8, s69
	s_add_u32 s26, s71, s26
	s_addc_u32 s71, 0, s72
	s_add_u32 s26, s26, s70
	s_mul_i32 s69, s8, s69
	s_addc_u32 s26, s71, s73
	s_addc_u32 s70, s98, 0
	s_add_u32 s26, s26, s69
	s_addc_u32 s69, 0, s70
	v_add_co_u32 v4, s26, v4, s26
	s_delay_alu instid0(VALU_DEP_1) | instskip(SKIP_1) | instid1(VALU_DEP_1)
	s_cmp_lg_u32 s26, 0
	s_addc_u32 s8, s8, s69
	v_readfirstlane_b32 s26, v4
	s_mul_i32 s69, s65, s8
	s_delay_alu instid0(VALU_DEP_1)
	s_mul_hi_u32 s70, s65, s26
	s_mul_i32 s66, s66, s26
	s_add_i32 s69, s70, s69
	s_mul_i32 s65, s65, s26
	s_add_i32 s69, s69, s66
	s_mul_hi_u32 s70, s8, s65
	s_mul_i32 s71, s8, s65
	s_mul_hi_u32 s65, s26, s65
	s_mul_hi_u32 s72, s26, s69
	s_mul_i32 s26, s26, s69
	s_mul_hi_u32 s66, s8, s69
	s_add_u32 s26, s65, s26
	s_addc_u32 s65, 0, s72
	s_add_u32 s26, s26, s71
	s_mul_i32 s69, s8, s69
	s_addc_u32 s26, s65, s70
	s_addc_u32 s65, s66, 0
	s_add_u32 s26, s26, s69
	s_addc_u32 s65, 0, s65
	v_add_co_u32 v4, s26, v4, s26
	s_delay_alu instid0(VALU_DEP_1) | instskip(SKIP_1) | instid1(VALU_DEP_1)
	s_cmp_lg_u32 s26, 0
	s_addc_u32 s8, s8, s65
	v_readfirstlane_b32 s26, v4
	s_mul_i32 s66, s25, s8
	s_mul_hi_u32 s65, s25, s8
	s_mul_hi_u32 s69, s9, s8
	s_mul_i32 s8, s9, s8
	s_mul_hi_u32 s70, s25, s26
	s_mul_hi_u32 s71, s9, s26
	s_mul_i32 s26, s9, s26
	s_add_u32 s66, s70, s66
	s_addc_u32 s65, 0, s65
	s_add_u32 s26, s66, s26
	s_addc_u32 s26, s65, s71
	s_addc_u32 s65, s69, 0
	s_add_u32 s8, s26, s8
	s_addc_u32 s26, 0, s65
	s_mul_hi_u32 s65, s33, s8
	s_mul_i32 s8, s33, s8
	s_mul_i32 s26, s33, s26
	v_sub_co_u32 v4, s8, s25, s8
	s_add_i32 s65, s65, s26
	s_cmp_lg_u32 s8, 0
	s_delay_alu instid0(VALU_DEP_1) | instskip(SKIP_2) | instid1(VALU_DEP_1)
	v_sub_co_u32 v5, s8, v4, s33
	s_subb_u32 s26, s9, s65
	s_cmp_lg_u32 s8, 0
	v_cmp_le_u32_e32 vcc_lo, s33, v5
	v_sub_co_u32 v6, s8, v5, s33
	s_subb_u32 s65, s26, 0
	s_cmp_lg_u32 s8, 0
	v_cndmask_b32_e64 v7, 0, -1, vcc_lo
	s_subb_u32 s8, s65, 0
	s_cmp_eq_u32 s65, 0
	v_mov_b32_e32 v9, s8
	s_cselect_b32 vcc_lo, -1, 0
	s_cmp_eq_u32 s26, 0
	v_cndmask_b32_e32 v7, -1, v7, vcc_lo
	v_cmp_le_u32_e32 vcc_lo, s33, v4
	s_cselect_b32 s8, -1, 0
	v_cndmask_b32_e64 v8, 0, -1, vcc_lo
	s_delay_alu instid0(VALU_DEP_3) | instskip(NEXT) | instid1(VALU_DEP_2)
	v_cmp_ne_u32_e32 vcc_lo, 0, v7
	v_cndmask_b32_e64 v7, -1, v8, s8
	v_cndmask_b32_e32 v8, s65, v9, vcc_lo
	v_cndmask_b32_e32 v6, v5, v6, vcc_lo
	s_delay_alu instid0(VALU_DEP_3) | instskip(NEXT) | instid1(VALU_DEP_3)
	v_cmp_ne_u32_e32 vcc_lo, 0, v7
	v_cndmask_b32_e32 v5, s26, v8, vcc_lo
	s_delay_alu instid0(VALU_DEP_3)
	v_cndmask_b32_e32 v4, v4, v6, vcc_lo
	s_cbranch_execnz .LBB168_130
.LBB168_129:                            ;   in Loop: Header=BB168_6 Depth=1
	v_cvt_f32_u32_e32 v4, s33
	s_sub_i32 s8, 0, s33
	s_delay_alu instid0(VALU_DEP_1) | instskip(SKIP_2) | instid1(VALU_DEP_1)
	v_rcp_iflag_f32_e32 v4, v4
	s_waitcnt_depctr 0xfff
	v_mul_f32_e32 v4, 0x4f7ffffe, v4
	v_cvt_u32_f32_e32 v4, v4
	s_delay_alu instid0(VALU_DEP_1) | instskip(NEXT) | instid1(VALU_DEP_1)
	v_mul_lo_u32 v5, s8, v4
	v_mul_hi_u32 v5, v4, v5
	s_delay_alu instid0(VALU_DEP_1) | instskip(NEXT) | instid1(VALU_DEP_1)
	v_add_nc_u32_e32 v4, v4, v5
	v_mul_hi_u32 v4, s25, v4
	s_delay_alu instid0(VALU_DEP_1) | instskip(NEXT) | instid1(VALU_DEP_1)
	v_mul_lo_u32 v4, v4, s33
	v_sub_nc_u32_e32 v4, s25, v4
	s_delay_alu instid0(VALU_DEP_1) | instskip(SKIP_1) | instid1(VALU_DEP_2)
	v_subrev_nc_u32_e32 v5, s33, v4
	v_cmp_le_u32_e32 vcc_lo, s33, v4
	v_cndmask_b32_e32 v4, v4, v5, vcc_lo
	s_delay_alu instid0(VALU_DEP_1) | instskip(SKIP_1) | instid1(VALU_DEP_2)
	v_subrev_nc_u32_e32 v5, s33, v4
	v_cmp_le_u32_e32 vcc_lo, s33, v4
	v_cndmask_b32_e32 v12, v4, v5, vcc_lo
	s_delay_alu instid0(VALU_DEP_1)
	v_dual_mov_b32 v4, v12 :: v_dual_mov_b32 v5, v13
.LBB168_130:                            ;   in Loop: Header=BB168_6 Depth=1
	s_delay_alu instid0(VALU_DEP_1) | instskip(NEXT) | instid1(VALU_DEP_2)
	v_sub_co_u32 v4, vcc_lo, s25, v4
	v_sub_co_ci_u32_e32 v5, vcc_lo, s9, v5, vcc_lo
	s_mov_b32 s8, 0
	s_mov_b32 s9, exec_lo
                                        ; implicit-def: $vgpr27
	s_delay_alu instid0(VALU_DEP_1)
	v_cmpx_gt_u64_e64 v[4:5], v[0:1]
	s_cbranch_execz .LBB168_142
; %bb.131:                              ;   in Loop: Header=BB168_6 Depth=1
	v_dual_mov_b32 v8, v31 :: v_dual_mov_b32 v7, v1
	v_mov_b32_e32 v6, v0
	s_mov_b32 s25, 0
                                        ; implicit-def: $sgpr26
	s_set_inst_prefetch_distance 0x1
	s_branch .LBB168_133
	.p2align	6
.LBB168_132:                            ;   in Loop: Header=BB168_133 Depth=2
	s_or_b32 exec_lo, exec_lo, s8
	s_waitcnt lgkmcnt(0)
	s_barrier
	buffer_gl0_inv
	ds_load_b32 v9, v13 offset:3072
	v_add_co_u32 v6, vcc_lo, v6, s33
	v_add_co_ci_u32_e32 v7, vcc_lo, 0, v7, vcc_lo
	v_add_nc_u32_e32 v8, s84, v8
	s_waitcnt lgkmcnt(0)
	s_barrier
	s_delay_alu instid0(VALU_DEP_2) | instskip(SKIP_2) | instid1(VALU_DEP_1)
	v_cmp_ge_u64_e32 vcc_lo, v[6:7], v[4:5]
	buffer_gl0_inv
	v_cmp_ne_u16_e64 s8, 0, v9
	s_or_b32 s65, vcc_lo, s8
	s_delay_alu instid0(SALU_CYCLE_1) | instskip(NEXT) | instid1(SALU_CYCLE_1)
	s_and_b32 s65, exec_lo, s65
	s_or_b32 s25, s65, s25
	s_and_not1_b32 s26, s26, exec_lo
	s_and_b32 s8, s8, exec_lo
	s_delay_alu instid0(SALU_CYCLE_1)
	s_or_b32 s26, s26, s8
	s_and_not1_b32 exec_lo, exec_lo, s25
	s_cbranch_execz .LBB168_141
.LBB168_133:                            ;   Parent Loop BB168_6 Depth=1
                                        ; =>  This Inner Loop Header: Depth=2
	s_delay_alu instid0(VALU_DEP_1)
	v_cmp_gt_u64_e32 vcc_lo, s[18:19], v[6:7]
	v_mov_b32_e32 v9, 0
	s_and_saveexec_b32 s8, vcc_lo
	s_cbranch_execz .LBB168_135
; %bb.134:                              ;   in Loop: Header=BB168_133 Depth=2
	ds_load_u16 v9, v8
.LBB168_135:                            ;   in Loop: Header=BB168_133 Depth=2
	s_or_b32 exec_lo, exec_lo, s8
	s_and_saveexec_b32 s8, vcc_lo
	s_cbranch_execz .LBB168_132
; %bb.136:                              ;   in Loop: Header=BB168_133 Depth=2
	s_waitcnt lgkmcnt(0)
	v_bfe_i32 v12, v9, 0, 16
	s_delay_alu instid0(VALU_DEP_1) | instskip(NEXT) | instid1(VALU_DEP_1)
	v_add_nc_u32_e32 v12, 0x8000, v12
	v_and_b32_e32 v12, v12, v26
	s_delay_alu instid0(VALU_DEP_1)
	v_cmp_eq_u32_e32 vcc_lo, v12, v25
	s_and_b32 exec_lo, exec_lo, vcc_lo
	s_cbranch_execz .LBB168_132
; %bb.137:                              ;   in Loop: Header=BB168_133 Depth=2
	v_perm_b32 v9, v9, 1, 0x5040100
	ds_store_b32 v13, v9 offset:3072
	s_branch .LBB168_132
.LBB168_138:                            ;   in Loop: Header=BB168_6 Depth=1
                                        ; implicit-def: $vgpr2_vgpr3
	s_branch .LBB168_83
.LBB168_139:                            ;   in Loop: Header=BB168_6 Depth=1
                                        ; implicit-def: $vgpr2_vgpr3
	s_branch .LBB168_99
.LBB168_140:                            ;   in Loop: Header=BB168_6 Depth=1
	s_mov_b32 s25, -1
	s_mov_b32 s8, 0
                                        ; implicit-def: $sgpr65
                                        ; implicit-def: $vgpr27
	s_mov_b32 s66, s25
	s_cbranch_execnz .LBB168_143
	s_branch .LBB168_156
.LBB168_141:                            ;   in Loop: Header=BB168_6 Depth=1
	s_set_inst_prefetch_distance 0x2
	s_or_b32 exec_lo, exec_lo, s25
	v_lshrrev_b32_e32 v27, 16, v9
	s_and_b32 s8, s26, exec_lo
.LBB168_142:                            ;   in Loop: Header=BB168_6 Depth=1
	s_or_b32 exec_lo, exec_lo, s9
	s_mov_b32 s65, -1
	s_mov_b32 s25, 0
	s_delay_alu instid0(SALU_CYCLE_1)
	s_mov_b32 s66, s25
	s_branch .LBB168_156
.LBB168_143:                            ;   in Loop: Header=BB168_6 Depth=1
	s_mov_b32 s26, s53
	s_delay_alu instid0(SALU_CYCLE_1)
	s_cmp_lg_u64 s[26:27], 0
	s_cbranch_scc0 .LBB168_185
; %bb.144:                              ;   in Loop: Header=BB168_6 Depth=1
	v_cvt_f32_u32_e32 v4, s33
	s_sub_u32 s18, 0, s33
	s_subb_u32 s19, 0, 0
	s_delay_alu instid0(VALU_DEP_1) | instskip(NEXT) | instid1(VALU_DEP_1)
	v_fmac_f32_e64 v4, 0, 0x4f800000
	v_rcp_f32_e32 v4, v4
	s_waitcnt_depctr 0xfff
	v_mul_f32_e32 v4, 0x5f7ffffc, v4
	s_delay_alu instid0(VALU_DEP_1) | instskip(NEXT) | instid1(VALU_DEP_1)
	v_mul_f32_e32 v5, 0x2f800000, v4
	v_trunc_f32_e32 v5, v5
	s_delay_alu instid0(VALU_DEP_1) | instskip(SKIP_1) | instid1(VALU_DEP_2)
	v_fmac_f32_e32 v4, 0xcf800000, v5
	v_cvt_u32_f32_e32 v5, v5
	v_cvt_u32_f32_e32 v4, v4
	s_delay_alu instid0(VALU_DEP_2) | instskip(NEXT) | instid1(VALU_DEP_2)
	v_readfirstlane_b32 s8, v5
	v_readfirstlane_b32 s9, v4
	s_delay_alu instid0(VALU_DEP_2) | instskip(NEXT) | instid1(VALU_DEP_1)
	s_mul_i32 s25, s18, s8
	s_mul_hi_u32 s65, s18, s9
	s_mul_i32 s26, s19, s9
	s_add_i32 s25, s65, s25
	s_mul_i32 s66, s18, s9
	s_add_i32 s25, s25, s26
	s_mul_hi_u32 s65, s9, s66
	s_mul_hi_u32 s69, s8, s66
	s_mul_i32 s26, s8, s66
	s_mul_hi_u32 s66, s9, s25
	s_mul_i32 s9, s9, s25
	s_mul_hi_u32 s70, s8, s25
	s_add_u32 s9, s65, s9
	s_addc_u32 s65, 0, s66
	s_add_u32 s9, s9, s26
	s_mul_i32 s25, s8, s25
	s_addc_u32 s9, s65, s69
	s_addc_u32 s26, s70, 0
	s_add_u32 s9, s9, s25
	s_addc_u32 s25, 0, s26
	v_add_co_u32 v4, s9, v4, s9
	s_delay_alu instid0(VALU_DEP_1) | instskip(SKIP_1) | instid1(VALU_DEP_1)
	s_cmp_lg_u32 s9, 0
	s_addc_u32 s8, s8, s25
	v_readfirstlane_b32 s9, v4
	s_mul_i32 s25, s18, s8
	s_delay_alu instid0(VALU_DEP_1)
	s_mul_hi_u32 s26, s18, s9
	s_mul_i32 s19, s19, s9
	s_add_i32 s25, s26, s25
	s_mul_i32 s18, s18, s9
	s_add_i32 s25, s25, s19
	s_mul_hi_u32 s26, s8, s18
	s_mul_i32 s65, s8, s18
	s_mul_hi_u32 s18, s9, s18
	s_mul_hi_u32 s66, s9, s25
	s_mul_i32 s9, s9, s25
	s_mul_hi_u32 s19, s8, s25
	s_add_u32 s9, s18, s9
	s_addc_u32 s18, 0, s66
	s_add_u32 s9, s9, s65
	s_mul_i32 s25, s8, s25
	s_addc_u32 s9, s18, s26
	s_addc_u32 s18, s19, 0
	s_add_u32 s9, s9, s25
	s_addc_u32 s18, 0, s18
	v_add_co_u32 v4, s9, v4, s9
	s_delay_alu instid0(VALU_DEP_1) | instskip(SKIP_1) | instid1(VALU_DEP_1)
	s_cmp_lg_u32 s9, 0
	s_addc_u32 s8, s8, s18
	v_readfirstlane_b32 s9, v4
	s_mul_i32 s19, s78, s8
	s_mul_hi_u32 s18, s78, s8
	s_mul_hi_u32 s25, s27, s8
	s_mul_i32 s8, s27, s8
	s_mul_hi_u32 s26, s78, s9
	s_mul_hi_u32 s65, s27, s9
	s_mul_i32 s9, s27, s9
	s_add_u32 s19, s26, s19
	s_addc_u32 s18, 0, s18
	s_add_u32 s9, s19, s9
	s_addc_u32 s9, s18, s65
	s_addc_u32 s18, s25, 0
	s_add_u32 s8, s9, s8
	s_addc_u32 s9, 0, s18
	s_mul_hi_u32 s18, s33, s8
	s_mul_i32 s8, s33, s8
	s_mul_i32 s9, s33, s9
	v_sub_co_u32 v4, s8, s78, s8
	s_add_i32 s18, s18, s9
	s_cmp_lg_u32 s8, 0
	s_delay_alu instid0(VALU_DEP_1) | instskip(SKIP_2) | instid1(VALU_DEP_1)
	v_sub_co_u32 v5, s8, v4, s33
	s_subb_u32 s9, s27, s18
	s_cmp_lg_u32 s8, 0
	v_cmp_le_u32_e32 vcc_lo, s33, v5
	v_sub_co_u32 v6, s8, v5, s33
	s_subb_u32 s18, s9, 0
	s_cmp_lg_u32 s8, 0
	v_cndmask_b32_e64 v7, 0, -1, vcc_lo
	s_subb_u32 s8, s18, 0
	s_cmp_eq_u32 s18, 0
	v_mov_b32_e32 v9, s8
	s_cselect_b32 vcc_lo, -1, 0
	s_cmp_eq_u32 s9, 0
	v_cndmask_b32_e32 v7, -1, v7, vcc_lo
	v_cmp_le_u32_e32 vcc_lo, s33, v4
	s_cselect_b32 s8, -1, 0
	v_cndmask_b32_e64 v8, 0, -1, vcc_lo
	s_delay_alu instid0(VALU_DEP_3) | instskip(NEXT) | instid1(VALU_DEP_2)
	v_cmp_ne_u32_e32 vcc_lo, 0, v7
	v_cndmask_b32_e64 v7, -1, v8, s8
	v_cndmask_b32_e32 v8, s18, v9, vcc_lo
	v_cndmask_b32_e32 v6, v5, v6, vcc_lo
	s_delay_alu instid0(VALU_DEP_3) | instskip(NEXT) | instid1(VALU_DEP_3)
	v_cmp_ne_u32_e32 vcc_lo, 0, v7
	v_cndmask_b32_e32 v5, s9, v8, vcc_lo
	s_delay_alu instid0(VALU_DEP_3)
	v_cndmask_b32_e32 v4, v4, v6, vcc_lo
	s_cbranch_execnz .LBB168_146
.LBB168_145:                            ;   in Loop: Header=BB168_6 Depth=1
	v_cvt_f32_u32_e32 v4, s33
	s_sub_i32 s8, 0, s33
	s_delay_alu instid0(VALU_DEP_1) | instskip(SKIP_2) | instid1(VALU_DEP_1)
	v_rcp_iflag_f32_e32 v4, v4
	s_waitcnt_depctr 0xfff
	v_mul_f32_e32 v4, 0x4f7ffffe, v4
	v_cvt_u32_f32_e32 v4, v4
	s_delay_alu instid0(VALU_DEP_1) | instskip(NEXT) | instid1(VALU_DEP_1)
	v_mul_lo_u32 v5, s8, v4
	v_mul_hi_u32 v5, v4, v5
	s_delay_alu instid0(VALU_DEP_1) | instskip(NEXT) | instid1(VALU_DEP_1)
	v_add_nc_u32_e32 v4, v4, v5
	v_mul_hi_u32 v4, s78, v4
	s_delay_alu instid0(VALU_DEP_1) | instskip(NEXT) | instid1(VALU_DEP_1)
	v_mul_lo_u32 v4, v4, s33
	v_sub_nc_u32_e32 v4, s78, v4
	s_delay_alu instid0(VALU_DEP_1) | instskip(SKIP_1) | instid1(VALU_DEP_2)
	v_subrev_nc_u32_e32 v5, s33, v4
	v_cmp_le_u32_e32 vcc_lo, s33, v4
	v_cndmask_b32_e32 v4, v4, v5, vcc_lo
	s_delay_alu instid0(VALU_DEP_1) | instskip(SKIP_1) | instid1(VALU_DEP_2)
	v_subrev_nc_u32_e32 v5, s33, v4
	v_cmp_le_u32_e32 vcc_lo, s33, v4
	v_cndmask_b32_e32 v12, v4, v5, vcc_lo
	s_delay_alu instid0(VALU_DEP_1)
	v_dual_mov_b32 v4, v12 :: v_dual_mov_b32 v5, v13
.LBB168_146:                            ;   in Loop: Header=BB168_6 Depth=1
	s_delay_alu instid0(VALU_DEP_1) | instskip(NEXT) | instid1(VALU_DEP_2)
	v_sub_co_u32 v4, vcc_lo, s78, v4
	v_sub_co_ci_u32_e32 v5, vcc_lo, s27, v5, vcc_lo
	s_mov_b32 s8, 0
	s_mov_b32 s9, exec_lo
                                        ; implicit-def: $vgpr27
	s_delay_alu instid0(VALU_DEP_1)
	v_cmpx_gt_u64_e64 v[4:5], v[0:1]
	s_cbranch_execz .LBB168_155
; %bb.147:                              ;   in Loop: Header=BB168_6 Depth=1
	v_dual_mov_b32 v6, v10 :: v_dual_mov_b32 v7, v11
	v_dual_mov_b32 v9, v1 :: v_dual_mov_b32 v8, v0
	s_mov_b32 s18, 0
                                        ; implicit-def: $sgpr19
	s_set_inst_prefetch_distance 0x1
	s_branch .LBB168_149
	.p2align	6
.LBB168_148:                            ;   in Loop: Header=BB168_149 Depth=2
	s_or_b32 exec_lo, exec_lo, s8
	s_waitcnt vmcnt(0) lgkmcnt(0)
	s_barrier
	buffer_gl0_inv
	ds_load_b32 v12, v13 offset:3072
	v_add_co_u32 v8, vcc_lo, v8, s33
	v_add_co_ci_u32_e32 v9, vcc_lo, 0, v9, vcc_lo
	s_waitcnt lgkmcnt(0)
	s_barrier
	buffer_gl0_inv
	v_cmp_ge_u64_e32 vcc_lo, v[8:9], v[4:5]
	v_cmp_ne_u16_e64 s8, 0, v12
	s_delay_alu instid0(VALU_DEP_1)
	s_or_b32 s25, vcc_lo, s8
	v_add_co_u32 v6, vcc_lo, v6, s34
	s_and_b32 s25, exec_lo, s25
	v_add_co_ci_u32_e32 v7, vcc_lo, s35, v7, vcc_lo
	s_or_b32 s18, s25, s18
	s_and_not1_b32 s19, s19, exec_lo
	s_and_b32 s8, s8, exec_lo
	s_delay_alu instid0(SALU_CYCLE_1)
	s_or_b32 s19, s19, s8
	s_and_not1_b32 exec_lo, exec_lo, s18
	s_cbranch_execz .LBB168_154
.LBB168_149:                            ;   Parent Loop BB168_6 Depth=1
                                        ; =>  This Inner Loop Header: Depth=2
	s_delay_alu instid0(VALU_DEP_1)
	v_cmp_gt_u64_e32 vcc_lo, s[28:29], v[8:9]
	v_mov_b32_e32 v12, 0
	s_and_saveexec_b32 s8, vcc_lo
	s_cbranch_execz .LBB168_151
; %bb.150:                              ;   in Loop: Header=BB168_149 Depth=2
	global_load_u16 v12, v[6:7], off
.LBB168_151:                            ;   in Loop: Header=BB168_149 Depth=2
	s_or_b32 exec_lo, exec_lo, s8
	s_and_saveexec_b32 s8, vcc_lo
	s_cbranch_execz .LBB168_148
; %bb.152:                              ;   in Loop: Header=BB168_149 Depth=2
	s_waitcnt vmcnt(0)
	v_bfe_i32 v27, v12, 0, 16
	s_delay_alu instid0(VALU_DEP_1) | instskip(NEXT) | instid1(VALU_DEP_1)
	v_add_nc_u32_e32 v27, 0x8000, v27
	v_and_b32_e32 v27, v27, v26
	s_delay_alu instid0(VALU_DEP_1)
	v_cmp_eq_u32_e32 vcc_lo, v27, v25
	s_and_b32 exec_lo, exec_lo, vcc_lo
	s_cbranch_execz .LBB168_148
; %bb.153:                              ;   in Loop: Header=BB168_149 Depth=2
	v_perm_b32 v12, v12, 1, 0x5040100
	ds_store_b32 v13, v12 offset:3072
	s_branch .LBB168_148
.LBB168_154:                            ;   in Loop: Header=BB168_6 Depth=1
	s_set_inst_prefetch_distance 0x2
	s_or_b32 exec_lo, exec_lo, s18
	v_lshrrev_b32_e32 v27, 16, v12
	s_and_b32 s8, s19, exec_lo
.LBB168_155:                            ;   in Loop: Header=BB168_6 Depth=1
	s_or_b32 exec_lo, exec_lo, s9
	s_mov_b32 s66, -1
	s_mov_b32 s25, 0
	s_mov_b32 s65, 0
.LBB168_156:                            ;   in Loop: Header=BB168_6 Depth=1
	s_or_not1_b32 s8, s8, exec_lo
.LBB168_157:                            ;   in Loop: Header=BB168_6 Depth=1
	s_or_b32 exec_lo, exec_lo, s67
	s_mov_b32 s26, 0
                                        ; implicit-def: $vgpr6
	s_and_saveexec_b32 s67, s8
	s_cbranch_execz .LBB168_270
; %bb.158:                              ;   in Loop: Header=BB168_6 Depth=1
	v_mov_b32_e32 v4, 1
	v_dual_mov_b32 v5, 0 :: v_dual_mov_b32 v6, 1
	s_xor_b32 s9, s68, -1
	s_delay_alu instid0(SALU_CYCLE_1)
	s_and_saveexec_b32 s8, s9
	s_cbranch_execz .LBB168_168
; %bb.159:                              ;   in Loop: Header=BB168_6 Depth=1
	s_mov_b32 s18, exec_lo
                                        ; implicit-def: $sgpr19
                                        ; implicit-def: $sgpr9
	v_cmpx_ge_u64_e64 s[12:13], v[2:3]
	s_xor_b32 s18, exec_lo, s18
	s_cbranch_execz .LBB168_165
; %bb.160:                              ;   in Loop: Header=BB168_6 Depth=1
	ds_load_b64 v[4:5], v13 offset:5120
	s_waitcnt lgkmcnt(0)
	v_cmp_ne_u64_e32 vcc_lo, 0, v[4:5]
	s_cbranch_vccnz .LBB168_164
; %bb.161:                              ;   in Loop: Header=BB168_6 Depth=1
	s_and_saveexec_b32 s9, s5
	s_cbranch_execz .LBB168_163
; %bb.162:                              ;   in Loop: Header=BB168_6 Depth=1
	v_dual_mov_b32 v4, s12 :: v_dual_mov_b32 v5, s13
	ds_store_b64 v13, v[4:5] offset:5128
.LBB168_163:                            ;   in Loop: Header=BB168_6 Depth=1
	s_or_b32 exec_lo, exec_lo, s9
	s_waitcnt lgkmcnt(0)
	s_barrier
	buffer_gl0_inv
.LBB168_164:                            ;   in Loop: Header=BB168_6 Depth=1
	s_lshl_b32 s9, 1, s22
	v_or_b32_e32 v26, s20, v26
	v_and_or_b32 v25, v25, s21, s9
	s_mov_b32 s9, 0
	s_mov_b32 s19, 8
.LBB168_165:                            ;   in Loop: Header=BB168_6 Depth=1
	s_or_saveexec_b32 s18, s18
	v_mov_b32_e32 v6, s19
	s_xor_b32 exec_lo, exec_lo, s18
; %bb.166:                              ;   in Loop: Header=BB168_6 Depth=1
	v_sub_co_u32 v2, vcc_lo, v2, s12
	v_subrev_co_ci_u32_e32 v3, vcc_lo, s13, v3, vcc_lo
	v_mov_b32_e32 v6, 0
	s_or_b32 s9, s9, exec_lo
; %bb.167:                              ;   in Loop: Header=BB168_6 Depth=1
	s_or_b32 exec_lo, exec_lo, s18
	s_delay_alu instid0(VALU_DEP_2)
	v_dual_mov_b32 v5, v3 :: v_dual_mov_b32 v4, v2
	s_and_b32 s26, s9, exec_lo
.LBB168_168:                            ;   in Loop: Header=BB168_6 Depth=1
	s_or_b32 exec_lo, exec_lo, s8
	s_mov_b32 s8, -1
                                        ; implicit-def: $sgpr9
                                        ; implicit-def: $sgpr18
                                        ; implicit-def: $sgpr19
	s_and_saveexec_b32 s68, s26
	s_cbranch_execz .LBB168_269
; %bb.169:                              ;   in Loop: Header=BB168_6 Depth=1
	v_cmp_eq_u64_e32 vcc_lo, 1, v[4:5]
	s_cmp_eq_u64 s[14:15], 1
                                        ; implicit-def: $sgpr69
                                        ; implicit-def: $sgpr71
                                        ; implicit-def: $sgpr70
	s_cselect_b32 s8, -1, 0
	s_delay_alu instid0(SALU_CYCLE_1)
	s_and_b32 s73, s8, vcc_lo
	s_mov_b32 s8, -1
	s_and_saveexec_b32 s72, s73
	s_cbranch_execz .LBB168_203
; %bb.170:                              ;   in Loop: Header=BB168_6 Depth=1
	ds_load_b64 v[2:3], v13 offset:5120
	s_waitcnt lgkmcnt(0)
	s_barrier
	buffer_gl0_inv
	v_readfirstlane_b32 s18, v2
	v_readfirstlane_b32 s19, v3
	s_and_saveexec_b32 s8, s6
	s_cbranch_execz .LBB168_172
; %bb.171:                              ;   in Loop: Header=BB168_6 Depth=1
	ds_store_b16 v33, v13
.LBB168_172:                            ;   in Loop: Header=BB168_6 Depth=1
	s_or_b32 exec_lo, exec_lo, s8
	s_lshl_b32 s8, 2, s22
	v_or_b32_e32 v26, s20, v26
	v_and_or_b32 v25, v25, s21, s8
	s_cmp_eq_u64 s[18:19], 0
	s_waitcnt lgkmcnt(0)
	s_barrier
	buffer_gl0_inv
	s_cbranch_scc1 .LBB168_186
; %bb.173:                              ;   in Loop: Header=BB168_6 Depth=1
	s_add_u32 s26, s76, s18
	s_addc_u32 s9, s77, s19
	s_mov_b32 s8, s53
	s_delay_alu instid0(SALU_CYCLE_1)
	s_cmp_lg_u64 s[8:9], 0
	s_cbranch_scc0 .LBB168_221
; %bb.174:                              ;   in Loop: Header=BB168_6 Depth=1
	v_cvt_f32_u32_e32 v2, s33
	s_sub_u32 s70, 0, s33
	s_subb_u32 s71, 0, 0
	s_delay_alu instid0(VALU_DEP_1) | instskip(NEXT) | instid1(VALU_DEP_1)
	v_fmac_f32_e64 v2, 0, 0x4f800000
	v_rcp_f32_e32 v2, v2
	s_waitcnt_depctr 0xfff
	v_mul_f32_e32 v2, 0x5f7ffffc, v2
	s_delay_alu instid0(VALU_DEP_1) | instskip(NEXT) | instid1(VALU_DEP_1)
	v_mul_f32_e32 v3, 0x2f800000, v2
	v_trunc_f32_e32 v3, v3
	s_delay_alu instid0(VALU_DEP_1) | instskip(SKIP_1) | instid1(VALU_DEP_2)
	v_fmac_f32_e32 v2, 0xcf800000, v3
	v_cvt_u32_f32_e32 v3, v3
	v_cvt_u32_f32_e32 v2, v2
	s_delay_alu instid0(VALU_DEP_2) | instskip(NEXT) | instid1(VALU_DEP_2)
	v_readfirstlane_b32 s8, v3
	v_readfirstlane_b32 s69, v2
	s_delay_alu instid0(VALU_DEP_2) | instskip(NEXT) | instid1(VALU_DEP_1)
	s_mul_i32 s98, s70, s8
	s_mul_hi_u32 s100, s70, s69
	s_mul_i32 s99, s71, s69
	s_add_i32 s98, s100, s98
	s_mul_i32 s101, s70, s69
	s_add_i32 s98, s98, s99
	s_mul_hi_u32 s100, s69, s101
	s_mul_hi_u32 s102, s8, s101
	s_mul_i32 s99, s8, s101
	s_mul_hi_u32 s101, s69, s98
	s_mul_i32 s69, s69, s98
	s_mul_hi_u32 s103, s8, s98
	s_add_u32 s69, s100, s69
	s_addc_u32 s100, 0, s101
	s_add_u32 s69, s69, s99
	s_mul_i32 s98, s8, s98
	s_addc_u32 s69, s100, s102
	s_addc_u32 s99, s103, 0
	s_add_u32 s69, s69, s98
	s_addc_u32 s98, 0, s99
	v_add_co_u32 v2, s69, v2, s69
	s_delay_alu instid0(VALU_DEP_1) | instskip(SKIP_1) | instid1(VALU_DEP_1)
	s_cmp_lg_u32 s69, 0
	s_addc_u32 s8, s8, s98
	v_readfirstlane_b32 s69, v2
	s_mul_i32 s98, s70, s8
	s_delay_alu instid0(VALU_DEP_1)
	s_mul_hi_u32 s99, s70, s69
	s_mul_i32 s71, s71, s69
	s_add_i32 s98, s99, s98
	s_mul_i32 s70, s70, s69
	s_add_i32 s98, s98, s71
	s_mul_hi_u32 s99, s8, s70
	s_mul_i32 s100, s8, s70
	s_mul_hi_u32 s70, s69, s70
	s_mul_hi_u32 s101, s69, s98
	s_mul_i32 s69, s69, s98
	s_mul_hi_u32 s71, s8, s98
	s_add_u32 s69, s70, s69
	s_addc_u32 s70, 0, s101
	s_add_u32 s69, s69, s100
	s_mul_i32 s98, s8, s98
	s_addc_u32 s69, s70, s99
	s_addc_u32 s70, s71, 0
	s_add_u32 s69, s69, s98
	s_addc_u32 s70, 0, s70
	v_add_co_u32 v2, s69, v2, s69
	s_delay_alu instid0(VALU_DEP_1) | instskip(SKIP_1) | instid1(VALU_DEP_1)
	s_cmp_lg_u32 s69, 0
	s_addc_u32 s8, s8, s70
	v_readfirstlane_b32 s69, v2
	s_mul_i32 s71, s26, s8
	s_mul_hi_u32 s70, s26, s8
	s_mul_hi_u32 s98, s9, s8
	s_mul_i32 s8, s9, s8
	s_mul_hi_u32 s99, s26, s69
	s_mul_hi_u32 s100, s9, s69
	s_mul_i32 s69, s9, s69
	s_add_u32 s71, s99, s71
	s_addc_u32 s70, 0, s70
	s_add_u32 s69, s71, s69
	s_addc_u32 s69, s70, s100
	s_addc_u32 s70, s98, 0
	s_add_u32 s8, s69, s8
	s_addc_u32 s69, 0, s70
	s_mul_hi_u32 s70, s33, s8
	s_mul_i32 s8, s33, s8
	s_mul_i32 s69, s33, s69
	v_sub_co_u32 v2, s8, s26, s8
	s_add_i32 s70, s70, s69
	s_cmp_lg_u32 s8, 0
	s_delay_alu instid0(VALU_DEP_1) | instskip(SKIP_2) | instid1(VALU_DEP_1)
	v_sub_co_u32 v3, s8, v2, s33
	s_subb_u32 s69, s9, s70
	s_cmp_lg_u32 s8, 0
	v_cmp_le_u32_e32 vcc_lo, s33, v3
	v_sub_co_u32 v6, s8, v3, s33
	s_subb_u32 s70, s69, 0
	s_cmp_lg_u32 s8, 0
	v_cndmask_b32_e64 v7, 0, -1, vcc_lo
	s_subb_u32 s8, s70, 0
	s_cmp_eq_u32 s70, 0
	v_mov_b32_e32 v9, s8
	s_cselect_b32 vcc_lo, -1, 0
	s_cmp_eq_u32 s69, 0
	v_cndmask_b32_e32 v7, -1, v7, vcc_lo
	v_cmp_le_u32_e32 vcc_lo, s33, v2
	s_cselect_b32 s8, -1, 0
	v_cndmask_b32_e64 v8, 0, -1, vcc_lo
	s_delay_alu instid0(VALU_DEP_3) | instskip(NEXT) | instid1(VALU_DEP_2)
	v_cmp_ne_u32_e32 vcc_lo, 0, v7
	v_cndmask_b32_e64 v7, -1, v8, s8
	v_cndmask_b32_e32 v8, s70, v9, vcc_lo
	v_cndmask_b32_e32 v6, v3, v6, vcc_lo
	s_delay_alu instid0(VALU_DEP_3) | instskip(NEXT) | instid1(VALU_DEP_3)
	v_cmp_ne_u32_e32 vcc_lo, 0, v7
	v_cndmask_b32_e32 v3, s69, v8, vcc_lo
	s_delay_alu instid0(VALU_DEP_3)
	v_cndmask_b32_e32 v2, v2, v6, vcc_lo
	s_cbranch_execnz .LBB168_176
.LBB168_175:                            ;   in Loop: Header=BB168_6 Depth=1
	v_cvt_f32_u32_e32 v2, s33
	s_sub_i32 s8, 0, s33
	s_delay_alu instid0(VALU_DEP_1) | instskip(SKIP_2) | instid1(VALU_DEP_1)
	v_rcp_iflag_f32_e32 v2, v2
	s_waitcnt_depctr 0xfff
	v_mul_f32_e32 v2, 0x4f7ffffe, v2
	v_cvt_u32_f32_e32 v2, v2
	s_delay_alu instid0(VALU_DEP_1) | instskip(NEXT) | instid1(VALU_DEP_1)
	v_mul_lo_u32 v3, s8, v2
	v_mul_hi_u32 v3, v2, v3
	s_delay_alu instid0(VALU_DEP_1) | instskip(NEXT) | instid1(VALU_DEP_1)
	v_add_nc_u32_e32 v2, v2, v3
	v_mul_hi_u32 v2, s26, v2
	s_delay_alu instid0(VALU_DEP_1) | instskip(NEXT) | instid1(VALU_DEP_1)
	v_mul_lo_u32 v2, v2, s33
	v_sub_nc_u32_e32 v2, s26, v2
	s_delay_alu instid0(VALU_DEP_1) | instskip(SKIP_1) | instid1(VALU_DEP_2)
	v_subrev_nc_u32_e32 v3, s33, v2
	v_cmp_le_u32_e32 vcc_lo, s33, v2
	v_cndmask_b32_e32 v2, v2, v3, vcc_lo
	s_delay_alu instid0(VALU_DEP_1) | instskip(SKIP_1) | instid1(VALU_DEP_2)
	v_subrev_nc_u32_e32 v3, s33, v2
	v_cmp_le_u32_e32 vcc_lo, s33, v2
	v_cndmask_b32_e32 v12, v2, v3, vcc_lo
	s_delay_alu instid0(VALU_DEP_1)
	v_dual_mov_b32 v2, v12 :: v_dual_mov_b32 v3, v13
.LBB168_176:                            ;   in Loop: Header=BB168_6 Depth=1
	s_delay_alu instid0(VALU_DEP_1) | instskip(NEXT) | instid1(VALU_DEP_2)
	v_sub_co_u32 v2, vcc_lo, s26, v2
	v_sub_co_ci_u32_e32 v3, vcc_lo, s9, v3, vcc_lo
	s_mov_b32 s8, 0
	s_mov_b32 s9, exec_lo
                                        ; implicit-def: $vgpr27
	s_delay_alu instid0(VALU_DEP_1)
	v_cmpx_gt_u64_e64 v[2:3], v[0:1]
	s_cbranch_execz .LBB168_188
; %bb.177:                              ;   in Loop: Header=BB168_6 Depth=1
	v_dual_mov_b32 v8, v31 :: v_dual_mov_b32 v7, v1
	v_mov_b32_e32 v6, v0
	s_mov_b32 s26, 0
                                        ; implicit-def: $sgpr69
	s_set_inst_prefetch_distance 0x1
	s_branch .LBB168_179
	.p2align	6
.LBB168_178:                            ;   in Loop: Header=BB168_179 Depth=2
	s_or_b32 exec_lo, exec_lo, s8
	s_waitcnt lgkmcnt(0)
	s_barrier
	buffer_gl0_inv
	ds_load_b32 v9, v13 offset:3072
	v_add_co_u32 v6, vcc_lo, v6, s33
	v_add_co_ci_u32_e32 v7, vcc_lo, 0, v7, vcc_lo
	v_add_nc_u32_e32 v8, s84, v8
	s_waitcnt lgkmcnt(0)
	s_barrier
	s_delay_alu instid0(VALU_DEP_2) | instskip(SKIP_2) | instid1(VALU_DEP_1)
	v_cmp_ge_u64_e32 vcc_lo, v[6:7], v[2:3]
	buffer_gl0_inv
	v_cmp_ne_u16_e64 s8, 0, v9
	s_or_b32 s70, vcc_lo, s8
	s_delay_alu instid0(SALU_CYCLE_1) | instskip(NEXT) | instid1(SALU_CYCLE_1)
	s_and_b32 s70, exec_lo, s70
	s_or_b32 s26, s70, s26
	s_and_not1_b32 s69, s69, exec_lo
	s_and_b32 s8, s8, exec_lo
	s_delay_alu instid0(SALU_CYCLE_1)
	s_or_b32 s69, s69, s8
	s_and_not1_b32 exec_lo, exec_lo, s26
	s_cbranch_execz .LBB168_187
.LBB168_179:                            ;   Parent Loop BB168_6 Depth=1
                                        ; =>  This Inner Loop Header: Depth=2
	s_delay_alu instid0(VALU_DEP_1)
	v_cmp_gt_u64_e32 vcc_lo, s[18:19], v[6:7]
	v_mov_b32_e32 v9, 0
	s_and_saveexec_b32 s8, vcc_lo
	s_cbranch_execz .LBB168_181
; %bb.180:                              ;   in Loop: Header=BB168_179 Depth=2
	ds_load_u16 v9, v8
.LBB168_181:                            ;   in Loop: Header=BB168_179 Depth=2
	s_or_b32 exec_lo, exec_lo, s8
	s_and_saveexec_b32 s8, vcc_lo
	s_cbranch_execz .LBB168_178
; %bb.182:                              ;   in Loop: Header=BB168_179 Depth=2
	s_waitcnt lgkmcnt(0)
	v_bfe_i32 v12, v9, 0, 16
	s_delay_alu instid0(VALU_DEP_1) | instskip(NEXT) | instid1(VALU_DEP_1)
	v_add_nc_u32_e32 v12, 0x8000, v12
	v_and_b32_e32 v12, v12, v26
	s_delay_alu instid0(VALU_DEP_1)
	v_cmp_eq_u32_e32 vcc_lo, v12, v25
	s_and_b32 exec_lo, exec_lo, vcc_lo
	s_cbranch_execz .LBB168_178
; %bb.183:                              ;   in Loop: Header=BB168_179 Depth=2
	v_perm_b32 v9, v9, 1, 0x5040100
	ds_store_b32 v13, v9 offset:3072
	s_branch .LBB168_178
.LBB168_184:                            ;   in Loop: Header=BB168_6 Depth=1
                                        ; implicit-def: $vgpr4_vgpr5
	s_branch .LBB168_129
.LBB168_185:                            ;   in Loop: Header=BB168_6 Depth=1
                                        ; implicit-def: $vgpr4_vgpr5
	s_branch .LBB168_145
.LBB168_186:                            ;   in Loop: Header=BB168_6 Depth=1
	s_mov_b32 s69, -1
	s_mov_b32 s8, 0
                                        ; implicit-def: $sgpr70
                                        ; implicit-def: $vgpr27
	s_mov_b32 s71, s69
	s_cbranch_execnz .LBB168_189
	s_branch .LBB168_202
.LBB168_187:                            ;   in Loop: Header=BB168_6 Depth=1
	s_set_inst_prefetch_distance 0x2
	s_or_b32 exec_lo, exec_lo, s26
	v_lshrrev_b32_e32 v27, 16, v9
	s_and_b32 s8, s69, exec_lo
.LBB168_188:                            ;   in Loop: Header=BB168_6 Depth=1
	s_or_b32 exec_lo, exec_lo, s9
	s_mov_b32 s70, -1
	s_mov_b32 s69, 0
	s_delay_alu instid0(SALU_CYCLE_1)
	s_mov_b32 s71, s69
	s_branch .LBB168_202
.LBB168_189:                            ;   in Loop: Header=BB168_6 Depth=1
	s_mov_b32 s26, s53
	s_delay_alu instid0(SALU_CYCLE_1)
	s_cmp_lg_u64 s[26:27], 0
	s_cbranch_scc0 .LBB168_222
; %bb.190:                              ;   in Loop: Header=BB168_6 Depth=1
	v_cvt_f32_u32_e32 v2, s33
	s_sub_u32 s18, 0, s33
	s_subb_u32 s19, 0, 0
	s_delay_alu instid0(VALU_DEP_1) | instskip(NEXT) | instid1(VALU_DEP_1)
	v_fmac_f32_e64 v2, 0, 0x4f800000
	v_rcp_f32_e32 v2, v2
	s_waitcnt_depctr 0xfff
	v_mul_f32_e32 v2, 0x5f7ffffc, v2
	s_delay_alu instid0(VALU_DEP_1) | instskip(NEXT) | instid1(VALU_DEP_1)
	v_mul_f32_e32 v3, 0x2f800000, v2
	v_trunc_f32_e32 v3, v3
	s_delay_alu instid0(VALU_DEP_1) | instskip(SKIP_1) | instid1(VALU_DEP_2)
	v_fmac_f32_e32 v2, 0xcf800000, v3
	v_cvt_u32_f32_e32 v3, v3
	v_cvt_u32_f32_e32 v2, v2
	s_delay_alu instid0(VALU_DEP_2) | instskip(NEXT) | instid1(VALU_DEP_2)
	v_readfirstlane_b32 s8, v3
	v_readfirstlane_b32 s9, v2
	s_delay_alu instid0(VALU_DEP_2) | instskip(NEXT) | instid1(VALU_DEP_1)
	s_mul_i32 s26, s18, s8
	s_mul_hi_u32 s70, s18, s9
	s_mul_i32 s69, s19, s9
	s_add_i32 s26, s70, s26
	s_mul_i32 s71, s18, s9
	s_add_i32 s26, s26, s69
	s_mul_hi_u32 s70, s9, s71
	s_mul_hi_u32 s98, s8, s71
	s_mul_i32 s69, s8, s71
	s_mul_hi_u32 s71, s9, s26
	s_mul_i32 s9, s9, s26
	s_mul_hi_u32 s99, s8, s26
	s_add_u32 s9, s70, s9
	s_addc_u32 s70, 0, s71
	s_add_u32 s9, s9, s69
	s_mul_i32 s26, s8, s26
	s_addc_u32 s9, s70, s98
	s_addc_u32 s69, s99, 0
	s_add_u32 s9, s9, s26
	s_addc_u32 s26, 0, s69
	v_add_co_u32 v2, s9, v2, s9
	s_delay_alu instid0(VALU_DEP_1) | instskip(SKIP_1) | instid1(VALU_DEP_1)
	s_cmp_lg_u32 s9, 0
	s_addc_u32 s8, s8, s26
	v_readfirstlane_b32 s9, v2
	s_mul_i32 s26, s18, s8
	s_delay_alu instid0(VALU_DEP_1)
	s_mul_hi_u32 s69, s18, s9
	s_mul_i32 s19, s19, s9
	s_add_i32 s26, s69, s26
	s_mul_i32 s18, s18, s9
	s_add_i32 s26, s26, s19
	s_mul_hi_u32 s69, s8, s18
	s_mul_i32 s70, s8, s18
	s_mul_hi_u32 s18, s9, s18
	s_mul_hi_u32 s71, s9, s26
	s_mul_i32 s9, s9, s26
	s_mul_hi_u32 s19, s8, s26
	s_add_u32 s9, s18, s9
	s_addc_u32 s18, 0, s71
	s_add_u32 s9, s9, s70
	s_mul_i32 s26, s8, s26
	s_addc_u32 s9, s18, s69
	s_addc_u32 s18, s19, 0
	s_add_u32 s9, s9, s26
	s_addc_u32 s18, 0, s18
	v_add_co_u32 v2, s9, v2, s9
	s_delay_alu instid0(VALU_DEP_1) | instskip(SKIP_1) | instid1(VALU_DEP_1)
	s_cmp_lg_u32 s9, 0
	s_addc_u32 s8, s8, s18
	v_readfirstlane_b32 s9, v2
	s_mul_i32 s19, s78, s8
	s_mul_hi_u32 s18, s78, s8
	s_mul_hi_u32 s26, s27, s8
	s_mul_i32 s8, s27, s8
	s_mul_hi_u32 s69, s78, s9
	s_mul_hi_u32 s70, s27, s9
	s_mul_i32 s9, s27, s9
	s_add_u32 s19, s69, s19
	s_addc_u32 s18, 0, s18
	s_add_u32 s9, s19, s9
	s_addc_u32 s9, s18, s70
	s_addc_u32 s18, s26, 0
	s_add_u32 s8, s9, s8
	s_addc_u32 s9, 0, s18
	s_mul_hi_u32 s18, s33, s8
	s_mul_i32 s8, s33, s8
	s_mul_i32 s9, s33, s9
	v_sub_co_u32 v2, s8, s78, s8
	s_add_i32 s18, s18, s9
	s_cmp_lg_u32 s8, 0
	s_delay_alu instid0(VALU_DEP_1) | instskip(SKIP_2) | instid1(VALU_DEP_1)
	v_sub_co_u32 v3, s8, v2, s33
	s_subb_u32 s9, s27, s18
	s_cmp_lg_u32 s8, 0
	v_cmp_le_u32_e32 vcc_lo, s33, v3
	v_sub_co_u32 v6, s8, v3, s33
	s_subb_u32 s18, s9, 0
	s_cmp_lg_u32 s8, 0
	v_cndmask_b32_e64 v7, 0, -1, vcc_lo
	s_subb_u32 s8, s18, 0
	s_cmp_eq_u32 s18, 0
	v_mov_b32_e32 v9, s8
	s_cselect_b32 vcc_lo, -1, 0
	s_cmp_eq_u32 s9, 0
	v_cndmask_b32_e32 v7, -1, v7, vcc_lo
	v_cmp_le_u32_e32 vcc_lo, s33, v2
	s_cselect_b32 s8, -1, 0
	v_cndmask_b32_e64 v8, 0, -1, vcc_lo
	s_delay_alu instid0(VALU_DEP_3) | instskip(NEXT) | instid1(VALU_DEP_2)
	v_cmp_ne_u32_e32 vcc_lo, 0, v7
	v_cndmask_b32_e64 v7, -1, v8, s8
	v_cndmask_b32_e32 v8, s18, v9, vcc_lo
	v_cndmask_b32_e32 v6, v3, v6, vcc_lo
	s_delay_alu instid0(VALU_DEP_3) | instskip(NEXT) | instid1(VALU_DEP_3)
	v_cmp_ne_u32_e32 vcc_lo, 0, v7
	v_cndmask_b32_e32 v3, s9, v8, vcc_lo
	s_delay_alu instid0(VALU_DEP_3)
	v_cndmask_b32_e32 v2, v2, v6, vcc_lo
	s_cbranch_execnz .LBB168_192
.LBB168_191:                            ;   in Loop: Header=BB168_6 Depth=1
	v_cvt_f32_u32_e32 v2, s33
	s_sub_i32 s8, 0, s33
	s_delay_alu instid0(VALU_DEP_1) | instskip(SKIP_2) | instid1(VALU_DEP_1)
	v_rcp_iflag_f32_e32 v2, v2
	s_waitcnt_depctr 0xfff
	v_mul_f32_e32 v2, 0x4f7ffffe, v2
	v_cvt_u32_f32_e32 v2, v2
	s_delay_alu instid0(VALU_DEP_1) | instskip(NEXT) | instid1(VALU_DEP_1)
	v_mul_lo_u32 v3, s8, v2
	v_mul_hi_u32 v3, v2, v3
	s_delay_alu instid0(VALU_DEP_1) | instskip(NEXT) | instid1(VALU_DEP_1)
	v_add_nc_u32_e32 v2, v2, v3
	v_mul_hi_u32 v2, s78, v2
	s_delay_alu instid0(VALU_DEP_1) | instskip(NEXT) | instid1(VALU_DEP_1)
	v_mul_lo_u32 v2, v2, s33
	v_sub_nc_u32_e32 v2, s78, v2
	s_delay_alu instid0(VALU_DEP_1) | instskip(SKIP_1) | instid1(VALU_DEP_2)
	v_subrev_nc_u32_e32 v3, s33, v2
	v_cmp_le_u32_e32 vcc_lo, s33, v2
	v_cndmask_b32_e32 v2, v2, v3, vcc_lo
	s_delay_alu instid0(VALU_DEP_1) | instskip(SKIP_1) | instid1(VALU_DEP_2)
	v_subrev_nc_u32_e32 v3, s33, v2
	v_cmp_le_u32_e32 vcc_lo, s33, v2
	v_cndmask_b32_e32 v12, v2, v3, vcc_lo
	s_delay_alu instid0(VALU_DEP_1)
	v_dual_mov_b32 v2, v12 :: v_dual_mov_b32 v3, v13
.LBB168_192:                            ;   in Loop: Header=BB168_6 Depth=1
	s_delay_alu instid0(VALU_DEP_1) | instskip(NEXT) | instid1(VALU_DEP_2)
	v_sub_co_u32 v2, vcc_lo, s78, v2
	v_sub_co_ci_u32_e32 v3, vcc_lo, s27, v3, vcc_lo
	s_mov_b32 s8, 0
	s_mov_b32 s9, exec_lo
                                        ; implicit-def: $vgpr27
	s_delay_alu instid0(VALU_DEP_1)
	v_cmpx_gt_u64_e64 v[2:3], v[0:1]
	s_cbranch_execz .LBB168_201
; %bb.193:                              ;   in Loop: Header=BB168_6 Depth=1
	v_dual_mov_b32 v6, v10 :: v_dual_mov_b32 v7, v11
	v_dual_mov_b32 v9, v1 :: v_dual_mov_b32 v8, v0
	s_mov_b32 s18, 0
                                        ; implicit-def: $sgpr19
	s_set_inst_prefetch_distance 0x1
	s_branch .LBB168_195
	.p2align	6
.LBB168_194:                            ;   in Loop: Header=BB168_195 Depth=2
	s_or_b32 exec_lo, exec_lo, s8
	s_waitcnt vmcnt(0) lgkmcnt(0)
	s_barrier
	buffer_gl0_inv
	ds_load_b32 v12, v13 offset:3072
	v_add_co_u32 v8, vcc_lo, v8, s33
	v_add_co_ci_u32_e32 v9, vcc_lo, 0, v9, vcc_lo
	s_waitcnt lgkmcnt(0)
	s_barrier
	buffer_gl0_inv
	v_cmp_ge_u64_e32 vcc_lo, v[8:9], v[2:3]
	v_cmp_ne_u16_e64 s8, 0, v12
	s_delay_alu instid0(VALU_DEP_1)
	s_or_b32 s26, vcc_lo, s8
	v_add_co_u32 v6, vcc_lo, v6, s34
	s_and_b32 s26, exec_lo, s26
	v_add_co_ci_u32_e32 v7, vcc_lo, s35, v7, vcc_lo
	s_or_b32 s18, s26, s18
	s_and_not1_b32 s19, s19, exec_lo
	s_and_b32 s8, s8, exec_lo
	s_delay_alu instid0(SALU_CYCLE_1)
	s_or_b32 s19, s19, s8
	s_and_not1_b32 exec_lo, exec_lo, s18
	s_cbranch_execz .LBB168_200
.LBB168_195:                            ;   Parent Loop BB168_6 Depth=1
                                        ; =>  This Inner Loop Header: Depth=2
	s_delay_alu instid0(VALU_DEP_1)
	v_cmp_gt_u64_e32 vcc_lo, s[28:29], v[8:9]
	v_mov_b32_e32 v12, 0
	s_and_saveexec_b32 s8, vcc_lo
	s_cbranch_execz .LBB168_197
; %bb.196:                              ;   in Loop: Header=BB168_195 Depth=2
	global_load_u16 v12, v[6:7], off
.LBB168_197:                            ;   in Loop: Header=BB168_195 Depth=2
	s_or_b32 exec_lo, exec_lo, s8
	s_and_saveexec_b32 s8, vcc_lo
	s_cbranch_execz .LBB168_194
; %bb.198:                              ;   in Loop: Header=BB168_195 Depth=2
	s_waitcnt vmcnt(0)
	v_bfe_i32 v27, v12, 0, 16
	s_delay_alu instid0(VALU_DEP_1) | instskip(NEXT) | instid1(VALU_DEP_1)
	v_add_nc_u32_e32 v27, 0x8000, v27
	v_and_b32_e32 v27, v27, v26
	s_delay_alu instid0(VALU_DEP_1)
	v_cmp_eq_u32_e32 vcc_lo, v27, v25
	s_and_b32 exec_lo, exec_lo, vcc_lo
	s_cbranch_execz .LBB168_194
; %bb.199:                              ;   in Loop: Header=BB168_195 Depth=2
	v_perm_b32 v12, v12, 1, 0x5040100
	ds_store_b32 v13, v12 offset:3072
	s_branch .LBB168_194
.LBB168_200:                            ;   in Loop: Header=BB168_6 Depth=1
	s_set_inst_prefetch_distance 0x2
	s_or_b32 exec_lo, exec_lo, s18
	v_lshrrev_b32_e32 v27, 16, v12
	s_and_b32 s8, s19, exec_lo
.LBB168_201:                            ;   in Loop: Header=BB168_6 Depth=1
	s_or_b32 exec_lo, exec_lo, s9
	s_mov_b32 s71, -1
	s_mov_b32 s69, 0
	s_mov_b32 s70, 0
.LBB168_202:                            ;   in Loop: Header=BB168_6 Depth=1
	s_or_not1_b32 s8, s8, exec_lo
.LBB168_203:                            ;   in Loop: Header=BB168_6 Depth=1
	s_or_b32 exec_lo, exec_lo, s72
	s_mov_b32 s26, 0
                                        ; implicit-def: $vgpr6
	s_and_saveexec_b32 s72, s8
	s_cbranch_execz .LBB168_268
; %bb.204:                              ;   in Loop: Header=BB168_6 Depth=1
	v_mov_b32_e32 v2, 1
	v_dual_mov_b32 v3, 0 :: v_dual_mov_b32 v6, 1
	s_xor_b32 s9, s73, -1
	s_delay_alu instid0(SALU_CYCLE_1)
	s_and_saveexec_b32 s8, s9
	s_cbranch_execz .LBB168_214
; %bb.205:                              ;   in Loop: Header=BB168_6 Depth=1
	s_mov_b32 s18, exec_lo
                                        ; implicit-def: $sgpr19
                                        ; implicit-def: $sgpr9
	v_cmpx_ge_u64_e64 s[14:15], v[4:5]
	s_xor_b32 s18, exec_lo, s18
	s_cbranch_execz .LBB168_211
; %bb.206:                              ;   in Loop: Header=BB168_6 Depth=1
	ds_load_b64 v[2:3], v13 offset:5120
	s_waitcnt lgkmcnt(0)
	v_cmp_ne_u64_e32 vcc_lo, 0, v[2:3]
	s_cbranch_vccnz .LBB168_210
; %bb.207:                              ;   in Loop: Header=BB168_6 Depth=1
	s_and_saveexec_b32 s9, s5
	s_cbranch_execz .LBB168_209
; %bb.208:                              ;   in Loop: Header=BB168_6 Depth=1
	v_dual_mov_b32 v2, s14 :: v_dual_mov_b32 v3, s15
	ds_store_b64 v13, v[2:3] offset:5128
.LBB168_209:                            ;   in Loop: Header=BB168_6 Depth=1
	s_or_b32 exec_lo, exec_lo, s9
	s_waitcnt lgkmcnt(0)
	s_barrier
	buffer_gl0_inv
.LBB168_210:                            ;   in Loop: Header=BB168_6 Depth=1
	s_lshl_b32 s9, 2, s22
	v_or_b32_e32 v26, s20, v26
	v_and_or_b32 v25, v25, s21, s9
	s_mov_b32 s9, 0
	s_mov_b32 s19, 8
.LBB168_211:                            ;   in Loop: Header=BB168_6 Depth=1
	s_or_saveexec_b32 s18, s18
	v_mov_b32_e32 v6, s19
	s_xor_b32 exec_lo, exec_lo, s18
; %bb.212:                              ;   in Loop: Header=BB168_6 Depth=1
	v_sub_co_u32 v4, vcc_lo, v4, s14
	v_subrev_co_ci_u32_e32 v5, vcc_lo, s15, v5, vcc_lo
	v_mov_b32_e32 v6, 0
	s_or_b32 s9, s9, exec_lo
; %bb.213:                              ;   in Loop: Header=BB168_6 Depth=1
	s_or_b32 exec_lo, exec_lo, s18
	s_delay_alu instid0(VALU_DEP_2)
	v_dual_mov_b32 v2, v4 :: v_dual_mov_b32 v3, v5
	s_and_b32 s26, s9, exec_lo
.LBB168_214:                            ;   in Loop: Header=BB168_6 Depth=1
	s_or_b32 exec_lo, exec_lo, s8
	s_mov_b32 s19, -1
                                        ; implicit-def: $sgpr8
                                        ; implicit-def: $sgpr18
                                        ; implicit-def: $sgpr9
	s_and_saveexec_b32 s73, s26
	s_cbranch_execz .LBB168_267
; %bb.215:                              ;   in Loop: Header=BB168_6 Depth=1
	v_cmp_eq_u64_e32 vcc_lo, 1, v[2:3]
	s_cmp_eq_u64 s[16:17], 1
	s_mov_b32 s26, -1
	s_cselect_b32 s8, -1, 0
                                        ; implicit-def: $sgpr18
                                        ; implicit-def: $sgpr9
	s_delay_alu instid0(SALU_CYCLE_1) | instskip(NEXT) | instid1(SALU_CYCLE_1)
	s_and_b32 s98, s8, vcc_lo
                                        ; implicit-def: $sgpr8
	s_and_saveexec_b32 s99, s98
	s_cbranch_execz .LBB168_254
; %bb.216:                              ;   in Loop: Header=BB168_6 Depth=1
	ds_load_b64 v[4:5], v13 offset:5120
	s_waitcnt lgkmcnt(0)
	s_barrier
	buffer_gl0_inv
	v_readfirstlane_b32 s18, v4
	v_readfirstlane_b32 s19, v5
	s_and_saveexec_b32 s8, s6
	s_cbranch_execz .LBB168_218
; %bb.217:                              ;   in Loop: Header=BB168_6 Depth=1
	ds_store_b16 v33, v13
.LBB168_218:                            ;   in Loop: Header=BB168_6 Depth=1
	s_or_b32 exec_lo, exec_lo, s8
	v_or_b32_e32 v25, s20, v25
	v_or_b32_e32 v26, s20, v26
	s_cmp_eq_u64 s[18:19], 0
	s_waitcnt lgkmcnt(0)
	s_barrier
	buffer_gl0_inv
	s_cbranch_scc1 .LBB168_223
; %bb.219:                              ;   in Loop: Header=BB168_6 Depth=1
	s_add_u32 s26, s76, s18
	s_addc_u32 s9, s77, s19
	s_mov_b32 s8, s53
	s_delay_alu instid0(SALU_CYCLE_1)
	s_cmp_lg_u64 s[8:9], 0
	s_cbranch_scc0 .LBB168_224
; %bb.220:                              ;   in Loop: Header=BB168_6 Depth=1
	v_cvt_f32_u32_e32 v4, s33
	s_sub_u32 s101, 0, s33
	s_subb_u32 s102, 0, 0
	s_delay_alu instid0(VALU_DEP_1) | instskip(NEXT) | instid1(VALU_DEP_1)
	v_fmac_f32_e64 v4, 0, 0x4f800000
	v_rcp_f32_e32 v4, v4
	s_waitcnt_depctr 0xfff
	v_mul_f32_e32 v4, 0x5f7ffffc, v4
	s_delay_alu instid0(VALU_DEP_1) | instskip(NEXT) | instid1(VALU_DEP_1)
	v_mul_f32_e32 v5, 0x2f800000, v4
	v_trunc_f32_e32 v5, v5
	s_delay_alu instid0(VALU_DEP_1) | instskip(SKIP_1) | instid1(VALU_DEP_2)
	v_fmac_f32_e32 v4, 0xcf800000, v5
	v_cvt_u32_f32_e32 v5, v5
	v_cvt_u32_f32_e32 v4, v4
	s_delay_alu instid0(VALU_DEP_2) | instskip(NEXT) | instid1(VALU_DEP_2)
	v_readfirstlane_b32 s8, v5
	v_readfirstlane_b32 s100, v4
	s_delay_alu instid0(VALU_DEP_2) | instskip(NEXT) | instid1(VALU_DEP_1)
	s_mul_i32 s103, s101, s8
	s_mul_hi_u32 vcc_lo, s101, s100
	s_mul_i32 s104, s102, s100
	s_add_i32 s103, vcc_lo, s103
	s_mul_i32 vcc_hi, s101, s100
	s_add_i32 s103, s103, s104
	s_mul_hi_u32 vcc_lo, s100, vcc_hi
	s_mul_hi_u32 s104, s100, s103
	s_mul_i32 s100, s100, s103
	s_mul_i32 s45, s8, vcc_hi
	s_add_u32 s100, vcc_lo, s100
	s_mul_hi_u32 s44, s8, vcc_hi
	s_addc_u32 s104, 0, s104
	s_mul_hi_u32 vcc_hi, s8, s103
	s_add_u32 s45, s100, s45
	s_mul_i32 s103, s8, s103
	s_addc_u32 s44, s104, s44
	s_addc_u32 s45, vcc_hi, 0
	s_add_u32 s44, s44, s103
	s_addc_u32 s45, 0, s45
	v_add_co_u32 v4, s44, v4, s44
	s_delay_alu instid0(VALU_DEP_1) | instskip(SKIP_1) | instid1(VALU_DEP_1)
	s_cmp_lg_u32 s44, 0
	s_addc_u32 s8, s8, s45
	v_readfirstlane_b32 s44, v4
	s_mul_i32 s45, s101, s8
	s_delay_alu instid0(VALU_DEP_1)
	s_mul_hi_u32 s100, s101, s44
	s_mul_i32 s102, s102, s44
	s_add_i32 s45, s100, s45
	s_mul_i32 s101, s101, s44
	s_add_i32 s45, s45, s102
	s_mul_hi_u32 s100, s8, s101
	s_mul_i32 s103, s8, s101
	s_mul_hi_u32 s101, s44, s101
	s_mul_hi_u32 s104, s44, s45
	s_mul_i32 s44, s44, s45
	s_mul_hi_u32 s102, s8, s45
	s_add_u32 s44, s101, s44
	s_addc_u32 s101, 0, s104
	s_add_u32 s44, s44, s103
	s_mul_i32 s45, s8, s45
	s_addc_u32 s44, s101, s100
	s_addc_u32 s100, s102, 0
	s_add_u32 s44, s44, s45
	s_addc_u32 s45, 0, s100
	v_add_co_u32 v4, s44, v4, s44
	s_delay_alu instid0(VALU_DEP_1) | instskip(SKIP_1) | instid1(VALU_DEP_1)
	s_cmp_lg_u32 s44, 0
	s_addc_u32 s8, s8, s45
	v_readfirstlane_b32 s44, v4
	s_mul_i32 s100, s26, s8
	s_mul_hi_u32 s45, s26, s8
	s_mul_hi_u32 s101, s9, s8
	s_mul_i32 s8, s9, s8
	s_mul_hi_u32 s102, s26, s44
	s_mul_hi_u32 s103, s9, s44
	s_mul_i32 s44, s9, s44
	s_add_u32 s100, s102, s100
	s_addc_u32 s45, 0, s45
	s_add_u32 s44, s100, s44
	s_addc_u32 s44, s45, s103
	s_addc_u32 s45, s101, 0
	s_add_u32 s8, s44, s8
	s_addc_u32 s44, 0, s45
	s_mul_hi_u32 s45, s33, s8
	s_mul_i32 s8, s33, s8
	s_mul_i32 s44, s33, s44
	v_sub_co_u32 v4, s8, s26, s8
	s_add_i32 s45, s45, s44
	s_cmp_lg_u32 s8, 0
	s_delay_alu instid0(VALU_DEP_1) | instskip(SKIP_3) | instid1(VALU_DEP_2)
	v_sub_co_u32 v5, s8, v4, s33
	s_subb_u32 s44, s9, s45
	s_cmp_lg_u32 s8, 0
	v_cmp_le_u32_e32 vcc_lo, s33, v4
	v_cmp_le_u32_e64 s8, s33, v5
	v_sub_co_u32 v6, s45, v5, s33
	s_subb_u32 s100, s44, 0
	s_cmp_lg_u32 s45, 0
	s_delay_alu instid0(VALU_DEP_2)
	v_cndmask_b32_e64 v7, 0, -1, s8
	s_subb_u32 s45, s100, 0
	s_cmp_eq_u32 s100, 0
	v_mov_b32_e32 v9, s45
	v_cndmask_b32_e64 v8, 0, -1, vcc_lo
	s_cselect_b32 vcc_lo, -1, 0
	s_cmp_eq_u32 s44, 0
	v_cndmask_b32_e32 v7, -1, v7, vcc_lo
	s_cselect_b32 vcc_lo, -1, 0
	v_cndmask_b32_e32 v8, -1, v8, vcc_lo
	s_delay_alu instid0(VALU_DEP_2) | instskip(NEXT) | instid1(VALU_DEP_2)
	v_cmp_ne_u32_e32 vcc_lo, 0, v7
	v_cmp_ne_u32_e64 s8, 0, v8
	v_cndmask_b32_e32 v7, s100, v9, vcc_lo
	v_cndmask_b32_e32 v6, v5, v6, vcc_lo
	s_delay_alu instid0(VALU_DEP_2) | instskip(NEXT) | instid1(VALU_DEP_2)
	v_cndmask_b32_e64 v5, s44, v7, s8
	v_cndmask_b32_e64 v4, v4, v6, s8
	s_mov_b32 s8, 0
	s_branch .LBB168_225
.LBB168_221:                            ;   in Loop: Header=BB168_6 Depth=1
                                        ; implicit-def: $vgpr2_vgpr3
	s_branch .LBB168_175
.LBB168_222:                            ;   in Loop: Header=BB168_6 Depth=1
                                        ; implicit-def: $vgpr2_vgpr3
	s_branch .LBB168_191
.LBB168_223:                            ;   in Loop: Header=BB168_6 Depth=1
	s_mov_b32 s8, -1
	s_mov_b32 s26, 0
                                        ; implicit-def: $sgpr9
                                        ; implicit-def: $vgpr27
	s_branch .LBB168_237
.LBB168_224:                            ;   in Loop: Header=BB168_6 Depth=1
	s_mov_b32 s8, -1
                                        ; implicit-def: $vgpr4_vgpr5
.LBB168_225:                            ;   in Loop: Header=BB168_6 Depth=1
	s_delay_alu instid0(SALU_CYCLE_1)
	s_and_not1_b32 vcc_lo, exec_lo, s8
	s_cbranch_vccnz .LBB168_227
; %bb.226:                              ;   in Loop: Header=BB168_6 Depth=1
	v_cvt_f32_u32_e32 v4, s33
	s_sub_i32 s8, 0, s33
	s_delay_alu instid0(VALU_DEP_1) | instskip(SKIP_2) | instid1(VALU_DEP_1)
	v_rcp_iflag_f32_e32 v4, v4
	s_waitcnt_depctr 0xfff
	v_mul_f32_e32 v4, 0x4f7ffffe, v4
	v_cvt_u32_f32_e32 v4, v4
	s_delay_alu instid0(VALU_DEP_1) | instskip(NEXT) | instid1(VALU_DEP_1)
	v_mul_lo_u32 v5, s8, v4
	v_mul_hi_u32 v5, v4, v5
	s_delay_alu instid0(VALU_DEP_1) | instskip(NEXT) | instid1(VALU_DEP_1)
	v_add_nc_u32_e32 v4, v4, v5
	v_mul_hi_u32 v4, s26, v4
	s_delay_alu instid0(VALU_DEP_1) | instskip(NEXT) | instid1(VALU_DEP_1)
	v_mul_lo_u32 v4, v4, s33
	v_sub_nc_u32_e32 v4, s26, v4
	s_delay_alu instid0(VALU_DEP_1) | instskip(SKIP_1) | instid1(VALU_DEP_2)
	v_subrev_nc_u32_e32 v5, s33, v4
	v_cmp_le_u32_e32 vcc_lo, s33, v4
	v_cndmask_b32_e32 v4, v4, v5, vcc_lo
	s_delay_alu instid0(VALU_DEP_1) | instskip(SKIP_1) | instid1(VALU_DEP_2)
	v_subrev_nc_u32_e32 v5, s33, v4
	v_cmp_le_u32_e32 vcc_lo, s33, v4
	v_cndmask_b32_e32 v12, v4, v5, vcc_lo
	s_delay_alu instid0(VALU_DEP_1)
	v_dual_mov_b32 v4, v12 :: v_dual_mov_b32 v5, v13
.LBB168_227:                            ;   in Loop: Header=BB168_6 Depth=1
	s_delay_alu instid0(VALU_DEP_1) | instskip(NEXT) | instid1(VALU_DEP_2)
	v_sub_co_u32 v4, vcc_lo, s26, v4
	v_sub_co_ci_u32_e32 v5, vcc_lo, s9, v5, vcc_lo
	s_mov_b32 s26, 0
	s_mov_b32 s9, exec_lo
                                        ; implicit-def: $vgpr27
	s_delay_alu instid0(VALU_DEP_1)
	v_cmpx_gt_u64_e64 v[4:5], v[0:1]
	s_cbranch_execz .LBB168_236
; %bb.228:                              ;   in Loop: Header=BB168_6 Depth=1
	v_dual_mov_b32 v8, v31 :: v_dual_mov_b32 v7, v1
	v_mov_b32_e32 v6, v0
                                        ; implicit-def: $sgpr100
	s_set_inst_prefetch_distance 0x1
	s_branch .LBB168_230
	.p2align	6
.LBB168_229:                            ;   in Loop: Header=BB168_230 Depth=2
	s_or_b32 exec_lo, exec_lo, s8
	s_waitcnt lgkmcnt(0)
	s_barrier
	buffer_gl0_inv
	ds_load_b32 v9, v13 offset:3072
	v_add_co_u32 v6, vcc_lo, v6, s33
	v_add_co_ci_u32_e32 v7, vcc_lo, 0, v7, vcc_lo
	v_add_nc_u32_e32 v8, s84, v8
	s_waitcnt lgkmcnt(0)
	s_barrier
	s_delay_alu instid0(VALU_DEP_2) | instskip(SKIP_2) | instid1(VALU_DEP_1)
	v_cmp_ge_u64_e32 vcc_lo, v[6:7], v[4:5]
	buffer_gl0_inv
	v_cmp_ne_u16_e64 s8, 0, v9
	s_or_b32 s44, vcc_lo, s8
	s_delay_alu instid0(SALU_CYCLE_1) | instskip(NEXT) | instid1(SALU_CYCLE_1)
	s_and_b32 s44, exec_lo, s44
	s_or_b32 s26, s44, s26
	s_and_not1_b32 s44, s100, exec_lo
	s_and_b32 s8, s8, exec_lo
	s_delay_alu instid0(SALU_CYCLE_1)
	s_or_b32 s100, s44, s8
	s_and_not1_b32 exec_lo, exec_lo, s26
	s_cbranch_execz .LBB168_235
.LBB168_230:                            ;   Parent Loop BB168_6 Depth=1
                                        ; =>  This Inner Loop Header: Depth=2
	s_delay_alu instid0(VALU_DEP_1)
	v_cmp_gt_u64_e32 vcc_lo, s[18:19], v[6:7]
	v_mov_b32_e32 v9, 0
	s_and_saveexec_b32 s8, vcc_lo
	s_cbranch_execz .LBB168_232
; %bb.231:                              ;   in Loop: Header=BB168_230 Depth=2
	ds_load_u16 v9, v8
.LBB168_232:                            ;   in Loop: Header=BB168_230 Depth=2
	s_or_b32 exec_lo, exec_lo, s8
	s_and_saveexec_b32 s8, vcc_lo
	s_cbranch_execz .LBB168_229
; %bb.233:                              ;   in Loop: Header=BB168_230 Depth=2
	s_waitcnt lgkmcnt(0)
	v_bfe_i32 v12, v9, 0, 16
	s_delay_alu instid0(VALU_DEP_1) | instskip(NEXT) | instid1(VALU_DEP_1)
	v_add_nc_u32_e32 v12, 0x8000, v12
	v_and_b32_e32 v12, v12, v26
	s_delay_alu instid0(VALU_DEP_1)
	v_cmp_eq_u32_e32 vcc_lo, v12, v25
	s_and_b32 exec_lo, exec_lo, vcc_lo
	s_cbranch_execz .LBB168_229
; %bb.234:                              ;   in Loop: Header=BB168_230 Depth=2
	v_perm_b32 v9, v9, 1, 0x5040100
	ds_store_b32 v13, v9 offset:3072
	s_branch .LBB168_229
.LBB168_235:                            ;   in Loop: Header=BB168_6 Depth=1
	s_set_inst_prefetch_distance 0x2
	s_or_b32 exec_lo, exec_lo, s26
	v_lshrrev_b32_e32 v27, 16, v9
	s_and_b32 s26, s100, exec_lo
.LBB168_236:                            ;   in Loop: Header=BB168_6 Depth=1
	s_or_b32 exec_lo, exec_lo, s9
	s_mov_b32 s9, -1
	s_mov_b32 s8, 0
.LBB168_237:                            ;   in Loop: Header=BB168_6 Depth=1
	s_delay_alu instid0(SALU_CYCLE_1)
	s_and_b32 vcc_lo, exec_lo, s8
	s_mov_b32 s18, s8
	s_cbranch_vccz .LBB168_253
; %bb.238:                              ;   in Loop: Header=BB168_6 Depth=1
	s_mov_b32 s26, s53
	s_delay_alu instid0(SALU_CYCLE_1)
	s_cmp_lg_u64 s[26:27], 0
	s_cbranch_scc0 .LBB168_240
; %bb.239:                              ;   in Loop: Header=BB168_6 Depth=1
	v_cvt_f32_u32_e32 v4, s33
	s_sub_u32 s18, 0, s33
	s_subb_u32 s19, 0, 0
	s_delay_alu instid0(VALU_DEP_1) | instskip(NEXT) | instid1(VALU_DEP_1)
	v_fmac_f32_e64 v4, 0, 0x4f800000
	v_rcp_f32_e32 v4, v4
	s_waitcnt_depctr 0xfff
	v_mul_f32_e32 v4, 0x5f7ffffc, v4
	s_delay_alu instid0(VALU_DEP_1) | instskip(NEXT) | instid1(VALU_DEP_1)
	v_mul_f32_e32 v5, 0x2f800000, v4
	v_trunc_f32_e32 v5, v5
	s_delay_alu instid0(VALU_DEP_1) | instskip(SKIP_1) | instid1(VALU_DEP_2)
	v_fmac_f32_e32 v4, 0xcf800000, v5
	v_cvt_u32_f32_e32 v5, v5
	v_cvt_u32_f32_e32 v4, v4
	s_delay_alu instid0(VALU_DEP_2) | instskip(NEXT) | instid1(VALU_DEP_2)
	v_readfirstlane_b32 s8, v5
	v_readfirstlane_b32 s9, v4
	s_delay_alu instid0(VALU_DEP_2) | instskip(NEXT) | instid1(VALU_DEP_1)
	s_mul_i32 s26, s18, s8
	s_mul_hi_u32 s45, s18, s9
	s_mul_i32 s44, s19, s9
	s_add_i32 s26, s45, s26
	s_mul_i32 s100, s18, s9
	s_add_i32 s26, s26, s44
	s_mul_hi_u32 s45, s9, s100
	s_mul_hi_u32 s101, s8, s100
	s_mul_i32 s44, s8, s100
	s_mul_hi_u32 s100, s9, s26
	s_mul_i32 s9, s9, s26
	s_mul_hi_u32 s102, s8, s26
	s_add_u32 s9, s45, s9
	s_addc_u32 s45, 0, s100
	s_add_u32 s9, s9, s44
	s_mul_i32 s26, s8, s26
	s_addc_u32 s9, s45, s101
	s_addc_u32 s44, s102, 0
	s_add_u32 s9, s9, s26
	s_addc_u32 s26, 0, s44
	v_add_co_u32 v4, s9, v4, s9
	s_delay_alu instid0(VALU_DEP_1) | instskip(SKIP_1) | instid1(VALU_DEP_1)
	s_cmp_lg_u32 s9, 0
	s_addc_u32 s8, s8, s26
	v_readfirstlane_b32 s9, v4
	s_mul_i32 s26, s18, s8
	s_delay_alu instid0(VALU_DEP_1)
	s_mul_hi_u32 s44, s18, s9
	s_mul_i32 s19, s19, s9
	s_add_i32 s26, s44, s26
	s_mul_i32 s18, s18, s9
	s_add_i32 s26, s26, s19
	s_mul_hi_u32 s44, s8, s18
	s_mul_i32 s45, s8, s18
	s_mul_hi_u32 s18, s9, s18
	s_mul_hi_u32 s100, s9, s26
	s_mul_i32 s9, s9, s26
	s_mul_hi_u32 s19, s8, s26
	s_add_u32 s9, s18, s9
	s_addc_u32 s18, 0, s100
	s_add_u32 s9, s9, s45
	s_mul_i32 s26, s8, s26
	s_addc_u32 s9, s18, s44
	s_addc_u32 s18, s19, 0
	s_add_u32 s9, s9, s26
	s_addc_u32 s18, 0, s18
	v_add_co_u32 v4, s9, v4, s9
	s_delay_alu instid0(VALU_DEP_1) | instskip(SKIP_1) | instid1(VALU_DEP_1)
	s_cmp_lg_u32 s9, 0
	s_addc_u32 s8, s8, s18
	v_readfirstlane_b32 s9, v4
	s_mul_i32 s19, s78, s8
	s_mul_hi_u32 s18, s78, s8
	s_mul_hi_u32 s26, s27, s8
	s_mul_i32 s8, s27, s8
	s_mul_hi_u32 s44, s78, s9
	s_mul_hi_u32 s45, s27, s9
	s_mul_i32 s9, s27, s9
	s_add_u32 s19, s44, s19
	s_addc_u32 s18, 0, s18
	s_add_u32 s9, s19, s9
	s_addc_u32 s9, s18, s45
	s_addc_u32 s18, s26, 0
	s_add_u32 s8, s9, s8
	s_addc_u32 s9, 0, s18
	s_mul_hi_u32 s18, s33, s8
	s_mul_i32 s8, s33, s8
	s_mul_i32 s9, s33, s9
	v_sub_co_u32 v4, s8, s78, s8
	s_add_i32 s18, s18, s9
	s_cmp_lg_u32 s8, 0
	s_delay_alu instid0(VALU_DEP_1) | instskip(SKIP_2) | instid1(VALU_DEP_1)
	v_sub_co_u32 v5, s8, v4, s33
	s_subb_u32 s9, s27, s18
	s_cmp_lg_u32 s8, 0
	v_cmp_le_u32_e32 vcc_lo, s33, v5
	v_sub_co_u32 v6, s8, v5, s33
	s_subb_u32 s18, s9, 0
	s_cmp_lg_u32 s8, 0
	v_cndmask_b32_e64 v7, 0, -1, vcc_lo
	s_subb_u32 s8, s18, 0
	s_cmp_eq_u32 s18, 0
	v_mov_b32_e32 v9, s8
	s_cselect_b32 vcc_lo, -1, 0
	s_cmp_eq_u32 s9, 0
	v_cndmask_b32_e32 v7, -1, v7, vcc_lo
	v_cmp_le_u32_e32 vcc_lo, s33, v4
	s_cselect_b32 s8, -1, 0
	v_cndmask_b32_e64 v8, 0, -1, vcc_lo
	s_delay_alu instid0(VALU_DEP_3) | instskip(NEXT) | instid1(VALU_DEP_2)
	v_cmp_ne_u32_e32 vcc_lo, 0, v7
	v_cndmask_b32_e64 v7, -1, v8, s8
	v_cndmask_b32_e32 v8, s18, v9, vcc_lo
	v_cndmask_b32_e32 v6, v5, v6, vcc_lo
	s_mov_b32 s8, 0
	s_delay_alu instid0(VALU_DEP_3) | instskip(NEXT) | instid1(VALU_DEP_3)
	v_cmp_ne_u32_e32 vcc_lo, 0, v7
	v_cndmask_b32_e32 v5, s9, v8, vcc_lo
	s_delay_alu instid0(VALU_DEP_3)
	v_cndmask_b32_e32 v4, v4, v6, vcc_lo
	s_branch .LBB168_241
.LBB168_240:                            ;   in Loop: Header=BB168_6 Depth=1
	s_mov_b32 s8, -1
                                        ; implicit-def: $vgpr4_vgpr5
.LBB168_241:                            ;   in Loop: Header=BB168_6 Depth=1
	s_delay_alu instid0(SALU_CYCLE_1)
	s_and_not1_b32 vcc_lo, exec_lo, s8
	s_cbranch_vccnz .LBB168_243
; %bb.242:                              ;   in Loop: Header=BB168_6 Depth=1
	v_cvt_f32_u32_e32 v4, s33
	s_sub_i32 s8, 0, s33
	s_delay_alu instid0(VALU_DEP_1) | instskip(SKIP_2) | instid1(VALU_DEP_1)
	v_rcp_iflag_f32_e32 v4, v4
	s_waitcnt_depctr 0xfff
	v_mul_f32_e32 v4, 0x4f7ffffe, v4
	v_cvt_u32_f32_e32 v4, v4
	s_delay_alu instid0(VALU_DEP_1) | instskip(NEXT) | instid1(VALU_DEP_1)
	v_mul_lo_u32 v5, s8, v4
	v_mul_hi_u32 v5, v4, v5
	s_delay_alu instid0(VALU_DEP_1) | instskip(NEXT) | instid1(VALU_DEP_1)
	v_add_nc_u32_e32 v4, v4, v5
	v_mul_hi_u32 v4, s78, v4
	s_delay_alu instid0(VALU_DEP_1) | instskip(NEXT) | instid1(VALU_DEP_1)
	v_mul_lo_u32 v4, v4, s33
	v_sub_nc_u32_e32 v4, s78, v4
	s_delay_alu instid0(VALU_DEP_1) | instskip(SKIP_1) | instid1(VALU_DEP_2)
	v_subrev_nc_u32_e32 v5, s33, v4
	v_cmp_le_u32_e32 vcc_lo, s33, v4
	v_cndmask_b32_e32 v4, v4, v5, vcc_lo
	s_delay_alu instid0(VALU_DEP_1) | instskip(SKIP_1) | instid1(VALU_DEP_2)
	v_subrev_nc_u32_e32 v5, s33, v4
	v_cmp_le_u32_e32 vcc_lo, s33, v4
	v_cndmask_b32_e32 v12, v4, v5, vcc_lo
	s_delay_alu instid0(VALU_DEP_1)
	v_dual_mov_b32 v4, v12 :: v_dual_mov_b32 v5, v13
.LBB168_243:                            ;   in Loop: Header=BB168_6 Depth=1
	s_delay_alu instid0(VALU_DEP_1) | instskip(NEXT) | instid1(VALU_DEP_2)
	v_sub_co_u32 v4, vcc_lo, s78, v4
	v_sub_co_ci_u32_e32 v5, vcc_lo, s27, v5, vcc_lo
	s_mov_b32 s26, 0
	s_mov_b32 s9, exec_lo
                                        ; implicit-def: $vgpr27
	s_delay_alu instid0(VALU_DEP_1)
	v_cmpx_gt_u64_e64 v[4:5], v[0:1]
	s_cbranch_execz .LBB168_252
; %bb.244:                              ;   in Loop: Header=BB168_6 Depth=1
	v_dual_mov_b32 v6, v10 :: v_dual_mov_b32 v7, v11
	v_dual_mov_b32 v9, v1 :: v_dual_mov_b32 v8, v0
	s_mov_b32 s18, 0
                                        ; implicit-def: $sgpr19
	s_set_inst_prefetch_distance 0x1
	s_branch .LBB168_246
	.p2align	6
.LBB168_245:                            ;   in Loop: Header=BB168_246 Depth=2
	s_or_b32 exec_lo, exec_lo, s8
	s_waitcnt vmcnt(0) lgkmcnt(0)
	s_barrier
	buffer_gl0_inv
	ds_load_b32 v12, v13 offset:3072
	v_add_co_u32 v8, vcc_lo, v8, s33
	v_add_co_ci_u32_e32 v9, vcc_lo, 0, v9, vcc_lo
	s_waitcnt lgkmcnt(0)
	s_barrier
	buffer_gl0_inv
	v_cmp_ge_u64_e32 vcc_lo, v[8:9], v[4:5]
	v_cmp_ne_u16_e64 s8, 0, v12
	s_delay_alu instid0(VALU_DEP_1)
	s_or_b32 s26, vcc_lo, s8
	v_add_co_u32 v6, vcc_lo, v6, s34
	s_and_b32 s26, exec_lo, s26
	v_add_co_ci_u32_e32 v7, vcc_lo, s35, v7, vcc_lo
	s_or_b32 s18, s26, s18
	s_and_not1_b32 s19, s19, exec_lo
	s_and_b32 s8, s8, exec_lo
	s_delay_alu instid0(SALU_CYCLE_1)
	s_or_b32 s19, s19, s8
	s_and_not1_b32 exec_lo, exec_lo, s18
	s_cbranch_execz .LBB168_251
.LBB168_246:                            ;   Parent Loop BB168_6 Depth=1
                                        ; =>  This Inner Loop Header: Depth=2
	s_delay_alu instid0(VALU_DEP_1)
	v_cmp_gt_u64_e32 vcc_lo, s[28:29], v[8:9]
	v_mov_b32_e32 v12, 0
	s_and_saveexec_b32 s8, vcc_lo
	s_cbranch_execz .LBB168_248
; %bb.247:                              ;   in Loop: Header=BB168_246 Depth=2
	global_load_u16 v12, v[6:7], off
.LBB168_248:                            ;   in Loop: Header=BB168_246 Depth=2
	s_or_b32 exec_lo, exec_lo, s8
	s_and_saveexec_b32 s8, vcc_lo
	s_cbranch_execz .LBB168_245
; %bb.249:                              ;   in Loop: Header=BB168_246 Depth=2
	s_waitcnt vmcnt(0)
	v_bfe_i32 v27, v12, 0, 16
	s_delay_alu instid0(VALU_DEP_1) | instskip(NEXT) | instid1(VALU_DEP_1)
	v_add_nc_u32_e32 v27, 0x8000, v27
	v_and_b32_e32 v27, v27, v26
	s_delay_alu instid0(VALU_DEP_1)
	v_cmp_eq_u32_e32 vcc_lo, v27, v25
	s_and_b32 exec_lo, exec_lo, vcc_lo
	s_cbranch_execz .LBB168_245
; %bb.250:                              ;   in Loop: Header=BB168_246 Depth=2
	v_perm_b32 v12, v12, 1, 0x5040100
	ds_store_b32 v13, v12 offset:3072
	s_branch .LBB168_245
.LBB168_251:                            ;   in Loop: Header=BB168_6 Depth=1
	s_set_inst_prefetch_distance 0x2
	s_or_b32 exec_lo, exec_lo, s18
	v_lshrrev_b32_e32 v27, 16, v12
	s_and_b32 s26, s19, exec_lo
.LBB168_252:                            ;   in Loop: Header=BB168_6 Depth=1
	s_or_b32 exec_lo, exec_lo, s9
	s_mov_b32 s18, -1
	s_mov_b32 s8, 0
	s_mov_b32 s9, 0
.LBB168_253:                            ;   in Loop: Header=BB168_6 Depth=1
	s_or_not1_b32 s26, s26, exec_lo
.LBB168_254:                            ;   in Loop: Header=BB168_6 Depth=1
	s_or_b32 exec_lo, exec_lo, s99
	s_mov_b32 s99, 0
                                        ; implicit-def: $vgpr6
                                        ; implicit-def: $vgpr4_vgpr5
	s_and_saveexec_b32 s19, s26
	s_cbranch_execz .LBB168_266
; %bb.255:                              ;   in Loop: Header=BB168_6 Depth=1
	v_mov_b32_e32 v4, 1
	v_dual_mov_b32 v5, 0 :: v_dual_mov_b32 v6, 1
	s_xor_b32 s44, s98, -1
	s_delay_alu instid0(SALU_CYCLE_1)
	s_and_saveexec_b32 s26, s44
	s_cbranch_execz .LBB168_265
; %bb.256:                              ;   in Loop: Header=BB168_6 Depth=1
                                        ; implicit-def: $sgpr99
	s_mov_b32 s44, exec_lo
	v_cmpx_ge_u64_e64 s[16:17], v[2:3]
	s_xor_b32 s98, exec_lo, s44
	s_cbranch_execz .LBB168_262
; %bb.257:                              ;   in Loop: Header=BB168_6 Depth=1
	ds_load_b64 v[4:5], v13 offset:5120
	s_waitcnt lgkmcnt(0)
	v_cmp_ne_u64_e32 vcc_lo, 0, v[4:5]
	s_cbranch_vccnz .LBB168_261
; %bb.258:                              ;   in Loop: Header=BB168_6 Depth=1
	s_and_saveexec_b32 s99, s5
	s_cbranch_execz .LBB168_260
; %bb.259:                              ;   in Loop: Header=BB168_6 Depth=1
	v_dual_mov_b32 v4, s16 :: v_dual_mov_b32 v5, s17
	ds_store_b64 v13, v[4:5] offset:5128
.LBB168_260:                            ;   in Loop: Header=BB168_6 Depth=1
	s_or_b32 exec_lo, exec_lo, s99
	s_waitcnt lgkmcnt(0)
	s_barrier
	buffer_gl0_inv
.LBB168_261:                            ;   in Loop: Header=BB168_6 Depth=1
	v_or_b32_e32 v25, s20, v25
	v_or_b32_e32 v26, s20, v26
	s_mov_b32 s99, 8
.LBB168_262:                            ;   in Loop: Header=BB168_6 Depth=1
	s_or_saveexec_b32 s98, s98
	v_mov_b32_e32 v6, s99
	s_xor_b32 exec_lo, exec_lo, s98
; %bb.263:                              ;   in Loop: Header=BB168_6 Depth=1
	v_sub_co_u32 v2, vcc_lo, v2, s16
	v_subrev_co_ci_u32_e32 v3, vcc_lo, s17, v3, vcc_lo
	v_mov_b32_e32 v6, 8
; %bb.264:                              ;   in Loop: Header=BB168_6 Depth=1
	s_or_b32 exec_lo, exec_lo, s98
	s_delay_alu instid0(VALU_DEP_2)
	v_dual_mov_b32 v5, v3 :: v_dual_mov_b32 v4, v2
.LBB168_265:                            ;   in Loop: Header=BB168_6 Depth=1
	s_or_b32 exec_lo, exec_lo, s26
	s_delay_alu instid0(SALU_CYCLE_1)
	s_mov_b32 s99, exec_lo
.LBB168_266:                            ;   in Loop: Header=BB168_6 Depth=1
	s_or_b32 exec_lo, exec_lo, s19
	s_delay_alu instid0(VALU_DEP_1)
	v_dual_mov_b32 v2, v4 :: v_dual_mov_b32 v3, v5
	s_or_not1_b32 s19, s99, exec_lo
.LBB168_267:                            ;   in Loop: Header=BB168_6 Depth=1
	s_or_b32 exec_lo, exec_lo, s73
	s_delay_alu instid0(SALU_CYCLE_1)
	s_and_not1_b32 s26, s69, exec_lo
	s_and_b32 s8, s8, exec_lo
	v_dual_mov_b32 v5, v3 :: v_dual_mov_b32 v4, v2
	s_or_b32 s69, s26, s8
	s_and_not1_b32 s8, s71, exec_lo
	s_and_b32 s18, s18, exec_lo
	s_and_not1_b32 s26, s70, exec_lo
	s_and_b32 s9, s9, exec_lo
	s_or_b32 s71, s8, s18
	s_or_b32 s70, s26, s9
	s_and_b32 s26, s19, exec_lo
.LBB168_268:                            ;   in Loop: Header=BB168_6 Depth=1
	s_or_b32 exec_lo, exec_lo, s72
	s_delay_alu instid0(SALU_CYCLE_1)
	s_and_b32 s19, s69, exec_lo
	s_and_b32 s18, s71, exec_lo
	s_and_b32 s9, s70, exec_lo
	s_or_not1_b32 s8, s26, exec_lo
.LBB168_269:                            ;   in Loop: Header=BB168_6 Depth=1
	s_or_b32 exec_lo, exec_lo, s68
	s_delay_alu instid0(SALU_CYCLE_1)
	s_and_not1_b32 s25, s25, exec_lo
	s_and_b32 s19, s19, exec_lo
	v_dual_mov_b32 v2, v4 :: v_dual_mov_b32 v3, v5
	s_or_b32 s25, s25, s19
	s_and_not1_b32 s19, s66, exec_lo
	s_and_b32 s18, s18, exec_lo
	s_and_not1_b32 s26, s65, exec_lo
	s_and_b32 s9, s9, exec_lo
	s_or_b32 s66, s19, s18
	s_or_b32 s65, s26, s9
	s_and_b32 s26, s8, exec_lo
.LBB168_270:                            ;   in Loop: Header=BB168_6 Depth=1
	s_or_b32 exec_lo, exec_lo, s67
	s_delay_alu instid0(SALU_CYCLE_1)
	s_and_b32 s19, s25, exec_lo
	s_and_b32 s18, s66, exec_lo
	;; [unrolled: 1-line block ×3, first 2 shown]
	s_or_not1_b32 s25, s26, exec_lo
.LBB168_271:                            ;   in Loop: Header=BB168_6 Depth=1
	s_or_b32 exec_lo, exec_lo, s24
	s_mov_b32 s8, 0
	s_mov_b32 s24, 0
	s_and_saveexec_b32 s26, s25
	s_delay_alu instid0(SALU_CYCLE_1)
	s_xor_b32 s25, exec_lo, s26
; %bb.272:                              ;   in Loop: Header=BB168_6 Depth=1
	v_cmp_ne_u32_e32 vcc_lo, 8, v6
	v_cmp_eq_u32_e64 s8, 8, v6
	s_and_not1_b32 s19, s19, exec_lo
	s_and_not1_b32 s18, s18, exec_lo
	;; [unrolled: 1-line block ×3, first 2 shown]
	s_and_b32 s24, vcc_lo, exec_lo
	s_and_b32 s8, s8, exec_lo
; %bb.273:                              ;   in Loop: Header=BB168_6 Depth=1
	s_or_b32 exec_lo, exec_lo, s25
	s_delay_alu instid0(SALU_CYCLE_1)
	s_and_not1_b32 s23, s23, exec_lo
	s_and_b32 s19, s19, exec_lo
	s_and_b32 s18, s18, exec_lo
	s_or_b32 s23, s23, s19
	s_and_not1_b32 s19, s62, exec_lo
	s_and_not1_b32 s25, s52, exec_lo
	s_and_b32 s9, s9, exec_lo
	s_or_b32 s62, s19, s18
	s_or_b32 s52, s25, s9
	s_and_b32 s24, s24, exec_lo
	s_and_b32 s25, s8, exec_lo
.LBB168_274:                            ;   in Loop: Header=BB168_6 Depth=1
	s_or_b32 exec_lo, exec_lo, s64
	s_delay_alu instid0(SALU_CYCLE_1)
	s_and_b32 vcc_lo, exec_lo, s63
	s_cbranch_vccz .LBB168_93
.LBB168_275:                            ;   in Loop: Header=BB168_6 Depth=1
	s_cmp_eq_u64 s[16:17], 1
                                        ; implicit-def: $sgpr18
                                        ; implicit-def: $sgpr19
                                        ; implicit-def: $sgpr23
	s_cselect_b32 s8, -1, 0
	s_delay_alu instid0(SALU_CYCLE_1)
	s_and_b32 s62, s8, s7
	s_mov_b32 s7, -1
	s_and_saveexec_b32 s52, s62
	s_cbranch_execz .LBB168_307
; %bb.276:                              ;   in Loop: Header=BB168_6 Depth=1
	ds_load_b64 v[2:3], v13 offset:5120
	s_waitcnt lgkmcnt(0)
	s_barrier
	buffer_gl0_inv
	v_readfirstlane_b32 s8, v2
	v_readfirstlane_b32 s9, v3
	s_and_saveexec_b32 s7, s6
	s_cbranch_execz .LBB168_278
; %bb.277:                              ;   in Loop: Header=BB168_6 Depth=1
	ds_store_b16 v33, v13
.LBB168_278:                            ;   in Loop: Header=BB168_6 Depth=1
	s_or_b32 exec_lo, exec_lo, s7
	v_or_b32_e32 v38, s20, v38
	v_or_b32_e32 v37, s20, v37
	s_cmp_eq_u64 s[8:9], 0
	s_waitcnt lgkmcnt(0)
	s_barrier
	buffer_gl0_inv
	s_cbranch_scc1 .LBB168_290
; %bb.279:                              ;   in Loop: Header=BB168_6 Depth=1
	s_add_u32 s23, s76, s8
	s_addc_u32 s19, s77, s9
	s_mov_b32 s18, s53
	s_delay_alu instid0(SALU_CYCLE_1)
	s_cmp_lg_u64 s[18:19], 0
	s_cbranch_scc0 .LBB168_334
; %bb.280:                              ;   in Loop: Header=BB168_6 Depth=1
	v_cvt_f32_u32_e32 v2, s33
	s_sub_u32 s26, 0, s33
	s_subb_u32 s63, 0, 0
	s_delay_alu instid0(VALU_DEP_1) | instskip(NEXT) | instid1(VALU_DEP_1)
	v_fmac_f32_e64 v2, 0, 0x4f800000
	v_rcp_f32_e32 v2, v2
	s_waitcnt_depctr 0xfff
	v_mul_f32_e32 v2, 0x5f7ffffc, v2
	s_delay_alu instid0(VALU_DEP_1) | instskip(NEXT) | instid1(VALU_DEP_1)
	v_mul_f32_e32 v3, 0x2f800000, v2
	v_trunc_f32_e32 v3, v3
	s_delay_alu instid0(VALU_DEP_1) | instskip(SKIP_1) | instid1(VALU_DEP_2)
	v_fmac_f32_e32 v2, 0xcf800000, v3
	v_cvt_u32_f32_e32 v3, v3
	v_cvt_u32_f32_e32 v2, v2
	s_delay_alu instid0(VALU_DEP_2) | instskip(NEXT) | instid1(VALU_DEP_2)
	v_readfirstlane_b32 s7, v3
	v_readfirstlane_b32 s18, v2
	s_delay_alu instid0(VALU_DEP_2) | instskip(NEXT) | instid1(VALU_DEP_1)
	s_mul_i32 s64, s26, s7
	s_mul_hi_u32 s66, s26, s18
	s_mul_i32 s65, s63, s18
	s_add_i32 s64, s66, s64
	s_mul_i32 s67, s26, s18
	s_add_i32 s64, s64, s65
	s_mul_hi_u32 s66, s18, s67
	s_mul_hi_u32 s68, s7, s67
	s_mul_i32 s65, s7, s67
	s_mul_hi_u32 s67, s18, s64
	s_mul_i32 s18, s18, s64
	s_mul_hi_u32 s69, s7, s64
	s_add_u32 s18, s66, s18
	s_addc_u32 s66, 0, s67
	s_add_u32 s18, s18, s65
	s_mul_i32 s64, s7, s64
	s_addc_u32 s18, s66, s68
	s_addc_u32 s65, s69, 0
	s_add_u32 s18, s18, s64
	s_addc_u32 s64, 0, s65
	v_add_co_u32 v2, s18, v2, s18
	s_delay_alu instid0(VALU_DEP_1) | instskip(SKIP_1) | instid1(VALU_DEP_1)
	s_cmp_lg_u32 s18, 0
	s_addc_u32 s7, s7, s64
	v_readfirstlane_b32 s18, v2
	s_mul_i32 s64, s26, s7
	s_delay_alu instid0(VALU_DEP_1)
	s_mul_hi_u32 s65, s26, s18
	s_mul_i32 s63, s63, s18
	s_add_i32 s64, s65, s64
	s_mul_i32 s26, s26, s18
	s_add_i32 s64, s64, s63
	s_mul_hi_u32 s65, s7, s26
	s_mul_i32 s66, s7, s26
	s_mul_hi_u32 s26, s18, s26
	s_mul_hi_u32 s67, s18, s64
	s_mul_i32 s18, s18, s64
	s_mul_hi_u32 s63, s7, s64
	s_add_u32 s18, s26, s18
	s_addc_u32 s26, 0, s67
	s_add_u32 s18, s18, s66
	s_mul_i32 s64, s7, s64
	s_addc_u32 s18, s26, s65
	s_addc_u32 s26, s63, 0
	s_add_u32 s18, s18, s64
	s_addc_u32 s26, 0, s26
	v_add_co_u32 v2, s18, v2, s18
	s_delay_alu instid0(VALU_DEP_1) | instskip(SKIP_1) | instid1(VALU_DEP_1)
	s_cmp_lg_u32 s18, 0
	s_addc_u32 s7, s7, s26
	v_readfirstlane_b32 s18, v2
	s_mul_i32 s63, s23, s7
	s_mul_hi_u32 s26, s23, s7
	s_mul_hi_u32 s64, s19, s7
	s_mul_i32 s7, s19, s7
	s_mul_hi_u32 s65, s23, s18
	s_mul_hi_u32 s66, s19, s18
	s_mul_i32 s18, s19, s18
	s_add_u32 s63, s65, s63
	s_addc_u32 s26, 0, s26
	s_add_u32 s18, s63, s18
	s_addc_u32 s18, s26, s66
	s_addc_u32 s26, s64, 0
	s_add_u32 s7, s18, s7
	s_addc_u32 s18, 0, s26
	s_mul_hi_u32 s26, s33, s7
	s_mul_i32 s7, s33, s7
	s_mul_i32 s18, s33, s18
	v_sub_co_u32 v2, s7, s23, s7
	s_add_i32 s26, s26, s18
	s_cmp_lg_u32 s7, 0
	s_delay_alu instid0(VALU_DEP_1) | instskip(SKIP_2) | instid1(VALU_DEP_1)
	v_sub_co_u32 v3, s7, v2, s33
	s_subb_u32 s18, s19, s26
	s_cmp_lg_u32 s7, 0
	v_cmp_le_u32_e32 vcc_lo, s33, v3
	v_sub_co_u32 v4, s7, v3, s33
	s_subb_u32 s26, s18, 0
	s_cmp_lg_u32 s7, 0
	v_cndmask_b32_e64 v5, 0, -1, vcc_lo
	s_subb_u32 s7, s26, 0
	s_cmp_eq_u32 s26, 0
	v_mov_b32_e32 v7, s7
	s_cselect_b32 vcc_lo, -1, 0
	s_cmp_eq_u32 s18, 0
	v_cndmask_b32_e32 v5, -1, v5, vcc_lo
	v_cmp_le_u32_e32 vcc_lo, s33, v2
	s_cselect_b32 s7, -1, 0
	v_cndmask_b32_e64 v6, 0, -1, vcc_lo
	s_delay_alu instid0(VALU_DEP_3) | instskip(NEXT) | instid1(VALU_DEP_2)
	v_cmp_ne_u32_e32 vcc_lo, 0, v5
	v_cndmask_b32_e64 v5, -1, v6, s7
	v_cndmask_b32_e32 v6, s26, v7, vcc_lo
	v_cndmask_b32_e32 v4, v3, v4, vcc_lo
	s_delay_alu instid0(VALU_DEP_3) | instskip(NEXT) | instid1(VALU_DEP_3)
	v_cmp_ne_u32_e32 vcc_lo, 0, v5
	v_cndmask_b32_e32 v3, s18, v6, vcc_lo
	s_delay_alu instid0(VALU_DEP_3)
	v_cndmask_b32_e32 v2, v2, v4, vcc_lo
	s_cbranch_execnz .LBB168_282
.LBB168_281:                            ;   in Loop: Header=BB168_6 Depth=1
	v_cvt_f32_u32_e32 v2, s33
	s_sub_i32 s7, 0, s33
	s_delay_alu instid0(VALU_DEP_1) | instskip(SKIP_2) | instid1(VALU_DEP_1)
	v_rcp_iflag_f32_e32 v2, v2
	s_waitcnt_depctr 0xfff
	v_mul_f32_e32 v2, 0x4f7ffffe, v2
	v_cvt_u32_f32_e32 v2, v2
	s_delay_alu instid0(VALU_DEP_1) | instskip(NEXT) | instid1(VALU_DEP_1)
	v_mul_lo_u32 v3, s7, v2
	v_mul_hi_u32 v3, v2, v3
	s_delay_alu instid0(VALU_DEP_1) | instskip(NEXT) | instid1(VALU_DEP_1)
	v_add_nc_u32_e32 v2, v2, v3
	v_mul_hi_u32 v2, s23, v2
	s_delay_alu instid0(VALU_DEP_1) | instskip(NEXT) | instid1(VALU_DEP_1)
	v_mul_lo_u32 v2, v2, s33
	v_sub_nc_u32_e32 v2, s23, v2
	s_delay_alu instid0(VALU_DEP_1) | instskip(SKIP_1) | instid1(VALU_DEP_2)
	v_subrev_nc_u32_e32 v3, s33, v2
	v_cmp_le_u32_e32 vcc_lo, s33, v2
	v_cndmask_b32_e32 v2, v2, v3, vcc_lo
	s_delay_alu instid0(VALU_DEP_1) | instskip(SKIP_1) | instid1(VALU_DEP_2)
	v_subrev_nc_u32_e32 v3, s33, v2
	v_cmp_le_u32_e32 vcc_lo, s33, v2
	v_cndmask_b32_e32 v12, v2, v3, vcc_lo
	s_delay_alu instid0(VALU_DEP_1)
	v_dual_mov_b32 v2, v12 :: v_dual_mov_b32 v3, v13
.LBB168_282:                            ;   in Loop: Header=BB168_6 Depth=1
	s_delay_alu instid0(VALU_DEP_1) | instskip(NEXT) | instid1(VALU_DEP_2)
	v_sub_co_u32 v2, vcc_lo, s23, v2
	v_sub_co_ci_u32_e32 v3, vcc_lo, s19, v3, vcc_lo
	s_mov_b32 s7, 0
	s_mov_b32 s18, exec_lo
                                        ; implicit-def: $vgpr39
	s_delay_alu instid0(VALU_DEP_1)
	v_cmpx_gt_u64_e64 v[2:3], v[0:1]
	s_cbranch_execz .LBB168_292
; %bb.283:                              ;   in Loop: Header=BB168_6 Depth=1
	v_dual_mov_b32 v6, v31 :: v_dual_mov_b32 v5, v1
	v_mov_b32_e32 v4, v0
	s_mov_b32 s19, 0
                                        ; implicit-def: $sgpr23
	s_set_inst_prefetch_distance 0x1
	s_branch .LBB168_285
	.p2align	6
.LBB168_284:                            ;   in Loop: Header=BB168_285 Depth=2
	s_or_b32 exec_lo, exec_lo, s7
	s_waitcnt lgkmcnt(0)
	s_barrier
	buffer_gl0_inv
	ds_load_b32 v7, v13 offset:3072
	v_add_co_u32 v4, vcc_lo, v4, s33
	v_add_co_ci_u32_e32 v5, vcc_lo, 0, v5, vcc_lo
	v_add_nc_u32_e32 v6, s84, v6
	s_waitcnt lgkmcnt(0)
	s_barrier
	s_delay_alu instid0(VALU_DEP_2) | instskip(SKIP_2) | instid1(VALU_DEP_1)
	v_cmp_ge_u64_e32 vcc_lo, v[4:5], v[2:3]
	buffer_gl0_inv
	v_cmp_ne_u16_e64 s7, 0, v7
	s_or_b32 s26, vcc_lo, s7
	s_delay_alu instid0(SALU_CYCLE_1) | instskip(NEXT) | instid1(SALU_CYCLE_1)
	s_and_b32 s26, exec_lo, s26
	s_or_b32 s19, s26, s19
	s_and_not1_b32 s23, s23, exec_lo
	s_and_b32 s7, s7, exec_lo
	s_delay_alu instid0(SALU_CYCLE_1)
	s_or_b32 s23, s23, s7
	s_and_not1_b32 exec_lo, exec_lo, s19
	s_cbranch_execz .LBB168_291
.LBB168_285:                            ;   Parent Loop BB168_6 Depth=1
                                        ; =>  This Inner Loop Header: Depth=2
	s_delay_alu instid0(VALU_DEP_1)
	v_cmp_gt_u64_e32 vcc_lo, s[8:9], v[4:5]
	v_mov_b32_e32 v7, 0
	s_and_saveexec_b32 s7, vcc_lo
	s_cbranch_execz .LBB168_287
; %bb.286:                              ;   in Loop: Header=BB168_285 Depth=2
	ds_load_u16 v7, v6
.LBB168_287:                            ;   in Loop: Header=BB168_285 Depth=2
	s_or_b32 exec_lo, exec_lo, s7
	s_and_saveexec_b32 s7, vcc_lo
	s_cbranch_execz .LBB168_284
; %bb.288:                              ;   in Loop: Header=BB168_285 Depth=2
	s_waitcnt lgkmcnt(0)
	v_bfe_i32 v8, v7, 0, 16
	s_delay_alu instid0(VALU_DEP_1) | instskip(NEXT) | instid1(VALU_DEP_1)
	v_add_nc_u32_e32 v8, 0x8000, v8
	v_and_b32_e32 v8, v8, v37
	s_delay_alu instid0(VALU_DEP_1)
	v_cmp_eq_u32_e32 vcc_lo, v8, v38
	s_and_b32 exec_lo, exec_lo, vcc_lo
	s_cbranch_execz .LBB168_284
; %bb.289:                              ;   in Loop: Header=BB168_285 Depth=2
	v_perm_b32 v7, v7, 1, 0x5040100
	ds_store_b32 v13, v7 offset:3072
	s_branch .LBB168_284
.LBB168_290:                            ;   in Loop: Header=BB168_6 Depth=1
	s_mov_b32 s18, -1
	s_mov_b32 s7, 0
                                        ; implicit-def: $sgpr19
                                        ; implicit-def: $vgpr39
	s_mov_b32 s23, s18
	s_cbranch_execnz .LBB168_293
	s_branch .LBB168_306
.LBB168_291:                            ;   in Loop: Header=BB168_6 Depth=1
	s_set_inst_prefetch_distance 0x2
	s_or_b32 exec_lo, exec_lo, s19
	v_lshrrev_b32_e32 v39, 16, v7
	s_and_b32 s7, s23, exec_lo
.LBB168_292:                            ;   in Loop: Header=BB168_6 Depth=1
	s_or_b32 exec_lo, exec_lo, s18
	s_mov_b32 s18, 0
	s_mov_b32 s19, -1
	s_mov_b32 s23, s18
	s_branch .LBB168_306
.LBB168_293:                            ;   in Loop: Header=BB168_6 Depth=1
	s_mov_b32 s26, s53
	s_delay_alu instid0(SALU_CYCLE_1)
	s_cmp_lg_u64 s[26:27], 0
	s_cbranch_scc0 .LBB168_335
; %bb.294:                              ;   in Loop: Header=BB168_6 Depth=1
	v_cvt_f32_u32_e32 v2, s33
	s_sub_u32 s9, 0, s33
	s_subb_u32 s18, 0, 0
	s_delay_alu instid0(VALU_DEP_1) | instskip(NEXT) | instid1(VALU_DEP_1)
	v_fmac_f32_e64 v2, 0, 0x4f800000
	v_rcp_f32_e32 v2, v2
	s_waitcnt_depctr 0xfff
	v_mul_f32_e32 v2, 0x5f7ffffc, v2
	s_delay_alu instid0(VALU_DEP_1) | instskip(NEXT) | instid1(VALU_DEP_1)
	v_mul_f32_e32 v3, 0x2f800000, v2
	v_trunc_f32_e32 v3, v3
	s_delay_alu instid0(VALU_DEP_1) | instskip(SKIP_1) | instid1(VALU_DEP_2)
	v_fmac_f32_e32 v2, 0xcf800000, v3
	v_cvt_u32_f32_e32 v3, v3
	v_cvt_u32_f32_e32 v2, v2
	s_delay_alu instid0(VALU_DEP_2) | instskip(NEXT) | instid1(VALU_DEP_2)
	v_readfirstlane_b32 s7, v3
	v_readfirstlane_b32 s8, v2
	s_delay_alu instid0(VALU_DEP_2) | instskip(NEXT) | instid1(VALU_DEP_1)
	s_mul_i32 s19, s9, s7
	s_mul_hi_u32 s26, s9, s8
	s_mul_i32 s23, s18, s8
	s_add_i32 s19, s26, s19
	s_mul_i32 s63, s9, s8
	s_add_i32 s19, s19, s23
	s_mul_hi_u32 s26, s8, s63
	s_mul_hi_u32 s64, s7, s63
	s_mul_i32 s23, s7, s63
	s_mul_hi_u32 s63, s8, s19
	s_mul_i32 s8, s8, s19
	s_mul_hi_u32 s65, s7, s19
	s_add_u32 s8, s26, s8
	s_addc_u32 s26, 0, s63
	s_add_u32 s8, s8, s23
	s_mul_i32 s19, s7, s19
	s_addc_u32 s8, s26, s64
	s_addc_u32 s23, s65, 0
	s_add_u32 s8, s8, s19
	s_addc_u32 s19, 0, s23
	v_add_co_u32 v2, s8, v2, s8
	s_delay_alu instid0(VALU_DEP_1) | instskip(SKIP_1) | instid1(VALU_DEP_1)
	s_cmp_lg_u32 s8, 0
	s_addc_u32 s7, s7, s19
	v_readfirstlane_b32 s8, v2
	s_mul_i32 s19, s9, s7
	s_delay_alu instid0(VALU_DEP_1)
	s_mul_hi_u32 s23, s9, s8
	s_mul_i32 s18, s18, s8
	s_add_i32 s19, s23, s19
	s_mul_i32 s9, s9, s8
	s_add_i32 s19, s19, s18
	s_mul_hi_u32 s23, s7, s9
	s_mul_i32 s26, s7, s9
	s_mul_hi_u32 s9, s8, s9
	s_mul_hi_u32 s63, s8, s19
	s_mul_i32 s8, s8, s19
	s_mul_hi_u32 s18, s7, s19
	s_add_u32 s8, s9, s8
	s_addc_u32 s9, 0, s63
	s_add_u32 s8, s8, s26
	s_mul_i32 s19, s7, s19
	s_addc_u32 s8, s9, s23
	s_addc_u32 s9, s18, 0
	s_add_u32 s8, s8, s19
	s_addc_u32 s9, 0, s9
	v_add_co_u32 v2, s8, v2, s8
	s_delay_alu instid0(VALU_DEP_1) | instskip(SKIP_1) | instid1(VALU_DEP_1)
	s_cmp_lg_u32 s8, 0
	s_addc_u32 s7, s7, s9
	v_readfirstlane_b32 s8, v2
	s_mul_i32 s18, s78, s7
	s_mul_hi_u32 s9, s78, s7
	s_mul_hi_u32 s19, s27, s7
	s_mul_i32 s7, s27, s7
	s_mul_hi_u32 s23, s78, s8
	s_mul_hi_u32 s26, s27, s8
	s_mul_i32 s8, s27, s8
	s_add_u32 s18, s23, s18
	s_addc_u32 s9, 0, s9
	s_add_u32 s8, s18, s8
	s_addc_u32 s8, s9, s26
	s_addc_u32 s9, s19, 0
	s_add_u32 s7, s8, s7
	s_addc_u32 s8, 0, s9
	s_mul_hi_u32 s9, s33, s7
	s_mul_i32 s7, s33, s7
	s_mul_i32 s8, s33, s8
	v_sub_co_u32 v2, s7, s78, s7
	s_add_i32 s9, s9, s8
	s_cmp_lg_u32 s7, 0
	s_delay_alu instid0(VALU_DEP_1) | instskip(SKIP_2) | instid1(VALU_DEP_1)
	v_sub_co_u32 v3, s7, v2, s33
	s_subb_u32 s8, s27, s9
	s_cmp_lg_u32 s7, 0
	v_cmp_le_u32_e32 vcc_lo, s33, v3
	v_sub_co_u32 v4, s7, v3, s33
	s_subb_u32 s9, s8, 0
	s_cmp_lg_u32 s7, 0
	v_cndmask_b32_e64 v5, 0, -1, vcc_lo
	s_subb_u32 s7, s9, 0
	s_cmp_eq_u32 s9, 0
	v_mov_b32_e32 v7, s7
	s_cselect_b32 vcc_lo, -1, 0
	s_cmp_eq_u32 s8, 0
	v_cndmask_b32_e32 v5, -1, v5, vcc_lo
	v_cmp_le_u32_e32 vcc_lo, s33, v2
	s_cselect_b32 s7, -1, 0
	v_cndmask_b32_e64 v6, 0, -1, vcc_lo
	s_delay_alu instid0(VALU_DEP_3) | instskip(NEXT) | instid1(VALU_DEP_2)
	v_cmp_ne_u32_e32 vcc_lo, 0, v5
	v_cndmask_b32_e64 v5, -1, v6, s7
	v_cndmask_b32_e32 v6, s9, v7, vcc_lo
	v_cndmask_b32_e32 v4, v3, v4, vcc_lo
	s_delay_alu instid0(VALU_DEP_3) | instskip(NEXT) | instid1(VALU_DEP_3)
	v_cmp_ne_u32_e32 vcc_lo, 0, v5
	v_cndmask_b32_e32 v3, s8, v6, vcc_lo
	s_delay_alu instid0(VALU_DEP_3)
	v_cndmask_b32_e32 v2, v2, v4, vcc_lo
	s_cbranch_execnz .LBB168_296
.LBB168_295:                            ;   in Loop: Header=BB168_6 Depth=1
	v_cvt_f32_u32_e32 v2, s33
	s_sub_i32 s7, 0, s33
	s_delay_alu instid0(VALU_DEP_1) | instskip(SKIP_2) | instid1(VALU_DEP_1)
	v_rcp_iflag_f32_e32 v2, v2
	s_waitcnt_depctr 0xfff
	v_mul_f32_e32 v2, 0x4f7ffffe, v2
	v_cvt_u32_f32_e32 v2, v2
	s_delay_alu instid0(VALU_DEP_1) | instskip(NEXT) | instid1(VALU_DEP_1)
	v_mul_lo_u32 v3, s7, v2
	v_mul_hi_u32 v3, v2, v3
	s_delay_alu instid0(VALU_DEP_1) | instskip(NEXT) | instid1(VALU_DEP_1)
	v_add_nc_u32_e32 v2, v2, v3
	v_mul_hi_u32 v2, s78, v2
	s_delay_alu instid0(VALU_DEP_1) | instskip(NEXT) | instid1(VALU_DEP_1)
	v_mul_lo_u32 v2, v2, s33
	v_sub_nc_u32_e32 v2, s78, v2
	s_delay_alu instid0(VALU_DEP_1) | instskip(SKIP_1) | instid1(VALU_DEP_2)
	v_subrev_nc_u32_e32 v3, s33, v2
	v_cmp_le_u32_e32 vcc_lo, s33, v2
	v_cndmask_b32_e32 v2, v2, v3, vcc_lo
	s_delay_alu instid0(VALU_DEP_1) | instskip(SKIP_1) | instid1(VALU_DEP_2)
	v_subrev_nc_u32_e32 v3, s33, v2
	v_cmp_le_u32_e32 vcc_lo, s33, v2
	v_cndmask_b32_e32 v12, v2, v3, vcc_lo
	s_delay_alu instid0(VALU_DEP_1)
	v_dual_mov_b32 v2, v12 :: v_dual_mov_b32 v3, v13
.LBB168_296:                            ;   in Loop: Header=BB168_6 Depth=1
	s_delay_alu instid0(VALU_DEP_1) | instskip(NEXT) | instid1(VALU_DEP_2)
	v_sub_co_u32 v2, vcc_lo, s78, v2
	v_sub_co_ci_u32_e32 v3, vcc_lo, s27, v3, vcc_lo
	s_mov_b32 s7, 0
	s_mov_b32 s8, exec_lo
                                        ; implicit-def: $vgpr39
	s_delay_alu instid0(VALU_DEP_1)
	v_cmpx_gt_u64_e64 v[2:3], v[0:1]
	s_cbranch_execz .LBB168_305
; %bb.297:                              ;   in Loop: Header=BB168_6 Depth=1
	v_dual_mov_b32 v4, v10 :: v_dual_mov_b32 v5, v11
	v_dual_mov_b32 v7, v1 :: v_dual_mov_b32 v6, v0
	s_mov_b32 s9, 0
                                        ; implicit-def: $sgpr18
	s_set_inst_prefetch_distance 0x1
	s_branch .LBB168_299
	.p2align	6
.LBB168_298:                            ;   in Loop: Header=BB168_299 Depth=2
	s_or_b32 exec_lo, exec_lo, s7
	s_waitcnt vmcnt(0) lgkmcnt(0)
	s_barrier
	buffer_gl0_inv
	ds_load_b32 v8, v13 offset:3072
	v_add_co_u32 v6, vcc_lo, v6, s33
	v_add_co_ci_u32_e32 v7, vcc_lo, 0, v7, vcc_lo
	s_waitcnt lgkmcnt(0)
	s_barrier
	buffer_gl0_inv
	v_cmp_ge_u64_e32 vcc_lo, v[6:7], v[2:3]
	v_cmp_ne_u16_e64 s7, 0, v8
	s_delay_alu instid0(VALU_DEP_1)
	s_or_b32 s19, vcc_lo, s7
	v_add_co_u32 v4, vcc_lo, v4, s34
	s_and_b32 s19, exec_lo, s19
	v_add_co_ci_u32_e32 v5, vcc_lo, s35, v5, vcc_lo
	s_or_b32 s9, s19, s9
	s_and_not1_b32 s18, s18, exec_lo
	s_and_b32 s7, s7, exec_lo
	s_delay_alu instid0(SALU_CYCLE_1)
	s_or_b32 s18, s18, s7
	s_and_not1_b32 exec_lo, exec_lo, s9
	s_cbranch_execz .LBB168_304
.LBB168_299:                            ;   Parent Loop BB168_6 Depth=1
                                        ; =>  This Inner Loop Header: Depth=2
	s_delay_alu instid0(VALU_DEP_1)
	v_cmp_gt_u64_e32 vcc_lo, s[28:29], v[6:7]
	v_mov_b32_e32 v8, 0
	s_and_saveexec_b32 s7, vcc_lo
	s_cbranch_execz .LBB168_301
; %bb.300:                              ;   in Loop: Header=BB168_299 Depth=2
	global_load_u16 v8, v[4:5], off
.LBB168_301:                            ;   in Loop: Header=BB168_299 Depth=2
	s_or_b32 exec_lo, exec_lo, s7
	s_and_saveexec_b32 s7, vcc_lo
	s_cbranch_execz .LBB168_298
; %bb.302:                              ;   in Loop: Header=BB168_299 Depth=2
	s_waitcnt vmcnt(0)
	v_bfe_i32 v9, v8, 0, 16
	s_delay_alu instid0(VALU_DEP_1) | instskip(NEXT) | instid1(VALU_DEP_1)
	v_add_nc_u32_e32 v9, 0x8000, v9
	v_and_b32_e32 v9, v9, v37
	s_delay_alu instid0(VALU_DEP_1)
	v_cmp_eq_u32_e32 vcc_lo, v9, v38
	s_and_b32 exec_lo, exec_lo, vcc_lo
	s_cbranch_execz .LBB168_298
; %bb.303:                              ;   in Loop: Header=BB168_299 Depth=2
	v_perm_b32 v8, v8, 1, 0x5040100
	ds_store_b32 v13, v8 offset:3072
	s_branch .LBB168_298
.LBB168_304:                            ;   in Loop: Header=BB168_6 Depth=1
	s_set_inst_prefetch_distance 0x2
	s_or_b32 exec_lo, exec_lo, s9
	v_lshrrev_b32_e32 v39, 16, v8
	s_and_b32 s7, s18, exec_lo
.LBB168_305:                            ;   in Loop: Header=BB168_6 Depth=1
	s_or_b32 exec_lo, exec_lo, s8
	s_mov_b32 s19, 0
	s_mov_b32 s18, -1
	s_mov_b32 s23, 0
.LBB168_306:                            ;   in Loop: Header=BB168_6 Depth=1
	s_or_not1_b32 s7, s7, exec_lo
.LBB168_307:                            ;   in Loop: Header=BB168_6 Depth=1
	s_or_b32 exec_lo, exec_lo, s52
                                        ; implicit-def: $vgpr6
                                        ; implicit-def: $vgpr2_vgpr3
                                        ; implicit-def: $vgpr25
                                        ; implicit-def: $vgpr26
                                        ; implicit-def: $vgpr27
	s_and_saveexec_b32 s52, s7
	s_cbranch_execz .LBB168_470
; %bb.308:                              ;   in Loop: Header=BB168_6 Depth=1
	v_mov_b32_e32 v2, 1
	v_dual_mov_b32 v3, 0 :: v_dual_mov_b32 v6, 1
	s_xor_b32 s8, s62, -1
	s_mov_b32 s26, 0
	s_and_saveexec_b32 s7, s8
	s_cbranch_execz .LBB168_318
; %bb.309:                              ;   in Loop: Header=BB168_6 Depth=1
	s_mov_b32 s9, exec_lo
                                        ; implicit-def: $sgpr26
                                        ; implicit-def: $sgpr8
	v_cmpx_ge_u64_e64 s[16:17], v[23:24]
	s_xor_b32 s9, exec_lo, s9
	s_cbranch_execz .LBB168_315
; %bb.310:                              ;   in Loop: Header=BB168_6 Depth=1
	ds_load_b64 v[2:3], v13 offset:5120
	s_waitcnt lgkmcnt(0)
	v_cmp_ne_u64_e32 vcc_lo, 0, v[2:3]
	s_cbranch_vccnz .LBB168_314
; %bb.311:                              ;   in Loop: Header=BB168_6 Depth=1
	s_and_saveexec_b32 s8, s5
	s_cbranch_execz .LBB168_313
; %bb.312:                              ;   in Loop: Header=BB168_6 Depth=1
	v_dual_mov_b32 v2, s16 :: v_dual_mov_b32 v3, s17
	ds_store_b64 v13, v[2:3] offset:5128
.LBB168_313:                            ;   in Loop: Header=BB168_6 Depth=1
	s_or_b32 exec_lo, exec_lo, s8
	s_waitcnt lgkmcnt(0)
	s_barrier
	buffer_gl0_inv
.LBB168_314:                            ;   in Loop: Header=BB168_6 Depth=1
	v_or_b32_e32 v38, s20, v38
	v_or_b32_e32 v37, s20, v37
	s_mov_b32 s8, 0
	s_mov_b32 s26, 5
.LBB168_315:                            ;   in Loop: Header=BB168_6 Depth=1
	s_or_saveexec_b32 s9, s9
	v_mov_b32_e32 v6, s26
	s_xor_b32 exec_lo, exec_lo, s9
; %bb.316:                              ;   in Loop: Header=BB168_6 Depth=1
	v_sub_co_u32 v23, vcc_lo, v23, s16
	v_subrev_co_ci_u32_e32 v24, vcc_lo, s17, v24, vcc_lo
	v_mov_b32_e32 v6, 0
	s_or_b32 s8, s8, exec_lo
; %bb.317:                              ;   in Loop: Header=BB168_6 Depth=1
	s_or_b32 exec_lo, exec_lo, s9
	s_delay_alu instid0(VALU_DEP_2)
	v_dual_mov_b32 v2, v23 :: v_dual_mov_b32 v3, v24
	s_and_b32 s26, s8, exec_lo
.LBB168_318:                            ;   in Loop: Header=BB168_6 Depth=1
	s_or_b32 exec_lo, exec_lo, s7
	s_mov_b32 s17, -1
                                        ; implicit-def: $sgpr8
                                        ; implicit-def: $sgpr9
                                        ; implicit-def: $sgpr16
	s_and_saveexec_b32 s7, s26
	s_delay_alu instid0(SALU_CYCLE_1)
	s_xor_b32 s62, exec_lo, s7
	s_cbranch_execz .LBB168_467
; %bb.319:                              ;   in Loop: Header=BB168_6 Depth=1
	v_cmp_eq_u64_e32 vcc_lo, 1, v[2:3]
	s_cmp_eq_u64 s[14:15], 1
                                        ; implicit-def: $sgpr16
                                        ; implicit-def: $sgpr17
                                        ; implicit-def: $sgpr63
	s_cselect_b32 s7, -1, 0
	s_delay_alu instid0(SALU_CYCLE_1)
	s_and_b32 s65, s7, vcc_lo
	s_mov_b32 s7, -1
	s_and_saveexec_b32 s64, s65
	s_cbranch_execz .LBB168_353
; %bb.320:                              ;   in Loop: Header=BB168_6 Depth=1
	ds_load_b64 v[4:5], v13 offset:5120
	s_waitcnt lgkmcnt(0)
	s_barrier
	buffer_gl0_inv
	v_readfirstlane_b32 s8, v4
	v_readfirstlane_b32 s9, v5
	s_and_saveexec_b32 s7, s6
	s_cbranch_execz .LBB168_322
; %bb.321:                              ;   in Loop: Header=BB168_6 Depth=1
	ds_store_b16 v33, v13
.LBB168_322:                            ;   in Loop: Header=BB168_6 Depth=1
	s_or_b32 exec_lo, exec_lo, s7
	s_lshl_b32 s7, 2, s22
	v_or_b32_e32 v37, s20, v37
	v_and_or_b32 v38, v38, s21, s7
	s_cmp_eq_u64 s[8:9], 0
	s_waitcnt lgkmcnt(0)
	s_barrier
	buffer_gl0_inv
	s_cbranch_scc1 .LBB168_336
; %bb.323:                              ;   in Loop: Header=BB168_6 Depth=1
	s_add_u32 s26, s76, s8
	s_addc_u32 s17, s77, s9
	s_mov_b32 s16, s53
	s_delay_alu instid0(SALU_CYCLE_1)
	s_cmp_lg_u64 s[16:17], 0
	s_cbranch_scc0 .LBB168_380
; %bb.324:                              ;   in Loop: Header=BB168_6 Depth=1
	v_cvt_f32_u32_e32 v4, s33
	s_sub_u32 s63, 0, s33
	s_subb_u32 s66, 0, 0
	s_delay_alu instid0(VALU_DEP_1) | instskip(NEXT) | instid1(VALU_DEP_1)
	v_fmac_f32_e64 v4, 0, 0x4f800000
	v_rcp_f32_e32 v4, v4
	s_waitcnt_depctr 0xfff
	v_mul_f32_e32 v4, 0x5f7ffffc, v4
	s_delay_alu instid0(VALU_DEP_1) | instskip(NEXT) | instid1(VALU_DEP_1)
	v_mul_f32_e32 v5, 0x2f800000, v4
	v_trunc_f32_e32 v5, v5
	s_delay_alu instid0(VALU_DEP_1) | instskip(SKIP_1) | instid1(VALU_DEP_2)
	v_fmac_f32_e32 v4, 0xcf800000, v5
	v_cvt_u32_f32_e32 v5, v5
	v_cvt_u32_f32_e32 v4, v4
	s_delay_alu instid0(VALU_DEP_2) | instskip(NEXT) | instid1(VALU_DEP_2)
	v_readfirstlane_b32 s7, v5
	v_readfirstlane_b32 s16, v4
	s_delay_alu instid0(VALU_DEP_2) | instskip(NEXT) | instid1(VALU_DEP_1)
	s_mul_i32 s67, s63, s7
	s_mul_hi_u32 s69, s63, s16
	s_mul_i32 s68, s66, s16
	s_add_i32 s67, s69, s67
	s_mul_i32 s70, s63, s16
	s_add_i32 s67, s67, s68
	s_mul_hi_u32 s69, s16, s70
	s_mul_hi_u32 s71, s7, s70
	s_mul_i32 s68, s7, s70
	s_mul_hi_u32 s70, s16, s67
	s_mul_i32 s16, s16, s67
	s_mul_hi_u32 s72, s7, s67
	s_add_u32 s16, s69, s16
	s_addc_u32 s69, 0, s70
	s_add_u32 s16, s16, s68
	s_mul_i32 s67, s7, s67
	s_addc_u32 s16, s69, s71
	s_addc_u32 s68, s72, 0
	s_add_u32 s16, s16, s67
	s_addc_u32 s67, 0, s68
	v_add_co_u32 v4, s16, v4, s16
	s_delay_alu instid0(VALU_DEP_1) | instskip(SKIP_1) | instid1(VALU_DEP_1)
	s_cmp_lg_u32 s16, 0
	s_addc_u32 s7, s7, s67
	v_readfirstlane_b32 s16, v4
	s_mul_i32 s67, s63, s7
	s_delay_alu instid0(VALU_DEP_1)
	s_mul_hi_u32 s68, s63, s16
	s_mul_i32 s66, s66, s16
	s_add_i32 s67, s68, s67
	s_mul_i32 s63, s63, s16
	s_add_i32 s67, s67, s66
	s_mul_hi_u32 s68, s7, s63
	s_mul_i32 s69, s7, s63
	s_mul_hi_u32 s63, s16, s63
	s_mul_hi_u32 s70, s16, s67
	s_mul_i32 s16, s16, s67
	s_mul_hi_u32 s66, s7, s67
	s_add_u32 s16, s63, s16
	s_addc_u32 s63, 0, s70
	s_add_u32 s16, s16, s69
	s_mul_i32 s67, s7, s67
	s_addc_u32 s16, s63, s68
	s_addc_u32 s63, s66, 0
	s_add_u32 s16, s16, s67
	s_addc_u32 s63, 0, s63
	v_add_co_u32 v4, s16, v4, s16
	s_delay_alu instid0(VALU_DEP_1) | instskip(SKIP_1) | instid1(VALU_DEP_1)
	s_cmp_lg_u32 s16, 0
	s_addc_u32 s7, s7, s63
	v_readfirstlane_b32 s16, v4
	s_mul_i32 s66, s26, s7
	s_mul_hi_u32 s63, s26, s7
	s_mul_hi_u32 s67, s17, s7
	s_mul_i32 s7, s17, s7
	s_mul_hi_u32 s68, s26, s16
	s_mul_hi_u32 s69, s17, s16
	s_mul_i32 s16, s17, s16
	s_add_u32 s66, s68, s66
	s_addc_u32 s63, 0, s63
	s_add_u32 s16, s66, s16
	s_addc_u32 s16, s63, s69
	s_addc_u32 s63, s67, 0
	s_add_u32 s7, s16, s7
	s_addc_u32 s16, 0, s63
	s_mul_hi_u32 s63, s33, s7
	s_mul_i32 s7, s33, s7
	s_mul_i32 s16, s33, s16
	v_sub_co_u32 v4, s7, s26, s7
	s_add_i32 s63, s63, s16
	s_cmp_lg_u32 s7, 0
	s_delay_alu instid0(VALU_DEP_1) | instskip(SKIP_2) | instid1(VALU_DEP_1)
	v_sub_co_u32 v5, s7, v4, s33
	s_subb_u32 s16, s17, s63
	s_cmp_lg_u32 s7, 0
	v_cmp_le_u32_e32 vcc_lo, s33, v5
	v_sub_co_u32 v6, s7, v5, s33
	s_subb_u32 s63, s16, 0
	s_cmp_lg_u32 s7, 0
	v_cndmask_b32_e64 v7, 0, -1, vcc_lo
	s_subb_u32 s7, s63, 0
	s_cmp_eq_u32 s63, 0
	v_mov_b32_e32 v9, s7
	s_cselect_b32 vcc_lo, -1, 0
	s_cmp_eq_u32 s16, 0
	v_cndmask_b32_e32 v7, -1, v7, vcc_lo
	v_cmp_le_u32_e32 vcc_lo, s33, v4
	s_cselect_b32 s7, -1, 0
	v_cndmask_b32_e64 v8, 0, -1, vcc_lo
	s_delay_alu instid0(VALU_DEP_3) | instskip(NEXT) | instid1(VALU_DEP_2)
	v_cmp_ne_u32_e32 vcc_lo, 0, v7
	v_cndmask_b32_e64 v7, -1, v8, s7
	v_cndmask_b32_e32 v8, s63, v9, vcc_lo
	v_cndmask_b32_e32 v6, v5, v6, vcc_lo
	s_delay_alu instid0(VALU_DEP_3) | instskip(NEXT) | instid1(VALU_DEP_3)
	v_cmp_ne_u32_e32 vcc_lo, 0, v7
	v_cndmask_b32_e32 v5, s16, v8, vcc_lo
	s_delay_alu instid0(VALU_DEP_3)
	v_cndmask_b32_e32 v4, v4, v6, vcc_lo
	s_cbranch_execnz .LBB168_326
.LBB168_325:                            ;   in Loop: Header=BB168_6 Depth=1
	v_cvt_f32_u32_e32 v4, s33
	s_sub_i32 s7, 0, s33
	s_delay_alu instid0(VALU_DEP_1) | instskip(SKIP_2) | instid1(VALU_DEP_1)
	v_rcp_iflag_f32_e32 v4, v4
	s_waitcnt_depctr 0xfff
	v_mul_f32_e32 v4, 0x4f7ffffe, v4
	v_cvt_u32_f32_e32 v4, v4
	s_delay_alu instid0(VALU_DEP_1) | instskip(NEXT) | instid1(VALU_DEP_1)
	v_mul_lo_u32 v5, s7, v4
	v_mul_hi_u32 v5, v4, v5
	s_delay_alu instid0(VALU_DEP_1) | instskip(NEXT) | instid1(VALU_DEP_1)
	v_add_nc_u32_e32 v4, v4, v5
	v_mul_hi_u32 v4, s26, v4
	s_delay_alu instid0(VALU_DEP_1) | instskip(NEXT) | instid1(VALU_DEP_1)
	v_mul_lo_u32 v4, v4, s33
	v_sub_nc_u32_e32 v4, s26, v4
	s_delay_alu instid0(VALU_DEP_1) | instskip(SKIP_1) | instid1(VALU_DEP_2)
	v_subrev_nc_u32_e32 v5, s33, v4
	v_cmp_le_u32_e32 vcc_lo, s33, v4
	v_cndmask_b32_e32 v4, v4, v5, vcc_lo
	s_delay_alu instid0(VALU_DEP_1) | instskip(SKIP_1) | instid1(VALU_DEP_2)
	v_subrev_nc_u32_e32 v5, s33, v4
	v_cmp_le_u32_e32 vcc_lo, s33, v4
	v_cndmask_b32_e32 v12, v4, v5, vcc_lo
	s_delay_alu instid0(VALU_DEP_1)
	v_dual_mov_b32 v4, v12 :: v_dual_mov_b32 v5, v13
.LBB168_326:                            ;   in Loop: Header=BB168_6 Depth=1
	s_delay_alu instid0(VALU_DEP_1) | instskip(NEXT) | instid1(VALU_DEP_2)
	v_sub_co_u32 v4, vcc_lo, s26, v4
	v_sub_co_ci_u32_e32 v5, vcc_lo, s17, v5, vcc_lo
	s_mov_b32 s7, 0
	s_mov_b32 s16, exec_lo
                                        ; implicit-def: $vgpr39
	s_delay_alu instid0(VALU_DEP_1)
	v_cmpx_gt_u64_e64 v[4:5], v[0:1]
	s_cbranch_execz .LBB168_338
; %bb.327:                              ;   in Loop: Header=BB168_6 Depth=1
	v_dual_mov_b32 v8, v31 :: v_dual_mov_b32 v7, v1
	v_mov_b32_e32 v6, v0
	s_mov_b32 s17, 0
                                        ; implicit-def: $sgpr26
	s_set_inst_prefetch_distance 0x1
	s_branch .LBB168_329
	.p2align	6
.LBB168_328:                            ;   in Loop: Header=BB168_329 Depth=2
	s_or_b32 exec_lo, exec_lo, s7
	s_waitcnt lgkmcnt(0)
	s_barrier
	buffer_gl0_inv
	ds_load_b32 v9, v13 offset:3072
	v_add_co_u32 v6, vcc_lo, v6, s33
	v_add_co_ci_u32_e32 v7, vcc_lo, 0, v7, vcc_lo
	v_add_nc_u32_e32 v8, s84, v8
	s_waitcnt lgkmcnt(0)
	s_barrier
	s_delay_alu instid0(VALU_DEP_2) | instskip(SKIP_2) | instid1(VALU_DEP_1)
	v_cmp_ge_u64_e32 vcc_lo, v[6:7], v[4:5]
	buffer_gl0_inv
	v_cmp_ne_u16_e64 s7, 0, v9
	s_or_b32 s63, vcc_lo, s7
	s_delay_alu instid0(SALU_CYCLE_1) | instskip(NEXT) | instid1(SALU_CYCLE_1)
	s_and_b32 s63, exec_lo, s63
	s_or_b32 s17, s63, s17
	s_and_not1_b32 s26, s26, exec_lo
	s_and_b32 s7, s7, exec_lo
	s_delay_alu instid0(SALU_CYCLE_1)
	s_or_b32 s26, s26, s7
	s_and_not1_b32 exec_lo, exec_lo, s17
	s_cbranch_execz .LBB168_337
.LBB168_329:                            ;   Parent Loop BB168_6 Depth=1
                                        ; =>  This Inner Loop Header: Depth=2
	s_delay_alu instid0(VALU_DEP_1)
	v_cmp_gt_u64_e32 vcc_lo, s[8:9], v[6:7]
	v_mov_b32_e32 v9, 0
	s_and_saveexec_b32 s7, vcc_lo
	s_cbranch_execz .LBB168_331
; %bb.330:                              ;   in Loop: Header=BB168_329 Depth=2
	ds_load_u16 v9, v8
.LBB168_331:                            ;   in Loop: Header=BB168_329 Depth=2
	s_or_b32 exec_lo, exec_lo, s7
	s_and_saveexec_b32 s7, vcc_lo
	s_cbranch_execz .LBB168_328
; %bb.332:                              ;   in Loop: Header=BB168_329 Depth=2
	s_waitcnt lgkmcnt(0)
	v_bfe_i32 v12, v9, 0, 16
	s_delay_alu instid0(VALU_DEP_1) | instskip(NEXT) | instid1(VALU_DEP_1)
	v_add_nc_u32_e32 v12, 0x8000, v12
	v_and_b32_e32 v12, v12, v37
	s_delay_alu instid0(VALU_DEP_1)
	v_cmp_eq_u32_e32 vcc_lo, v12, v38
	s_and_b32 exec_lo, exec_lo, vcc_lo
	s_cbranch_execz .LBB168_328
; %bb.333:                              ;   in Loop: Header=BB168_329 Depth=2
	v_perm_b32 v9, v9, 1, 0x5040100
	ds_store_b32 v13, v9 offset:3072
	s_branch .LBB168_328
.LBB168_334:                            ;   in Loop: Header=BB168_6 Depth=1
                                        ; implicit-def: $vgpr2_vgpr3
	s_branch .LBB168_281
.LBB168_335:                            ;   in Loop: Header=BB168_6 Depth=1
                                        ; implicit-def: $vgpr2_vgpr3
	s_branch .LBB168_295
.LBB168_336:                            ;   in Loop: Header=BB168_6 Depth=1
	s_mov_b32 s16, -1
	s_mov_b32 s7, 0
                                        ; implicit-def: $sgpr17
                                        ; implicit-def: $vgpr39
	s_mov_b32 s63, s16
	s_cbranch_execnz .LBB168_339
	s_branch .LBB168_352
.LBB168_337:                            ;   in Loop: Header=BB168_6 Depth=1
	s_set_inst_prefetch_distance 0x2
	s_or_b32 exec_lo, exec_lo, s17
	v_lshrrev_b32_e32 v39, 16, v9
	s_and_b32 s7, s26, exec_lo
.LBB168_338:                            ;   in Loop: Header=BB168_6 Depth=1
	s_or_b32 exec_lo, exec_lo, s16
	s_mov_b32 s16, 0
	s_mov_b32 s17, -1
	s_mov_b32 s63, s16
	s_branch .LBB168_352
.LBB168_339:                            ;   in Loop: Header=BB168_6 Depth=1
	s_mov_b32 s26, s53
	s_delay_alu instid0(SALU_CYCLE_1)
	s_cmp_lg_u64 s[26:27], 0
	s_cbranch_scc0 .LBB168_381
; %bb.340:                              ;   in Loop: Header=BB168_6 Depth=1
	v_cvt_f32_u32_e32 v4, s33
	s_sub_u32 s9, 0, s33
	s_subb_u32 s16, 0, 0
	s_delay_alu instid0(VALU_DEP_1) | instskip(NEXT) | instid1(VALU_DEP_1)
	v_fmac_f32_e64 v4, 0, 0x4f800000
	v_rcp_f32_e32 v4, v4
	s_waitcnt_depctr 0xfff
	v_mul_f32_e32 v4, 0x5f7ffffc, v4
	s_delay_alu instid0(VALU_DEP_1) | instskip(NEXT) | instid1(VALU_DEP_1)
	v_mul_f32_e32 v5, 0x2f800000, v4
	v_trunc_f32_e32 v5, v5
	s_delay_alu instid0(VALU_DEP_1) | instskip(SKIP_1) | instid1(VALU_DEP_2)
	v_fmac_f32_e32 v4, 0xcf800000, v5
	v_cvt_u32_f32_e32 v5, v5
	v_cvt_u32_f32_e32 v4, v4
	s_delay_alu instid0(VALU_DEP_2) | instskip(NEXT) | instid1(VALU_DEP_2)
	v_readfirstlane_b32 s7, v5
	v_readfirstlane_b32 s8, v4
	s_delay_alu instid0(VALU_DEP_2) | instskip(NEXT) | instid1(VALU_DEP_1)
	s_mul_i32 s17, s9, s7
	s_mul_hi_u32 s63, s9, s8
	s_mul_i32 s26, s16, s8
	s_add_i32 s17, s63, s17
	s_mul_i32 s66, s9, s8
	s_add_i32 s17, s17, s26
	s_mul_hi_u32 s63, s8, s66
	s_mul_hi_u32 s67, s7, s66
	s_mul_i32 s26, s7, s66
	s_mul_hi_u32 s66, s8, s17
	s_mul_i32 s8, s8, s17
	s_mul_hi_u32 s68, s7, s17
	s_add_u32 s8, s63, s8
	s_addc_u32 s63, 0, s66
	s_add_u32 s8, s8, s26
	s_mul_i32 s17, s7, s17
	s_addc_u32 s8, s63, s67
	s_addc_u32 s26, s68, 0
	s_add_u32 s8, s8, s17
	s_addc_u32 s17, 0, s26
	v_add_co_u32 v4, s8, v4, s8
	s_delay_alu instid0(VALU_DEP_1) | instskip(SKIP_1) | instid1(VALU_DEP_1)
	s_cmp_lg_u32 s8, 0
	s_addc_u32 s7, s7, s17
	v_readfirstlane_b32 s8, v4
	s_mul_i32 s17, s9, s7
	s_delay_alu instid0(VALU_DEP_1)
	s_mul_hi_u32 s26, s9, s8
	s_mul_i32 s16, s16, s8
	s_add_i32 s17, s26, s17
	s_mul_i32 s9, s9, s8
	s_add_i32 s17, s17, s16
	s_mul_hi_u32 s26, s7, s9
	s_mul_i32 s63, s7, s9
	s_mul_hi_u32 s9, s8, s9
	s_mul_hi_u32 s66, s8, s17
	s_mul_i32 s8, s8, s17
	s_mul_hi_u32 s16, s7, s17
	s_add_u32 s8, s9, s8
	s_addc_u32 s9, 0, s66
	s_add_u32 s8, s8, s63
	s_mul_i32 s17, s7, s17
	s_addc_u32 s8, s9, s26
	s_addc_u32 s9, s16, 0
	s_add_u32 s8, s8, s17
	s_addc_u32 s9, 0, s9
	v_add_co_u32 v4, s8, v4, s8
	s_delay_alu instid0(VALU_DEP_1) | instskip(SKIP_1) | instid1(VALU_DEP_1)
	s_cmp_lg_u32 s8, 0
	s_addc_u32 s7, s7, s9
	v_readfirstlane_b32 s8, v4
	s_mul_i32 s16, s78, s7
	s_mul_hi_u32 s9, s78, s7
	s_mul_hi_u32 s17, s27, s7
	s_mul_i32 s7, s27, s7
	s_mul_hi_u32 s26, s78, s8
	s_mul_hi_u32 s63, s27, s8
	s_mul_i32 s8, s27, s8
	s_add_u32 s16, s26, s16
	s_addc_u32 s9, 0, s9
	s_add_u32 s8, s16, s8
	s_addc_u32 s8, s9, s63
	s_addc_u32 s9, s17, 0
	s_add_u32 s7, s8, s7
	s_addc_u32 s8, 0, s9
	s_mul_hi_u32 s9, s33, s7
	s_mul_i32 s7, s33, s7
	s_mul_i32 s8, s33, s8
	v_sub_co_u32 v4, s7, s78, s7
	s_add_i32 s9, s9, s8
	s_cmp_lg_u32 s7, 0
	s_delay_alu instid0(VALU_DEP_1) | instskip(SKIP_2) | instid1(VALU_DEP_1)
	v_sub_co_u32 v5, s7, v4, s33
	s_subb_u32 s8, s27, s9
	s_cmp_lg_u32 s7, 0
	v_cmp_le_u32_e32 vcc_lo, s33, v5
	v_sub_co_u32 v6, s7, v5, s33
	s_subb_u32 s9, s8, 0
	s_cmp_lg_u32 s7, 0
	v_cndmask_b32_e64 v7, 0, -1, vcc_lo
	s_subb_u32 s7, s9, 0
	s_cmp_eq_u32 s9, 0
	v_mov_b32_e32 v9, s7
	s_cselect_b32 vcc_lo, -1, 0
	s_cmp_eq_u32 s8, 0
	v_cndmask_b32_e32 v7, -1, v7, vcc_lo
	v_cmp_le_u32_e32 vcc_lo, s33, v4
	s_cselect_b32 s7, -1, 0
	v_cndmask_b32_e64 v8, 0, -1, vcc_lo
	s_delay_alu instid0(VALU_DEP_3) | instskip(NEXT) | instid1(VALU_DEP_2)
	v_cmp_ne_u32_e32 vcc_lo, 0, v7
	v_cndmask_b32_e64 v7, -1, v8, s7
	v_cndmask_b32_e32 v8, s9, v9, vcc_lo
	v_cndmask_b32_e32 v6, v5, v6, vcc_lo
	s_delay_alu instid0(VALU_DEP_3) | instskip(NEXT) | instid1(VALU_DEP_3)
	v_cmp_ne_u32_e32 vcc_lo, 0, v7
	v_cndmask_b32_e32 v5, s8, v8, vcc_lo
	s_delay_alu instid0(VALU_DEP_3)
	v_cndmask_b32_e32 v4, v4, v6, vcc_lo
	s_cbranch_execnz .LBB168_342
.LBB168_341:                            ;   in Loop: Header=BB168_6 Depth=1
	v_cvt_f32_u32_e32 v4, s33
	s_sub_i32 s7, 0, s33
	s_delay_alu instid0(VALU_DEP_1) | instskip(SKIP_2) | instid1(VALU_DEP_1)
	v_rcp_iflag_f32_e32 v4, v4
	s_waitcnt_depctr 0xfff
	v_mul_f32_e32 v4, 0x4f7ffffe, v4
	v_cvt_u32_f32_e32 v4, v4
	s_delay_alu instid0(VALU_DEP_1) | instskip(NEXT) | instid1(VALU_DEP_1)
	v_mul_lo_u32 v5, s7, v4
	v_mul_hi_u32 v5, v4, v5
	s_delay_alu instid0(VALU_DEP_1) | instskip(NEXT) | instid1(VALU_DEP_1)
	v_add_nc_u32_e32 v4, v4, v5
	v_mul_hi_u32 v4, s78, v4
	s_delay_alu instid0(VALU_DEP_1) | instskip(NEXT) | instid1(VALU_DEP_1)
	v_mul_lo_u32 v4, v4, s33
	v_sub_nc_u32_e32 v4, s78, v4
	s_delay_alu instid0(VALU_DEP_1) | instskip(SKIP_1) | instid1(VALU_DEP_2)
	v_subrev_nc_u32_e32 v5, s33, v4
	v_cmp_le_u32_e32 vcc_lo, s33, v4
	v_cndmask_b32_e32 v4, v4, v5, vcc_lo
	s_delay_alu instid0(VALU_DEP_1) | instskip(SKIP_1) | instid1(VALU_DEP_2)
	v_subrev_nc_u32_e32 v5, s33, v4
	v_cmp_le_u32_e32 vcc_lo, s33, v4
	v_cndmask_b32_e32 v12, v4, v5, vcc_lo
	s_delay_alu instid0(VALU_DEP_1)
	v_dual_mov_b32 v4, v12 :: v_dual_mov_b32 v5, v13
.LBB168_342:                            ;   in Loop: Header=BB168_6 Depth=1
	s_delay_alu instid0(VALU_DEP_1) | instskip(NEXT) | instid1(VALU_DEP_2)
	v_sub_co_u32 v4, vcc_lo, s78, v4
	v_sub_co_ci_u32_e32 v5, vcc_lo, s27, v5, vcc_lo
	s_mov_b32 s7, 0
	s_mov_b32 s8, exec_lo
                                        ; implicit-def: $vgpr39
	s_delay_alu instid0(VALU_DEP_1)
	v_cmpx_gt_u64_e64 v[4:5], v[0:1]
	s_cbranch_execz .LBB168_351
; %bb.343:                              ;   in Loop: Header=BB168_6 Depth=1
	v_dual_mov_b32 v6, v10 :: v_dual_mov_b32 v7, v11
	v_dual_mov_b32 v9, v1 :: v_dual_mov_b32 v8, v0
	s_mov_b32 s9, 0
                                        ; implicit-def: $sgpr16
	s_set_inst_prefetch_distance 0x1
	s_branch .LBB168_345
	.p2align	6
.LBB168_344:                            ;   in Loop: Header=BB168_345 Depth=2
	s_or_b32 exec_lo, exec_lo, s7
	s_waitcnt vmcnt(0) lgkmcnt(0)
	s_barrier
	buffer_gl0_inv
	ds_load_b32 v12, v13 offset:3072
	v_add_co_u32 v8, vcc_lo, v8, s33
	v_add_co_ci_u32_e32 v9, vcc_lo, 0, v9, vcc_lo
	s_waitcnt lgkmcnt(0)
	s_barrier
	buffer_gl0_inv
	v_cmp_ge_u64_e32 vcc_lo, v[8:9], v[4:5]
	v_cmp_ne_u16_e64 s7, 0, v12
	s_delay_alu instid0(VALU_DEP_1)
	s_or_b32 s17, vcc_lo, s7
	v_add_co_u32 v6, vcc_lo, v6, s34
	s_and_b32 s17, exec_lo, s17
	v_add_co_ci_u32_e32 v7, vcc_lo, s35, v7, vcc_lo
	s_or_b32 s9, s17, s9
	s_and_not1_b32 s16, s16, exec_lo
	s_and_b32 s7, s7, exec_lo
	s_delay_alu instid0(SALU_CYCLE_1)
	s_or_b32 s16, s16, s7
	s_and_not1_b32 exec_lo, exec_lo, s9
	s_cbranch_execz .LBB168_350
.LBB168_345:                            ;   Parent Loop BB168_6 Depth=1
                                        ; =>  This Inner Loop Header: Depth=2
	s_delay_alu instid0(VALU_DEP_1)
	v_cmp_gt_u64_e32 vcc_lo, s[28:29], v[8:9]
	v_mov_b32_e32 v12, 0
	s_and_saveexec_b32 s7, vcc_lo
	s_cbranch_execz .LBB168_347
; %bb.346:                              ;   in Loop: Header=BB168_345 Depth=2
	global_load_u16 v12, v[6:7], off
.LBB168_347:                            ;   in Loop: Header=BB168_345 Depth=2
	s_or_b32 exec_lo, exec_lo, s7
	s_and_saveexec_b32 s7, vcc_lo
	s_cbranch_execz .LBB168_344
; %bb.348:                              ;   in Loop: Header=BB168_345 Depth=2
	s_waitcnt vmcnt(0)
	v_bfe_i32 v23, v12, 0, 16
	s_delay_alu instid0(VALU_DEP_1) | instskip(NEXT) | instid1(VALU_DEP_1)
	v_add_nc_u32_e32 v23, 0x8000, v23
	v_and_b32_e32 v23, v23, v37
	s_delay_alu instid0(VALU_DEP_1)
	v_cmp_eq_u32_e32 vcc_lo, v23, v38
	s_and_b32 exec_lo, exec_lo, vcc_lo
	s_cbranch_execz .LBB168_344
; %bb.349:                              ;   in Loop: Header=BB168_345 Depth=2
	v_perm_b32 v12, v12, 1, 0x5040100
	ds_store_b32 v13, v12 offset:3072
	s_branch .LBB168_344
.LBB168_350:                            ;   in Loop: Header=BB168_6 Depth=1
	s_set_inst_prefetch_distance 0x2
	s_or_b32 exec_lo, exec_lo, s9
	v_lshrrev_b32_e32 v39, 16, v12
	s_and_b32 s7, s16, exec_lo
.LBB168_351:                            ;   in Loop: Header=BB168_6 Depth=1
	s_or_b32 exec_lo, exec_lo, s8
	s_mov_b32 s17, 0
	s_mov_b32 s16, -1
	s_mov_b32 s63, 0
.LBB168_352:                            ;   in Loop: Header=BB168_6 Depth=1
	s_or_not1_b32 s7, s7, exec_lo
.LBB168_353:                            ;   in Loop: Header=BB168_6 Depth=1
	s_or_b32 exec_lo, exec_lo, s64
	s_mov_b32 s26, 0
                                        ; implicit-def: $vgpr6
	s_and_saveexec_b32 s64, s7
	s_cbranch_execz .LBB168_466
; %bb.354:                              ;   in Loop: Header=BB168_6 Depth=1
	v_mov_b32_e32 v4, 1
	v_dual_mov_b32 v5, 0 :: v_dual_mov_b32 v6, 1
	s_xor_b32 s8, s65, -1
	s_delay_alu instid0(SALU_CYCLE_1)
	s_and_saveexec_b32 s7, s8
	s_cbranch_execz .LBB168_364
; %bb.355:                              ;   in Loop: Header=BB168_6 Depth=1
	s_mov_b32 s9, exec_lo
                                        ; implicit-def: $sgpr26
                                        ; implicit-def: $sgpr8
	v_cmpx_ge_u64_e64 s[14:15], v[2:3]
	s_xor_b32 s9, exec_lo, s9
	s_cbranch_execz .LBB168_361
; %bb.356:                              ;   in Loop: Header=BB168_6 Depth=1
	ds_load_b64 v[4:5], v13 offset:5120
	s_waitcnt lgkmcnt(0)
	v_cmp_ne_u64_e32 vcc_lo, 0, v[4:5]
	s_cbranch_vccnz .LBB168_360
; %bb.357:                              ;   in Loop: Header=BB168_6 Depth=1
	s_and_saveexec_b32 s8, s5
	s_cbranch_execz .LBB168_359
; %bb.358:                              ;   in Loop: Header=BB168_6 Depth=1
	v_dual_mov_b32 v4, s14 :: v_dual_mov_b32 v5, s15
	ds_store_b64 v13, v[4:5] offset:5128
.LBB168_359:                            ;   in Loop: Header=BB168_6 Depth=1
	s_or_b32 exec_lo, exec_lo, s8
	s_waitcnt lgkmcnt(0)
	s_barrier
	buffer_gl0_inv
.LBB168_360:                            ;   in Loop: Header=BB168_6 Depth=1
	s_lshl_b32 s8, 2, s22
	v_or_b32_e32 v37, s20, v37
	v_and_or_b32 v38, v38, s21, s8
	s_mov_b32 s8, 0
	s_mov_b32 s26, 5
.LBB168_361:                            ;   in Loop: Header=BB168_6 Depth=1
	s_or_saveexec_b32 s9, s9
	v_mov_b32_e32 v6, s26
	s_xor_b32 exec_lo, exec_lo, s9
; %bb.362:                              ;   in Loop: Header=BB168_6 Depth=1
	v_sub_co_u32 v2, vcc_lo, v2, s14
	v_subrev_co_ci_u32_e32 v3, vcc_lo, s15, v3, vcc_lo
	v_mov_b32_e32 v6, 0
	s_or_b32 s8, s8, exec_lo
; %bb.363:                              ;   in Loop: Header=BB168_6 Depth=1
	s_or_b32 exec_lo, exec_lo, s9
	s_delay_alu instid0(VALU_DEP_2)
	v_dual_mov_b32 v5, v3 :: v_dual_mov_b32 v4, v2
	s_and_b32 s26, s8, exec_lo
.LBB168_364:                            ;   in Loop: Header=BB168_6 Depth=1
	s_or_b32 exec_lo, exec_lo, s7
	s_mov_b32 s7, -1
                                        ; implicit-def: $sgpr8
                                        ; implicit-def: $sgpr9
                                        ; implicit-def: $sgpr14
	s_and_saveexec_b32 s65, s26
	s_cbranch_execz .LBB168_465
; %bb.365:                              ;   in Loop: Header=BB168_6 Depth=1
	v_cmp_eq_u64_e32 vcc_lo, 1, v[4:5]
	s_cmp_eq_u64 s[12:13], 1
                                        ; implicit-def: $sgpr14
                                        ; implicit-def: $sgpr15
                                        ; implicit-def: $sgpr66
	s_cselect_b32 s7, -1, 0
	s_delay_alu instid0(SALU_CYCLE_1)
	s_and_b32 s68, s7, vcc_lo
	s_mov_b32 s7, -1
	s_and_saveexec_b32 s67, s68
	s_cbranch_execz .LBB168_399
; %bb.366:                              ;   in Loop: Header=BB168_6 Depth=1
	ds_load_b64 v[2:3], v13 offset:5120
	s_waitcnt lgkmcnt(0)
	s_barrier
	buffer_gl0_inv
	v_readfirstlane_b32 s8, v2
	v_readfirstlane_b32 s9, v3
	s_and_saveexec_b32 s7, s6
	s_cbranch_execz .LBB168_368
; %bb.367:                              ;   in Loop: Header=BB168_6 Depth=1
	ds_store_b16 v33, v13
.LBB168_368:                            ;   in Loop: Header=BB168_6 Depth=1
	s_or_b32 exec_lo, exec_lo, s7
	s_lshl_b32 s7, 1, s22
	v_or_b32_e32 v37, s20, v37
	v_and_or_b32 v38, v38, s21, s7
	s_cmp_eq_u64 s[8:9], 0
	s_waitcnt lgkmcnt(0)
	s_barrier
	buffer_gl0_inv
	s_cbranch_scc1 .LBB168_382
; %bb.369:                              ;   in Loop: Header=BB168_6 Depth=1
	s_add_u32 s26, s76, s8
	s_addc_u32 s15, s77, s9
	s_mov_b32 s14, s53
	s_delay_alu instid0(SALU_CYCLE_1)
	s_cmp_lg_u64 s[14:15], 0
	s_cbranch_scc0 .LBB168_417
; %bb.370:                              ;   in Loop: Header=BB168_6 Depth=1
	v_cvt_f32_u32_e32 v2, s33
	s_sub_u32 s66, 0, s33
	s_subb_u32 s69, 0, 0
	s_delay_alu instid0(VALU_DEP_1) | instskip(NEXT) | instid1(VALU_DEP_1)
	v_fmac_f32_e64 v2, 0, 0x4f800000
	v_rcp_f32_e32 v2, v2
	s_waitcnt_depctr 0xfff
	v_mul_f32_e32 v2, 0x5f7ffffc, v2
	s_delay_alu instid0(VALU_DEP_1) | instskip(NEXT) | instid1(VALU_DEP_1)
	v_mul_f32_e32 v3, 0x2f800000, v2
	v_trunc_f32_e32 v3, v3
	s_delay_alu instid0(VALU_DEP_1) | instskip(SKIP_1) | instid1(VALU_DEP_2)
	v_fmac_f32_e32 v2, 0xcf800000, v3
	v_cvt_u32_f32_e32 v3, v3
	v_cvt_u32_f32_e32 v2, v2
	s_delay_alu instid0(VALU_DEP_2) | instskip(NEXT) | instid1(VALU_DEP_2)
	v_readfirstlane_b32 s7, v3
	v_readfirstlane_b32 s14, v2
	s_delay_alu instid0(VALU_DEP_2) | instskip(NEXT) | instid1(VALU_DEP_1)
	s_mul_i32 s70, s66, s7
	s_mul_hi_u32 s72, s66, s14
	s_mul_i32 s71, s69, s14
	s_add_i32 s70, s72, s70
	s_mul_i32 s73, s66, s14
	s_add_i32 s70, s70, s71
	s_mul_hi_u32 s72, s14, s73
	s_mul_hi_u32 s98, s7, s73
	s_mul_i32 s71, s7, s73
	s_mul_hi_u32 s73, s14, s70
	s_mul_i32 s14, s14, s70
	s_mul_hi_u32 s99, s7, s70
	s_add_u32 s14, s72, s14
	s_addc_u32 s72, 0, s73
	s_add_u32 s14, s14, s71
	s_mul_i32 s70, s7, s70
	s_addc_u32 s14, s72, s98
	s_addc_u32 s71, s99, 0
	s_add_u32 s14, s14, s70
	s_addc_u32 s70, 0, s71
	v_add_co_u32 v2, s14, v2, s14
	s_delay_alu instid0(VALU_DEP_1) | instskip(SKIP_1) | instid1(VALU_DEP_1)
	s_cmp_lg_u32 s14, 0
	s_addc_u32 s7, s7, s70
	v_readfirstlane_b32 s14, v2
	s_mul_i32 s70, s66, s7
	s_delay_alu instid0(VALU_DEP_1)
	s_mul_hi_u32 s71, s66, s14
	s_mul_i32 s69, s69, s14
	s_add_i32 s70, s71, s70
	s_mul_i32 s66, s66, s14
	s_add_i32 s70, s70, s69
	s_mul_hi_u32 s71, s7, s66
	s_mul_i32 s72, s7, s66
	s_mul_hi_u32 s66, s14, s66
	s_mul_hi_u32 s73, s14, s70
	s_mul_i32 s14, s14, s70
	s_mul_hi_u32 s69, s7, s70
	s_add_u32 s14, s66, s14
	s_addc_u32 s66, 0, s73
	s_add_u32 s14, s14, s72
	s_mul_i32 s70, s7, s70
	s_addc_u32 s14, s66, s71
	s_addc_u32 s66, s69, 0
	s_add_u32 s14, s14, s70
	s_addc_u32 s66, 0, s66
	v_add_co_u32 v2, s14, v2, s14
	s_delay_alu instid0(VALU_DEP_1) | instskip(SKIP_1) | instid1(VALU_DEP_1)
	s_cmp_lg_u32 s14, 0
	s_addc_u32 s7, s7, s66
	v_readfirstlane_b32 s14, v2
	s_mul_i32 s69, s26, s7
	s_mul_hi_u32 s66, s26, s7
	s_mul_hi_u32 s70, s15, s7
	s_mul_i32 s7, s15, s7
	s_mul_hi_u32 s71, s26, s14
	s_mul_hi_u32 s72, s15, s14
	s_mul_i32 s14, s15, s14
	s_add_u32 s69, s71, s69
	s_addc_u32 s66, 0, s66
	s_add_u32 s14, s69, s14
	s_addc_u32 s14, s66, s72
	s_addc_u32 s66, s70, 0
	s_add_u32 s7, s14, s7
	s_addc_u32 s14, 0, s66
	s_mul_hi_u32 s66, s33, s7
	s_mul_i32 s7, s33, s7
	s_mul_i32 s14, s33, s14
	v_sub_co_u32 v2, s7, s26, s7
	s_add_i32 s66, s66, s14
	s_cmp_lg_u32 s7, 0
	s_delay_alu instid0(VALU_DEP_1) | instskip(SKIP_2) | instid1(VALU_DEP_1)
	v_sub_co_u32 v3, s7, v2, s33
	s_subb_u32 s14, s15, s66
	s_cmp_lg_u32 s7, 0
	v_cmp_le_u32_e32 vcc_lo, s33, v3
	v_sub_co_u32 v6, s7, v3, s33
	s_subb_u32 s66, s14, 0
	s_cmp_lg_u32 s7, 0
	v_cndmask_b32_e64 v7, 0, -1, vcc_lo
	s_subb_u32 s7, s66, 0
	s_cmp_eq_u32 s66, 0
	v_mov_b32_e32 v9, s7
	s_cselect_b32 vcc_lo, -1, 0
	s_cmp_eq_u32 s14, 0
	v_cndmask_b32_e32 v7, -1, v7, vcc_lo
	v_cmp_le_u32_e32 vcc_lo, s33, v2
	s_cselect_b32 s7, -1, 0
	v_cndmask_b32_e64 v8, 0, -1, vcc_lo
	s_delay_alu instid0(VALU_DEP_3) | instskip(NEXT) | instid1(VALU_DEP_2)
	v_cmp_ne_u32_e32 vcc_lo, 0, v7
	v_cndmask_b32_e64 v7, -1, v8, s7
	v_cndmask_b32_e32 v8, s66, v9, vcc_lo
	v_cndmask_b32_e32 v6, v3, v6, vcc_lo
	s_delay_alu instid0(VALU_DEP_3) | instskip(NEXT) | instid1(VALU_DEP_3)
	v_cmp_ne_u32_e32 vcc_lo, 0, v7
	v_cndmask_b32_e32 v3, s14, v8, vcc_lo
	s_delay_alu instid0(VALU_DEP_3)
	v_cndmask_b32_e32 v2, v2, v6, vcc_lo
	s_cbranch_execnz .LBB168_372
.LBB168_371:                            ;   in Loop: Header=BB168_6 Depth=1
	v_cvt_f32_u32_e32 v2, s33
	s_sub_i32 s7, 0, s33
	s_delay_alu instid0(VALU_DEP_1) | instskip(SKIP_2) | instid1(VALU_DEP_1)
	v_rcp_iflag_f32_e32 v2, v2
	s_waitcnt_depctr 0xfff
	v_mul_f32_e32 v2, 0x4f7ffffe, v2
	v_cvt_u32_f32_e32 v2, v2
	s_delay_alu instid0(VALU_DEP_1) | instskip(NEXT) | instid1(VALU_DEP_1)
	v_mul_lo_u32 v3, s7, v2
	v_mul_hi_u32 v3, v2, v3
	s_delay_alu instid0(VALU_DEP_1) | instskip(NEXT) | instid1(VALU_DEP_1)
	v_add_nc_u32_e32 v2, v2, v3
	v_mul_hi_u32 v2, s26, v2
	s_delay_alu instid0(VALU_DEP_1) | instskip(NEXT) | instid1(VALU_DEP_1)
	v_mul_lo_u32 v2, v2, s33
	v_sub_nc_u32_e32 v2, s26, v2
	s_delay_alu instid0(VALU_DEP_1) | instskip(SKIP_1) | instid1(VALU_DEP_2)
	v_subrev_nc_u32_e32 v3, s33, v2
	v_cmp_le_u32_e32 vcc_lo, s33, v2
	v_cndmask_b32_e32 v2, v2, v3, vcc_lo
	s_delay_alu instid0(VALU_DEP_1) | instskip(SKIP_1) | instid1(VALU_DEP_2)
	v_subrev_nc_u32_e32 v3, s33, v2
	v_cmp_le_u32_e32 vcc_lo, s33, v2
	v_cndmask_b32_e32 v12, v2, v3, vcc_lo
	s_delay_alu instid0(VALU_DEP_1)
	v_dual_mov_b32 v2, v12 :: v_dual_mov_b32 v3, v13
.LBB168_372:                            ;   in Loop: Header=BB168_6 Depth=1
	s_delay_alu instid0(VALU_DEP_1) | instskip(NEXT) | instid1(VALU_DEP_2)
	v_sub_co_u32 v2, vcc_lo, s26, v2
	v_sub_co_ci_u32_e32 v3, vcc_lo, s15, v3, vcc_lo
	s_mov_b32 s7, 0
	s_mov_b32 s14, exec_lo
                                        ; implicit-def: $vgpr39
	s_delay_alu instid0(VALU_DEP_1)
	v_cmpx_gt_u64_e64 v[2:3], v[0:1]
	s_cbranch_execz .LBB168_384
; %bb.373:                              ;   in Loop: Header=BB168_6 Depth=1
	v_dual_mov_b32 v8, v31 :: v_dual_mov_b32 v7, v1
	v_mov_b32_e32 v6, v0
	s_mov_b32 s15, 0
                                        ; implicit-def: $sgpr26
	s_set_inst_prefetch_distance 0x1
	s_branch .LBB168_375
	.p2align	6
.LBB168_374:                            ;   in Loop: Header=BB168_375 Depth=2
	s_or_b32 exec_lo, exec_lo, s7
	s_waitcnt lgkmcnt(0)
	s_barrier
	buffer_gl0_inv
	ds_load_b32 v9, v13 offset:3072
	v_add_co_u32 v6, vcc_lo, v6, s33
	v_add_co_ci_u32_e32 v7, vcc_lo, 0, v7, vcc_lo
	v_add_nc_u32_e32 v8, s84, v8
	s_waitcnt lgkmcnt(0)
	s_barrier
	s_delay_alu instid0(VALU_DEP_2) | instskip(SKIP_2) | instid1(VALU_DEP_1)
	v_cmp_ge_u64_e32 vcc_lo, v[6:7], v[2:3]
	buffer_gl0_inv
	v_cmp_ne_u16_e64 s7, 0, v9
	s_or_b32 s66, vcc_lo, s7
	s_delay_alu instid0(SALU_CYCLE_1) | instskip(NEXT) | instid1(SALU_CYCLE_1)
	s_and_b32 s66, exec_lo, s66
	s_or_b32 s15, s66, s15
	s_and_not1_b32 s26, s26, exec_lo
	s_and_b32 s7, s7, exec_lo
	s_delay_alu instid0(SALU_CYCLE_1)
	s_or_b32 s26, s26, s7
	s_and_not1_b32 exec_lo, exec_lo, s15
	s_cbranch_execz .LBB168_383
.LBB168_375:                            ;   Parent Loop BB168_6 Depth=1
                                        ; =>  This Inner Loop Header: Depth=2
	s_delay_alu instid0(VALU_DEP_1)
	v_cmp_gt_u64_e32 vcc_lo, s[8:9], v[6:7]
	v_mov_b32_e32 v9, 0
	s_and_saveexec_b32 s7, vcc_lo
	s_cbranch_execz .LBB168_377
; %bb.376:                              ;   in Loop: Header=BB168_375 Depth=2
	ds_load_u16 v9, v8
.LBB168_377:                            ;   in Loop: Header=BB168_375 Depth=2
	s_or_b32 exec_lo, exec_lo, s7
	s_and_saveexec_b32 s7, vcc_lo
	s_cbranch_execz .LBB168_374
; %bb.378:                              ;   in Loop: Header=BB168_375 Depth=2
	s_waitcnt lgkmcnt(0)
	v_bfe_i32 v12, v9, 0, 16
	s_delay_alu instid0(VALU_DEP_1) | instskip(NEXT) | instid1(VALU_DEP_1)
	v_add_nc_u32_e32 v12, 0x8000, v12
	v_and_b32_e32 v12, v12, v37
	s_delay_alu instid0(VALU_DEP_1)
	v_cmp_eq_u32_e32 vcc_lo, v12, v38
	s_and_b32 exec_lo, exec_lo, vcc_lo
	s_cbranch_execz .LBB168_374
; %bb.379:                              ;   in Loop: Header=BB168_375 Depth=2
	v_perm_b32 v9, v9, 1, 0x5040100
	ds_store_b32 v13, v9 offset:3072
	s_branch .LBB168_374
.LBB168_380:                            ;   in Loop: Header=BB168_6 Depth=1
                                        ; implicit-def: $vgpr4_vgpr5
	s_branch .LBB168_325
.LBB168_381:                            ;   in Loop: Header=BB168_6 Depth=1
                                        ; implicit-def: $vgpr4_vgpr5
	s_branch .LBB168_341
.LBB168_382:                            ;   in Loop: Header=BB168_6 Depth=1
	s_mov_b32 s14, -1
	s_mov_b32 s7, 0
                                        ; implicit-def: $sgpr15
                                        ; implicit-def: $vgpr39
	s_mov_b32 s66, s14
	s_cbranch_execnz .LBB168_385
	s_branch .LBB168_398
.LBB168_383:                            ;   in Loop: Header=BB168_6 Depth=1
	s_set_inst_prefetch_distance 0x2
	s_or_b32 exec_lo, exec_lo, s15
	v_lshrrev_b32_e32 v39, 16, v9
	s_and_b32 s7, s26, exec_lo
.LBB168_384:                            ;   in Loop: Header=BB168_6 Depth=1
	s_or_b32 exec_lo, exec_lo, s14
	s_mov_b32 s14, 0
	s_mov_b32 s15, -1
	s_mov_b32 s66, s14
	s_branch .LBB168_398
.LBB168_385:                            ;   in Loop: Header=BB168_6 Depth=1
	s_mov_b32 s26, s53
	s_delay_alu instid0(SALU_CYCLE_1)
	s_cmp_lg_u64 s[26:27], 0
	s_cbranch_scc0 .LBB168_418
; %bb.386:                              ;   in Loop: Header=BB168_6 Depth=1
	v_cvt_f32_u32_e32 v2, s33
	s_sub_u32 s9, 0, s33
	s_subb_u32 s14, 0, 0
	s_delay_alu instid0(VALU_DEP_1) | instskip(NEXT) | instid1(VALU_DEP_1)
	v_fmac_f32_e64 v2, 0, 0x4f800000
	v_rcp_f32_e32 v2, v2
	s_waitcnt_depctr 0xfff
	v_mul_f32_e32 v2, 0x5f7ffffc, v2
	s_delay_alu instid0(VALU_DEP_1) | instskip(NEXT) | instid1(VALU_DEP_1)
	v_mul_f32_e32 v3, 0x2f800000, v2
	v_trunc_f32_e32 v3, v3
	s_delay_alu instid0(VALU_DEP_1) | instskip(SKIP_1) | instid1(VALU_DEP_2)
	v_fmac_f32_e32 v2, 0xcf800000, v3
	v_cvt_u32_f32_e32 v3, v3
	v_cvt_u32_f32_e32 v2, v2
	s_delay_alu instid0(VALU_DEP_2) | instskip(NEXT) | instid1(VALU_DEP_2)
	v_readfirstlane_b32 s7, v3
	v_readfirstlane_b32 s8, v2
	s_delay_alu instid0(VALU_DEP_2) | instskip(NEXT) | instid1(VALU_DEP_1)
	s_mul_i32 s15, s9, s7
	s_mul_hi_u32 s66, s9, s8
	s_mul_i32 s26, s14, s8
	s_add_i32 s15, s66, s15
	s_mul_i32 s69, s9, s8
	s_add_i32 s15, s15, s26
	s_mul_hi_u32 s66, s8, s69
	s_mul_hi_u32 s70, s7, s69
	s_mul_i32 s26, s7, s69
	s_mul_hi_u32 s69, s8, s15
	s_mul_i32 s8, s8, s15
	s_mul_hi_u32 s71, s7, s15
	s_add_u32 s8, s66, s8
	s_addc_u32 s66, 0, s69
	s_add_u32 s8, s8, s26
	s_mul_i32 s15, s7, s15
	s_addc_u32 s8, s66, s70
	s_addc_u32 s26, s71, 0
	s_add_u32 s8, s8, s15
	s_addc_u32 s15, 0, s26
	v_add_co_u32 v2, s8, v2, s8
	s_delay_alu instid0(VALU_DEP_1) | instskip(SKIP_1) | instid1(VALU_DEP_1)
	s_cmp_lg_u32 s8, 0
	s_addc_u32 s7, s7, s15
	v_readfirstlane_b32 s8, v2
	s_mul_i32 s15, s9, s7
	s_delay_alu instid0(VALU_DEP_1)
	s_mul_hi_u32 s26, s9, s8
	s_mul_i32 s14, s14, s8
	s_add_i32 s15, s26, s15
	s_mul_i32 s9, s9, s8
	s_add_i32 s15, s15, s14
	s_mul_hi_u32 s26, s7, s9
	s_mul_i32 s66, s7, s9
	s_mul_hi_u32 s9, s8, s9
	s_mul_hi_u32 s69, s8, s15
	s_mul_i32 s8, s8, s15
	s_mul_hi_u32 s14, s7, s15
	s_add_u32 s8, s9, s8
	s_addc_u32 s9, 0, s69
	s_add_u32 s8, s8, s66
	s_mul_i32 s15, s7, s15
	s_addc_u32 s8, s9, s26
	s_addc_u32 s9, s14, 0
	s_add_u32 s8, s8, s15
	s_addc_u32 s9, 0, s9
	v_add_co_u32 v2, s8, v2, s8
	s_delay_alu instid0(VALU_DEP_1) | instskip(SKIP_1) | instid1(VALU_DEP_1)
	s_cmp_lg_u32 s8, 0
	s_addc_u32 s7, s7, s9
	v_readfirstlane_b32 s8, v2
	s_mul_i32 s14, s78, s7
	s_mul_hi_u32 s9, s78, s7
	s_mul_hi_u32 s15, s27, s7
	s_mul_i32 s7, s27, s7
	s_mul_hi_u32 s26, s78, s8
	s_mul_hi_u32 s66, s27, s8
	s_mul_i32 s8, s27, s8
	s_add_u32 s14, s26, s14
	s_addc_u32 s9, 0, s9
	s_add_u32 s8, s14, s8
	s_addc_u32 s8, s9, s66
	s_addc_u32 s9, s15, 0
	s_add_u32 s7, s8, s7
	s_addc_u32 s8, 0, s9
	s_mul_hi_u32 s9, s33, s7
	s_mul_i32 s7, s33, s7
	s_mul_i32 s8, s33, s8
	v_sub_co_u32 v2, s7, s78, s7
	s_add_i32 s9, s9, s8
	s_cmp_lg_u32 s7, 0
	s_delay_alu instid0(VALU_DEP_1) | instskip(SKIP_2) | instid1(VALU_DEP_1)
	v_sub_co_u32 v3, s7, v2, s33
	s_subb_u32 s8, s27, s9
	s_cmp_lg_u32 s7, 0
	v_cmp_le_u32_e32 vcc_lo, s33, v3
	v_sub_co_u32 v6, s7, v3, s33
	s_subb_u32 s9, s8, 0
	s_cmp_lg_u32 s7, 0
	v_cndmask_b32_e64 v7, 0, -1, vcc_lo
	s_subb_u32 s7, s9, 0
	s_cmp_eq_u32 s9, 0
	v_mov_b32_e32 v9, s7
	s_cselect_b32 vcc_lo, -1, 0
	s_cmp_eq_u32 s8, 0
	v_cndmask_b32_e32 v7, -1, v7, vcc_lo
	v_cmp_le_u32_e32 vcc_lo, s33, v2
	s_cselect_b32 s7, -1, 0
	v_cndmask_b32_e64 v8, 0, -1, vcc_lo
	s_delay_alu instid0(VALU_DEP_3) | instskip(NEXT) | instid1(VALU_DEP_2)
	v_cmp_ne_u32_e32 vcc_lo, 0, v7
	v_cndmask_b32_e64 v7, -1, v8, s7
	v_cndmask_b32_e32 v8, s9, v9, vcc_lo
	v_cndmask_b32_e32 v6, v3, v6, vcc_lo
	s_delay_alu instid0(VALU_DEP_3) | instskip(NEXT) | instid1(VALU_DEP_3)
	v_cmp_ne_u32_e32 vcc_lo, 0, v7
	v_cndmask_b32_e32 v3, s8, v8, vcc_lo
	s_delay_alu instid0(VALU_DEP_3)
	v_cndmask_b32_e32 v2, v2, v6, vcc_lo
	s_cbranch_execnz .LBB168_388
.LBB168_387:                            ;   in Loop: Header=BB168_6 Depth=1
	v_cvt_f32_u32_e32 v2, s33
	s_sub_i32 s7, 0, s33
	s_delay_alu instid0(VALU_DEP_1) | instskip(SKIP_2) | instid1(VALU_DEP_1)
	v_rcp_iflag_f32_e32 v2, v2
	s_waitcnt_depctr 0xfff
	v_mul_f32_e32 v2, 0x4f7ffffe, v2
	v_cvt_u32_f32_e32 v2, v2
	s_delay_alu instid0(VALU_DEP_1) | instskip(NEXT) | instid1(VALU_DEP_1)
	v_mul_lo_u32 v3, s7, v2
	v_mul_hi_u32 v3, v2, v3
	s_delay_alu instid0(VALU_DEP_1) | instskip(NEXT) | instid1(VALU_DEP_1)
	v_add_nc_u32_e32 v2, v2, v3
	v_mul_hi_u32 v2, s78, v2
	s_delay_alu instid0(VALU_DEP_1) | instskip(NEXT) | instid1(VALU_DEP_1)
	v_mul_lo_u32 v2, v2, s33
	v_sub_nc_u32_e32 v2, s78, v2
	s_delay_alu instid0(VALU_DEP_1) | instskip(SKIP_1) | instid1(VALU_DEP_2)
	v_subrev_nc_u32_e32 v3, s33, v2
	v_cmp_le_u32_e32 vcc_lo, s33, v2
	v_cndmask_b32_e32 v2, v2, v3, vcc_lo
	s_delay_alu instid0(VALU_DEP_1) | instskip(SKIP_1) | instid1(VALU_DEP_2)
	v_subrev_nc_u32_e32 v3, s33, v2
	v_cmp_le_u32_e32 vcc_lo, s33, v2
	v_cndmask_b32_e32 v12, v2, v3, vcc_lo
	s_delay_alu instid0(VALU_DEP_1)
	v_dual_mov_b32 v2, v12 :: v_dual_mov_b32 v3, v13
.LBB168_388:                            ;   in Loop: Header=BB168_6 Depth=1
	s_delay_alu instid0(VALU_DEP_1) | instskip(NEXT) | instid1(VALU_DEP_2)
	v_sub_co_u32 v2, vcc_lo, s78, v2
	v_sub_co_ci_u32_e32 v3, vcc_lo, s27, v3, vcc_lo
	s_mov_b32 s7, 0
	s_mov_b32 s8, exec_lo
                                        ; implicit-def: $vgpr39
	s_delay_alu instid0(VALU_DEP_1)
	v_cmpx_gt_u64_e64 v[2:3], v[0:1]
	s_cbranch_execz .LBB168_397
; %bb.389:                              ;   in Loop: Header=BB168_6 Depth=1
	v_dual_mov_b32 v6, v10 :: v_dual_mov_b32 v7, v11
	v_dual_mov_b32 v9, v1 :: v_dual_mov_b32 v8, v0
	s_mov_b32 s9, 0
                                        ; implicit-def: $sgpr14
	s_set_inst_prefetch_distance 0x1
	s_branch .LBB168_391
	.p2align	6
.LBB168_390:                            ;   in Loop: Header=BB168_391 Depth=2
	s_or_b32 exec_lo, exec_lo, s7
	s_waitcnt vmcnt(0) lgkmcnt(0)
	s_barrier
	buffer_gl0_inv
	ds_load_b32 v12, v13 offset:3072
	v_add_co_u32 v8, vcc_lo, v8, s33
	v_add_co_ci_u32_e32 v9, vcc_lo, 0, v9, vcc_lo
	s_waitcnt lgkmcnt(0)
	s_barrier
	buffer_gl0_inv
	v_cmp_ge_u64_e32 vcc_lo, v[8:9], v[2:3]
	v_cmp_ne_u16_e64 s7, 0, v12
	s_delay_alu instid0(VALU_DEP_1)
	s_or_b32 s15, vcc_lo, s7
	v_add_co_u32 v6, vcc_lo, v6, s34
	s_and_b32 s15, exec_lo, s15
	v_add_co_ci_u32_e32 v7, vcc_lo, s35, v7, vcc_lo
	s_or_b32 s9, s15, s9
	s_and_not1_b32 s14, s14, exec_lo
	s_and_b32 s7, s7, exec_lo
	s_delay_alu instid0(SALU_CYCLE_1)
	s_or_b32 s14, s14, s7
	s_and_not1_b32 exec_lo, exec_lo, s9
	s_cbranch_execz .LBB168_396
.LBB168_391:                            ;   Parent Loop BB168_6 Depth=1
                                        ; =>  This Inner Loop Header: Depth=2
	s_delay_alu instid0(VALU_DEP_1)
	v_cmp_gt_u64_e32 vcc_lo, s[28:29], v[8:9]
	v_mov_b32_e32 v12, 0
	s_and_saveexec_b32 s7, vcc_lo
	s_cbranch_execz .LBB168_393
; %bb.392:                              ;   in Loop: Header=BB168_391 Depth=2
	global_load_u16 v12, v[6:7], off
.LBB168_393:                            ;   in Loop: Header=BB168_391 Depth=2
	s_or_b32 exec_lo, exec_lo, s7
	s_and_saveexec_b32 s7, vcc_lo
	s_cbranch_execz .LBB168_390
; %bb.394:                              ;   in Loop: Header=BB168_391 Depth=2
	s_waitcnt vmcnt(0)
	v_bfe_i32 v23, v12, 0, 16
	s_delay_alu instid0(VALU_DEP_1) | instskip(NEXT) | instid1(VALU_DEP_1)
	v_add_nc_u32_e32 v23, 0x8000, v23
	v_and_b32_e32 v23, v23, v37
	s_delay_alu instid0(VALU_DEP_1)
	v_cmp_eq_u32_e32 vcc_lo, v23, v38
	s_and_b32 exec_lo, exec_lo, vcc_lo
	s_cbranch_execz .LBB168_390
; %bb.395:                              ;   in Loop: Header=BB168_391 Depth=2
	v_perm_b32 v12, v12, 1, 0x5040100
	ds_store_b32 v13, v12 offset:3072
	s_branch .LBB168_390
.LBB168_396:                            ;   in Loop: Header=BB168_6 Depth=1
	s_set_inst_prefetch_distance 0x2
	s_or_b32 exec_lo, exec_lo, s9
	v_lshrrev_b32_e32 v39, 16, v12
	s_and_b32 s7, s14, exec_lo
.LBB168_397:                            ;   in Loop: Header=BB168_6 Depth=1
	s_or_b32 exec_lo, exec_lo, s8
	s_mov_b32 s15, 0
	s_mov_b32 s14, -1
	s_mov_b32 s66, 0
.LBB168_398:                            ;   in Loop: Header=BB168_6 Depth=1
	s_or_not1_b32 s7, s7, exec_lo
.LBB168_399:                            ;   in Loop: Header=BB168_6 Depth=1
	s_or_b32 exec_lo, exec_lo, s67
	s_mov_b32 s26, 0
                                        ; implicit-def: $vgpr6
	s_and_saveexec_b32 s67, s7
	s_cbranch_execz .LBB168_464
; %bb.400:                              ;   in Loop: Header=BB168_6 Depth=1
	v_mov_b32_e32 v2, 1
	v_dual_mov_b32 v3, 0 :: v_dual_mov_b32 v6, 1
	s_xor_b32 s8, s68, -1
	s_delay_alu instid0(SALU_CYCLE_1)
	s_and_saveexec_b32 s7, s8
	s_cbranch_execz .LBB168_410
; %bb.401:                              ;   in Loop: Header=BB168_6 Depth=1
	s_mov_b32 s9, exec_lo
                                        ; implicit-def: $sgpr26
                                        ; implicit-def: $sgpr8
	v_cmpx_ge_u64_e64 s[12:13], v[4:5]
	s_xor_b32 s9, exec_lo, s9
	s_cbranch_execz .LBB168_407
; %bb.402:                              ;   in Loop: Header=BB168_6 Depth=1
	ds_load_b64 v[2:3], v13 offset:5120
	s_waitcnt lgkmcnt(0)
	v_cmp_ne_u64_e32 vcc_lo, 0, v[2:3]
	s_cbranch_vccnz .LBB168_406
; %bb.403:                              ;   in Loop: Header=BB168_6 Depth=1
	s_and_saveexec_b32 s8, s5
	s_cbranch_execz .LBB168_405
; %bb.404:                              ;   in Loop: Header=BB168_6 Depth=1
	v_dual_mov_b32 v2, s12 :: v_dual_mov_b32 v3, s13
	ds_store_b64 v13, v[2:3] offset:5128
.LBB168_405:                            ;   in Loop: Header=BB168_6 Depth=1
	s_or_b32 exec_lo, exec_lo, s8
	s_waitcnt lgkmcnt(0)
	s_barrier
	buffer_gl0_inv
.LBB168_406:                            ;   in Loop: Header=BB168_6 Depth=1
	s_lshl_b32 s8, 1, s22
	v_or_b32_e32 v37, s20, v37
	v_and_or_b32 v38, v38, s21, s8
	s_mov_b32 s8, 0
	s_mov_b32 s26, 5
.LBB168_407:                            ;   in Loop: Header=BB168_6 Depth=1
	s_or_saveexec_b32 s9, s9
	v_mov_b32_e32 v6, s26
	s_xor_b32 exec_lo, exec_lo, s9
; %bb.408:                              ;   in Loop: Header=BB168_6 Depth=1
	v_sub_co_u32 v4, vcc_lo, v4, s12
	v_subrev_co_ci_u32_e32 v5, vcc_lo, s13, v5, vcc_lo
	v_mov_b32_e32 v6, 0
	s_or_b32 s8, s8, exec_lo
; %bb.409:                              ;   in Loop: Header=BB168_6 Depth=1
	s_or_b32 exec_lo, exec_lo, s9
	s_delay_alu instid0(VALU_DEP_2)
	v_dual_mov_b32 v2, v4 :: v_dual_mov_b32 v3, v5
	s_and_b32 s26, s8, exec_lo
.LBB168_410:                            ;   in Loop: Header=BB168_6 Depth=1
	s_or_b32 exec_lo, exec_lo, s7
	s_mov_b32 s12, -1
                                        ; implicit-def: $sgpr7
                                        ; implicit-def: $sgpr8
                                        ; implicit-def: $sgpr9
	s_and_saveexec_b32 s22, s26
	s_cbranch_execz .LBB168_463
; %bb.411:                              ;   in Loop: Header=BB168_6 Depth=1
	v_cmp_eq_u64_e32 vcc_lo, 1, v[2:3]
	s_cmp_eq_u64 s[10:11], 1
	s_mov_b32 s13, -1
	s_cselect_b32 s7, -1, 0
                                        ; implicit-def: $sgpr8
                                        ; implicit-def: $sgpr9
	s_delay_alu instid0(SALU_CYCLE_1) | instskip(NEXT) | instid1(SALU_CYCLE_1)
	s_and_b32 s68, s7, vcc_lo
                                        ; implicit-def: $sgpr7
	s_and_saveexec_b32 s69, s68
	s_cbranch_execz .LBB168_450
; %bb.412:                              ;   in Loop: Header=BB168_6 Depth=1
	ds_load_b64 v[4:5], v13 offset:5120
	s_waitcnt lgkmcnt(0)
	s_barrier
	buffer_gl0_inv
	v_readfirstlane_b32 s8, v4
	v_readfirstlane_b32 s9, v5
	s_and_saveexec_b32 s7, s6
	s_cbranch_execz .LBB168_414
; %bb.413:                              ;   in Loop: Header=BB168_6 Depth=1
	ds_store_b16 v33, v13
.LBB168_414:                            ;   in Loop: Header=BB168_6 Depth=1
	s_or_b32 exec_lo, exec_lo, s7
	v_and_b32_e32 v38, s21, v38
	v_or_b32_e32 v37, s20, v37
	s_cmp_eq_u64 s[8:9], 0
	s_waitcnt lgkmcnt(0)
	s_barrier
	buffer_gl0_inv
	s_cbranch_scc1 .LBB168_419
; %bb.415:                              ;   in Loop: Header=BB168_6 Depth=1
	s_add_u32 s26, s76, s8
	s_addc_u32 s13, s77, s9
	s_mov_b32 s12, s53
	s_delay_alu instid0(SALU_CYCLE_1)
	s_cmp_lg_u64 s[12:13], 0
	s_cbranch_scc0 .LBB168_420
; %bb.416:                              ;   in Loop: Header=BB168_6 Depth=1
	v_cvt_f32_u32_e32 v4, s33
	s_sub_u32 s70, 0, s33
	s_subb_u32 s71, 0, 0
	s_delay_alu instid0(VALU_DEP_1) | instskip(NEXT) | instid1(VALU_DEP_1)
	v_fmac_f32_e64 v4, 0, 0x4f800000
	v_rcp_f32_e32 v4, v4
	s_waitcnt_depctr 0xfff
	v_mul_f32_e32 v4, 0x5f7ffffc, v4
	s_delay_alu instid0(VALU_DEP_1) | instskip(NEXT) | instid1(VALU_DEP_1)
	v_mul_f32_e32 v5, 0x2f800000, v4
	v_trunc_f32_e32 v5, v5
	s_delay_alu instid0(VALU_DEP_1) | instskip(SKIP_1) | instid1(VALU_DEP_2)
	v_fmac_f32_e32 v4, 0xcf800000, v5
	v_cvt_u32_f32_e32 v5, v5
	v_cvt_u32_f32_e32 v4, v4
	s_delay_alu instid0(VALU_DEP_2) | instskip(NEXT) | instid1(VALU_DEP_2)
	v_readfirstlane_b32 s7, v5
	v_readfirstlane_b32 s12, v4
	s_delay_alu instid0(VALU_DEP_2) | instskip(NEXT) | instid1(VALU_DEP_1)
	s_mul_i32 s72, s70, s7
	s_mul_hi_u32 s98, s70, s12
	s_mul_i32 s73, s71, s12
	s_add_i32 s72, s98, s72
	s_mul_i32 s99, s70, s12
	s_add_i32 s72, s72, s73
	s_mul_hi_u32 s98, s12, s99
	s_mul_hi_u32 s100, s7, s99
	s_mul_i32 s73, s7, s99
	s_mul_hi_u32 s99, s12, s72
	s_mul_i32 s12, s12, s72
	s_mul_hi_u32 s101, s7, s72
	s_add_u32 s12, s98, s12
	s_addc_u32 s98, 0, s99
	s_add_u32 s12, s12, s73
	s_mul_i32 s72, s7, s72
	s_addc_u32 s12, s98, s100
	s_addc_u32 s73, s101, 0
	s_add_u32 s12, s12, s72
	s_addc_u32 s72, 0, s73
	v_add_co_u32 v4, s12, v4, s12
	s_delay_alu instid0(VALU_DEP_1) | instskip(SKIP_1) | instid1(VALU_DEP_1)
	s_cmp_lg_u32 s12, 0
	s_addc_u32 s7, s7, s72
	v_readfirstlane_b32 s12, v4
	s_mul_i32 s72, s70, s7
	s_delay_alu instid0(VALU_DEP_1)
	s_mul_hi_u32 s73, s70, s12
	s_mul_i32 s71, s71, s12
	s_add_i32 s72, s73, s72
	s_mul_i32 s70, s70, s12
	s_add_i32 s72, s72, s71
	s_mul_hi_u32 s73, s7, s70
	s_mul_i32 s98, s7, s70
	s_mul_hi_u32 s70, s12, s70
	s_mul_hi_u32 s99, s12, s72
	s_mul_i32 s12, s12, s72
	s_mul_hi_u32 s71, s7, s72
	s_add_u32 s12, s70, s12
	s_addc_u32 s70, 0, s99
	s_add_u32 s12, s12, s98
	s_mul_i32 s72, s7, s72
	s_addc_u32 s12, s70, s73
	s_addc_u32 s70, s71, 0
	s_add_u32 s12, s12, s72
	s_addc_u32 s70, 0, s70
	v_add_co_u32 v4, s12, v4, s12
	s_delay_alu instid0(VALU_DEP_1) | instskip(SKIP_1) | instid1(VALU_DEP_1)
	s_cmp_lg_u32 s12, 0
	s_addc_u32 s7, s7, s70
	v_readfirstlane_b32 s12, v4
	s_mul_i32 s71, s26, s7
	s_mul_hi_u32 s70, s26, s7
	s_mul_hi_u32 s72, s13, s7
	s_mul_i32 s7, s13, s7
	s_mul_hi_u32 s73, s26, s12
	s_mul_hi_u32 s98, s13, s12
	s_mul_i32 s12, s13, s12
	s_add_u32 s71, s73, s71
	s_addc_u32 s70, 0, s70
	s_add_u32 s12, s71, s12
	s_addc_u32 s12, s70, s98
	s_addc_u32 s70, s72, 0
	s_add_u32 s7, s12, s7
	s_addc_u32 s12, 0, s70
	s_mul_hi_u32 s70, s33, s7
	s_mul_i32 s7, s33, s7
	s_mul_i32 s12, s33, s12
	v_sub_co_u32 v4, s7, s26, s7
	s_add_i32 s70, s70, s12
	s_cmp_lg_u32 s7, 0
	s_delay_alu instid0(VALU_DEP_1) | instskip(SKIP_2) | instid1(VALU_DEP_1)
	v_sub_co_u32 v5, s7, v4, s33
	s_subb_u32 s12, s13, s70
	s_cmp_lg_u32 s7, 0
	v_cmp_le_u32_e32 vcc_lo, s33, v5
	v_sub_co_u32 v6, s7, v5, s33
	s_subb_u32 s70, s12, 0
	s_cmp_lg_u32 s7, 0
	v_cndmask_b32_e64 v7, 0, -1, vcc_lo
	s_subb_u32 s7, s70, 0
	s_cmp_eq_u32 s70, 0
	v_mov_b32_e32 v9, s7
	s_cselect_b32 vcc_lo, -1, 0
	s_cmp_eq_u32 s12, 0
	v_cndmask_b32_e32 v7, -1, v7, vcc_lo
	v_cmp_le_u32_e32 vcc_lo, s33, v4
	s_cselect_b32 s7, -1, 0
	v_cndmask_b32_e64 v8, 0, -1, vcc_lo
	s_delay_alu instid0(VALU_DEP_3) | instskip(NEXT) | instid1(VALU_DEP_2)
	v_cmp_ne_u32_e32 vcc_lo, 0, v7
	v_cndmask_b32_e64 v7, -1, v8, s7
	v_cndmask_b32_e32 v8, s70, v9, vcc_lo
	v_cndmask_b32_e32 v6, v5, v6, vcc_lo
	s_mov_b32 s7, 0
	s_delay_alu instid0(VALU_DEP_3) | instskip(NEXT) | instid1(VALU_DEP_3)
	v_cmp_ne_u32_e32 vcc_lo, 0, v7
	v_cndmask_b32_e32 v5, s12, v8, vcc_lo
	s_delay_alu instid0(VALU_DEP_3)
	v_cndmask_b32_e32 v4, v4, v6, vcc_lo
	s_branch .LBB168_421
.LBB168_417:                            ;   in Loop: Header=BB168_6 Depth=1
                                        ; implicit-def: $vgpr2_vgpr3
	s_branch .LBB168_371
.LBB168_418:                            ;   in Loop: Header=BB168_6 Depth=1
                                        ; implicit-def: $vgpr2_vgpr3
	s_branch .LBB168_387
.LBB168_419:                            ;   in Loop: Header=BB168_6 Depth=1
	s_mov_b32 s7, -1
	s_mov_b32 s12, 0
                                        ; implicit-def: $sgpr8
                                        ; implicit-def: $vgpr39
	s_branch .LBB168_433
.LBB168_420:                            ;   in Loop: Header=BB168_6 Depth=1
	s_mov_b32 s7, -1
                                        ; implicit-def: $vgpr4_vgpr5
.LBB168_421:                            ;   in Loop: Header=BB168_6 Depth=1
	s_delay_alu instid0(SALU_CYCLE_1)
	s_and_not1_b32 vcc_lo, exec_lo, s7
	s_cbranch_vccnz .LBB168_423
; %bb.422:                              ;   in Loop: Header=BB168_6 Depth=1
	v_cvt_f32_u32_e32 v4, s33
	s_sub_i32 s7, 0, s33
	s_delay_alu instid0(VALU_DEP_1) | instskip(SKIP_2) | instid1(VALU_DEP_1)
	v_rcp_iflag_f32_e32 v4, v4
	s_waitcnt_depctr 0xfff
	v_mul_f32_e32 v4, 0x4f7ffffe, v4
	v_cvt_u32_f32_e32 v4, v4
	s_delay_alu instid0(VALU_DEP_1) | instskip(NEXT) | instid1(VALU_DEP_1)
	v_mul_lo_u32 v5, s7, v4
	v_mul_hi_u32 v5, v4, v5
	s_delay_alu instid0(VALU_DEP_1) | instskip(NEXT) | instid1(VALU_DEP_1)
	v_add_nc_u32_e32 v4, v4, v5
	v_mul_hi_u32 v4, s26, v4
	s_delay_alu instid0(VALU_DEP_1) | instskip(NEXT) | instid1(VALU_DEP_1)
	v_mul_lo_u32 v4, v4, s33
	v_sub_nc_u32_e32 v4, s26, v4
	s_delay_alu instid0(VALU_DEP_1) | instskip(SKIP_1) | instid1(VALU_DEP_2)
	v_subrev_nc_u32_e32 v5, s33, v4
	v_cmp_le_u32_e32 vcc_lo, s33, v4
	v_cndmask_b32_e32 v4, v4, v5, vcc_lo
	s_delay_alu instid0(VALU_DEP_1) | instskip(SKIP_1) | instid1(VALU_DEP_2)
	v_subrev_nc_u32_e32 v5, s33, v4
	v_cmp_le_u32_e32 vcc_lo, s33, v4
	v_cndmask_b32_e32 v12, v4, v5, vcc_lo
	s_delay_alu instid0(VALU_DEP_1)
	v_dual_mov_b32 v4, v12 :: v_dual_mov_b32 v5, v13
.LBB168_423:                            ;   in Loop: Header=BB168_6 Depth=1
	s_delay_alu instid0(VALU_DEP_1) | instskip(NEXT) | instid1(VALU_DEP_2)
	v_sub_co_u32 v4, vcc_lo, s26, v4
	v_sub_co_ci_u32_e32 v5, vcc_lo, s13, v5, vcc_lo
	s_mov_b32 s12, 0
	s_mov_b32 s13, exec_lo
                                        ; implicit-def: $vgpr39
	s_delay_alu instid0(VALU_DEP_1)
	v_cmpx_gt_u64_e64 v[4:5], v[0:1]
	s_cbranch_execz .LBB168_432
; %bb.424:                              ;   in Loop: Header=BB168_6 Depth=1
	v_dual_mov_b32 v8, v31 :: v_dual_mov_b32 v7, v1
	v_mov_b32_e32 v6, v0
                                        ; implicit-def: $sgpr26
	s_set_inst_prefetch_distance 0x1
	s_branch .LBB168_426
	.p2align	6
.LBB168_425:                            ;   in Loop: Header=BB168_426 Depth=2
	s_or_b32 exec_lo, exec_lo, s7
	s_waitcnt lgkmcnt(0)
	s_barrier
	buffer_gl0_inv
	ds_load_b32 v9, v13 offset:3072
	v_add_co_u32 v6, vcc_lo, v6, s33
	v_add_co_ci_u32_e32 v7, vcc_lo, 0, v7, vcc_lo
	v_add_nc_u32_e32 v8, s84, v8
	s_waitcnt lgkmcnt(0)
	s_barrier
	s_delay_alu instid0(VALU_DEP_2) | instskip(SKIP_2) | instid1(VALU_DEP_1)
	v_cmp_ge_u64_e32 vcc_lo, v[6:7], v[4:5]
	buffer_gl0_inv
	v_cmp_ne_u16_e64 s7, 0, v9
	s_or_b32 s70, vcc_lo, s7
	s_delay_alu instid0(SALU_CYCLE_1) | instskip(NEXT) | instid1(SALU_CYCLE_1)
	s_and_b32 s70, exec_lo, s70
	s_or_b32 s12, s70, s12
	s_and_not1_b32 s26, s26, exec_lo
	s_and_b32 s7, s7, exec_lo
	s_delay_alu instid0(SALU_CYCLE_1)
	s_or_b32 s26, s26, s7
	s_and_not1_b32 exec_lo, exec_lo, s12
	s_cbranch_execz .LBB168_431
.LBB168_426:                            ;   Parent Loop BB168_6 Depth=1
                                        ; =>  This Inner Loop Header: Depth=2
	s_delay_alu instid0(VALU_DEP_1)
	v_cmp_gt_u64_e32 vcc_lo, s[8:9], v[6:7]
	v_mov_b32_e32 v9, 0
	s_and_saveexec_b32 s7, vcc_lo
	s_cbranch_execz .LBB168_428
; %bb.427:                              ;   in Loop: Header=BB168_426 Depth=2
	ds_load_u16 v9, v8
.LBB168_428:                            ;   in Loop: Header=BB168_426 Depth=2
	s_or_b32 exec_lo, exec_lo, s7
	s_and_saveexec_b32 s7, vcc_lo
	s_cbranch_execz .LBB168_425
; %bb.429:                              ;   in Loop: Header=BB168_426 Depth=2
	s_waitcnt lgkmcnt(0)
	v_bfe_i32 v12, v9, 0, 16
	s_delay_alu instid0(VALU_DEP_1) | instskip(NEXT) | instid1(VALU_DEP_1)
	v_add_nc_u32_e32 v12, 0x8000, v12
	v_and_b32_e32 v12, v12, v37
	s_delay_alu instid0(VALU_DEP_1)
	v_cmp_eq_u32_e32 vcc_lo, v12, v38
	s_and_b32 exec_lo, exec_lo, vcc_lo
	s_cbranch_execz .LBB168_425
; %bb.430:                              ;   in Loop: Header=BB168_426 Depth=2
	v_perm_b32 v9, v9, 1, 0x5040100
	ds_store_b32 v13, v9 offset:3072
	s_branch .LBB168_425
.LBB168_431:                            ;   in Loop: Header=BB168_6 Depth=1
	s_set_inst_prefetch_distance 0x2
	s_or_b32 exec_lo, exec_lo, s12
	v_lshrrev_b32_e32 v39, 16, v9
	s_and_b32 s12, s26, exec_lo
.LBB168_432:                            ;   in Loop: Header=BB168_6 Depth=1
	s_or_b32 exec_lo, exec_lo, s13
	s_mov_b32 s7, 0
	s_mov_b32 s8, -1
.LBB168_433:                            ;   in Loop: Header=BB168_6 Depth=1
	s_and_b32 vcc_lo, exec_lo, s7
	s_mov_b32 s9, s7
	s_cbranch_vccz .LBB168_449
; %bb.434:                              ;   in Loop: Header=BB168_6 Depth=1
	s_mov_b32 s26, s53
	s_delay_alu instid0(SALU_CYCLE_1)
	s_cmp_lg_u64 s[26:27], 0
	s_cbranch_scc0 .LBB168_436
; %bb.435:                              ;   in Loop: Header=BB168_6 Depth=1
	v_cvt_f32_u32_e32 v4, s33
	s_sub_u32 s9, 0, s33
	s_subb_u32 s12, 0, 0
	s_delay_alu instid0(VALU_DEP_1) | instskip(NEXT) | instid1(VALU_DEP_1)
	v_fmac_f32_e64 v4, 0, 0x4f800000
	v_rcp_f32_e32 v4, v4
	s_waitcnt_depctr 0xfff
	v_mul_f32_e32 v4, 0x5f7ffffc, v4
	s_delay_alu instid0(VALU_DEP_1) | instskip(NEXT) | instid1(VALU_DEP_1)
	v_mul_f32_e32 v5, 0x2f800000, v4
	v_trunc_f32_e32 v5, v5
	s_delay_alu instid0(VALU_DEP_1) | instskip(SKIP_1) | instid1(VALU_DEP_2)
	v_fmac_f32_e32 v4, 0xcf800000, v5
	v_cvt_u32_f32_e32 v5, v5
	v_cvt_u32_f32_e32 v4, v4
	s_delay_alu instid0(VALU_DEP_2) | instskip(NEXT) | instid1(VALU_DEP_2)
	v_readfirstlane_b32 s7, v5
	v_readfirstlane_b32 s8, v4
	s_delay_alu instid0(VALU_DEP_2) | instskip(NEXT) | instid1(VALU_DEP_1)
	s_mul_i32 s13, s9, s7
	s_mul_hi_u32 s70, s9, s8
	s_mul_i32 s26, s12, s8
	s_add_i32 s13, s70, s13
	s_mul_i32 s71, s9, s8
	s_add_i32 s13, s13, s26
	s_mul_hi_u32 s70, s8, s71
	s_mul_hi_u32 s72, s7, s71
	s_mul_i32 s26, s7, s71
	s_mul_hi_u32 s71, s8, s13
	s_mul_i32 s8, s8, s13
	s_mul_hi_u32 s73, s7, s13
	s_add_u32 s8, s70, s8
	s_addc_u32 s70, 0, s71
	s_add_u32 s8, s8, s26
	s_mul_i32 s13, s7, s13
	s_addc_u32 s8, s70, s72
	s_addc_u32 s26, s73, 0
	s_add_u32 s8, s8, s13
	s_addc_u32 s13, 0, s26
	v_add_co_u32 v4, s8, v4, s8
	s_delay_alu instid0(VALU_DEP_1) | instskip(SKIP_1) | instid1(VALU_DEP_1)
	s_cmp_lg_u32 s8, 0
	s_addc_u32 s7, s7, s13
	v_readfirstlane_b32 s8, v4
	s_mul_i32 s13, s9, s7
	s_delay_alu instid0(VALU_DEP_1)
	s_mul_hi_u32 s26, s9, s8
	s_mul_i32 s12, s12, s8
	s_add_i32 s13, s26, s13
	s_mul_i32 s9, s9, s8
	s_add_i32 s13, s13, s12
	s_mul_hi_u32 s26, s7, s9
	s_mul_i32 s70, s7, s9
	s_mul_hi_u32 s9, s8, s9
	s_mul_hi_u32 s71, s8, s13
	s_mul_i32 s8, s8, s13
	s_mul_hi_u32 s12, s7, s13
	s_add_u32 s8, s9, s8
	s_addc_u32 s9, 0, s71
	s_add_u32 s8, s8, s70
	s_mul_i32 s13, s7, s13
	s_addc_u32 s8, s9, s26
	s_addc_u32 s9, s12, 0
	s_add_u32 s8, s8, s13
	s_addc_u32 s9, 0, s9
	v_add_co_u32 v4, s8, v4, s8
	s_delay_alu instid0(VALU_DEP_1) | instskip(SKIP_1) | instid1(VALU_DEP_1)
	s_cmp_lg_u32 s8, 0
	s_addc_u32 s7, s7, s9
	v_readfirstlane_b32 s8, v4
	s_mul_i32 s12, s78, s7
	s_mul_hi_u32 s9, s78, s7
	s_mul_hi_u32 s13, s27, s7
	s_mul_i32 s7, s27, s7
	s_mul_hi_u32 s26, s78, s8
	s_mul_hi_u32 s70, s27, s8
	s_mul_i32 s8, s27, s8
	s_add_u32 s12, s26, s12
	s_addc_u32 s9, 0, s9
	s_add_u32 s8, s12, s8
	s_addc_u32 s8, s9, s70
	s_addc_u32 s9, s13, 0
	s_add_u32 s7, s8, s7
	s_addc_u32 s8, 0, s9
	s_mul_hi_u32 s9, s33, s7
	s_mul_i32 s7, s33, s7
	s_mul_i32 s8, s33, s8
	v_sub_co_u32 v4, s7, s78, s7
	s_add_i32 s9, s9, s8
	s_cmp_lg_u32 s7, 0
	s_delay_alu instid0(VALU_DEP_1) | instskip(SKIP_2) | instid1(VALU_DEP_1)
	v_sub_co_u32 v5, s7, v4, s33
	s_subb_u32 s8, s27, s9
	s_cmp_lg_u32 s7, 0
	v_cmp_le_u32_e32 vcc_lo, s33, v5
	v_sub_co_u32 v6, s7, v5, s33
	s_subb_u32 s9, s8, 0
	s_cmp_lg_u32 s7, 0
	v_cndmask_b32_e64 v7, 0, -1, vcc_lo
	s_subb_u32 s7, s9, 0
	s_cmp_eq_u32 s9, 0
	v_mov_b32_e32 v9, s7
	s_cselect_b32 vcc_lo, -1, 0
	s_cmp_eq_u32 s8, 0
	v_cndmask_b32_e32 v7, -1, v7, vcc_lo
	v_cmp_le_u32_e32 vcc_lo, s33, v4
	s_cselect_b32 s7, -1, 0
	v_cndmask_b32_e64 v8, 0, -1, vcc_lo
	s_delay_alu instid0(VALU_DEP_3) | instskip(NEXT) | instid1(VALU_DEP_2)
	v_cmp_ne_u32_e32 vcc_lo, 0, v7
	v_cndmask_b32_e64 v7, -1, v8, s7
	v_cndmask_b32_e32 v8, s9, v9, vcc_lo
	v_cndmask_b32_e32 v6, v5, v6, vcc_lo
	s_mov_b32 s7, 0
	s_delay_alu instid0(VALU_DEP_3) | instskip(NEXT) | instid1(VALU_DEP_3)
	v_cmp_ne_u32_e32 vcc_lo, 0, v7
	v_cndmask_b32_e32 v5, s8, v8, vcc_lo
	s_delay_alu instid0(VALU_DEP_3)
	v_cndmask_b32_e32 v4, v4, v6, vcc_lo
	s_branch .LBB168_437
.LBB168_436:                            ;   in Loop: Header=BB168_6 Depth=1
	s_mov_b32 s7, -1
                                        ; implicit-def: $vgpr4_vgpr5
.LBB168_437:                            ;   in Loop: Header=BB168_6 Depth=1
	s_delay_alu instid0(SALU_CYCLE_1)
	s_and_not1_b32 vcc_lo, exec_lo, s7
	s_cbranch_vccnz .LBB168_439
; %bb.438:                              ;   in Loop: Header=BB168_6 Depth=1
	v_cvt_f32_u32_e32 v4, s33
	s_sub_i32 s7, 0, s33
	s_delay_alu instid0(VALU_DEP_1) | instskip(SKIP_2) | instid1(VALU_DEP_1)
	v_rcp_iflag_f32_e32 v4, v4
	s_waitcnt_depctr 0xfff
	v_mul_f32_e32 v4, 0x4f7ffffe, v4
	v_cvt_u32_f32_e32 v4, v4
	s_delay_alu instid0(VALU_DEP_1) | instskip(NEXT) | instid1(VALU_DEP_1)
	v_mul_lo_u32 v5, s7, v4
	v_mul_hi_u32 v5, v4, v5
	s_delay_alu instid0(VALU_DEP_1) | instskip(NEXT) | instid1(VALU_DEP_1)
	v_add_nc_u32_e32 v4, v4, v5
	v_mul_hi_u32 v4, s78, v4
	s_delay_alu instid0(VALU_DEP_1) | instskip(NEXT) | instid1(VALU_DEP_1)
	v_mul_lo_u32 v4, v4, s33
	v_sub_nc_u32_e32 v4, s78, v4
	s_delay_alu instid0(VALU_DEP_1) | instskip(SKIP_1) | instid1(VALU_DEP_2)
	v_subrev_nc_u32_e32 v5, s33, v4
	v_cmp_le_u32_e32 vcc_lo, s33, v4
	v_cndmask_b32_e32 v4, v4, v5, vcc_lo
	s_delay_alu instid0(VALU_DEP_1) | instskip(SKIP_1) | instid1(VALU_DEP_2)
	v_subrev_nc_u32_e32 v5, s33, v4
	v_cmp_le_u32_e32 vcc_lo, s33, v4
	v_cndmask_b32_e32 v12, v4, v5, vcc_lo
	s_delay_alu instid0(VALU_DEP_1)
	v_dual_mov_b32 v4, v12 :: v_dual_mov_b32 v5, v13
.LBB168_439:                            ;   in Loop: Header=BB168_6 Depth=1
	s_delay_alu instid0(VALU_DEP_1) | instskip(NEXT) | instid1(VALU_DEP_2)
	v_sub_co_u32 v4, vcc_lo, s78, v4
	v_sub_co_ci_u32_e32 v5, vcc_lo, s27, v5, vcc_lo
	s_mov_b32 s12, 0
	s_mov_b32 s8, exec_lo
                                        ; implicit-def: $vgpr39
	s_delay_alu instid0(VALU_DEP_1)
	v_cmpx_gt_u64_e64 v[4:5], v[0:1]
	s_cbranch_execz .LBB168_448
; %bb.440:                              ;   in Loop: Header=BB168_6 Depth=1
	v_dual_mov_b32 v6, v10 :: v_dual_mov_b32 v7, v11
	v_dual_mov_b32 v9, v1 :: v_dual_mov_b32 v8, v0
	s_mov_b32 s9, 0
                                        ; implicit-def: $sgpr12
	s_set_inst_prefetch_distance 0x1
	s_branch .LBB168_442
	.p2align	6
.LBB168_441:                            ;   in Loop: Header=BB168_442 Depth=2
	s_or_b32 exec_lo, exec_lo, s7
	s_waitcnt vmcnt(0) lgkmcnt(0)
	s_barrier
	buffer_gl0_inv
	ds_load_b32 v12, v13 offset:3072
	v_add_co_u32 v8, vcc_lo, v8, s33
	v_add_co_ci_u32_e32 v9, vcc_lo, 0, v9, vcc_lo
	s_waitcnt lgkmcnt(0)
	s_barrier
	buffer_gl0_inv
	v_cmp_ge_u64_e32 vcc_lo, v[8:9], v[4:5]
	v_cmp_ne_u16_e64 s7, 0, v12
	s_delay_alu instid0(VALU_DEP_1)
	s_or_b32 s13, vcc_lo, s7
	v_add_co_u32 v6, vcc_lo, v6, s34
	s_and_b32 s13, exec_lo, s13
	v_add_co_ci_u32_e32 v7, vcc_lo, s35, v7, vcc_lo
	s_or_b32 s9, s13, s9
	s_and_not1_b32 s12, s12, exec_lo
	s_and_b32 s7, s7, exec_lo
	s_delay_alu instid0(SALU_CYCLE_1)
	s_or_b32 s12, s12, s7
	s_and_not1_b32 exec_lo, exec_lo, s9
	s_cbranch_execz .LBB168_447
.LBB168_442:                            ;   Parent Loop BB168_6 Depth=1
                                        ; =>  This Inner Loop Header: Depth=2
	s_delay_alu instid0(VALU_DEP_1)
	v_cmp_gt_u64_e32 vcc_lo, s[28:29], v[8:9]
	v_mov_b32_e32 v12, 0
	s_and_saveexec_b32 s7, vcc_lo
	s_cbranch_execz .LBB168_444
; %bb.443:                              ;   in Loop: Header=BB168_442 Depth=2
	global_load_u16 v12, v[6:7], off
.LBB168_444:                            ;   in Loop: Header=BB168_442 Depth=2
	s_or_b32 exec_lo, exec_lo, s7
	s_and_saveexec_b32 s7, vcc_lo
	s_cbranch_execz .LBB168_441
; %bb.445:                              ;   in Loop: Header=BB168_442 Depth=2
	s_waitcnt vmcnt(0)
	v_bfe_i32 v23, v12, 0, 16
	s_delay_alu instid0(VALU_DEP_1) | instskip(NEXT) | instid1(VALU_DEP_1)
	v_add_nc_u32_e32 v23, 0x8000, v23
	v_and_b32_e32 v23, v23, v37
	s_delay_alu instid0(VALU_DEP_1)
	v_cmp_eq_u32_e32 vcc_lo, v23, v38
	s_and_b32 exec_lo, exec_lo, vcc_lo
	s_cbranch_execz .LBB168_441
; %bb.446:                              ;   in Loop: Header=BB168_442 Depth=2
	v_perm_b32 v12, v12, 1, 0x5040100
	ds_store_b32 v13, v12 offset:3072
	s_branch .LBB168_441
.LBB168_447:                            ;   in Loop: Header=BB168_6 Depth=1
	s_set_inst_prefetch_distance 0x2
	s_or_b32 exec_lo, exec_lo, s9
	v_lshrrev_b32_e32 v39, 16, v12
	s_and_b32 s12, s12, exec_lo
.LBB168_448:                            ;   in Loop: Header=BB168_6 Depth=1
	s_or_b32 exec_lo, exec_lo, s8
	s_mov_b32 s8, 0
	s_mov_b32 s7, -1
	s_mov_b32 s9, 0
.LBB168_449:                            ;   in Loop: Header=BB168_6 Depth=1
	s_or_not1_b32 s13, s12, exec_lo
.LBB168_450:                            ;   in Loop: Header=BB168_6 Depth=1
	s_or_b32 exec_lo, exec_lo, s69
	s_mov_b32 s26, 0
                                        ; implicit-def: $vgpr6
                                        ; implicit-def: $vgpr4_vgpr5
	s_and_saveexec_b32 s12, s13
	s_cbranch_execz .LBB168_462
; %bb.451:                              ;   in Loop: Header=BB168_6 Depth=1
	v_mov_b32_e32 v4, 1
	v_dual_mov_b32 v5, 0 :: v_dual_mov_b32 v6, 1
	s_xor_b32 s26, s68, -1
	s_delay_alu instid0(SALU_CYCLE_1)
	s_and_saveexec_b32 s13, s26
	s_cbranch_execz .LBB168_461
; %bb.452:                              ;   in Loop: Header=BB168_6 Depth=1
	s_mov_b32 s26, exec_lo
                                        ; implicit-def: $sgpr68
	v_cmpx_ge_u64_e64 s[10:11], v[2:3]
	s_xor_b32 s26, exec_lo, s26
	s_cbranch_execz .LBB168_458
; %bb.453:                              ;   in Loop: Header=BB168_6 Depth=1
	ds_load_b64 v[4:5], v13 offset:5120
	s_waitcnt lgkmcnt(0)
	v_cmp_ne_u64_e32 vcc_lo, 0, v[4:5]
	s_cbranch_vccnz .LBB168_457
; %bb.454:                              ;   in Loop: Header=BB168_6 Depth=1
	s_and_saveexec_b32 s68, s5
	s_cbranch_execz .LBB168_456
; %bb.455:                              ;   in Loop: Header=BB168_6 Depth=1
	v_dual_mov_b32 v4, s10 :: v_dual_mov_b32 v5, s11
	ds_store_b64 v13, v[4:5] offset:5128
.LBB168_456:                            ;   in Loop: Header=BB168_6 Depth=1
	s_or_b32 exec_lo, exec_lo, s68
	s_waitcnt lgkmcnt(0)
	s_barrier
	buffer_gl0_inv
.LBB168_457:                            ;   in Loop: Header=BB168_6 Depth=1
	v_and_b32_e32 v38, s21, v38
	v_or_b32_e32 v37, s20, v37
	s_mov_b32 s68, 5
.LBB168_458:                            ;   in Loop: Header=BB168_6 Depth=1
	s_or_saveexec_b32 s20, s26
	v_mov_b32_e32 v6, s68
	s_xor_b32 exec_lo, exec_lo, s20
; %bb.459:                              ;   in Loop: Header=BB168_6 Depth=1
	v_sub_co_u32 v2, vcc_lo, v2, s10
	v_subrev_co_ci_u32_e32 v3, vcc_lo, s11, v3, vcc_lo
	v_mov_b32_e32 v6, 5
; %bb.460:                              ;   in Loop: Header=BB168_6 Depth=1
	s_or_b32 exec_lo, exec_lo, s20
	s_delay_alu instid0(VALU_DEP_2)
	v_dual_mov_b32 v5, v3 :: v_dual_mov_b32 v4, v2
.LBB168_461:                            ;   in Loop: Header=BB168_6 Depth=1
	s_or_b32 exec_lo, exec_lo, s13
	s_delay_alu instid0(SALU_CYCLE_1)
	s_mov_b32 s26, exec_lo
.LBB168_462:                            ;   in Loop: Header=BB168_6 Depth=1
	s_or_b32 exec_lo, exec_lo, s12
	s_delay_alu instid0(VALU_DEP_1)
	v_dual_mov_b32 v2, v4 :: v_dual_mov_b32 v3, v5
	s_or_not1_b32 s12, s26, exec_lo
.LBB168_463:                            ;   in Loop: Header=BB168_6 Depth=1
	s_or_b32 exec_lo, exec_lo, s22
	s_delay_alu instid0(SALU_CYCLE_1)
	s_and_not1_b32 s10, s14, exec_lo
	s_and_b32 s7, s7, exec_lo
	s_and_b32 s8, s8, exec_lo
	s_or_b32 s14, s10, s7
	s_and_not1_b32 s7, s15, exec_lo
	s_and_not1_b32 s10, s66, exec_lo
	s_and_b32 s9, s9, exec_lo
	v_dual_mov_b32 v5, v3 :: v_dual_mov_b32 v4, v2
	s_or_b32 s15, s7, s8
	s_or_b32 s66, s10, s9
	s_and_b32 s26, s12, exec_lo
.LBB168_464:                            ;   in Loop: Header=BB168_6 Depth=1
	s_or_b32 exec_lo, exec_lo, s67
	s_delay_alu instid0(SALU_CYCLE_1)
	s_and_b32 s14, s14, exec_lo
	s_and_b32 s9, s15, exec_lo
	;; [unrolled: 1-line block ×3, first 2 shown]
	s_or_not1_b32 s7, s26, exec_lo
.LBB168_465:                            ;   in Loop: Header=BB168_6 Depth=1
	s_or_b32 exec_lo, exec_lo, s65
	s_delay_alu instid0(SALU_CYCLE_1)
	s_and_not1_b32 s10, s16, exec_lo
	s_and_b32 s11, s14, exec_lo
	s_and_b32 s9, s9, exec_lo
	s_or_b32 s16, s10, s11
	s_and_not1_b32 s10, s17, exec_lo
	s_and_not1_b32 s11, s63, exec_lo
	s_and_b32 s8, s8, exec_lo
	v_dual_mov_b32 v2, v4 :: v_dual_mov_b32 v3, v5
	s_or_b32 s17, s10, s9
	s_or_b32 s63, s11, s8
	s_and_b32 s26, s7, exec_lo
.LBB168_466:                            ;   in Loop: Header=BB168_6 Depth=1
	s_or_b32 exec_lo, exec_lo, s64
	s_delay_alu instid0(SALU_CYCLE_1)
	s_and_b32 s16, s16, exec_lo
	s_and_b32 s9, s17, exec_lo
	;; [unrolled: 1-line block ×3, first 2 shown]
	s_or_not1_b32 s17, s26, exec_lo
.LBB168_467:                            ;   in Loop: Header=BB168_6 Depth=1
	s_or_b32 exec_lo, exec_lo, s62
	s_mov_b32 s7, s25
	s_mov_b32 s10, s24
	s_and_saveexec_b32 s11, s17
; %bb.468:                              ;   in Loop: Header=BB168_6 Depth=1
	v_cmp_eq_u32_e32 vcc_lo, 5, v6
	v_cmp_ne_u32_e64 s7, 5, v6
	s_and_not1_b32 s10, s24, exec_lo
	s_and_not1_b32 s12, s25, exec_lo
	;; [unrolled: 1-line block ×3, first 2 shown]
	s_and_b32 s13, vcc_lo, exec_lo
	s_and_b32 s7, s7, exec_lo
	s_and_not1_b32 s9, s9, exec_lo
	s_and_not1_b32 s8, s8, exec_lo
	s_or_b32 s10, s10, s7
	s_or_b32 s7, s12, s13
; %bb.469:                              ;   in Loop: Header=BB168_6 Depth=1
	s_or_b32 exec_lo, exec_lo, s11
	s_delay_alu instid0(SALU_CYCLE_1)
	s_and_not1_b32 s11, s18, exec_lo
	s_and_b32 s12, s16, exec_lo
	s_and_b32 s9, s9, exec_lo
	s_or_b32 s18, s11, s12
	s_and_not1_b32 s11, s19, exec_lo
	s_and_not1_b32 s12, s23, exec_lo
	s_and_b32 s8, s8, exec_lo
	v_dual_mov_b32 v25, v38 :: v_dual_mov_b32 v26, v37
	v_mov_b32_e32 v27, v39
	s_or_b32 s19, s11, s9
	s_or_b32 s23, s12, s8
	s_and_not1_b32 s8, s24, exec_lo
	s_and_b32 s9, s10, exec_lo
	s_and_not1_b32 s10, s25, exec_lo
	s_and_b32 s7, s7, exec_lo
	s_or_b32 s24, s8, s9
	s_or_b32 s25, s10, s7
.LBB168_470:                            ;   in Loop: Header=BB168_6 Depth=1
	s_or_b32 exec_lo, exec_lo, s52
	s_mov_b32 s62, s23
	s_mov_b32 s52, s23
	s_and_saveexec_b32 s7, s25
.LBB168_471:                            ;   in Loop: Header=BB168_6 Depth=1
	v_mov_b32_e32 v6, 0
	s_and_not1_b32 s23, s23, exec_lo
	s_and_not1_b32 s18, s18, exec_lo
	;; [unrolled: 1-line block ×5, first 2 shown]
	s_or_b32 s24, s24, exec_lo
.LBB168_472:                            ;   in Loop: Header=BB168_6 Depth=1
	s_or_b32 exec_lo, exec_lo, s7
	s_delay_alu instid0(SALU_CYCLE_1)
	s_and_not1_b32 s7, s97, exec_lo
	s_and_b32 s9, s23, exec_lo
	s_and_not1_b32 s10, s94, exec_lo
	s_or_b32 s97, s7, s9
	s_and_not1_b32 s7, s96, exec_lo
	s_and_b32 s9, s18, exec_lo
	s_and_b32 s11, s19, exec_lo
	s_or_b32 s96, s7, s9
	s_or_b32 s94, s10, s11
	s_and_not1_b32 s7, s95, exec_lo
	s_and_b32 s9, s62, exec_lo
	s_and_not1_b32 s10, s93, exec_lo
	s_and_b32 s11, s52, exec_lo
	s_mov_b32 s8, -1
	s_or_b32 s95, s7, s9
	s_or_b32 s93, s10, s11
                                        ; implicit-def: $vgpr37
                                        ; implicit-def: $vgpr38
                                        ; implicit-def: $vgpr23_vgpr24
                                        ; implicit-def: $vgpr39
	s_and_saveexec_b32 s7, s24
	s_delay_alu instid0(SALU_CYCLE_1)
	s_xor_b32 s7, exec_lo, s7
	s_cbranch_execz .LBB168_5
; %bb.473:                              ;   in Loop: Header=BB168_6 Depth=1
	s_mov_b32 s9, -1
	s_mov_b32 s10, exec_lo
	v_cmpx_eq_u32_e32 0, v6
	s_cbranch_execz .LBB168_4
; %bb.474:                              ;   in Loop: Header=BB168_6 Depth=1
	s_xor_b32 s87, s87, 1
	s_add_i32 s11, s91, -2
	s_cmp_eq_u32 s91, 0
	s_mov_b32 s91, s11
	s_cselect_b32 s8, -1, 0
	s_xor_b32 s9, exec_lo, -1
	s_or_not1_b32 s8, s8, exec_lo
	s_branch .LBB168_4
.LBB168_475:
	s_or_b32 exec_lo, exec_lo, s85
	s_xor_b32 s7, s92, -1
	s_xor_b32 s9, s89, -1
	;; [unrolled: 1-line block ×5, first 2 shown]
	s_mov_b32 s8, 0
	s_and_saveexec_b32 s12, s11
	s_delay_alu instid0(SALU_CYCLE_1)
	s_xor_b32 s12, exec_lo, s12
	s_cbranch_execz .LBB168_532
; %bb.476:
	s_and_saveexec_b32 s11, s10
	s_delay_alu instid0(SALU_CYCLE_1)
	s_xor_b32 s13, exec_lo, s11
	s_cbranch_execz .LBB168_530
; %bb.477:
	;; [unrolled: 5-line block ×4, first 2 shown]
	s_and_saveexec_b32 s7, s6
	s_delay_alu instid0(SALU_CYCLE_1)
	s_xor_b32 s6, exec_lo, s7
; %bb.480:
	v_xor_b32_e32 v27, 0xffff8000, v25
; %bb.481:
	s_or_b32 exec_lo, exec_lo, s6
	s_and_saveexec_b32 s6, s5
	s_cbranch_execz .LBB168_483
; %bb.482:
	v_mov_b32_e32 v2, 0
	s_delay_alu instid0(VALU_DEP_1)
	v_mov_b32_e32 v3, v2
	ds_store_b64 v2, v[2:3] offset:5136
.LBB168_483:
	s_or_b32 exec_lo, exec_lo, s6
	v_mov_b32_e32 v17, 0
	s_waitcnt lgkmcnt(0)
	s_barrier
	buffer_gl0_inv
	s_and_saveexec_b32 s5, s3
	s_cbranch_execz .LBB168_485
; %bb.484:
	global_load_u16 v17, v[10:11], off
.LBB168_485:
	s_or_b32 exec_lo, exec_lo, s5
	s_clause 0x1
	s_load_b64 s[8:9], s[0:1], 0x368
	s_load_b64 s[10:11], s[0:1], 0x510
	s_add_u32 s5, s28, 31
	s_addc_u32 s7, s29, 0
	s_and_b32 s6, s5, 0xffffffe0
	s_mul_i32 s5, s51, s42
	s_mul_hi_u32 s16, s50, s42
	s_mul_i32 s0, s50, s42
	s_add_i32 s1, s16, s5
	s_mul_i32 s5, s47, s42
	s_mul_hi_u32 s16, s46, s42
	s_lshl_b64 s[18:19], s[0:1], 1
	s_add_i32 s17, s16, s5
	s_add_u32 s1, s48, s18
	s_addc_u32 s5, s49, s19
	v_readlane_b32 s18, v44, 0
	s_mul_i32 s16, s46, s42
	v_readlane_b32 s19, v44, 1
	s_lshl_b64 s[16:17], s[16:17], 3
	v_add_nc_u32_e32 v16, s33, v0
	s_add_u32 s16, s18, s16
	s_mov_b32 s0, -1
	s_addc_u32 s17, s19, s17
	s_mov_b32 s19, 0
	s_mov_b32 s18, 0
	s_mov_b32 s20, exec_lo
	v_cmpx_gt_u64_e64 s[6:7], v[0:1]
	s_cbranch_execz .LBB168_501
; %bb.486:
	v_mad_u64_u32 v[2:3], null, s38, v16, 0
	v_bfe_i32 v6, v27, 0, 16
	s_add_u32 s0, s36, s40
	s_addc_u32 s18, s37, s41
	v_mov_b32_e32 v13, v1
                                        ; implicit-def: $sgpr21
                                        ; implicit-def: $vgpr8_vgpr9
	v_mov_b32_e32 v12, v0
	v_add_nc_u32_e32 v18, 0x8000, v6
	v_mad_u64_u32 v[4:5], null, s39, v16, v[3:4]
	s_delay_alu instid0(VALU_DEP_1) | instskip(NEXT) | instid1(VALU_DEP_1)
	v_mov_b32_e32 v3, v4
	v_lshlrev_b64 v[4:5], 1, v[2:3]
	v_mov_b32_e32 v3, 0
	s_delay_alu instid0(VALU_DEP_2) | instskip(NEXT) | instid1(VALU_DEP_3)
	v_add_co_u32 v4, vcc_lo, s0, v4
	v_add_co_ci_u32_e32 v5, vcc_lo, s18, v5, vcc_lo
	s_mov_b32 s18, 0
	s_branch .LBB168_488
.LBB168_487:                            ;   in Loop: Header=BB168_488 Depth=1
	s_or_b32 exec_lo, exec_lo, s22
	s_xor_b32 s22, s24, -1
	s_and_b32 s0, exec_lo, s0
	v_mov_b32_e32 v13, v7
	v_dual_mov_b32 v17, v19 :: v_dual_mov_b32 v12, v6
	s_or_b32 s18, s0, s18
	s_and_not1_b32 s0, s21, exec_lo
	s_and_b32 s21, s22, exec_lo
	s_delay_alu instid0(SALU_CYCLE_1)
	s_or_b32 s21, s0, s21
	s_and_not1_b32 exec_lo, exec_lo, s18
	s_cbranch_execz .LBB168_500
.LBB168_488:                            ; =>This Inner Loop Header: Depth=1
	v_add_co_u32 v6, vcc_lo, v12, s33
	v_add_co_ci_u32_e32 v7, vcc_lo, 0, v13, vcc_lo
	v_mov_b32_e32 v19, 0
	s_mov_b32 s0, exec_lo
	s_delay_alu instid0(VALU_DEP_2)
	v_cmpx_gt_u64_e64 s[28:29], v[6:7]
	s_cbranch_execz .LBB168_490
; %bb.489:                              ;   in Loop: Header=BB168_488 Depth=1
	global_load_u16 v19, v[4:5], off
.LBB168_490:                            ;   in Loop: Header=BB168_488 Depth=1
	s_or_b32 exec_lo, exec_lo, s0
	s_waitcnt vmcnt(0)
	v_bfe_i32 v2, v17, 0, 16
	s_delay_alu instid0(VALU_DEP_1) | instskip(NEXT) | instid1(VALU_DEP_1)
	v_add_nc_u32_e32 v2, 0x8000, v2
	v_cmp_gt_u32_e32 vcc_lo, v2, v18
	v_cndmask_b32_e64 v14, 0, 1, vcc_lo
	v_cmp_lt_u32_e32 vcc_lo, v2, v18
	v_cndmask_b32_e64 v2, 0, 1, vcc_lo
	v_cmp_gt_u64_e32 vcc_lo, s[28:29], v[12:13]
	s_delay_alu instid0(VALU_DEP_2) | instskip(NEXT) | instid1(VALU_DEP_1)
	v_cndmask_b32_e64 v2, v2, v14, s4
	v_and_b32_e32 v2, 1, v2
	s_delay_alu instid0(VALU_DEP_1) | instskip(NEXT) | instid1(VALU_DEP_1)
	v_cmp_eq_u32_e64 s0, 1, v2
	s_and_b32 s23, vcc_lo, s0
	s_delay_alu instid0(SALU_CYCLE_1) | instskip(NEXT) | instid1(VALU_DEP_1)
	v_cndmask_b32_e64 v2, 0, 1, s23
	v_cmp_ne_u32_e32 vcc_lo, 0, v2
	s_cmp_lg_u32 vcc_lo, 0
	s_cselect_b32 s0, -1, 0
	s_delay_alu instid0(SALU_CYCLE_1) | instskip(NEXT) | instid1(SALU_CYCLE_1)
	s_and_b32 s0, s2, s0
	s_and_saveexec_b32 s22, s0
	s_cbranch_execz .LBB168_494
; %bb.491:                              ;   in Loop: Header=BB168_488 Depth=1
	s_mov_b32 s26, exec_lo
	s_bcnt1_i32_b32 s24, vcc_lo
	v_mbcnt_lo_u32_b32 v14, s26, 0
	s_mov_b32 s25, exec_lo
                                        ; implicit-def: $vgpr8_vgpr9
	s_delay_alu instid0(VALU_DEP_1)
	v_cmpx_eq_u32_e32 0, v14
	s_cbranch_execz .LBB168_493
; %bb.492:                              ;   in Loop: Header=BB168_488 Depth=1
	s_bcnt1_i32_b32 s0, s26
	s_delay_alu instid0(SALU_CYCLE_1) | instskip(NEXT) | instid1(SALU_CYCLE_1)
	s_mul_i32 s0, s24, s0
	v_mov_b32_e32 v2, s0
	s_waitcnt lgkmcnt(0)
	ds_add_rtn_u64 v[8:9], v3, v[2:3] offset:5136
.LBB168_493:                            ;   in Loop: Header=BB168_488 Depth=1
	s_or_b32 exec_lo, exec_lo, s25
	s_waitcnt lgkmcnt(0)
	v_readfirstlane_b32 s27, v9
	v_readfirstlane_b32 s26, v8
	s_delay_alu instid0(VALU_DEP_1)
	v_mad_u64_u32 v[8:9], null, s24, v14, s[26:27]
.LBB168_494:                            ;   in Loop: Header=BB168_488 Depth=1
	s_or_b32 exec_lo, exec_lo, s22
	s_waitcnt lgkmcnt(0)
	ds_bpermute_b32 v8, v3, v8
	ds_bpermute_b32 v9, v3, v9
	s_mov_b32 s0, -1
	s_mov_b32 s25, -1
                                        ; implicit-def: $sgpr24
	s_and_saveexec_b32 s22, s23
	s_cbranch_execz .LBB168_498
; %bb.495:                              ;   in Loop: Header=BB168_488 Depth=1
	v_and_b32_e32 v2, vcc_lo, v29
	s_mov_b32 s23, 0
	s_mov_b32 s24, exec_lo
	s_delay_alu instid0(VALU_DEP_1) | instskip(SKIP_1) | instid1(VALU_DEP_1)
	v_bcnt_u32_b32 v2, v2, 0
	s_waitcnt lgkmcnt(0)
	v_add_co_u32 v14, vcc_lo, v8, v2
	v_add_co_ci_u32_e32 v15, vcc_lo, 0, v9, vcc_lo
	s_delay_alu instid0(VALU_DEP_1)
	v_cmpx_gt_u64_e64 s[30:31], v[14:15]
	s_cbranch_execz .LBB168_497
; %bb.496:                              ;   in Loop: Header=BB168_488 Depth=1
	v_mul_lo_u32 v2, v15, s8
	v_mul_lo_u32 v24, v14, s9
	v_mad_u64_u32 v[20:21], null, v14, s8, 0
	v_mul_lo_u32 v15, v15, s10
	v_mul_lo_u32 v25, v14, s11
	v_mad_u64_u32 v[22:23], null, v14, s10, 0
	s_mov_b32 s23, exec_lo
	s_delay_alu instid0(VALU_DEP_4) | instskip(NEXT) | instid1(VALU_DEP_2)
	v_add3_u32 v21, v21, v24, v2
	v_add3_u32 v23, v23, v25, v15
	s_delay_alu instid0(VALU_DEP_2) | instskip(NEXT) | instid1(VALU_DEP_2)
	v_lshlrev_b64 v[14:15], 1, v[20:21]
	v_lshlrev_b64 v[20:21], 3, v[22:23]
	s_delay_alu instid0(VALU_DEP_2) | instskip(NEXT) | instid1(VALU_DEP_3)
	v_add_co_u32 v14, vcc_lo, s1, v14
	v_add_co_ci_u32_e32 v15, vcc_lo, s5, v15, vcc_lo
	s_delay_alu instid0(VALU_DEP_3) | instskip(NEXT) | instid1(VALU_DEP_4)
	v_add_co_u32 v20, vcc_lo, s16, v20
	v_add_co_ci_u32_e32 v21, vcc_lo, s17, v21, vcc_lo
	global_store_b16 v[14:15], v17, off
	global_store_b64 v[20:21], v[12:13], off
.LBB168_497:                            ;   in Loop: Header=BB168_488 Depth=1
	s_or_b32 exec_lo, exec_lo, s24
	s_mov_b32 s24, -1
	s_or_not1_b32 s25, s23, exec_lo
.LBB168_498:                            ;   in Loop: Header=BB168_488 Depth=1
	s_or_b32 exec_lo, exec_lo, s22
	s_and_saveexec_b32 s22, s25
	s_cbranch_execz .LBB168_487
; %bb.499:                              ;   in Loop: Header=BB168_488 Depth=1
	v_cmp_le_u64_e32 vcc_lo, s[6:7], v[6:7]
	v_add_co_u32 v4, s0, v4, s34
	s_delay_alu instid0(VALU_DEP_1)
	v_add_co_ci_u32_e64 v5, s0, s35, v5, s0
	s_and_not1_b32 s24, s24, exec_lo
	s_or_not1_b32 s0, vcc_lo, exec_lo
	s_branch .LBB168_487
.LBB168_500:
	s_or_b32 exec_lo, exec_lo, s18
	s_delay_alu instid0(SALU_CYCLE_1)
	s_mov_b32 s18, exec_lo
	s_or_not1_b32 s0, s21, exec_lo
.LBB168_501:
	s_or_b32 exec_lo, exec_lo, s20
	s_and_saveexec_b32 s4, s0
	s_cbranch_execz .LBB168_524
; %bb.502:
	v_dual_mov_b32 v3, 0 :: v_dual_mov_b32 v12, 0
	s_waitcnt vmcnt(0) lgkmcnt(0)
	s_waitcnt_vscnt null, 0x0
	s_barrier
	buffer_gl0_inv
	s_and_saveexec_b32 s0, s3
	s_cbranch_execz .LBB168_504
; %bb.503:
	global_load_u16 v12, v[10:11], off
.LBB168_504:
	s_or_b32 exec_lo, exec_lo, s0
	v_mad_u64_u32 v[4:5], null, s38, v16, 0
	s_add_u32 s0, s36, s40
	s_addc_u32 s3, s37, s41
	s_mov_b32 s19, 0
                                        ; implicit-def: $sgpr20
                                        ; implicit-def: $sgpr21
	s_delay_alu instid0(VALU_DEP_1) | instskip(NEXT) | instid1(VALU_DEP_1)
	v_mov_b32_e32 v2, v5
	v_mad_u64_u32 v[5:6], null, s39, v16, v[2:3]
                                        ; implicit-def: $vgpr6_vgpr7
	s_delay_alu instid0(VALU_DEP_1) | instskip(NEXT) | instid1(VALU_DEP_1)
	v_lshlrev_b64 v[4:5], 1, v[4:5]
	v_add_co_u32 v4, vcc_lo, s0, v4
	s_delay_alu instid0(VALU_DEP_2)
	v_add_co_ci_u32_e32 v5, vcc_lo, s3, v5, vcc_lo
                                        ; implicit-def: $sgpr3
	s_branch .LBB168_507
.LBB168_505:                            ;   in Loop: Header=BB168_507 Depth=1
	s_or_b32 exec_lo, exec_lo, s24
	v_dual_mov_b32 v0, v8 :: v_dual_mov_b32 v1, v9
	s_and_not1_b32 s0, s21, exec_lo
	s_and_b32 s21, s26, exec_lo
	s_and_not1_b32 s20, s20, exec_lo
	s_and_b32 s23, s23, exec_lo
	s_or_b32 s21, s0, s21
	s_or_b32 s20, s20, s23
.LBB168_506:                            ;   in Loop: Header=BB168_507 Depth=1
	s_or_b32 exec_lo, exec_lo, s22
	s_xor_b32 s0, s21, -1
	s_and_b32 s22, exec_lo, s20
	s_delay_alu instid0(SALU_CYCLE_1) | instskip(SKIP_2) | instid1(SALU_CYCLE_1)
	s_or_b32 s19, s22, s19
	s_and_not1_b32 s3, s3, exec_lo
	s_and_b32 s0, s0, exec_lo
	s_or_b32 s3, s3, s0
	s_and_not1_b32 exec_lo, exec_lo, s19
	s_cbranch_execz .LBB168_522
.LBB168_507:                            ; =>This Inner Loop Header: Depth=1
	s_or_b32 s21, s21, exec_lo
	s_or_b32 s20, s20, exec_lo
	s_mov_b32 s22, exec_lo
	v_cmpx_gt_u64_e64 s[6:7], v[0:1]
	s_cbranch_execz .LBB168_506
; %bb.508:                              ;   in Loop: Header=BB168_507 Depth=1
	v_add_co_u32 v8, vcc_lo, v0, s33
	v_add_co_ci_u32_e32 v9, vcc_lo, 0, v1, vcc_lo
	v_mov_b32_e32 v13, 0
	s_mov_b32 s0, exec_lo
	s_delay_alu instid0(VALU_DEP_2)
	v_cmpx_gt_u64_e64 s[28:29], v[8:9]
	s_cbranch_execz .LBB168_510
; %bb.509:                              ;   in Loop: Header=BB168_507 Depth=1
	global_load_u16 v13, v[4:5], off
.LBB168_510:                            ;   in Loop: Header=BB168_507 Depth=1
	s_or_b32 exec_lo, exec_lo, s0
	v_cmp_gt_u64_e32 vcc_lo, s[28:29], v[0:1]
	s_waitcnt vmcnt(0)
	v_cmp_eq_u16_e64 s0, v12, v27
	s_delay_alu instid0(VALU_DEP_1) | instskip(NEXT) | instid1(SALU_CYCLE_1)
	s_and_b32 s24, vcc_lo, s0
	v_cndmask_b32_e64 v2, 0, 1, s24
	s_delay_alu instid0(VALU_DEP_1) | instskip(SKIP_2) | instid1(SALU_CYCLE_1)
	v_cmp_ne_u32_e32 vcc_lo, 0, v2
	s_cmp_lg_u32 vcc_lo, 0
	s_cselect_b32 s0, -1, 0
	s_and_b32 s0, s2, s0
	s_delay_alu instid0(SALU_CYCLE_1)
	s_and_saveexec_b32 s23, s0
	s_cbranch_execz .LBB168_514
; %bb.511:                              ;   in Loop: Header=BB168_507 Depth=1
	s_mov_b32 s27, exec_lo
	s_bcnt1_i32_b32 s25, vcc_lo
	v_mbcnt_lo_u32_b32 v10, s27, 0
	s_mov_b32 s26, exec_lo
                                        ; implicit-def: $vgpr6_vgpr7
	s_delay_alu instid0(VALU_DEP_1)
	v_cmpx_eq_u32_e32 0, v10
	s_cbranch_execz .LBB168_513
; %bb.512:                              ;   in Loop: Header=BB168_507 Depth=1
	s_bcnt1_i32_b32 s0, s27
	s_delay_alu instid0(SALU_CYCLE_1) | instskip(NEXT) | instid1(SALU_CYCLE_1)
	s_mul_i32 s0, s25, s0
	v_mov_b32_e32 v2, s0
	ds_add_rtn_u64 v[6:7], v3, v[2:3] offset:5136
.LBB168_513:                            ;   in Loop: Header=BB168_507 Depth=1
	s_or_b32 exec_lo, exec_lo, s26
	s_waitcnt lgkmcnt(0)
	v_readfirstlane_b32 s27, v7
	v_readfirstlane_b32 s26, v6
	s_delay_alu instid0(VALU_DEP_1)
	v_mad_u64_u32 v[6:7], null, s25, v10, s[26:27]
.LBB168_514:                            ;   in Loop: Header=BB168_507 Depth=1
	s_or_b32 exec_lo, exec_lo, s23
	ds_bpermute_b32 v6, v3, v6
	ds_bpermute_b32 v7, v3, v7
	s_cmp_eq_u32 vcc_lo, 0
	s_mov_b32 s23, -1
	s_cselect_b32 s25, -1, 0
	s_mov_b32 s26, -1
	s_waitcnt lgkmcnt(0)
	v_cmp_gt_u64_e64 s0, s[30:31], v[6:7]
	s_delay_alu instid0(VALU_DEP_1) | instskip(SKIP_3) | instid1(SALU_CYCLE_1)
	s_or_b32 s0, s25, s0
	s_mov_b32 s25, -1
	v_cndmask_b32_e64 v12, v12, v13, s0
	s_and_b32 s27, s24, s0
	s_and_saveexec_b32 s24, s27
	s_cbranch_execz .LBB168_520
; %bb.515:                              ;   in Loop: Header=BB168_507 Depth=1
	v_and_b32_e32 v2, vcc_lo, v29
	v_sub_co_u32 v10, vcc_lo, s30, v6
	v_sub_co_ci_u32_e32 v11, vcc_lo, s31, v7, vcc_lo
	s_delay_alu instid0(VALU_DEP_3) | instskip(SKIP_2) | instid1(VALU_DEP_1)
	v_bcnt_u32_b32 v2, v2, 0
	s_mov_b32 s27, -1
	s_mov_b32 s26, exec_lo
	v_cmp_le_u64_e64 s25, v[10:11], v[2:3]
	v_cmpx_gt_u64_e64 v[10:11], v[2:3]
	s_cbranch_execz .LBB168_519
; %bb.516:                              ;   in Loop: Header=BB168_507 Depth=1
	v_add_co_u32 v10, vcc_lo, v6, v2
	v_add_co_ci_u32_e32 v11, vcc_lo, 0, v7, vcc_lo
	s_delay_alu instid0(VALU_DEP_4) | instskip(SKIP_1) | instid1(VALU_DEP_1)
	s_mov_b32 s36, s25
	s_mov_b32 s27, exec_lo
	v_cmpx_gt_u64_e64 s[30:31], v[10:11]
	s_cbranch_execz .LBB168_518
; %bb.517:                              ;   in Loop: Header=BB168_507 Depth=1
	v_mul_lo_u32 v2, v11, s8
	v_mul_lo_u32 v16, v10, s9
	v_mad_u64_u32 v[14:15], null, v10, s8, 0
	v_mul_lo_u32 v17, v11, s10
	v_mul_lo_u32 v18, v10, s11
	v_mad_u64_u32 v[11:12], null, v10, s10, 0
	s_or_b32 s36, s25, exec_lo
	s_delay_alu instid0(VALU_DEP_4) | instskip(NEXT) | instid1(VALU_DEP_2)
	v_add3_u32 v15, v15, v16, v2
	v_add3_u32 v12, v12, v18, v17
	s_delay_alu instid0(VALU_DEP_2) | instskip(NEXT) | instid1(VALU_DEP_2)
	v_lshlrev_b64 v[14:15], 1, v[14:15]
	v_lshlrev_b64 v[10:11], 3, v[11:12]
	s_delay_alu instid0(VALU_DEP_2) | instskip(NEXT) | instid1(VALU_DEP_3)
	v_add_co_u32 v14, vcc_lo, s1, v14
	v_add_co_ci_u32_e32 v15, vcc_lo, s5, v15, vcc_lo
	s_delay_alu instid0(VALU_DEP_3) | instskip(NEXT) | instid1(VALU_DEP_4)
	v_add_co_u32 v10, vcc_lo, s16, v10
	v_add_co_ci_u32_e32 v11, vcc_lo, s17, v11, vcc_lo
	global_store_b16 v[14:15], v27, off
	global_store_b64 v[10:11], v[0:1], off
.LBB168_518:                            ;   in Loop: Header=BB168_507 Depth=1
	s_or_b32 exec_lo, exec_lo, s27
	s_delay_alu instid0(SALU_CYCLE_1)
	s_and_not1_b32 s25, s25, exec_lo
	s_and_b32 s36, s36, exec_lo
	s_xor_b32 s27, exec_lo, -1
	s_or_b32 s25, s25, s36
.LBB168_519:                            ;   in Loop: Header=BB168_507 Depth=1
	s_or_b32 exec_lo, exec_lo, s26
	v_mov_b32_e32 v12, v13
	s_or_not1_b32 s26, s27, exec_lo
	s_or_b32 s0, s0, exec_lo
	s_or_not1_b32 s25, s25, exec_lo
.LBB168_520:                            ;   in Loop: Header=BB168_507 Depth=1
	s_or_b32 exec_lo, exec_lo, s24
	s_and_saveexec_b32 s24, s25
	s_cbranch_execz .LBB168_505
; %bb.521:                              ;   in Loop: Header=BB168_507 Depth=1
	v_add_co_u32 v4, vcc_lo, v4, s34
	v_add_co_ci_u32_e32 v5, vcc_lo, s35, v5, vcc_lo
	s_xor_b32 s0, s0, -1
	s_or_b32 s26, s26, exec_lo
	s_or_not1_b32 s23, s0, exec_lo
	s_branch .LBB168_505
.LBB168_522:
	s_or_b32 exec_lo, exec_lo, s19
	s_mov_b32 s0, 0
	s_and_saveexec_b32 s1, s3
	s_delay_alu instid0(SALU_CYCLE_1)
	s_xor_b32 s1, exec_lo, s1
	s_cbranch_execnz .LBB168_554
.LBB168_523:
	s_or_b32 exec_lo, exec_lo, s1
	s_delay_alu instid0(SALU_CYCLE_1)
	s_and_b32 s19, s0, exec_lo
	s_and_not1_b32 s18, s18, exec_lo
.LBB168_524:
	s_or_b32 exec_lo, exec_lo, s4
	s_and_saveexec_b32 s0, s18
	s_delay_alu instid0(SALU_CYCLE_1)
	s_xor_b32 s0, exec_lo, s0
	s_cbranch_execnz .LBB168_550
.LBB168_525:
	s_or_b32 exec_lo, exec_lo, s0
	s_waitcnt lgkmcnt(0)
	s_and_b32 s8, s19, exec_lo
.LBB168_526:
	s_and_not1_saveexec_b32 s0, s15
	s_cbranch_execnz .LBB168_546
.LBB168_527:
	s_or_b32 exec_lo, exec_lo, s0
	s_delay_alu instid0(SALU_CYCLE_1)
	s_and_b32 s8, s8, exec_lo
.LBB168_528:
	s_and_not1_saveexec_b32 s0, s14
	s_cbranch_execnz .LBB168_542
.LBB168_529:
	s_or_b32 exec_lo, exec_lo, s0
	s_delay_alu instid0(SALU_CYCLE_1)
	s_and_b32 s8, s8, exec_lo
.LBB168_530:
	s_and_not1_saveexec_b32 s0, s13
	s_cbranch_execnz .LBB168_538
.LBB168_531:
	s_or_b32 exec_lo, exec_lo, s0
	s_delay_alu instid0(SALU_CYCLE_1)
	s_and_b32 s8, s8, exec_lo
.LBB168_532:
	s_and_not1_saveexec_b32 s0, s12
	s_cbranch_execnz .LBB168_536
; %bb.533:
	s_or_b32 exec_lo, exec_lo, s0
	s_and_saveexec_b32 s0, s8
.LBB168_534:
	; divergent unreachable
.LBB168_535:
	s_nop 0
	s_sendmsg sendmsg(MSG_DEALLOC_VGPRS)
	s_endpgm
.LBB168_536:
	s_cbranch_execnz .LBB168_540
; %bb.537:
	s_or_b32 s8, s8, exec_lo
	s_or_b32 exec_lo, exec_lo, s0
	s_and_saveexec_b32 s0, s8
	s_cbranch_execnz .LBB168_534
	s_branch .LBB168_535
.LBB168_538:
	s_cbranch_execnz .LBB168_544
; %bb.539:
	s_or_b32 s8, s8, exec_lo
	s_branch .LBB168_531
.LBB168_540:
	s_trap 2
	s_sendmsg_rtn_b32 s0, sendmsg(MSG_RTN_GET_DOORBELL)
	s_mov_b32 ttmp2, m0
	s_waitcnt lgkmcnt(0)
	s_and_b32 s0, s0, 0x3ff
	s_delay_alu instid0(SALU_CYCLE_1) | instskip(NEXT) | instid1(SALU_CYCLE_1)
	s_bitset1_b32 s0, 10
	s_mov_b32 m0, s0
	s_sendmsg sendmsg(MSG_INTERRUPT)
	s_mov_b32 m0, ttmp2
.LBB168_541:                            ; =>This Inner Loop Header: Depth=1
	s_sethalt 5
	s_branch .LBB168_541
.LBB168_542:
	s_cbranch_execnz .LBB168_548
; %bb.543:
	s_or_b32 s8, s8, exec_lo
	s_branch .LBB168_529
.LBB168_544:
	s_trap 2
	s_sendmsg_rtn_b32 s0, sendmsg(MSG_RTN_GET_DOORBELL)
	s_mov_b32 ttmp2, m0
	s_waitcnt lgkmcnt(0)
	s_and_b32 s0, s0, 0x3ff
	s_delay_alu instid0(SALU_CYCLE_1) | instskip(NEXT) | instid1(SALU_CYCLE_1)
	s_bitset1_b32 s0, 10
	s_mov_b32 m0, s0
	s_sendmsg sendmsg(MSG_INTERRUPT)
	s_mov_b32 m0, ttmp2
.LBB168_545:                            ; =>This Inner Loop Header: Depth=1
	s_sethalt 5
	s_branch .LBB168_545
.LBB168_546:
	s_cbranch_execnz .LBB168_552
; %bb.547:
	s_or_b32 s8, s8, exec_lo
	s_branch .LBB168_527
.LBB168_548:
	s_trap 2
	s_sendmsg_rtn_b32 s0, sendmsg(MSG_RTN_GET_DOORBELL)
	s_mov_b32 ttmp2, m0
	s_waitcnt lgkmcnt(0)
	s_and_b32 s0, s0, 0x3ff
	s_delay_alu instid0(SALU_CYCLE_1) | instskip(NEXT) | instid1(SALU_CYCLE_1)
	s_bitset1_b32 s0, 10
	s_mov_b32 m0, s0
	s_sendmsg sendmsg(MSG_INTERRUPT)
	s_mov_b32 m0, ttmp2
.LBB168_549:                            ; =>This Inner Loop Header: Depth=1
	s_sethalt 5
	s_branch .LBB168_549
.LBB168_550:
	s_cbranch_execnz .LBB168_556
; %bb.551:
	s_or_b32 s19, s19, exec_lo
	s_branch .LBB168_525
.LBB168_552:
	s_trap 2
	s_sendmsg_rtn_b32 s0, sendmsg(MSG_RTN_GET_DOORBELL)
	s_mov_b32 ttmp2, m0
	s_waitcnt lgkmcnt(0)
	s_and_b32 s0, s0, 0x3ff
	s_delay_alu instid0(SALU_CYCLE_1) | instskip(NEXT) | instid1(SALU_CYCLE_1)
	s_bitset1_b32 s0, 10
	s_mov_b32 m0, s0
	s_sendmsg sendmsg(MSG_INTERRUPT)
	s_mov_b32 m0, ttmp2
.LBB168_553:                            ; =>This Inner Loop Header: Depth=1
	s_sethalt 5
	s_branch .LBB168_553
.LBB168_554:
	s_cbranch_execnz .LBB168_558
; %bb.555:
	s_mov_b32 s0, exec_lo
	s_branch .LBB168_523
.LBB168_556:
	s_trap 2
	s_sendmsg_rtn_b32 s0, sendmsg(MSG_RTN_GET_DOORBELL)
	s_mov_b32 ttmp2, m0
	s_waitcnt lgkmcnt(0)
	s_and_b32 s0, s0, 0x3ff
	s_delay_alu instid0(SALU_CYCLE_1) | instskip(NEXT) | instid1(SALU_CYCLE_1)
	s_bitset1_b32 s0, 10
	s_mov_b32 m0, s0
	s_sendmsg sendmsg(MSG_INTERRUPT)
	s_mov_b32 m0, ttmp2
.LBB168_557:                            ; =>This Inner Loop Header: Depth=1
	s_sethalt 5
	s_branch .LBB168_557
.LBB168_558:
	s_trap 2
	s_sendmsg_rtn_b32 s0, sendmsg(MSG_RTN_GET_DOORBELL)
	s_mov_b32 ttmp2, m0
	s_waitcnt lgkmcnt(0)
	s_and_b32 s0, s0, 0x3ff
	s_delay_alu instid0(SALU_CYCLE_1) | instskip(NEXT) | instid1(SALU_CYCLE_1)
	s_bitset1_b32 s0, 10
	s_mov_b32 m0, s0
	s_sendmsg sendmsg(MSG_INTERRUPT)
	s_mov_b32 m0, ttmp2
.LBB168_559:                            ; =>This Inner Loop Header: Depth=1
	s_sethalt 5
	s_branch .LBB168_559
	.section	.rodata,"a",@progbits
	.p2align	6, 0x0
	.amdhsa_kernel _ZN2at6native6sbtopk10gatherTopKIsmLi1ELb0EEEvNS_4cuda6detail10TensorInfoIKT_T0_EES8_S8_bS8_S8_NS5_IS6_S8_EES8_NS5_IlS8_EES8_PS6_
		.amdhsa_group_segment_fixed_size 5152
		.amdhsa_private_segment_fixed_size 0
		.amdhsa_kernarg_size 1568
		.amdhsa_user_sgpr_count 13
		.amdhsa_user_sgpr_dispatch_ptr 0
		.amdhsa_user_sgpr_queue_ptr 0
		.amdhsa_user_sgpr_kernarg_segment_ptr 1
		.amdhsa_user_sgpr_dispatch_id 0
		.amdhsa_user_sgpr_private_segment_size 0
		.amdhsa_wavefront_size32 1
		.amdhsa_uses_dynamic_stack 0
		.amdhsa_enable_private_segment 0
		.amdhsa_system_sgpr_workgroup_id_x 1
		.amdhsa_system_sgpr_workgroup_id_y 1
		.amdhsa_system_sgpr_workgroup_id_z 1
		.amdhsa_system_sgpr_workgroup_info 0
		.amdhsa_system_vgpr_workitem_id 0
		.amdhsa_next_free_vgpr 45
		.amdhsa_next_free_sgpr 105
		.amdhsa_reserve_vcc 1
		.amdhsa_float_round_mode_32 0
		.amdhsa_float_round_mode_16_64 0
		.amdhsa_float_denorm_mode_32 3
		.amdhsa_float_denorm_mode_16_64 3
		.amdhsa_dx10_clamp 1
		.amdhsa_ieee_mode 1
		.amdhsa_fp16_overflow 0
		.amdhsa_workgroup_processor_mode 1
		.amdhsa_memory_ordered 1
		.amdhsa_forward_progress 0
		.amdhsa_shared_vgpr_count 0
		.amdhsa_exception_fp_ieee_invalid_op 0
		.amdhsa_exception_fp_denorm_src 0
		.amdhsa_exception_fp_ieee_div_zero 0
		.amdhsa_exception_fp_ieee_overflow 0
		.amdhsa_exception_fp_ieee_underflow 0
		.amdhsa_exception_fp_ieee_inexact 0
		.amdhsa_exception_int_div_zero 0
	.end_amdhsa_kernel
	.section	.text._ZN2at6native6sbtopk10gatherTopKIsmLi1ELb0EEEvNS_4cuda6detail10TensorInfoIKT_T0_EES8_S8_bS8_S8_NS5_IS6_S8_EES8_NS5_IlS8_EES8_PS6_,"axG",@progbits,_ZN2at6native6sbtopk10gatherTopKIsmLi1ELb0EEEvNS_4cuda6detail10TensorInfoIKT_T0_EES8_S8_bS8_S8_NS5_IS6_S8_EES8_NS5_IlS8_EES8_PS6_,comdat
.Lfunc_end168:
	.size	_ZN2at6native6sbtopk10gatherTopKIsmLi1ELb0EEEvNS_4cuda6detail10TensorInfoIKT_T0_EES8_S8_bS8_S8_NS5_IS6_S8_EES8_NS5_IlS8_EES8_PS6_, .Lfunc_end168-_ZN2at6native6sbtopk10gatherTopKIsmLi1ELb0EEEvNS_4cuda6detail10TensorInfoIKT_T0_EES8_S8_bS8_S8_NS5_IS6_S8_EES8_NS5_IlS8_EES8_PS6_
                                        ; -- End function
	.section	.AMDGPU.csdata,"",@progbits
; Kernel info:
; codeLenInByte = 28496
; NumSgprs: 107
; NumVgprs: 45
; ScratchSize: 0
; MemoryBound: 0
; FloatMode: 240
; IeeeMode: 1
; LDSByteSize: 5152 bytes/workgroup (compile time only)
; SGPRBlocks: 13
; VGPRBlocks: 5
; NumSGPRsForWavesPerEU: 107
; NumVGPRsForWavesPerEU: 45
; Occupancy: 16
; WaveLimiterHint : 1
; COMPUTE_PGM_RSRC2:SCRATCH_EN: 0
; COMPUTE_PGM_RSRC2:USER_SGPR: 13
; COMPUTE_PGM_RSRC2:TRAP_HANDLER: 0
; COMPUTE_PGM_RSRC2:TGID_X_EN: 1
; COMPUTE_PGM_RSRC2:TGID_Y_EN: 1
; COMPUTE_PGM_RSRC2:TGID_Z_EN: 1
; COMPUTE_PGM_RSRC2:TIDIG_COMP_CNT: 0
	.section	.text._ZN2at6native6mbtopk23computeBlockDigitCountsIsmjLi2EEEvNS_4cuda6detail10TensorInfoIKT_T0_EEjPjjS8_iijT1_PSB_Ps,"axG",@progbits,_ZN2at6native6mbtopk23computeBlockDigitCountsIsmjLi2EEEvNS_4cuda6detail10TensorInfoIKT_T0_EEjPjjS8_iijT1_PSB_Ps,comdat
	.protected	_ZN2at6native6mbtopk23computeBlockDigitCountsIsmjLi2EEEvNS_4cuda6detail10TensorInfoIKT_T0_EEjPjjS8_iijT1_PSB_Ps ; -- Begin function _ZN2at6native6mbtopk23computeBlockDigitCountsIsmjLi2EEEvNS_4cuda6detail10TensorInfoIKT_T0_EEjPjjS8_iijT1_PSB_Ps
	.globl	_ZN2at6native6mbtopk23computeBlockDigitCountsIsmjLi2EEEvNS_4cuda6detail10TensorInfoIKT_T0_EEjPjjS8_iijT1_PSB_Ps
	.p2align	8
	.type	_ZN2at6native6mbtopk23computeBlockDigitCountsIsmjLi2EEEvNS_4cuda6detail10TensorInfoIKT_T0_EEjPjjS8_iijT1_PSB_Ps,@function
_ZN2at6native6mbtopk23computeBlockDigitCountsIsmjLi2EEEvNS_4cuda6detail10TensorInfoIKT_T0_EEjPjjS8_iijT1_PSB_Ps: ; @_ZN2at6native6mbtopk23computeBlockDigitCountsIsmjLi2EEEvNS_4cuda6detail10TensorInfoIKT_T0_EEjPjjS8_iijT1_PSB_Ps
; %bb.0:
	s_clause 0x2
	s_load_b128 s[8:11], s[0:1], 0x1c0
	s_load_b32 s5, s[0:1], 0x1b0
	s_load_b64 s[2:3], s[0:1], 0x1e0
	s_waitcnt lgkmcnt(0)
	v_cvt_f32_u32_e32 v1, s10
	s_sub_i32 s6, 0, s10
	s_mul_i32 s3, s3, s15
	s_delay_alu instid0(SALU_CYCLE_1) | instskip(NEXT) | instid1(VALU_DEP_1)
	s_add_i32 s3, s3, s14
	v_rcp_iflag_f32_e32 v1, v1
	s_mul_i32 s16, s3, s2
	s_delay_alu instid0(SALU_CYCLE_1) | instskip(SKIP_3) | instid1(VALU_DEP_1)
	s_add_i32 s16, s16, s13
	s_mov_b32 s13, 0
	s_waitcnt_depctr 0xfff
	v_mul_f32_e32 v1, 0x4f7ffffe, v1
	v_cvt_u32_f32_e32 v1, v1
	s_delay_alu instid0(VALU_DEP_1) | instskip(NEXT) | instid1(VALU_DEP_1)
	v_readfirstlane_b32 s4, v1
	s_mul_i32 s6, s6, s4
	s_delay_alu instid0(SALU_CYCLE_1) | instskip(NEXT) | instid1(SALU_CYCLE_1)
	s_mul_hi_u32 s2, s4, s6
	s_add_i32 s4, s4, s2
	s_delay_alu instid0(SALU_CYCLE_1) | instskip(NEXT) | instid1(SALU_CYCLE_1)
	s_mul_hi_u32 s2, s16, s4
	s_mul_i32 s3, s2, s10
	s_add_i32 s4, s2, 1
	s_sub_i32 s3, s16, s3
	s_delay_alu instid0(SALU_CYCLE_1)
	s_sub_i32 s6, s3, s10
	s_cmp_ge_u32 s3, s10
	s_cselect_b32 s2, s4, s2
	s_cselect_b32 s3, s6, s3
	s_add_i32 s4, s2, 1
	s_cmp_ge_u32 s3, s10
	s_cselect_b32 s12, s4, s2
	s_delay_alu instid0(SALU_CYCLE_1)
	s_cmp_ge_u32 s12, s5
	s_cbranch_scc1 .LBB169_25
; %bb.1:
	s_clause 0x1
	s_load_b64 s[2:3], s[0:1], 0x10
	s_load_b128 s[4:7], s[0:1], 0x1d0
	s_lshl_b64 s[14:15], s[12:13], 2
	s_waitcnt lgkmcnt(0)
	v_cmp_lt_u64_e64 s17, s[12:13], s[2:3]
	s_add_u32 s14, s4, s14
	s_addc_u32 s15, s5, s15
	s_mov_b64 s[4:5], 0
	s_delay_alu instid0(VALU_DEP_1)
	s_and_b32 vcc_lo, exec_lo, s17
	s_cbranch_vccnz .LBB169_3
; %bb.2:
	v_cvt_f32_u32_e32 v1, s2
	s_sub_i32 s5, 0, s2
	s_delay_alu instid0(VALU_DEP_1) | instskip(SKIP_2) | instid1(VALU_DEP_1)
	v_rcp_iflag_f32_e32 v1, v1
	s_waitcnt_depctr 0xfff
	v_mul_f32_e32 v1, 0x4f7ffffe, v1
	v_cvt_u32_f32_e32 v1, v1
	s_delay_alu instid0(VALU_DEP_1) | instskip(NEXT) | instid1(VALU_DEP_1)
	v_readfirstlane_b32 s4, v1
	s_mul_i32 s5, s5, s4
	s_delay_alu instid0(SALU_CYCLE_1) | instskip(NEXT) | instid1(SALU_CYCLE_1)
	s_mul_hi_u32 s5, s4, s5
	s_add_i32 s4, s4, s5
	s_delay_alu instid0(SALU_CYCLE_1) | instskip(NEXT) | instid1(SALU_CYCLE_1)
	s_mul_hi_u32 s4, s12, s4
	s_mul_i32 s5, s4, s2
	s_add_i32 s13, s4, 1
	s_sub_i32 s5, s12, s5
	s_delay_alu instid0(SALU_CYCLE_1)
	s_sub_i32 s17, s5, s2
	s_cmp_ge_u32 s5, s2
	s_cselect_b32 s4, s13, s4
	s_cselect_b32 s5, s17, s5
	s_add_i32 s13, s4, 1
	s_cmp_ge_u32 s5, s2
	s_cselect_b32 s4, s13, s4
.LBB169_3:
	v_cmp_gt_u32_e32 vcc_lo, 0x100, v0
	v_lshlrev_b32_e32 v1, 2, v0
	s_and_saveexec_b32 s5, vcc_lo
	s_cbranch_execz .LBB169_5
; %bb.4:
	v_mov_b32_e32 v2, 0
	ds_store_b32 v1, v2
.LBB169_5:
	s_or_b32 exec_lo, exec_lo, s5
	s_load_b32 s5, s[0:1], 0x1a0
	s_mul_i32 s13, s12, s10
	s_waitcnt lgkmcnt(0)
	s_sub_i32 s13, s16, s13
	s_barrier
	s_mul_i32 s17, s9, s13
	s_add_i32 s13, s13, 1
	s_lshl_b32 s17, s17, 8
	buffer_gl0_inv
	s_sub_i32 s18, s5, s17
	s_delay_alu instid0(SALU_CYCLE_1) | instskip(SKIP_4) | instid1(VALU_DEP_1)
	s_add_u32 s18, s18, 0xff
	s_addc_u32 s19, 0, 0
	s_cmp_lt_u32 s13, s10
	v_alignbit_b32 v2, s19, s18, 8
	s_mov_b32 s13, 0
	v_readfirstlane_b32 s18, v2
	s_delay_alu instid0(VALU_DEP_1) | instskip(NEXT) | instid1(SALU_CYCLE_1)
	s_cselect_b32 s10, s9, s18
	s_cmp_lt_i32 s10, 1
	s_cbranch_scc1 .LBB169_21
; %bb.6:
	s_clause 0x1
	s_load_b128 s[20:23], s[0:1], 0xd0
	s_load_b64 s[18:19], s[0:1], 0x0
	s_load_b32 s9, s[14:15], 0x0
	s_mul_i32 s14, s4, s3
	s_mul_hi_u32 s15, s4, s2
	s_mul_i32 s24, s4, s2
	s_load_b64 s[2:3], s[0:1], 0x1b8
	s_add_i32 s15, s15, s14
	s_sub_u32 s0, s12, s24
	s_subb_u32 s1, 0, s15
	v_add_nc_u32_e32 v2, s17, v0
	s_waitcnt lgkmcnt(0)
	s_mul_i32 s15, s4, s21
	s_mul_hi_u32 s21, s4, s20
	s_mul_i32 s12, s0, s23
	s_mul_hi_u32 s23, s0, s22
	s_mul_i32 s14, s4, s20
	s_add_i32 s15, s21, s15
	s_mul_i32 s1, s1, s22
	s_add_i32 s4, s23, s12
	s_lshl_b64 s[14:15], s[14:15], 1
	s_mul_i32 s0, s0, s22
	s_add_i32 s1, s4, s1
	s_add_u32 s4, s18, s14
	s_addc_u32 s12, s19, s15
	s_lshl_b64 s[0:1], s[0:1], 1
	s_delay_alu instid0(SALU_CYCLE_1)
	s_add_u32 s4, s4, s0
	s_addc_u32 s12, s12, s1
	s_and_b32 s1, s8, 0xff
	s_cmp_eq_u32 s10, 1
	s_cbranch_scc1 .LBB169_16
; %bb.7:
	v_dual_mov_b32 v3, 1 :: v_dual_mov_b32 v4, v2
	s_and_b32 s8, s10, 0x7ffffffe
	s_branch .LBB169_9
.LBB169_8:                              ;   in Loop: Header=BB169_9 Depth=1
	s_or_b32 exec_lo, exec_lo, s14
	v_add_nc_u32_e32 v4, 0x200, v4
	s_add_i32 s13, s13, 2
	s_delay_alu instid0(SALU_CYCLE_1)
	s_cmp_eq_u32 s8, s13
	s_cbranch_scc1 .LBB169_15
.LBB169_9:                              ; =>This Inner Loop Header: Depth=1
	s_mov_b32 s14, exec_lo
	s_delay_alu instid0(VALU_DEP_1)
	v_cmpx_gt_u32_e64 s5, v4
	s_cbranch_execz .LBB169_12
; %bb.10:                               ;   in Loop: Header=BB169_9 Depth=1
	v_mad_u64_u32 v[5:6], null, v4, s2, 0
	s_delay_alu instid0(VALU_DEP_1) | instskip(NEXT) | instid1(VALU_DEP_1)
	v_mad_u64_u32 v[7:8], null, v4, s3, v[6:7]
	v_mov_b32_e32 v6, v7
	s_delay_alu instid0(VALU_DEP_1) | instskip(NEXT) | instid1(VALU_DEP_1)
	v_lshlrev_b64 v[5:6], 1, v[5:6]
	v_add_co_u32 v5, s0, s4, v5
	s_delay_alu instid0(VALU_DEP_1) | instskip(SKIP_3) | instid1(VALU_DEP_1)
	v_add_co_ci_u32_e64 v6, s0, s12, v6, s0
	global_load_i16 v5, v[5:6], off
	s_waitcnt vmcnt(0)
	v_add_nc_u32_e32 v5, 0x8000, v5
	v_xor_b32_e32 v6, s9, v5
	s_delay_alu instid0(VALU_DEP_1) | instskip(NEXT) | instid1(VALU_DEP_1)
	v_and_b32_e32 v6, s11, v6
	v_cmp_eq_u32_e64 s0, 0, v6
	s_delay_alu instid0(VALU_DEP_1)
	s_and_b32 exec_lo, exec_lo, s0
	s_cbranch_execz .LBB169_12
; %bb.11:                               ;   in Loop: Header=BB169_9 Depth=1
	v_bfe_u32 v5, v5, s1, 8
	s_delay_alu instid0(VALU_DEP_1)
	v_lshlrev_b32_e32 v5, 2, v5
	ds_add_u32 v5, v3
.LBB169_12:                             ;   in Loop: Header=BB169_9 Depth=1
	s_or_b32 exec_lo, exec_lo, s14
	v_add_nc_u32_e32 v5, 0x100, v4
	s_mov_b32 s14, exec_lo
	s_delay_alu instid0(VALU_DEP_1)
	v_cmpx_gt_u32_e64 s5, v5
	s_cbranch_execz .LBB169_8
; %bb.13:                               ;   in Loop: Header=BB169_9 Depth=1
	v_mad_u64_u32 v[6:7], null, v5, s2, 0
	s_delay_alu instid0(VALU_DEP_1) | instskip(NEXT) | instid1(VALU_DEP_1)
	v_mad_u64_u32 v[8:9], null, v5, s3, v[7:8]
	v_mov_b32_e32 v7, v8
	s_delay_alu instid0(VALU_DEP_1) | instskip(NEXT) | instid1(VALU_DEP_1)
	v_lshlrev_b64 v[5:6], 1, v[6:7]
	v_add_co_u32 v5, s0, s4, v5
	s_delay_alu instid0(VALU_DEP_1) | instskip(SKIP_3) | instid1(VALU_DEP_1)
	v_add_co_ci_u32_e64 v6, s0, s12, v6, s0
	global_load_i16 v5, v[5:6], off
	s_waitcnt vmcnt(0)
	v_add_nc_u32_e32 v5, 0x8000, v5
	v_xor_b32_e32 v6, s9, v5
	s_delay_alu instid0(VALU_DEP_1) | instskip(NEXT) | instid1(VALU_DEP_1)
	v_and_b32_e32 v6, s11, v6
	v_cmp_eq_u32_e64 s0, 0, v6
	s_delay_alu instid0(VALU_DEP_1)
	s_and_b32 exec_lo, exec_lo, s0
	s_cbranch_execz .LBB169_8
; %bb.14:                               ;   in Loop: Header=BB169_9 Depth=1
	v_bfe_u32 v5, v5, s1, 8
	s_delay_alu instid0(VALU_DEP_1)
	v_lshlrev_b32_e32 v5, 2, v5
	ds_add_u32 v5, v3
	s_branch .LBB169_8
.LBB169_15:
	s_lshl_b32 s13, s8, 8
.LBB169_16:
	s_bitcmp0_b32 s10, 0
	s_cbranch_scc1 .LBB169_21
; %bb.17:
	v_add_nc_u32_e32 v2, s13, v2
	s_delay_alu instid0(VALU_DEP_1) | instskip(NEXT) | instid1(VALU_DEP_1)
	v_cmp_gt_u32_e64 s0, s5, v2
	s_and_saveexec_b32 s5, s0
	s_cbranch_execz .LBB169_20
; %bb.18:
	v_mad_u64_u32 v[3:4], null, v2, s2, 0
	s_delay_alu instid0(VALU_DEP_1) | instskip(NEXT) | instid1(VALU_DEP_1)
	v_mad_u64_u32 v[5:6], null, v2, s3, v[4:5]
	v_mov_b32_e32 v4, v5
	s_delay_alu instid0(VALU_DEP_1) | instskip(NEXT) | instid1(VALU_DEP_1)
	v_lshlrev_b64 v[2:3], 1, v[3:4]
	v_add_co_u32 v2, s0, s4, v2
	s_delay_alu instid0(VALU_DEP_1) | instskip(SKIP_3) | instid1(VALU_DEP_1)
	v_add_co_ci_u32_e64 v3, s0, s12, v3, s0
	global_load_i16 v2, v[2:3], off
	s_waitcnt vmcnt(0)
	v_add_nc_u32_e32 v2, 0x8000, v2
	v_xor_b32_e32 v3, s9, v2
	s_delay_alu instid0(VALU_DEP_1) | instskip(NEXT) | instid1(VALU_DEP_1)
	v_and_b32_e32 v3, s11, v3
	v_cmp_eq_u32_e64 s0, 0, v3
	s_delay_alu instid0(VALU_DEP_1)
	s_and_b32 exec_lo, exec_lo, s0
	s_cbranch_execz .LBB169_20
; %bb.19:
	v_bfe_u32 v2, v2, s1, 8
	s_delay_alu instid0(VALU_DEP_1)
	v_dual_mov_b32 v3, 1 :: v_dual_lshlrev_b32 v2, 2, v2
	ds_add_u32 v2, v3
.LBB169_20:
	s_or_b32 exec_lo, exec_lo, s5
.LBB169_21:
	v_mov_b32_e32 v2, 0
	s_waitcnt lgkmcnt(0)
	s_barrier
	buffer_gl0_inv
	s_and_saveexec_b32 s0, vcc_lo
	s_cbranch_execz .LBB169_23
; %bb.22:
	ds_load_b32 v2, v1
.LBB169_23:
	s_or_b32 exec_lo, exec_lo, s0
	s_and_saveexec_b32 s0, vcc_lo
	s_cbranch_execz .LBB169_25
; %bb.24:
	v_lshl_or_b32 v0, s16, 8, v0
	v_mov_b32_e32 v1, 0
	s_delay_alu instid0(VALU_DEP_1) | instskip(NEXT) | instid1(VALU_DEP_1)
	v_lshlrev_b64 v[0:1], 1, v[0:1]
	v_add_co_u32 v0, vcc_lo, s6, v0
	s_delay_alu instid0(VALU_DEP_2)
	v_add_co_ci_u32_e32 v1, vcc_lo, s7, v1, vcc_lo
	s_waitcnt lgkmcnt(0)
	global_store_b16 v[0:1], v2, off
.LBB169_25:
	s_nop 0
	s_sendmsg sendmsg(MSG_DEALLOC_VGPRS)
	s_endpgm
	.section	.rodata,"a",@progbits
	.p2align	6, 0x0
	.amdhsa_kernel _ZN2at6native6mbtopk23computeBlockDigitCountsIsmjLi2EEEvNS_4cuda6detail10TensorInfoIKT_T0_EEjPjjS8_iijT1_PSB_Ps
		.amdhsa_group_segment_fixed_size 1024
		.amdhsa_private_segment_fixed_size 0
		.amdhsa_kernarg_size 736
		.amdhsa_user_sgpr_count 13
		.amdhsa_user_sgpr_dispatch_ptr 0
		.amdhsa_user_sgpr_queue_ptr 0
		.amdhsa_user_sgpr_kernarg_segment_ptr 1
		.amdhsa_user_sgpr_dispatch_id 0
		.amdhsa_user_sgpr_private_segment_size 0
		.amdhsa_wavefront_size32 1
		.amdhsa_uses_dynamic_stack 0
		.amdhsa_enable_private_segment 0
		.amdhsa_system_sgpr_workgroup_id_x 1
		.amdhsa_system_sgpr_workgroup_id_y 1
		.amdhsa_system_sgpr_workgroup_id_z 1
		.amdhsa_system_sgpr_workgroup_info 0
		.amdhsa_system_vgpr_workitem_id 0
		.amdhsa_next_free_vgpr 10
		.amdhsa_next_free_sgpr 25
		.amdhsa_reserve_vcc 1
		.amdhsa_float_round_mode_32 0
		.amdhsa_float_round_mode_16_64 0
		.amdhsa_float_denorm_mode_32 3
		.amdhsa_float_denorm_mode_16_64 3
		.amdhsa_dx10_clamp 1
		.amdhsa_ieee_mode 1
		.amdhsa_fp16_overflow 0
		.amdhsa_workgroup_processor_mode 1
		.amdhsa_memory_ordered 1
		.amdhsa_forward_progress 0
		.amdhsa_shared_vgpr_count 0
		.amdhsa_exception_fp_ieee_invalid_op 0
		.amdhsa_exception_fp_denorm_src 0
		.amdhsa_exception_fp_ieee_div_zero 0
		.amdhsa_exception_fp_ieee_overflow 0
		.amdhsa_exception_fp_ieee_underflow 0
		.amdhsa_exception_fp_ieee_inexact 0
		.amdhsa_exception_int_div_zero 0
	.end_amdhsa_kernel
	.section	.text._ZN2at6native6mbtopk23computeBlockDigitCountsIsmjLi2EEEvNS_4cuda6detail10TensorInfoIKT_T0_EEjPjjS8_iijT1_PSB_Ps,"axG",@progbits,_ZN2at6native6mbtopk23computeBlockDigitCountsIsmjLi2EEEvNS_4cuda6detail10TensorInfoIKT_T0_EEjPjjS8_iijT1_PSB_Ps,comdat
.Lfunc_end169:
	.size	_ZN2at6native6mbtopk23computeBlockDigitCountsIsmjLi2EEEvNS_4cuda6detail10TensorInfoIKT_T0_EEjPjjS8_iijT1_PSB_Ps, .Lfunc_end169-_ZN2at6native6mbtopk23computeBlockDigitCountsIsmjLi2EEEvNS_4cuda6detail10TensorInfoIKT_T0_EEjPjjS8_iijT1_PSB_Ps
                                        ; -- End function
	.section	.AMDGPU.csdata,"",@progbits
; Kernel info:
; codeLenInByte = 1288
; NumSgprs: 27
; NumVgprs: 10
; ScratchSize: 0
; MemoryBound: 0
; FloatMode: 240
; IeeeMode: 1
; LDSByteSize: 1024 bytes/workgroup (compile time only)
; SGPRBlocks: 3
; VGPRBlocks: 1
; NumSGPRsForWavesPerEU: 27
; NumVGPRsForWavesPerEU: 10
; Occupancy: 16
; WaveLimiterHint : 1
; COMPUTE_PGM_RSRC2:SCRATCH_EN: 0
; COMPUTE_PGM_RSRC2:USER_SGPR: 13
; COMPUTE_PGM_RSRC2:TRAP_HANDLER: 0
; COMPUTE_PGM_RSRC2:TGID_X_EN: 1
; COMPUTE_PGM_RSRC2:TGID_Y_EN: 1
; COMPUTE_PGM_RSRC2:TGID_Z_EN: 1
; COMPUTE_PGM_RSRC2:TIDIG_COMP_CNT: 0
	.section	.text._ZN2at6native6mbtopk10gatherTopKIsmLi2EEEvNS_4cuda6detail10TensorInfoIKT_T0_EES8_S8_bjS8_NS5_IS6_S8_EES8_NS5_IlS8_EES8_jjPS6_PjSD_j,"axG",@progbits,_ZN2at6native6mbtopk10gatherTopKIsmLi2EEEvNS_4cuda6detail10TensorInfoIKT_T0_EES8_S8_bjS8_NS5_IS6_S8_EES8_NS5_IlS8_EES8_jjPS6_PjSD_j,comdat
	.protected	_ZN2at6native6mbtopk10gatherTopKIsmLi2EEEvNS_4cuda6detail10TensorInfoIKT_T0_EES8_S8_bjS8_NS5_IS6_S8_EES8_NS5_IlS8_EES8_jjPS6_PjSD_j ; -- Begin function _ZN2at6native6mbtopk10gatherTopKIsmLi2EEEvNS_4cuda6detail10TensorInfoIKT_T0_EES8_S8_bjS8_NS5_IS6_S8_EES8_NS5_IlS8_EES8_jjPS6_PjSD_j
	.globl	_ZN2at6native6mbtopk10gatherTopKIsmLi2EEEvNS_4cuda6detail10TensorInfoIKT_T0_EES8_S8_bjS8_NS5_IS6_S8_EES8_NS5_IlS8_EES8_jjPS6_PjSD_j
	.p2align	8
	.type	_ZN2at6native6mbtopk10gatherTopKIsmLi2EEEvNS_4cuda6detail10TensorInfoIKT_T0_EES8_S8_bjS8_NS5_IS6_S8_EES8_NS5_IlS8_EES8_jjPS6_PjSD_j,@function
_ZN2at6native6mbtopk10gatherTopKIsmLi2EEEvNS_4cuda6detail10TensorInfoIKT_T0_EES8_S8_bjS8_NS5_IS6_S8_EES8_NS5_IlS8_EES8_jjPS6_PjSD_j: ; @_ZN2at6native6mbtopk10gatherTopKIsmLi2EEEvNS_4cuda6detail10TensorInfoIKT_T0_EES8_S8_bjS8_NS5_IS6_S8_EES8_NS5_IlS8_EES8_jjPS6_PjSD_j
; %bb.0:
	s_clause 0x1
	s_load_b64 s[2:3], s[0:1], 0x538
	s_load_b32 s4, s[0:1], 0x530
	s_waitcnt lgkmcnt(0)
	s_mul_i32 s3, s3, s15
	s_delay_alu instid0(SALU_CYCLE_1) | instskip(NEXT) | instid1(SALU_CYCLE_1)
	s_add_i32 s3, s3, s14
	s_mul_i32 s2, s3, s2
	s_delay_alu instid0(SALU_CYCLE_1) | instskip(NEXT) | instid1(SALU_CYCLE_1)
	s_add_i32 s2, s2, s13
	s_cmp_ge_u32 s2, s4
	s_cbranch_scc1 .LBB170_48
; %bb.1:
	s_clause 0x1
	s_load_b64 s[28:29], s[0:1], 0x510
	s_load_b64 s[38:39], s[0:1], 0x1d0
	s_mov_b32 s35, 0
	s_waitcnt lgkmcnt(0)
	v_cvt_f32_u32_e32 v1, s29
	s_sub_i32 s4, 0, s29
	s_lshl_b32 s33, s28, 8
	s_delay_alu instid0(VALU_DEP_1) | instskip(SKIP_2) | instid1(VALU_DEP_1)
	v_rcp_iflag_f32_e32 v1, v1
	s_waitcnt_depctr 0xfff
	v_mul_f32_e32 v1, 0x4f7ffffe, v1
	v_cvt_u32_f32_e32 v1, v1
	s_delay_alu instid0(VALU_DEP_1) | instskip(NEXT) | instid1(VALU_DEP_1)
	v_readfirstlane_b32 s3, v1
	s_mul_i32 s4, s4, s3
	s_delay_alu instid0(SALU_CYCLE_1) | instskip(NEXT) | instid1(SALU_CYCLE_1)
	s_mul_hi_u32 s4, s3, s4
	s_add_i32 s3, s3, s4
	s_clause 0x1
	s_load_b128 s[4:7], s[0:1], 0x1a0
	s_load_b64 s[36:37], s[0:1], 0x10
	s_mul_hi_u32 s3, s2, s3
	s_delay_alu instid0(SALU_CYCLE_1) | instskip(SKIP_2) | instid1(SALU_CYCLE_1)
	s_mul_i32 s8, s3, s29
	s_add_i32 s9, s3, 1
	s_sub_i32 s8, s2, s8
	s_sub_i32 s10, s8, s29
	s_cmp_ge_u32 s8, s29
	s_cselect_b32 s3, s9, s3
	s_cselect_b32 s8, s10, s8
	s_add_i32 s9, s3, 1
	s_cmp_ge_u32 s8, s29
	s_cselect_b32 s34, s9, s3
	s_delay_alu instid0(SALU_CYCLE_1) | instskip(NEXT) | instid1(SALU_CYCLE_1)
	s_mul_i32 s16, s34, s29
	s_sub_i32 s48, s2, s16
	s_delay_alu instid0(SALU_CYCLE_1) | instskip(NEXT) | instid1(SALU_CYCLE_1)
	s_add_i32 s2, s48, 1
	s_cmp_lt_u32 s2, s29
	s_cbranch_scc1 .LBB170_3
; %bb.2:
	s_mul_i32 s2, s48, s33
	s_waitcnt lgkmcnt(0)
	s_sub_u32 s2, s4, s2
	s_subb_u32 s3, s5, 0
	s_add_u32 s2, s2, 0xff
	s_addc_u32 s3, s3, 0
	s_delay_alu instid0(SALU_CYCLE_1) | instskip(NEXT) | instid1(SALU_CYCLE_1)
	s_ashr_i32 s8, s3, 31
	s_lshr_b32 s8, s8, 24
	s_delay_alu instid0(SALU_CYCLE_1) | instskip(SKIP_1) | instid1(SALU_CYCLE_1)
	s_add_u32 s2, s2, s8
	s_addc_u32 s3, s3, 0
	v_alignbit_b32 v1, s3, s2, 8
	s_delay_alu instid0(VALU_DEP_1)
	v_readfirstlane_b32 s28, v1
.LBB170_3:
	s_load_b64 s[40:41], s[0:1], 0x378
	s_waitcnt lgkmcnt(0)
	v_cmp_lt_u64_e64 s2, s[34:35], s[36:37]
	s_mov_b64 s[30:31], 0
	s_mov_b64 s[42:43], 0
	s_delay_alu instid0(VALU_DEP_1)
	s_and_b32 vcc_lo, exec_lo, s2
	s_cbranch_vccz .LBB170_20
; %bb.4:
	v_cmp_lt_u64_e64 s2, s[34:35], s[38:39]
	s_delay_alu instid0(VALU_DEP_1)
	s_and_b32 vcc_lo, exec_lo, s2
	s_cbranch_vccz .LBB170_21
.LBB170_5:
	v_cmp_lt_u64_e64 s2, s[34:35], s[40:41]
	s_mov_b64 s[44:45], 0
	s_delay_alu instid0(VALU_DEP_1)
	s_and_b32 vcc_lo, exec_lo, s2
	s_cbranch_vccnz .LBB170_7
.LBB170_6:
	v_cvt_f32_u32_e32 v1, s40
	s_sub_i32 s3, 0, s40
	s_waitcnt_depctr 0xfff
	v_rcp_iflag_f32_e32 v1, v1
	s_waitcnt_depctr 0xfff
	v_mul_f32_e32 v1, 0x4f7ffffe, v1
	s_delay_alu instid0(VALU_DEP_1) | instskip(NEXT) | instid1(VALU_DEP_1)
	v_cvt_u32_f32_e32 v1, v1
	v_readfirstlane_b32 s2, v1
	s_delay_alu instid0(VALU_DEP_1) | instskip(NEXT) | instid1(SALU_CYCLE_1)
	s_mul_i32 s3, s3, s2
	s_mul_hi_u32 s3, s2, s3
	s_delay_alu instid0(SALU_CYCLE_1) | instskip(NEXT) | instid1(SALU_CYCLE_1)
	s_add_i32 s2, s2, s3
	s_mul_hi_u32 s2, s34, s2
	s_delay_alu instid0(SALU_CYCLE_1) | instskip(SKIP_2) | instid1(SALU_CYCLE_1)
	s_mul_i32 s3, s2, s40
	s_add_i32 s8, s2, 1
	s_sub_i32 s3, s34, s3
	s_sub_i32 s9, s3, s40
	s_cmp_ge_u32 s3, s40
	s_cselect_b32 s2, s8, s2
	s_cselect_b32 s3, s9, s3
	s_add_i32 s8, s2, 1
	s_cmp_ge_u32 s3, s40
	s_cselect_b32 s44, s8, s2
.LBB170_7:
	s_clause 0x1
	s_load_b128 s[8:11], s[0:1], 0x518
	s_load_b64 s[46:47], s[0:1], 0x0
	s_lshl_b64 s[2:3], s[34:35], 1
	v_mov_b32_e32 v1, 0
	s_mov_b32 s17, 0
	s_waitcnt lgkmcnt(0)
	s_add_u32 s2, s8, s2
	s_addc_u32 s3, s9, s3
	global_load_u16 v8, v1, s[2:3]
	v_cmp_ne_u32_e64 s2, 0, v0
	v_cmp_eq_u32_e64 s3, 0, v0
	s_delay_alu instid0(VALU_DEP_1)
	s_and_saveexec_b32 s22, s3
	s_cbranch_execz .LBB170_25
; %bb.8:
	s_load_b64 s[8:9], s[0:1], 0x528
	s_lshl_b64 s[18:19], s[16:17], 2
	s_mov_b32 s16, 0
	s_add_u32 s12, s10, s18
	s_addc_u32 s13, s11, s19
	s_mov_b32 s23, 0
	s_waitcnt lgkmcnt(0)
	s_add_u32 s14, s8, s18
	s_addc_u32 s15, s9, s19
	s_cmp_lt_u32 s29, 4
	s_cbranch_scc1 .LBB170_22
; %bb.9:
	s_mov_b32 s24, 0
.LBB170_10:                             ; =>This Inner Loop Header: Depth=1
	s_add_u32 s12, s10, s18
	s_addc_u32 s13, s11, s19
	s_add_u32 s20, s8, s18
	s_load_b128 s[12:15], s[12:13], 0x0
	s_addc_u32 s21, s9, s19
	s_cmp_ge_u32 s24, s48
	s_cbranch_scc0 .LBB170_17
; %bb.11:                               ;   in Loop: Header=BB170_10 Depth=1
	s_add_i32 s25, s24, 1
	s_delay_alu instid0(SALU_CYCLE_1)
	s_cmp_ge_u32 s25, s48
	s_cbranch_scc0 .LBB170_18
.LBB170_12:                             ;   in Loop: Header=BB170_10 Depth=1
	s_add_i32 s25, s25, 1
	s_delay_alu instid0(SALU_CYCLE_1)
	s_cmp_ge_u32 s25, s48
	s_cbranch_scc0 .LBB170_19
.LBB170_13:                             ;   in Loop: Header=BB170_10 Depth=1
	s_add_i32 s25, s25, 1
	s_delay_alu instid0(SALU_CYCLE_1)
	s_cmp_ge_u32 s25, s48
	s_cbranch_scc1 .LBB170_15
.LBB170_14:                             ;   in Loop: Header=BB170_10 Depth=1
	s_load_b32 s20, s[20:21], 0xc
	s_waitcnt lgkmcnt(0)
	s_add_i32 s17, s17, s15
	s_add_i32 s16, s20, s16
.LBB170_15:                             ;   in Loop: Header=BB170_10 Depth=1
	s_waitcnt lgkmcnt(0)
	s_add_i32 s12, s12, s23
	s_delay_alu instid0(SALU_CYCLE_1) | instskip(NEXT) | instid1(SALU_CYCLE_1)
	s_add_i32 s12, s12, s13
	s_add_i32 s12, s12, s14
	s_delay_alu instid0(SALU_CYCLE_1)
	s_add_i32 s23, s12, s15
	s_add_u32 s10, s10, 16
	s_addc_u32 s11, s11, 0
	s_add_u32 s8, s8, 16
	s_addc_u32 s9, s9, 0
	s_add_i32 s21, s25, 4
	s_add_u32 s14, s8, s18
	s_addc_u32 s15, s9, s19
	s_add_u32 s12, s10, s18
	s_addc_u32 s13, s11, s19
	s_add_i32 s20, s25, 1
	s_cmp_ge_u32 s21, s29
	s_cbranch_scc1 .LBB170_23
; %bb.16:                               ;   in Loop: Header=BB170_10 Depth=1
	s_mov_b32 s24, s20
	s_branch .LBB170_10
.LBB170_17:                             ;   in Loop: Header=BB170_10 Depth=1
	s_load_b32 s25, s[20:21], 0x0
	s_waitcnt lgkmcnt(0)
	s_add_i32 s17, s12, s17
	s_add_i32 s16, s25, s16
	;; [unrolled: 1-line block ×3, first 2 shown]
	s_delay_alu instid0(SALU_CYCLE_1)
	s_cmp_ge_u32 s25, s48
	s_cbranch_scc1 .LBB170_12
.LBB170_18:                             ;   in Loop: Header=BB170_10 Depth=1
	s_load_b32 s26, s[20:21], 0x4
	s_waitcnt lgkmcnt(0)
	s_add_i32 s17, s17, s13
	s_add_i32 s16, s26, s16
	;; [unrolled: 1-line block ×3, first 2 shown]
	s_delay_alu instid0(SALU_CYCLE_1)
	s_cmp_ge_u32 s25, s48
	s_cbranch_scc1 .LBB170_13
.LBB170_19:                             ;   in Loop: Header=BB170_10 Depth=1
	s_load_b32 s26, s[20:21], 0x8
	s_waitcnt lgkmcnt(0)
	s_add_i32 s17, s17, s14
	s_add_i32 s16, s26, s16
	;; [unrolled: 1-line block ×3, first 2 shown]
	s_delay_alu instid0(SALU_CYCLE_1)
	s_cmp_ge_u32 s25, s48
	s_cbranch_scc0 .LBB170_14
	s_branch .LBB170_15
.LBB170_20:
	v_cvt_f32_u32_e32 v1, s36
	s_sub_i32 s3, 0, s36
	s_delay_alu instid0(VALU_DEP_1) | instskip(SKIP_2) | instid1(VALU_DEP_1)
	v_rcp_iflag_f32_e32 v1, v1
	s_waitcnt_depctr 0xfff
	v_mul_f32_e32 v1, 0x4f7ffffe, v1
	v_cvt_u32_f32_e32 v1, v1
	s_delay_alu instid0(VALU_DEP_1) | instskip(NEXT) | instid1(VALU_DEP_1)
	v_readfirstlane_b32 s2, v1
	s_mul_i32 s3, s3, s2
	s_delay_alu instid0(SALU_CYCLE_1) | instskip(NEXT) | instid1(SALU_CYCLE_1)
	s_mul_hi_u32 s3, s2, s3
	s_add_i32 s2, s2, s3
	s_delay_alu instid0(SALU_CYCLE_1) | instskip(NEXT) | instid1(SALU_CYCLE_1)
	s_mul_hi_u32 s2, s34, s2
	s_mul_i32 s3, s2, s36
	s_add_i32 s8, s2, 1
	s_sub_i32 s3, s34, s3
	s_delay_alu instid0(SALU_CYCLE_1)
	s_sub_i32 s9, s3, s36
	s_cmp_ge_u32 s3, s36
	s_cselect_b32 s2, s8, s2
	s_cselect_b32 s3, s9, s3
	s_add_i32 s8, s2, 1
	s_cmp_ge_u32 s3, s36
	s_cselect_b32 s42, s8, s2
	v_cmp_lt_u64_e64 s2, s[34:35], s[38:39]
	s_delay_alu instid0(VALU_DEP_1)
	s_and_b32 vcc_lo, exec_lo, s2
	s_cbranch_vccnz .LBB170_5
.LBB170_21:
	v_cvt_f32_u32_e32 v1, s38
	s_sub_i32 s3, 0, s38
	s_delay_alu instid0(VALU_DEP_1) | instskip(SKIP_2) | instid1(VALU_DEP_1)
	v_rcp_iflag_f32_e32 v1, v1
	s_waitcnt_depctr 0xfff
	v_mul_f32_e32 v1, 0x4f7ffffe, v1
	v_cvt_u32_f32_e32 v1, v1
	s_delay_alu instid0(VALU_DEP_1) | instskip(NEXT) | instid1(VALU_DEP_1)
	v_readfirstlane_b32 s2, v1
	s_mul_i32 s3, s3, s2
	s_delay_alu instid0(SALU_CYCLE_1) | instskip(NEXT) | instid1(SALU_CYCLE_1)
	s_mul_hi_u32 s3, s2, s3
	s_add_i32 s2, s2, s3
	s_delay_alu instid0(SALU_CYCLE_1) | instskip(NEXT) | instid1(SALU_CYCLE_1)
	s_mul_hi_u32 s2, s34, s2
	s_mul_i32 s3, s2, s38
	s_add_i32 s8, s2, 1
	s_sub_i32 s3, s34, s3
	s_delay_alu instid0(SALU_CYCLE_1)
	s_sub_i32 s9, s3, s38
	s_cmp_ge_u32 s3, s38
	s_cselect_b32 s2, s8, s2
	s_cselect_b32 s3, s9, s3
	s_add_i32 s8, s2, 1
	s_cmp_ge_u32 s3, s38
	s_cselect_b32 s30, s8, s2
	v_cmp_lt_u64_e64 s2, s[34:35], s[40:41]
	s_mov_b64 s[44:45], 0
	s_delay_alu instid0(VALU_DEP_1)
	s_and_b32 vcc_lo, exec_lo, s2
	s_cbranch_vccz .LBB170_6
	s_branch .LBB170_7
.LBB170_22:
	s_mov_b32 s8, 0
	s_delay_alu instid0(SALU_CYCLE_1)
	s_cmp_ge_u32 s8, s29
	s_cbranch_scc0 .LBB170_46
	s_branch .LBB170_24
.LBB170_23:
	s_add_i32 s8, s24, 4
	s_delay_alu instid0(SALU_CYCLE_1)
	s_cmp_ge_u32 s8, s29
	s_cbranch_scc0 .LBB170_46
.LBB170_24:
	v_dual_mov_b32 v1, s16 :: v_dual_mov_b32 v2, s23
	v_dual_mov_b32 v3, s17 :: v_dual_mov_b32 v4, 0
	ds_store_b96 v4, v[1:3] offset:1056
.LBB170_25:
	s_or_b32 exec_lo, exec_lo, s22
	s_clause 0x4
	s_load_b128 s[8:11], s[0:1], 0x1b8
	s_load_b128 s[24:27], s[0:1], 0xd0
	;; [unrolled: 1-line block ×5, first 2 shown]
	s_cmp_eq_u32 s28, 0
	s_waitcnt vmcnt(0) lgkmcnt(0)
	s_barrier
	buffer_gl0_inv
	s_cbranch_scc1 .LBB170_48
; %bb.26:
	s_mul_i32 s29, s30, s39
	s_mul_hi_u32 s31, s30, s38
	s_mul_i32 s35, s30, s38
	s_add_i32 s31, s31, s29
	s_sub_u32 s29, s34, s35
	s_subb_u32 s31, 0, s31
	s_mul_i32 s23, s29, s23
	s_mul_hi_u32 s35, s29, s22
	s_mul_i32 s31, s31, s22
	s_add_i32 s23, s35, s23
	s_mul_i32 s21, s30, s21
	s_mul_hi_u32 s35, s30, s20
	s_add_i32 s23, s23, s31
	s_add_i32 s21, s35, s21
	s_mul_i32 s31, s42, s37
	s_mul_hi_u32 s35, s42, s36
	s_mul_i32 s36, s42, s36
	s_add_i32 s35, s35, s31
	s_sub_u32 s31, s34, s36
	s_mul_i32 s22, s29, s22
	s_mul_i32 s27, s31, s27
	s_mul_hi_u32 s29, s31, s26
	s_subb_u32 s35, 0, s35
	s_add_i32 s27, s29, s27
	s_mul_i32 s35, s35, s26
	s_mul_i32 s25, s42, s25
	s_mul_hi_u32 s29, s42, s24
	s_add_i32 s27, s27, s35
	s_add_i32 s25, s29, s25
	s_mul_i32 s29, s44, s41
	s_mul_hi_u32 s35, s44, s40
	s_mul_i32 s36, s44, s40
	s_add_i32 s35, s35, s29
	s_sub_u32 s29, s34, s36
	s_mul_i32 s26, s31, s26
	s_mul_i32 s19, s29, s19
	s_mul_hi_u32 s31, s29, s18
	s_subb_u32 s34, 0, s35
	v_mov_b32_e32 v5, 0
	v_bfe_i32 v4, v8, 0, 16
	s_add_i32 s19, s31, s19
	s_mul_i32 s34, s34, s18
	s_mul_i32 s24, s42, s24
	s_add_i32 s31, s19, s34
	s_mul_i32 s17, s44, s17
	s_mul_hi_u32 s19, s44, s16
	s_lshl_b64 s[24:25], s[24:25], 1
	v_add_nc_u32_e32 v9, 0x8000, v4
	v_add_nc_u32_e32 v4, -1, v0
	ds_load_b96 v[1:3], v5 offset:1056
	s_add_i32 s35, s19, s17
	s_add_u32 s17, s46, s24
	s_addc_u32 s19, s47, s25
	s_lshl_b64 s[24:25], s[26:27], 1
	s_mul_i32 s20, s30, s20
	s_add_u32 s17, s17, s24
	s_addc_u32 s19, s19, s25
	s_lshl_b64 s[20:21], s[20:21], 1
	s_mul_i32 s34, s44, s16
	;; [unrolled: 4-line block ×3, first 2 shown]
	s_add_u32 s16, s20, s10
	s_addc_u32 s20, s21, s11
	s_lshl_b64 s[10:11], s[34:35], 3
	s_load_b32 s18, s[0:1], 0x1b0
	s_add_u32 s14, s14, s10
	s_addc_u32 s15, s15, s11
	s_lshl_b64 s[10:11], s[30:31], 3
	s_waitcnt lgkmcnt(0)
	v_add_nc_u32_e32 v1, v1, v2
	s_add_u32 s14, s14, s10
	s_addc_u32 s15, s15, s11
	s_load_b64 s[10:11], s[0:1], 0x508
	v_lshrrev_b32_e32 v2, 5, v0
	v_mad_u64_u32 v[6:7], null, s48, s33, v[0:1]
	v_lshlrev_b32_e32 v12, 3, v0
	v_lshrrev_b32_e32 v13, 2, v0
	v_lshrrev_b32_e32 v14, 5, v4
	v_mbcnt_lo_u32_b32 v10, -1, 0
	v_add_lshl_u32 v11, v2, v0, 2
	v_cmp_gt_u32_e64 s0, 32, v0
	v_add_lshl_u32 v0, v13, v12, 2
	v_add_lshl_u32 v12, v14, v4, 2
	v_and_b32_e32 v13, 15, v10
	v_bfe_i32 v14, v10, 4, 1
	v_dual_mov_b32 v4, v6 :: v_dual_add_nc_u32 v15, -1, v10
	s_bitcmp1_b32 s18, 0
                                        ; implicit-def: $vgpr16
	s_cselect_b32 s1, -1, 0
	s_branch .LBB170_29
.LBB170_27:                             ;   in Loop: Header=BB170_29 Depth=1
	s_or_b32 exec_lo, exec_lo, s18
	v_add_nc_u32_e32 v1, v2, v1
.LBB170_28:                             ;   in Loop: Header=BB170_29 Depth=1
	v_add_nc_u32_e32 v3, v17, v3
	v_add_nc_u32_e32 v4, 0x100, v4
	s_add_i32 s28, s28, -1
	s_delay_alu instid0(SALU_CYCLE_1)
	s_cmp_lg_u32 s28, 0
	s_cbranch_scc0 .LBB170_48
.LBB170_29:                             ; =>This Inner Loop Header: Depth=1
	v_mov_b32_e32 v2, v5
	v_mov_b32_e32 v6, v5
	s_mov_b32 s18, exec_lo
	v_cmpx_gt_u64_e64 s[4:5], v[4:5]
	s_cbranch_execz .LBB170_31
; %bb.30:                               ;   in Loop: Header=BB170_29 Depth=1
	v_mad_u64_u32 v[6:7], null, v4, s8, 0
	s_delay_alu instid0(VALU_DEP_1) | instskip(NEXT) | instid1(VALU_DEP_1)
	v_mov_b32_e32 v2, v7
	v_mad_u64_u32 v[16:17], null, v4, s9, v[2:3]
	s_delay_alu instid0(VALU_DEP_1) | instskip(NEXT) | instid1(VALU_DEP_1)
	v_mov_b32_e32 v7, v16
	v_lshlrev_b64 v[6:7], 1, v[6:7]
	s_delay_alu instid0(VALU_DEP_1) | instskip(NEXT) | instid1(VALU_DEP_2)
	v_add_co_u32 v6, vcc_lo, s17, v6
	v_add_co_ci_u32_e32 v7, vcc_lo, s19, v7, vcc_lo
	global_load_u16 v16, v[6:7], off
	s_waitcnt vmcnt(0)
	v_bfe_i32 v2, v16, 0, 16
	s_delay_alu instid0(VALU_DEP_1) | instskip(NEXT) | instid1(VALU_DEP_1)
	v_add_nc_u32_e32 v2, 0x8000, v2
	v_cmp_gt_u32_e32 vcc_lo, v2, v9
	v_cndmask_b32_e64 v6, 0, 1, vcc_lo
	v_cmp_lt_u32_e32 vcc_lo, v2, v9
	v_cndmask_b32_e64 v2, 0, 1, vcc_lo
	v_cmp_eq_u16_e32 vcc_lo, v16, v8
	s_delay_alu instid0(VALU_DEP_2) | instskip(SKIP_1) | instid1(VALU_DEP_2)
	v_cndmask_b32_e64 v2, v2, v6, s1
	v_cndmask_b32_e64 v6, 0, 1, vcc_lo
	v_and_b32_e32 v2, 1, v2
.LBB170_31:                             ;   in Loop: Header=BB170_29 Depth=1
	s_or_b32 exec_lo, exec_lo, s18
	ds_store_b32 v11, v2
	s_waitcnt lgkmcnt(0)
	s_waitcnt_vscnt null, 0x0
	s_barrier
	buffer_gl0_inv
	s_and_saveexec_b32 s18, s0
	s_cbranch_execz .LBB170_33
; %bb.32:                               ;   in Loop: Header=BB170_29 Depth=1
	ds_load_2addr_b32 v[17:18], v0 offset1:1
	ds_load_2addr_b32 v[19:20], v0 offset0:2 offset1:3
	ds_load_2addr_b32 v[21:22], v0 offset0:4 offset1:5
	;; [unrolled: 1-line block ×3, first 2 shown]
	v_cmp_ne_u32_e32 vcc_lo, 0, v13
	; wave barrier
	s_waitcnt lgkmcnt(3)
	v_add_nc_u32_e32 v7, v18, v17
	s_waitcnt lgkmcnt(2)
	s_delay_alu instid0(VALU_DEP_1) | instskip(SKIP_1) | instid1(VALU_DEP_1)
	v_add3_u32 v7, v7, v19, v20
	s_waitcnt lgkmcnt(1)
	v_add3_u32 v7, v7, v21, v22
	s_waitcnt lgkmcnt(0)
	s_delay_alu instid0(VALU_DEP_1) | instskip(NEXT) | instid1(VALU_DEP_1)
	v_add3_u32 v7, v7, v23, v24
	v_mov_b32_dpp v18, v7 row_shr:1 row_mask:0xf bank_mask:0xf
	s_delay_alu instid0(VALU_DEP_1) | instskip(SKIP_1) | instid1(VALU_DEP_2)
	v_cndmask_b32_e32 v18, 0, v18, vcc_lo
	v_cmp_lt_u32_e32 vcc_lo, 1, v13
	v_add_nc_u32_e32 v7, v18, v7
	s_delay_alu instid0(VALU_DEP_1) | instskip(NEXT) | instid1(VALU_DEP_1)
	v_mov_b32_dpp v18, v7 row_shr:2 row_mask:0xf bank_mask:0xf
	v_cndmask_b32_e32 v18, 0, v18, vcc_lo
	v_cmp_lt_u32_e32 vcc_lo, 3, v13
	s_delay_alu instid0(VALU_DEP_2) | instskip(NEXT) | instid1(VALU_DEP_1)
	v_add_nc_u32_e32 v7, v7, v18
	v_mov_b32_dpp v18, v7 row_shr:4 row_mask:0xf bank_mask:0xf
	s_delay_alu instid0(VALU_DEP_1) | instskip(SKIP_1) | instid1(VALU_DEP_2)
	v_cndmask_b32_e32 v18, 0, v18, vcc_lo
	v_cmp_lt_u32_e32 vcc_lo, 7, v13
	v_add_nc_u32_e32 v7, v7, v18
	s_delay_alu instid0(VALU_DEP_1) | instskip(NEXT) | instid1(VALU_DEP_1)
	v_mov_b32_dpp v18, v7 row_shr:8 row_mask:0xf bank_mask:0xf
	v_cndmask_b32_e32 v18, 0, v18, vcc_lo
	v_cmp_gt_i32_e32 vcc_lo, 0, v15
	s_delay_alu instid0(VALU_DEP_2)
	v_add_nc_u32_e32 v7, v7, v18
	v_cndmask_b32_e32 v19, v15, v10, vcc_lo
	ds_swizzle_b32 v18, v7 offset:swizzle(BROADCAST,32,15)
	v_lshlrev_b32_e32 v19, 2, v19
	s_waitcnt lgkmcnt(0)
	v_and_b32_e32 v18, v14, v18
	s_delay_alu instid0(VALU_DEP_1) | instskip(SKIP_3) | instid1(VALU_DEP_1)
	v_add_nc_u32_e32 v7, v7, v18
	ds_bpermute_b32 v7, v19, v7
	s_waitcnt lgkmcnt(0)
	v_add_nc_u32_e32 v7, v7, v17
	v_cndmask_b32_e64 v7, v7, v2, s3
	ds_store_b32 v0, v7
	; wave barrier
	ds_load_2addr_b32 v[17:18], v0 offset0:1 offset1:2
	ds_load_2addr_b32 v[19:20], v0 offset0:3 offset1:4
	;; [unrolled: 1-line block ×3, first 2 shown]
	ds_load_b32 v23, v0 offset:28
	s_waitcnt lgkmcnt(3)
	v_add_nc_u32_e32 v7, v17, v7
	s_delay_alu instid0(VALU_DEP_1) | instskip(SKIP_1) | instid1(VALU_DEP_1)
	v_add_nc_u32_e32 v17, v18, v7
	s_waitcnt lgkmcnt(2)
	v_add_nc_u32_e32 v18, v19, v17
	s_delay_alu instid0(VALU_DEP_1) | instskip(SKIP_1) | instid1(VALU_DEP_1)
	v_add_nc_u32_e32 v19, v20, v18
	;; [unrolled: 4-line block ×3, first 2 shown]
	s_waitcnt lgkmcnt(0)
	v_add_nc_u32_e32 v22, v23, v21
	ds_store_2addr_b32 v0, v7, v17 offset0:1 offset1:2
	ds_store_2addr_b32 v0, v18, v19 offset0:3 offset1:4
	;; [unrolled: 1-line block ×3, first 2 shown]
	ds_store_b32 v0, v22 offset:28
.LBB170_33:                             ;   in Loop: Header=BB170_29 Depth=1
	s_or_b32 exec_lo, exec_lo, s18
	v_mov_b32_e32 v7, 0
	s_waitcnt lgkmcnt(0)
	s_barrier
	buffer_gl0_inv
	s_and_saveexec_b32 s18, s2
	s_cbranch_execz .LBB170_35
; %bb.34:                               ;   in Loop: Header=BB170_29 Depth=1
	ds_load_b32 v7, v12
.LBB170_35:                             ;   in Loop: Header=BB170_29 Depth=1
	s_or_b32 exec_lo, exec_lo, s18
	ds_load_b32 v17, v5 offset:1048
	s_mov_b32 s18, exec_lo
	s_waitcnt lgkmcnt(0)
	s_barrier
	buffer_gl0_inv
	v_cmpx_ne_u32_e32 0, v2
	s_cbranch_execz .LBB170_37
; %bb.36:                               ;   in Loop: Header=BB170_29 Depth=1
	v_add_nc_u32_e32 v24, v7, v3
	s_delay_alu instid0(VALU_DEP_1) | instskip(NEXT) | instid1(VALU_DEP_1)
	v_mad_u64_u32 v[20:21], null, v24, s10, 0
	v_mov_b32_e32 v7, v21
	v_mad_u64_u32 v[18:19], null, v24, s12, 0
	s_delay_alu instid0(VALU_DEP_1) | instskip(NEXT) | instid1(VALU_DEP_1)
	v_mov_b32_e32 v2, v19
	v_mad_u64_u32 v[21:22], null, v24, s13, v[2:3]
	s_delay_alu instid0(VALU_DEP_4) | instskip(NEXT) | instid1(VALU_DEP_2)
	v_mad_u64_u32 v[22:23], null, v24, s11, v[7:8]
	v_mov_b32_e32 v19, v21
	s_delay_alu instid0(VALU_DEP_2) | instskip(NEXT) | instid1(VALU_DEP_2)
	v_mov_b32_e32 v21, v22
	v_lshlrev_b64 v[18:19], 1, v[18:19]
	s_delay_alu instid0(VALU_DEP_2) | instskip(NEXT) | instid1(VALU_DEP_2)
	v_lshlrev_b64 v[20:21], 3, v[20:21]
	v_add_co_u32 v18, vcc_lo, s16, v18
	s_delay_alu instid0(VALU_DEP_3) | instskip(NEXT) | instid1(VALU_DEP_3)
	v_add_co_ci_u32_e32 v19, vcc_lo, s20, v19, vcc_lo
	v_add_co_u32 v20, vcc_lo, s14, v20
	s_delay_alu instid0(VALU_DEP_4)
	v_add_co_ci_u32_e32 v21, vcc_lo, s15, v21, vcc_lo
	global_store_b16 v[18:19], v16, off
	global_store_b64 v[20:21], v[4:5], off
.LBB170_37:                             ;   in Loop: Header=BB170_29 Depth=1
	s_or_b32 exec_lo, exec_lo, s18
	v_mov_b32_e32 v2, v5
	s_delay_alu instid0(VALU_DEP_1)
	v_cmp_le_u64_e32 vcc_lo, s[6:7], v[1:2]
	s_cbranch_vccnz .LBB170_28
; %bb.38:                               ;   in Loop: Header=BB170_29 Depth=1
	ds_store_b32 v11, v6
	s_waitcnt lgkmcnt(0)
	s_waitcnt_vscnt null, 0x0
	s_barrier
	buffer_gl0_inv
	s_and_saveexec_b32 s18, s0
	s_cbranch_execz .LBB170_40
; %bb.39:                               ;   in Loop: Header=BB170_29 Depth=1
	ds_load_2addr_b32 v[18:19], v0 offset1:1
	ds_load_2addr_b32 v[20:21], v0 offset0:2 offset1:3
	ds_load_2addr_b32 v[22:23], v0 offset0:4 offset1:5
	;; [unrolled: 1-line block ×3, first 2 shown]
	v_cmp_ne_u32_e32 vcc_lo, 0, v13
	; wave barrier
	s_waitcnt lgkmcnt(3)
	v_add_nc_u32_e32 v2, v19, v18
	s_waitcnt lgkmcnt(2)
	s_delay_alu instid0(VALU_DEP_1) | instskip(SKIP_1) | instid1(VALU_DEP_1)
	v_add3_u32 v2, v2, v20, v21
	s_waitcnt lgkmcnt(1)
	v_add3_u32 v2, v2, v22, v23
	s_waitcnt lgkmcnt(0)
	s_delay_alu instid0(VALU_DEP_1) | instskip(NEXT) | instid1(VALU_DEP_1)
	v_add3_u32 v2, v2, v24, v25
	v_mov_b32_dpp v7, v2 row_shr:1 row_mask:0xf bank_mask:0xf
	s_delay_alu instid0(VALU_DEP_1) | instskip(SKIP_1) | instid1(VALU_DEP_2)
	v_cndmask_b32_e32 v7, 0, v7, vcc_lo
	v_cmp_lt_u32_e32 vcc_lo, 1, v13
	v_add_nc_u32_e32 v2, v7, v2
	s_delay_alu instid0(VALU_DEP_1) | instskip(NEXT) | instid1(VALU_DEP_1)
	v_mov_b32_dpp v7, v2 row_shr:2 row_mask:0xf bank_mask:0xf
	v_cndmask_b32_e32 v7, 0, v7, vcc_lo
	v_cmp_lt_u32_e32 vcc_lo, 3, v13
	s_delay_alu instid0(VALU_DEP_2) | instskip(NEXT) | instid1(VALU_DEP_1)
	v_add_nc_u32_e32 v2, v2, v7
	v_mov_b32_dpp v7, v2 row_shr:4 row_mask:0xf bank_mask:0xf
	s_delay_alu instid0(VALU_DEP_1) | instskip(SKIP_1) | instid1(VALU_DEP_2)
	v_cndmask_b32_e32 v7, 0, v7, vcc_lo
	v_cmp_lt_u32_e32 vcc_lo, 7, v13
	v_add_nc_u32_e32 v2, v2, v7
	s_delay_alu instid0(VALU_DEP_1) | instskip(NEXT) | instid1(VALU_DEP_1)
	v_mov_b32_dpp v7, v2 row_shr:8 row_mask:0xf bank_mask:0xf
	v_cndmask_b32_e32 v7, 0, v7, vcc_lo
	v_cmp_gt_i32_e32 vcc_lo, 0, v15
	s_delay_alu instid0(VALU_DEP_2) | instskip(SKIP_4) | instid1(VALU_DEP_1)
	v_dual_cndmask_b32 v19, v15, v10 :: v_dual_add_nc_u32 v2, v2, v7
	ds_swizzle_b32 v7, v2 offset:swizzle(BROADCAST,32,15)
	v_lshlrev_b32_e32 v19, 2, v19
	s_waitcnt lgkmcnt(0)
	v_and_b32_e32 v7, v14, v7
	v_add_nc_u32_e32 v2, v2, v7
	ds_bpermute_b32 v2, v19, v2
	s_waitcnt lgkmcnt(0)
	v_add_nc_u32_e32 v2, v2, v18
	s_delay_alu instid0(VALU_DEP_1)
	v_cndmask_b32_e64 v2, v2, v6, s3
	ds_store_b32 v0, v2
	; wave barrier
	ds_load_2addr_b32 v[18:19], v0 offset0:1 offset1:2
	ds_load_2addr_b32 v[20:21], v0 offset0:3 offset1:4
	;; [unrolled: 1-line block ×3, first 2 shown]
	ds_load_b32 v7, v0 offset:28
	s_waitcnt lgkmcnt(3)
	v_add_nc_u32_e32 v2, v18, v2
	s_delay_alu instid0(VALU_DEP_1) | instskip(SKIP_1) | instid1(VALU_DEP_1)
	v_add_nc_u32_e32 v18, v19, v2
	s_waitcnt lgkmcnt(2)
	v_add_nc_u32_e32 v19, v20, v18
	s_delay_alu instid0(VALU_DEP_1) | instskip(SKIP_1) | instid1(VALU_DEP_1)
	v_add_nc_u32_e32 v20, v21, v19
	;; [unrolled: 4-line block ×3, first 2 shown]
	s_waitcnt lgkmcnt(0)
	v_add_nc_u32_e32 v7, v7, v22
	ds_store_2addr_b32 v0, v2, v18 offset0:1 offset1:2
	ds_store_2addr_b32 v0, v19, v20 offset0:3 offset1:4
	;; [unrolled: 1-line block ×3, first 2 shown]
	ds_store_b32 v0, v7 offset:28
.LBB170_40:                             ;   in Loop: Header=BB170_29 Depth=1
	s_or_b32 exec_lo, exec_lo, s18
	v_mov_b32_e32 v7, 0
	s_waitcnt lgkmcnt(0)
	s_barrier
	buffer_gl0_inv
	s_and_saveexec_b32 s18, s2
	s_cbranch_execz .LBB170_42
; %bb.41:                               ;   in Loop: Header=BB170_29 Depth=1
	ds_load_b32 v7, v12
.LBB170_42:                             ;   in Loop: Header=BB170_29 Depth=1
	s_or_b32 exec_lo, exec_lo, s18
	ds_load_b32 v2, v5 offset:1048
	s_mov_b32 s18, exec_lo
	s_waitcnt lgkmcnt(0)
	s_barrier
	buffer_gl0_inv
	v_cmpx_ne_u32_e32 0, v6
	s_cbranch_execz .LBB170_27
; %bb.43:                               ;   in Loop: Header=BB170_29 Depth=1
	v_dual_mov_b32 v7, v5 :: v_dual_add_nc_u32 v6, v7, v1
	s_delay_alu instid0(VALU_DEP_1)
	v_cmp_gt_u64_e32 vcc_lo, s[6:7], v[6:7]
	s_and_b32 exec_lo, exec_lo, vcc_lo
	s_cbranch_execz .LBB170_27
; %bb.44:                               ;   in Loop: Header=BB170_29 Depth=1
	v_mad_u64_u32 v[18:19], null, v6, s12, 0
	v_mad_u64_u32 v[20:21], null, v6, s10, 0
	s_delay_alu instid0(VALU_DEP_2) | instskip(NEXT) | instid1(VALU_DEP_2)
	v_mov_b32_e32 v7, v19
	v_mov_b32_e32 v19, v21
	s_delay_alu instid0(VALU_DEP_2) | instskip(NEXT) | instid1(VALU_DEP_2)
	v_mad_u64_u32 v[21:22], null, v6, s13, v[7:8]
	v_mad_u64_u32 v[22:23], null, v6, s11, v[19:20]
	s_delay_alu instid0(VALU_DEP_2) | instskip(NEXT) | instid1(VALU_DEP_2)
	v_mov_b32_e32 v19, v21
	v_mov_b32_e32 v21, v22
	s_delay_alu instid0(VALU_DEP_2) | instskip(NEXT) | instid1(VALU_DEP_2)
	v_lshlrev_b64 v[6:7], 1, v[18:19]
	v_lshlrev_b64 v[18:19], 3, v[20:21]
	s_delay_alu instid0(VALU_DEP_2) | instskip(NEXT) | instid1(VALU_DEP_3)
	v_add_co_u32 v6, vcc_lo, s16, v6
	v_add_co_ci_u32_e32 v7, vcc_lo, s20, v7, vcc_lo
	s_delay_alu instid0(VALU_DEP_3) | instskip(NEXT) | instid1(VALU_DEP_4)
	v_add_co_u32 v18, vcc_lo, s14, v18
	v_add_co_ci_u32_e32 v19, vcc_lo, s15, v19, vcc_lo
	global_store_b16 v[6:7], v16, off
	global_store_b64 v[18:19], v[4:5], off
	s_branch .LBB170_27
	.p2align	6
.LBB170_45:                             ;   in Loop: Header=BB170_46 Depth=1
	s_add_u32 s12, s12, 4
	s_addc_u32 s13, s13, 0
	s_waitcnt lgkmcnt(0)
	s_add_i32 s23, s9, s23
	s_add_u32 s14, s14, 4
	s_addc_u32 s15, s15, 0
	s_add_i32 s8, s8, 1
	s_delay_alu instid0(SALU_CYCLE_1)
	s_cmp_lt_u32 s8, s29
	s_cbranch_scc0 .LBB170_24
.LBB170_46:                             ; =>This Inner Loop Header: Depth=1
	s_load_b32 s9, s[12:13], 0x0
	s_cmp_ge_u32 s8, s48
	s_cbranch_scc1 .LBB170_45
; %bb.47:                               ;   in Loop: Header=BB170_46 Depth=1
	s_load_b32 s10, s[14:15], 0x0
	s_waitcnt lgkmcnt(0)
	s_add_i32 s17, s9, s17
	s_add_i32 s16, s10, s16
	s_branch .LBB170_45
.LBB170_48:
	s_nop 0
	s_sendmsg sendmsg(MSG_DEALLOC_VGPRS)
	s_endpgm
	.section	.rodata,"a",@progbits
	.p2align	6, 0x0
	.amdhsa_kernel _ZN2at6native6mbtopk10gatherTopKIsmLi2EEEvNS_4cuda6detail10TensorInfoIKT_T0_EES8_S8_bjS8_NS5_IS6_S8_EES8_NS5_IlS8_EES8_jjPS6_PjSD_j
		.amdhsa_group_segment_fixed_size 1068
		.amdhsa_private_segment_fixed_size 0
		.amdhsa_kernarg_size 1592
		.amdhsa_user_sgpr_count 13
		.amdhsa_user_sgpr_dispatch_ptr 0
		.amdhsa_user_sgpr_queue_ptr 0
		.amdhsa_user_sgpr_kernarg_segment_ptr 1
		.amdhsa_user_sgpr_dispatch_id 0
		.amdhsa_user_sgpr_private_segment_size 0
		.amdhsa_wavefront_size32 1
		.amdhsa_uses_dynamic_stack 0
		.amdhsa_enable_private_segment 0
		.amdhsa_system_sgpr_workgroup_id_x 1
		.amdhsa_system_sgpr_workgroup_id_y 1
		.amdhsa_system_sgpr_workgroup_id_z 1
		.amdhsa_system_sgpr_workgroup_info 0
		.amdhsa_system_vgpr_workitem_id 0
		.amdhsa_next_free_vgpr 26
		.amdhsa_next_free_sgpr 49
		.amdhsa_reserve_vcc 1
		.amdhsa_float_round_mode_32 0
		.amdhsa_float_round_mode_16_64 0
		.amdhsa_float_denorm_mode_32 3
		.amdhsa_float_denorm_mode_16_64 3
		.amdhsa_dx10_clamp 1
		.amdhsa_ieee_mode 1
		.amdhsa_fp16_overflow 0
		.amdhsa_workgroup_processor_mode 1
		.amdhsa_memory_ordered 1
		.amdhsa_forward_progress 0
		.amdhsa_shared_vgpr_count 0
		.amdhsa_exception_fp_ieee_invalid_op 0
		.amdhsa_exception_fp_denorm_src 0
		.amdhsa_exception_fp_ieee_div_zero 0
		.amdhsa_exception_fp_ieee_overflow 0
		.amdhsa_exception_fp_ieee_underflow 0
		.amdhsa_exception_fp_ieee_inexact 0
		.amdhsa_exception_int_div_zero 0
	.end_amdhsa_kernel
	.section	.text._ZN2at6native6mbtopk10gatherTopKIsmLi2EEEvNS_4cuda6detail10TensorInfoIKT_T0_EES8_S8_bjS8_NS5_IS6_S8_EES8_NS5_IlS8_EES8_jjPS6_PjSD_j,"axG",@progbits,_ZN2at6native6mbtopk10gatherTopKIsmLi2EEEvNS_4cuda6detail10TensorInfoIKT_T0_EES8_S8_bjS8_NS5_IS6_S8_EES8_NS5_IlS8_EES8_jjPS6_PjSD_j,comdat
.Lfunc_end170:
	.size	_ZN2at6native6mbtopk10gatherTopKIsmLi2EEEvNS_4cuda6detail10TensorInfoIKT_T0_EES8_S8_bjS8_NS5_IS6_S8_EES8_NS5_IlS8_EES8_jjPS6_PjSD_j, .Lfunc_end170-_ZN2at6native6mbtopk10gatherTopKIsmLi2EEEvNS_4cuda6detail10TensorInfoIKT_T0_EES8_S8_bjS8_NS5_IS6_S8_EES8_NS5_IlS8_EES8_jjPS6_PjSD_j
                                        ; -- End function
	.section	.AMDGPU.csdata,"",@progbits
; Kernel info:
; codeLenInByte = 3332
; NumSgprs: 51
; NumVgprs: 26
; ScratchSize: 0
; MemoryBound: 0
; FloatMode: 240
; IeeeMode: 1
; LDSByteSize: 1068 bytes/workgroup (compile time only)
; SGPRBlocks: 6
; VGPRBlocks: 3
; NumSGPRsForWavesPerEU: 51
; NumVGPRsForWavesPerEU: 26
; Occupancy: 16
; WaveLimiterHint : 1
; COMPUTE_PGM_RSRC2:SCRATCH_EN: 0
; COMPUTE_PGM_RSRC2:USER_SGPR: 13
; COMPUTE_PGM_RSRC2:TRAP_HANDLER: 0
; COMPUTE_PGM_RSRC2:TGID_X_EN: 1
; COMPUTE_PGM_RSRC2:TGID_Y_EN: 1
; COMPUTE_PGM_RSRC2:TGID_Z_EN: 1
; COMPUTE_PGM_RSRC2:TIDIG_COMP_CNT: 0
	.section	.text._ZN2at6native6sbtopk10gatherTopKIsmLi2ELb0EEEvNS_4cuda6detail10TensorInfoIKT_T0_EES8_S8_bS8_S8_NS5_IS6_S8_EES8_NS5_IlS8_EES8_PS6_,"axG",@progbits,_ZN2at6native6sbtopk10gatherTopKIsmLi2ELb0EEEvNS_4cuda6detail10TensorInfoIKT_T0_EES8_S8_bS8_S8_NS5_IS6_S8_EES8_NS5_IlS8_EES8_PS6_,comdat
	.protected	_ZN2at6native6sbtopk10gatherTopKIsmLi2ELb0EEEvNS_4cuda6detail10TensorInfoIKT_T0_EES8_S8_bS8_S8_NS5_IS6_S8_EES8_NS5_IlS8_EES8_PS6_ ; -- Begin function _ZN2at6native6sbtopk10gatherTopKIsmLi2ELb0EEEvNS_4cuda6detail10TensorInfoIKT_T0_EES8_S8_bS8_S8_NS5_IS6_S8_EES8_NS5_IlS8_EES8_PS6_
	.globl	_ZN2at6native6sbtopk10gatherTopKIsmLi2ELb0EEEvNS_4cuda6detail10TensorInfoIKT_T0_EES8_S8_bS8_S8_NS5_IS6_S8_EES8_NS5_IlS8_EES8_PS6_
	.p2align	8
	.type	_ZN2at6native6sbtopk10gatherTopKIsmLi2ELb0EEEvNS_4cuda6detail10TensorInfoIKT_T0_EES8_S8_bS8_S8_NS5_IS6_S8_EES8_NS5_IlS8_EES8_PS6_,@function
_ZN2at6native6sbtopk10gatherTopKIsmLi2ELb0EEEvNS_4cuda6detail10TensorInfoIKT_T0_EES8_S8_bS8_S8_NS5_IS6_S8_EES8_NS5_IlS8_EES8_PS6_: ; @_ZN2at6native6sbtopk10gatherTopKIsmLi2ELb0EEEvNS_4cuda6detail10TensorInfoIKT_T0_EES8_S8_bS8_S8_NS5_IS6_S8_EES8_NS5_IlS8_EES8_PS6_
; %bb.0:
	s_clause 0x1
	s_load_b64 s[18:19], s[0:1], 0x520
	s_load_b128 s[28:31], s[0:1], 0x1b8
	s_add_u32 s16, s0, 0x520
	s_addc_u32 s17, s1, 0
	s_mov_b32 s35, 0
	s_waitcnt lgkmcnt(0)
	s_mul_i32 s2, s19, s15
	s_delay_alu instid0(SALU_CYCLE_1) | instskip(NEXT) | instid1(SALU_CYCLE_1)
	s_add_i32 s2, s2, s14
	s_mul_i32 s2, s2, s18
	s_delay_alu instid0(SALU_CYCLE_1) | instskip(NEXT) | instid1(SALU_CYCLE_1)
	s_add_i32 s34, s2, s13
	v_cmp_ge_u64_e64 s2, s[34:35], s[28:29]
	s_delay_alu instid0(VALU_DEP_1)
	s_and_b32 vcc_lo, exec_lo, s2
	s_cbranch_vccnz .LBB171_541
; %bb.1:
	s_clause 0x2
	s_load_b64 s[6:7], s[0:1], 0x10
	s_load_b64 s[28:29], s[0:1], 0x380
	;; [unrolled: 1-line block ×3, first 2 shown]
	s_mov_b64 s[48:49], 0
	s_waitcnt lgkmcnt(0)
	v_cmp_lt_u64_e64 s2, s[34:35], s[6:7]
	s_delay_alu instid0(VALU_DEP_1)
	s_and_b32 vcc_lo, exec_lo, s2
	s_mov_b64 s[2:3], 0
	s_cbranch_vccnz .LBB171_3
; %bb.2:
	v_cvt_f32_u32_e32 v1, s6
	s_sub_i32 s3, 0, s6
	s_delay_alu instid0(VALU_DEP_1) | instskip(SKIP_2) | instid1(VALU_DEP_1)
	v_rcp_iflag_f32_e32 v1, v1
	s_waitcnt_depctr 0xfff
	v_mul_f32_e32 v1, 0x4f7ffffe, v1
	v_cvt_u32_f32_e32 v1, v1
	s_delay_alu instid0(VALU_DEP_1) | instskip(NEXT) | instid1(VALU_DEP_1)
	v_readfirstlane_b32 s2, v1
	s_mul_i32 s3, s3, s2
	s_delay_alu instid0(SALU_CYCLE_1) | instskip(NEXT) | instid1(SALU_CYCLE_1)
	s_mul_hi_u32 s3, s2, s3
	s_add_i32 s2, s2, s3
	s_delay_alu instid0(SALU_CYCLE_1) | instskip(NEXT) | instid1(SALU_CYCLE_1)
	s_mul_hi_u32 s2, s34, s2
	s_mul_i32 s3, s2, s6
	s_add_i32 s4, s2, 1
	s_sub_i32 s3, s34, s3
	s_delay_alu instid0(SALU_CYCLE_1)
	s_sub_i32 s5, s3, s6
	s_cmp_ge_u32 s3, s6
	s_cselect_b32 s2, s4, s2
	s_cselect_b32 s3, s5, s3
	s_add_i32 s4, s2, 1
	s_cmp_ge_u32 s3, s6
	s_cselect_b32 s2, s4, s2
.LBB171_3:
	v_cmp_lt_u64_e64 s3, s[34:35], s[50:51]
	s_delay_alu instid0(VALU_DEP_1)
	s_and_b32 vcc_lo, exec_lo, s3
	s_cbranch_vccnz .LBB171_5
; %bb.4:
	v_cvt_f32_u32_e32 v1, s50
	s_sub_i32 s4, 0, s50
	s_delay_alu instid0(VALU_DEP_1) | instskip(SKIP_2) | instid1(VALU_DEP_1)
	v_rcp_iflag_f32_e32 v1, v1
	s_waitcnt_depctr 0xfff
	v_mul_f32_e32 v1, 0x4f7ffffe, v1
	v_cvt_u32_f32_e32 v1, v1
	s_delay_alu instid0(VALU_DEP_1) | instskip(NEXT) | instid1(VALU_DEP_1)
	v_readfirstlane_b32 s3, v1
	s_mul_i32 s4, s4, s3
	s_delay_alu instid0(SALU_CYCLE_1) | instskip(NEXT) | instid1(SALU_CYCLE_1)
	s_mul_hi_u32 s4, s3, s4
	s_add_i32 s3, s3, s4
	s_delay_alu instid0(SALU_CYCLE_1) | instskip(NEXT) | instid1(SALU_CYCLE_1)
	s_mul_hi_u32 s3, s34, s3
	s_mul_i32 s4, s3, s50
	s_add_i32 s5, s3, 1
	s_sub_i32 s4, s34, s4
	s_delay_alu instid0(SALU_CYCLE_1)
	s_sub_i32 s8, s4, s50
	s_cmp_ge_u32 s4, s50
	s_cselect_b32 s3, s5, s3
	s_cselect_b32 s4, s8, s4
	s_add_i32 s5, s3, 1
	s_cmp_ge_u32 s4, s50
	s_cselect_b32 s48, s5, s3
.LBB171_5:
	s_load_b64 s[14:15], s[0:1], 0x0
	v_cmp_lt_u64_e64 s3, s[34:35], s[28:29]
	s_mov_b64 s[52:53], 0
	s_delay_alu instid0(VALU_DEP_1)
	s_and_b32 vcc_lo, exec_lo, s3
	s_cbranch_vccnz .LBB171_7
; %bb.6:
	v_cvt_f32_u32_e32 v1, s28
	s_sub_i32 s4, 0, s28
	s_delay_alu instid0(VALU_DEP_1) | instskip(SKIP_2) | instid1(VALU_DEP_1)
	v_rcp_iflag_f32_e32 v1, v1
	s_waitcnt_depctr 0xfff
	v_mul_f32_e32 v1, 0x4f7ffffe, v1
	v_cvt_u32_f32_e32 v1, v1
	s_delay_alu instid0(VALU_DEP_1) | instskip(NEXT) | instid1(VALU_DEP_1)
	v_readfirstlane_b32 s3, v1
	s_mul_i32 s4, s4, s3
	s_delay_alu instid0(SALU_CYCLE_1) | instskip(NEXT) | instid1(SALU_CYCLE_1)
	s_mul_hi_u32 s4, s3, s4
	s_add_i32 s3, s3, s4
	s_delay_alu instid0(SALU_CYCLE_1) | instskip(NEXT) | instid1(SALU_CYCLE_1)
	s_mul_hi_u32 s3, s34, s3
	s_mul_i32 s4, s3, s28
	s_add_i32 s5, s3, 1
	s_sub_i32 s4, s34, s4
	s_delay_alu instid0(SALU_CYCLE_1)
	s_sub_i32 s8, s4, s28
	s_cmp_ge_u32 s4, s28
	s_cselect_b32 s3, s5, s3
	s_cselect_b32 s4, s8, s4
	s_add_i32 s5, s3, 1
	s_cmp_ge_u32 s4, s28
	s_cselect_b32 s52, s5, s3
.LBB171_7:
	s_clause 0x3
	s_load_b64 s[102:103], s[0:1], 0x370
	s_load_b64 s[56:57], s[0:1], 0x1c8
	s_load_b128 s[8:11], s[0:1], 0xd0
	s_load_b128 s[36:39], s[0:1], 0x1a0
	v_cmp_eq_u32_e64 s5, 0, v0
	s_mov_b32 s59, 0
	s_delay_alu instid0(VALU_DEP_1)
	s_and_saveexec_b32 s3, s5
	s_cbranch_execz .LBB171_9
; %bb.8:
	s_waitcnt lgkmcnt(0)
	v_dual_mov_b32 v1, 0 :: v_dual_mov_b32 v4, s37
	s_delay_alu instid0(VALU_DEP_1)
	v_dual_mov_b32 v3, s36 :: v_dual_mov_b32 v2, v1
	ds_store_b32 v1, v1 offset:5144
	ds_store_b128 v1, v[1:4] offset:5120
.LBB171_9:
	s_or_b32 exec_lo, exec_lo, s3
	s_mul_i32 s3, s2, s7
	s_mul_hi_u32 s4, s2, s6
	s_mul_i32 s6, s2, s6
	s_add_i32 s4, s4, s3
	s_sub_u32 s6, s34, s6
	s_subb_u32 s4, 0, s4
	s_waitcnt lgkmcnt(0)
	s_mul_i32 s3, s6, s11
	s_mul_hi_u32 s7, s6, s10
	s_mul_i32 s4, s4, s10
	s_add_i32 s7, s7, s3
	s_mul_i32 s3, s2, s9
	s_mul_hi_u32 s9, s2, s8
	s_mul_i32 s2, s2, s8
	s_add_i32 s3, s9, s3
	s_clause 0x1
	s_load_b128 s[40:43], s[0:1], 0x298
	s_load_b32 s11, s[0:1], 0x1b0
	s_lshl_b64 s[2:3], s[2:3], 1
	s_add_i32 s7, s7, s4
	s_mul_i32 s6, s6, s10
	s_add_u32 s4, s14, s2
	v_mad_u64_u32 v[1:2], null, v0, s30, 0
	s_addc_u32 s8, s15, s3
	s_lshl_b64 s[2:3], s[6:7], 1
	s_waitcnt lgkmcnt(0)
	s_barrier
	buffer_gl0_inv
	s_load_b32 s7, s[16:17], 0xc
	v_mad_u64_u32 v[3:4], null, v0, s31, v[2:3]
	v_mbcnt_lo_u32_b32 v23, -1, 0
	s_add_u32 s33, s4, s2
	s_addc_u32 s35, s8, s3
	v_cmp_gt_u32_e32 vcc_lo, 32, v0
	s_load_b128 s[44:47], s[0:1], 0x440
	v_cmp_gt_i32_e64 s4, 4, v23
	s_delay_alu instid0(VALU_DEP_4) | instskip(SKIP_3) | instid1(VALU_DEP_2)
	v_dual_mov_b32 v2, v3 :: v_dual_mov_b32 v13, 0
	s_bitcmp1_b32 s11, 0
	v_lshrrev_b32_e32 v4, 3, v0
	s_cselect_b32 s3, -1, 0
	v_lshlrev_b64 v[2:3], 1, v[1:2]
	s_xor_b32 s53, s3, -1
	s_and_b32 s72, vcc_lo, s4
	v_dual_mov_b32 v1, v13 :: v_dual_lshlrev_b32 v14, 2, v0
	v_dual_mov_b32 v16, s38 :: v_dual_lshlrev_b32 v25, 1, v0
	s_waitcnt lgkmcnt(0)
	s_and_b32 s49, s7, 0xffff
	s_bfe_u32 s8, s7, 0xb0005
	s_add_u32 s74, s49, -1
	s_addc_u32 s75, 0, -1
	s_add_u32 s76, s74, s36
	s_addc_u32 s27, s75, s37
	s_cmp_lt_u32 s13, s18
	v_add_co_u32 v10, vcc_lo, s33, v2
	s_cselect_b32 s9, 12, 18
	v_add_co_ci_u32_e32 v11, vcc_lo, s35, v3, vcc_lo
	v_lshlrev_b64 v[2:3], v23, -1
	s_add_u32 s60, s16, s9
	s_addc_u32 s61, s17, 0
	s_add_i32 s9, s8, -1
	s_bfe_u32 s77, s49, 0x30005
	s_cmp_gt_u32 s9, 6
	v_cmp_lt_u64_e64 s73, 0x600, s[36:37]
	v_cmp_gt_u64_e64 s4, s[36:37], v[0:1]
	v_cmp_eq_u32_e64 s2, 0, v23
	v_dual_mov_b32 v15, v13 :: v_dual_and_b32 v24, 0x7c, v4
	v_cmp_gt_u32_e64 s6, 2, v0
	v_dual_mov_b32 v17, s39 :: v_dual_add_nc_u32 v26, 0xc00, v25
	v_not_b32_e32 v22, v2
	s_cselect_b32 s78, -1, 0
	s_and_b32 s79, s8, 0x7f8
	v_cmp_gt_u16_e64 s80, s7, 31
	v_dual_mov_b32 v30, 0 :: v_dual_lshlrev_b32 v27, 3, v0
	v_lshl_or_b32 v28, v23, 3, 0xc00
	v_mov_b32_e32 v31, 0
	v_mov_b32_e32 v29, 0
	s_cmp_lg_u32 s77, 0
	s_mov_b32 s89, 14
	s_cselect_b32 s81, -1, 0
	s_lshl_b32 s82, s49, 1
	s_mov_b32 s83, 0
	s_mov_b32 s85, 0
                                        ; implicit-def: $sgpr84
                                        ; implicit-def: $sgpr88
                                        ; implicit-def: $sgpr87
                                        ; implicit-def: $sgpr90
                                        ; implicit-def: $sgpr86
                                        ; implicit-def: $sgpr91
                                        ; implicit-def: $sgpr93
                                        ; implicit-def: $sgpr92
                                        ; implicit-def: $sgpr94
                                        ; implicit-def: $sgpr95
	s_branch .LBB171_12
.LBB171_10:                             ;   in Loop: Header=BB171_12 Depth=1
	s_or_b32 exec_lo, exec_lo, s10
	v_dual_mov_b32 v29, v9 :: v_dual_mov_b32 v30, v8
	v_dual_mov_b32 v17, v3 :: v_dual_mov_b32 v16, v2
	v_mov_b32_e32 v31, v18
	s_and_not1_b32 s10, s95, exec_lo
	s_and_b32 s9, s9, exec_lo
	s_and_not1_b32 s94, s94, exec_lo
	s_or_b32 s95, s10, s9
	s_and_not1_b32 s92, s92, exec_lo
	s_and_not1_b32 s93, s93, exec_lo
	;; [unrolled: 1-line block ×3, first 2 shown]
	s_or_not1_b32 s8, s8, exec_lo
.LBB171_11:                             ;   in Loop: Header=BB171_12 Depth=1
	s_or_b32 exec_lo, exec_lo, s7
	s_delay_alu instid0(SALU_CYCLE_1) | instskip(NEXT) | instid1(SALU_CYCLE_1)
	s_and_b32 s7, exec_lo, s8
	s_or_b32 s83, s7, s83
	s_and_not1_b32 s7, s86, exec_lo
	s_and_b32 s8, s95, exec_lo
	s_and_not1_b32 s9, s90, exec_lo
	s_or_b32 s86, s7, s8
	s_and_b32 s7, s94, exec_lo
	s_and_not1_b32 s8, s87, exec_lo
	s_and_b32 s10, s92, exec_lo
	s_or_b32 s90, s9, s7
	s_or_b32 s87, s8, s10
	s_and_not1_b32 s7, s88, exec_lo
	s_and_b32 s8, s93, exec_lo
	s_and_not1_b32 s9, s84, exec_lo
	s_and_b32 s10, s91, exec_lo
	s_or_b32 s88, s7, s8
	s_or_b32 s84, s9, s10
	s_and_not1_b32 exec_lo, exec_lo, s83
	s_cbranch_execz .LBB171_481
.LBB171_12:                             ; =>This Loop Header: Depth=1
                                        ;     Child Loop BB171_17 Depth 2
                                        ;     Child Loop BB171_35 Depth 2
	;; [unrolled: 1-line block ×24, first 2 shown]
	ds_load_b128 v[2:5], v13 offset:5120
	s_waitcnt lgkmcnt(0)
	v_readfirstlane_b32 s63, v3
	v_readfirstlane_b32 s62, v2
	s_delay_alu instid0(VALU_DEP_1)
	s_cmp_lg_u64 s[62:63], 0
	s_cbranch_scc1 .LBB171_42
; %bb.13:                               ;   in Loop: Header=BB171_12 Depth=1
	s_and_b32 vcc_lo, exec_lo, s73
	s_cbranch_vccz .LBB171_25
; %bb.14:                               ;   in Loop: Header=BB171_12 Depth=1
	v_cmp_gt_u64_e32 vcc_lo, 0x601, v[4:5]
	s_mov_b32 s9, 0
	s_mov_b32 s7, 0
	s_cbranch_vccz .LBB171_26
; %bb.15:                               ;   in Loop: Header=BB171_12 Depth=1
	global_load_u16 v2, v13, s[60:61]
	global_load_u16 v5, v[10:11], off
	s_mov_b32 s10, 0
	s_waitcnt vmcnt(1)
	v_dual_mov_b32 v3, v1 :: v_dual_and_b32 v4, 0xffff, v2
	v_mov_b32_e32 v2, v0
	s_branch .LBB171_17
.LBB171_16:                             ;   in Loop: Header=BB171_17 Depth=2
	s_or_b32 exec_lo, exec_lo, s8
	v_mov_b32_e32 v5, v6
	s_and_not1_b32 exec_lo, exec_lo, s10
	s_cbranch_execz .LBB171_27
.LBB171_17:                             ;   Parent Loop BB171_12 Depth=1
                                        ; =>  This Inner Loop Header: Depth=2
	s_delay_alu instid0(VALU_DEP_1) | instskip(NEXT) | instid1(VALU_DEP_3)
	v_add_co_u32 v2, vcc_lo, v2, v4
	v_add_co_ci_u32_e32 v3, vcc_lo, 0, v3, vcc_lo
	s_waitcnt lgkmcnt(0)
	v_dual_mov_b32 v7, 0 :: v_dual_mov_b32 v6, 0
	s_mov_b32 s8, exec_lo
	s_delay_alu instid0(VALU_DEP_2)
	v_cmp_le_u64_e32 vcc_lo, s[36:37], v[2:3]
	v_cmpx_gt_u64_e64 s[36:37], v[2:3]
	s_cbranch_execz .LBB171_19
; %bb.18:                               ;   in Loop: Header=BB171_17 Depth=2
	v_mul_lo_u32 v6, v3, s30
	v_mul_lo_u32 v12, v2, s31
	v_mad_u64_u32 v[8:9], null, v2, s30, 0
	s_delay_alu instid0(VALU_DEP_1) | instskip(NEXT) | instid1(VALU_DEP_1)
	v_add3_u32 v9, v9, v12, v6
	v_lshlrev_b64 v[8:9], 1, v[8:9]
	s_delay_alu instid0(VALU_DEP_1) | instskip(NEXT) | instid1(VALU_DEP_1)
	v_add_co_u32 v8, s7, s33, v8
	v_add_co_ci_u32_e64 v9, s7, s35, v9, s7
	global_load_u16 v6, v[8:9], off
.LBB171_19:                             ;   in Loop: Header=BB171_17 Depth=2
	s_or_b32 exec_lo, exec_lo, s8
	s_waitcnt vmcnt(0)
	v_bfe_i32 v8, v5, 0, 16
	s_delay_alu instid0(VALU_DEP_1) | instskip(NEXT) | instid1(VALU_DEP_1)
	v_add_nc_u32_e32 v8, 0x8000, v8
	v_and_b32_e32 v8, v8, v29
	s_delay_alu instid0(VALU_DEP_1) | instskip(NEXT) | instid1(VALU_DEP_1)
	v_cmp_eq_u32_e64 s7, v8, v30
	s_cmp_lg_u32 s7, 0
	s_cselect_b32 s8, -1, 0
	s_delay_alu instid0(SALU_CYCLE_1) | instskip(NEXT) | instid1(SALU_CYCLE_1)
	s_and_b32 s8, s2, s8
	s_and_saveexec_b32 s11, s8
	s_cbranch_execz .LBB171_23
; %bb.20:                               ;   in Loop: Header=BB171_17 Depth=2
	s_mov_b32 s14, exec_lo
	s_bcnt1_i32_b32 s12, s7
	v_mbcnt_lo_u32_b32 v7, s14, 0
	s_mov_b32 s13, exec_lo
                                        ; implicit-def: $vgpr8
	s_delay_alu instid0(VALU_DEP_1)
	v_cmpx_eq_u32_e32 0, v7
	s_cbranch_execz .LBB171_22
; %bb.21:                               ;   in Loop: Header=BB171_17 Depth=2
	s_bcnt1_i32_b32 s8, s14
	s_delay_alu instid0(SALU_CYCLE_1) | instskip(NEXT) | instid1(SALU_CYCLE_1)
	s_mul_i32 s8, s12, s8
	v_mov_b32_e32 v8, s8
	ds_add_rtn_u32 v8, v13, v8 offset:5144
.LBB171_22:                             ;   in Loop: Header=BB171_17 Depth=2
	s_or_b32 exec_lo, exec_lo, s13
	s_waitcnt lgkmcnt(0)
	v_readfirstlane_b32 s8, v8
	s_delay_alu instid0(VALU_DEP_1)
	v_mad_u32_u24 v7, s12, v7, s8
.LBB171_23:                             ;   in Loop: Header=BB171_17 Depth=2
	s_or_b32 exec_lo, exec_lo, s11
	ds_bpermute_b32 v7, v13, v7
	s_and_b32 s8, exec_lo, vcc_lo
	s_delay_alu instid0(SALU_CYCLE_1)
	s_or_b32 s10, s8, s10
	s_and_saveexec_b32 s8, s7
	s_cbranch_execz .LBB171_16
; %bb.24:                               ;   in Loop: Header=BB171_17 Depth=2
	v_and_b32_e32 v8, s7, v22
	s_delay_alu instid0(VALU_DEP_1) | instskip(NEXT) | instid1(VALU_DEP_1)
	v_bcnt_u32_b32 v8, v8, 0
	v_lshlrev_b32_e32 v8, 1, v8
	s_waitcnt lgkmcnt(0)
	s_delay_alu instid0(VALU_DEP_1)
	v_lshl_add_u32 v7, v7, 1, v8
	ds_store_b16 v7, v5
	s_branch .LBB171_16
.LBB171_25:                             ;   in Loop: Header=BB171_12 Depth=1
	s_mov_b32 s7, 0
                                        ; implicit-def: $sgpr62_sgpr63
	s_cbranch_execnz .LBB171_30
	s_branch .LBB171_40
.LBB171_26:                             ;   in Loop: Header=BB171_12 Depth=1
	s_mov_b64 s[62:63], 0
	s_and_b32 vcc_lo, exec_lo, s9
	s_cbranch_vccnz .LBB171_30
	s_branch .LBB171_40
.LBB171_27:                             ;   in Loop: Header=BB171_12 Depth=1
	s_or_b32 exec_lo, exec_lo, s10
	s_waitcnt lgkmcnt(0)
	s_barrier
	buffer_gl0_inv
	s_and_saveexec_b32 s7, s5
	s_cbranch_execz .LBB171_29
; %bb.28:                               ;   in Loop: Header=BB171_12 Depth=1
	ds_load_b32 v2, v13 offset:5144
	s_waitcnt lgkmcnt(0)
	v_ashrrev_i32_e32 v3, 31, v2
	ds_store_b64 v13, v[2:3] offset:5120
.LBB171_29:                             ;   in Loop: Header=BB171_12 Depth=1
	s_or_b32 exec_lo, exec_lo, s7
	s_waitcnt lgkmcnt(0)
	s_mov_b32 s7, -1
	s_barrier
	s_mov_b64 s[62:63], 0
	s_and_b32 vcc_lo, exec_lo, s9
	s_cbranch_vccz .LBB171_40
.LBB171_30:                             ;   in Loop: Header=BB171_12 Depth=1
	v_mov_b32_e32 v4, 0
	s_and_saveexec_b32 s7, s4
	s_cbranch_execz .LBB171_32
; %bb.31:                               ;   in Loop: Header=BB171_12 Depth=1
	global_load_u16 v4, v[10:11], off
.LBB171_32:                             ;   in Loop: Header=BB171_12 Depth=1
	s_or_b32 exec_lo, exec_lo, s7
	s_and_saveexec_b32 s8, s4
	s_cbranch_execz .LBB171_37
; %bb.33:                               ;   in Loop: Header=BB171_12 Depth=1
	global_load_u16 v2, v13, s[60:61]
	s_mov_b32 s9, 0
	s_waitcnt vmcnt(0)
	v_dual_mov_b32 v6, v25 :: v_dual_and_b32 v5, 0xffff, v2
	v_dual_mov_b32 v3, v1 :: v_dual_mov_b32 v2, v0
	s_delay_alu instid0(VALU_DEP_2)
	v_lshlrev_b32_e32 v7, 1, v5
	s_set_inst_prefetch_distance 0x1
	s_branch .LBB171_35
	.p2align	6
.LBB171_34:                             ;   in Loop: Header=BB171_35 Depth=2
	s_or_b32 exec_lo, exec_lo, s10
	ds_store_b16 v6, v4
	v_add_nc_u32_e32 v6, v6, v7
	s_waitcnt vmcnt(0)
	v_mov_b32_e32 v4, v8
	s_and_b32 s7, exec_lo, vcc_lo
	s_delay_alu instid0(SALU_CYCLE_1) | instskip(NEXT) | instid1(SALU_CYCLE_1)
	s_or_b32 s9, s7, s9
	s_and_not1_b32 exec_lo, exec_lo, s9
	s_cbranch_execz .LBB171_37
.LBB171_35:                             ;   Parent Loop BB171_12 Depth=1
                                        ; =>  This Inner Loop Header: Depth=2
	s_delay_alu instid0(VALU_DEP_2) | instskip(SKIP_3) | instid1(VALU_DEP_2)
	v_add_co_u32 v2, vcc_lo, v2, v5
	v_add_co_ci_u32_e32 v3, vcc_lo, 0, v3, vcc_lo
	v_mov_b32_e32 v8, 0
	s_mov_b32 s10, exec_lo
	v_cmp_le_u64_e32 vcc_lo, s[36:37], v[2:3]
	v_cmpx_gt_u64_e64 s[36:37], v[2:3]
	s_cbranch_execz .LBB171_34
; %bb.36:                               ;   in Loop: Header=BB171_35 Depth=2
	v_mul_lo_u32 v12, v3, s30
	v_mul_lo_u32 v18, v2, s31
	v_mad_u64_u32 v[8:9], null, v2, s30, 0
	s_delay_alu instid0(VALU_DEP_1) | instskip(NEXT) | instid1(VALU_DEP_1)
	v_add3_u32 v9, v9, v18, v12
	v_lshlrev_b64 v[8:9], 1, v[8:9]
	s_delay_alu instid0(VALU_DEP_1) | instskip(NEXT) | instid1(VALU_DEP_1)
	v_add_co_u32 v8, s7, s33, v8
	v_add_co_ci_u32_e64 v9, s7, s35, v9, s7
	global_load_u16 v8, v[8:9], off
	s_branch .LBB171_34
.LBB171_37:                             ;   in Loop: Header=BB171_12 Depth=1
	s_set_inst_prefetch_distance 0x2
	s_or_b32 exec_lo, exec_lo, s8
	s_waitcnt vmcnt(0) lgkmcnt(0)
	s_barrier
	buffer_gl0_inv
	s_and_saveexec_b32 s7, s5
	s_cbranch_execz .LBB171_39
; %bb.38:                               ;   in Loop: Header=BB171_12 Depth=1
	v_dual_mov_b32 v2, s36 :: v_dual_mov_b32 v3, s37
	ds_store_b64 v13, v[2:3] offset:5120
.LBB171_39:                             ;   in Loop: Header=BB171_12 Depth=1
	s_or_b32 exec_lo, exec_lo, s7
	s_mov_b32 s7, -1
	s_waitcnt lgkmcnt(0)
	s_barrier
                                        ; implicit-def: $sgpr62_sgpr63
.LBB171_40:                             ;   in Loop: Header=BB171_12 Depth=1
	s_and_b32 vcc_lo, exec_lo, s7
	s_cbranch_vccz .LBB171_42
; %bb.41:                               ;   in Loop: Header=BB171_12 Depth=1
	buffer_gl0_inv
	ds_load_b64 v[2:3], v13 offset:5120
	s_waitcnt lgkmcnt(0)
	v_readfirstlane_b32 s62, v2
.LBB171_42:                             ;   in Loop: Header=BB171_12 Depth=1
	s_delay_alu instid0(VALU_DEP_1)
	s_cmp_lt_i32 s62, 1
	s_cbranch_scc0 .LBB171_57
; %bb.43:                               ;   in Loop: Header=BB171_12 Depth=1
	global_load_u16 v32, v13, s[60:61]
	s_mov_b32 s8, s59
	s_mov_b32 s9, s37
	s_waitcnt vmcnt(0)
	v_readfirstlane_b32 s7, v32
	s_delay_alu instid0(VALU_DEP_1) | instskip(NEXT) | instid1(SALU_CYCLE_1)
	s_and_b32 s7, 0xffff, s7
	s_lshl_b32 s25, s7, 2
	s_cmp_lg_u64 s[8:9], 0
	s_cbranch_scc0 .LBB171_77
; %bb.44:                               ;   in Loop: Header=BB171_12 Depth=1
	v_cvt_f32_u32_e32 v2, s25
	s_sub_u32 s9, 0, s25
	s_subb_u32 s10, 0, 0
	s_delay_alu instid0(VALU_DEP_1) | instskip(NEXT) | instid1(VALU_DEP_1)
	v_fmac_f32_e64 v2, 0, 0x4f800000
	v_rcp_f32_e32 v2, v2
	s_waitcnt_depctr 0xfff
	v_mul_f32_e32 v2, 0x5f7ffffc, v2
	s_delay_alu instid0(VALU_DEP_1) | instskip(NEXT) | instid1(VALU_DEP_1)
	v_mul_f32_e32 v3, 0x2f800000, v2
	v_trunc_f32_e32 v3, v3
	s_delay_alu instid0(VALU_DEP_1) | instskip(SKIP_1) | instid1(VALU_DEP_2)
	v_fmac_f32_e32 v2, 0xcf800000, v3
	v_cvt_u32_f32_e32 v3, v3
	v_cvt_u32_f32_e32 v2, v2
	s_delay_alu instid0(VALU_DEP_2) | instskip(NEXT) | instid1(VALU_DEP_2)
	v_readfirstlane_b32 s7, v3
	v_readfirstlane_b32 s8, v2
	s_delay_alu instid0(VALU_DEP_2) | instskip(NEXT) | instid1(VALU_DEP_1)
	s_mul_i32 s11, s9, s7
	s_mul_hi_u32 s13, s9, s8
	s_mul_i32 s12, s10, s8
	s_add_i32 s11, s13, s11
	s_mul_i32 s14, s9, s8
	s_add_i32 s11, s11, s12
	s_mul_hi_u32 s13, s8, s14
	s_mul_hi_u32 s15, s7, s14
	s_mul_i32 s12, s7, s14
	s_mul_hi_u32 s14, s8, s11
	s_mul_i32 s8, s8, s11
	s_mul_hi_u32 s16, s7, s11
	s_add_u32 s8, s13, s8
	s_addc_u32 s13, 0, s14
	s_add_u32 s8, s8, s12
	s_mul_i32 s11, s7, s11
	s_addc_u32 s8, s13, s15
	s_addc_u32 s12, s16, 0
	s_add_u32 s8, s8, s11
	s_addc_u32 s11, 0, s12
	v_add_co_u32 v2, s8, v2, s8
	s_delay_alu instid0(VALU_DEP_1) | instskip(SKIP_1) | instid1(VALU_DEP_1)
	s_cmp_lg_u32 s8, 0
	s_addc_u32 s7, s7, s11
	v_readfirstlane_b32 s8, v2
	s_mul_i32 s11, s9, s7
	s_delay_alu instid0(VALU_DEP_1)
	s_mul_hi_u32 s12, s9, s8
	s_mul_i32 s10, s10, s8
	s_add_i32 s11, s12, s11
	s_mul_i32 s9, s9, s8
	s_add_i32 s11, s11, s10
	s_mul_hi_u32 s12, s7, s9
	s_mul_i32 s13, s7, s9
	s_mul_hi_u32 s9, s8, s9
	s_mul_hi_u32 s14, s8, s11
	s_mul_i32 s8, s8, s11
	s_mul_hi_u32 s10, s7, s11
	s_add_u32 s8, s9, s8
	s_addc_u32 s9, 0, s14
	s_add_u32 s8, s8, s13
	s_mul_i32 s11, s7, s11
	s_addc_u32 s8, s9, s12
	s_addc_u32 s9, s10, 0
	s_add_u32 s8, s8, s11
	s_addc_u32 s9, 0, s9
	v_add_co_u32 v2, s8, v2, s8
	s_delay_alu instid0(VALU_DEP_1) | instskip(SKIP_1) | instid1(VALU_DEP_1)
	s_cmp_lg_u32 s8, 0
	s_addc_u32 s7, s7, s9
	v_readfirstlane_b32 s8, v2
	s_mul_i32 s10, s36, s7
	s_mul_hi_u32 s9, s36, s7
	s_mul_hi_u32 s11, s37, s7
	s_mul_i32 s7, s37, s7
	s_mul_hi_u32 s12, s36, s8
	s_mul_hi_u32 s13, s37, s8
	s_mul_i32 s8, s37, s8
	s_add_u32 s10, s12, s10
	s_addc_u32 s9, 0, s9
	s_add_u32 s8, s10, s8
	s_addc_u32 s8, s9, s13
	s_addc_u32 s9, s11, 0
	s_add_u32 s7, s8, s7
	s_addc_u32 s8, 0, s9
	s_mul_hi_u32 s9, s25, s7
	s_mul_i32 s7, s25, s7
	s_mul_i32 s8, s25, s8
	v_sub_co_u32 v2, s7, s36, s7
	s_add_i32 s9, s9, s8
	s_cmp_lg_u32 s7, 0
	s_delay_alu instid0(VALU_DEP_1) | instskip(SKIP_2) | instid1(VALU_DEP_1)
	v_sub_co_u32 v3, s7, v2, s25
	s_subb_u32 s8, s37, s9
	s_cmp_lg_u32 s7, 0
	v_cmp_le_u32_e32 vcc_lo, s25, v3
	v_sub_co_u32 v4, s7, v3, s25
	s_subb_u32 s9, s8, 0
	s_cmp_lg_u32 s7, 0
	v_cndmask_b32_e64 v5, 0, -1, vcc_lo
	s_subb_u32 s7, s9, 0
	s_cmp_eq_u32 s9, 0
	v_mov_b32_e32 v7, s7
	s_cselect_b32 vcc_lo, -1, 0
	s_cmp_eq_u32 s8, 0
	v_cndmask_b32_e32 v5, -1, v5, vcc_lo
	v_cmp_le_u32_e32 vcc_lo, s25, v2
	s_cselect_b32 s7, -1, 0
	v_cndmask_b32_e64 v6, 0, -1, vcc_lo
	s_delay_alu instid0(VALU_DEP_3) | instskip(NEXT) | instid1(VALU_DEP_2)
	v_cmp_ne_u32_e32 vcc_lo, 0, v5
	v_cndmask_b32_e64 v5, -1, v6, s7
	v_cndmask_b32_e32 v6, s9, v7, vcc_lo
	v_cndmask_b32_e32 v4, v3, v4, vcc_lo
	s_delay_alu instid0(VALU_DEP_3) | instskip(NEXT) | instid1(VALU_DEP_3)
	v_cmp_ne_u32_e32 vcc_lo, 0, v5
	v_cndmask_b32_e32 v3, s8, v6, vcc_lo
	s_delay_alu instid0(VALU_DEP_3)
	v_cndmask_b32_e32 v2, v2, v4, vcc_lo
	s_cbranch_execnz .LBB171_46
.LBB171_45:                             ;   in Loop: Header=BB171_12 Depth=1
	v_cvt_f32_u32_e32 v2, s25
	s_sub_i32 s7, 0, s25
	s_delay_alu instid0(VALU_DEP_1) | instskip(SKIP_2) | instid1(VALU_DEP_1)
	v_rcp_iflag_f32_e32 v2, v2
	s_waitcnt_depctr 0xfff
	v_mul_f32_e32 v2, 0x4f7ffffe, v2
	v_cvt_u32_f32_e32 v2, v2
	s_delay_alu instid0(VALU_DEP_1) | instskip(NEXT) | instid1(VALU_DEP_1)
	v_mul_lo_u32 v3, s7, v2
	v_mul_hi_u32 v3, v2, v3
	s_delay_alu instid0(VALU_DEP_1) | instskip(NEXT) | instid1(VALU_DEP_1)
	v_add_nc_u32_e32 v2, v2, v3
	v_mul_hi_u32 v2, s36, v2
	s_delay_alu instid0(VALU_DEP_1) | instskip(NEXT) | instid1(VALU_DEP_1)
	v_mul_lo_u32 v2, v2, s25
	v_sub_nc_u32_e32 v2, s36, v2
	s_delay_alu instid0(VALU_DEP_1) | instskip(SKIP_1) | instid1(VALU_DEP_2)
	v_subrev_nc_u32_e32 v3, s25, v2
	v_cmp_le_u32_e32 vcc_lo, s25, v2
	v_cndmask_b32_e32 v2, v2, v3, vcc_lo
	s_delay_alu instid0(VALU_DEP_1) | instskip(SKIP_1) | instid1(VALU_DEP_2)
	v_subrev_nc_u32_e32 v3, s25, v2
	v_cmp_le_u32_e32 vcc_lo, s25, v2
	v_cndmask_b32_e32 v12, v2, v3, vcc_lo
	s_delay_alu instid0(VALU_DEP_1)
	v_dual_mov_b32 v2, v12 :: v_dual_mov_b32 v3, v13
.LBB171_46:                             ;   in Loop: Header=BB171_12 Depth=1
	s_delay_alu instid0(VALU_DEP_1) | instskip(NEXT) | instid1(VALU_DEP_2)
	v_sub_co_u32 v18, vcc_lo, s36, v2
	v_sub_co_ci_u32_e32 v19, vcc_lo, s37, v3, vcc_lo
	v_mov_b32_e32 v2, 0
	v_mov_b32_e32 v3, 0
	s_mov_b64 s[64:65], 0
	s_mov_b32 s26, exec_lo
	s_delay_alu instid0(VALU_DEP_1)
	v_dual_mov_b32 v5, v3 :: v_dual_mov_b32 v4, v2
	v_dual_mov_b32 v7, v3 :: v_dual_mov_b32 v6, v2
	;; [unrolled: 1-line block ×3, first 2 shown]
	v_cmpx_gt_u64_e64 v[18:19], v[14:15]
	s_cbranch_execz .LBB171_50
; %bb.47:                               ;   in Loop: Header=BB171_12 Depth=1
	v_dual_mov_b32 v21, v15 :: v_dual_mov_b32 v20, v14
	s_and_b32 s63, s89, 0xfe
	s_mov_b32 s58, 0
	s_mov_b64 s[66:67], 0
	s_mov_b64 s[68:69], 0
	;; [unrolled: 1-line block ×3, first 2 shown]
.LBB171_48:                             ;   Parent Loop BB171_12 Depth=1
                                        ; =>  This Inner Loop Header: Depth=2
	v_mul_lo_u32 v4, v21, s30
	v_mul_lo_u32 v5, v20, s31
	v_mad_u64_u32 v[2:3], null, v20, s30, 0
	s_lshl_b64 s[8:9], s[30:31], 1
	s_delay_alu instid0(VALU_DEP_1) | instskip(NEXT) | instid1(VALU_DEP_1)
	v_add3_u32 v3, v3, v5, v4
	v_lshlrev_b64 v[2:3], 1, v[2:3]
	s_delay_alu instid0(VALU_DEP_1) | instskip(NEXT) | instid1(VALU_DEP_2)
	v_add_co_u32 v2, vcc_lo, s33, v2
	v_add_co_ci_u32_e32 v3, vcc_lo, s35, v3, vcc_lo
	s_delay_alu instid0(VALU_DEP_2) | instskip(NEXT) | instid1(VALU_DEP_2)
	v_add_co_u32 v4, vcc_lo, v2, s8
	v_add_co_ci_u32_e32 v5, vcc_lo, s9, v3, vcc_lo
	global_load_i16 v6, v[2:3], off
	v_add_co_u32 v2, vcc_lo, v4, s8
	v_add_co_ci_u32_e32 v3, vcc_lo, s9, v5, vcc_lo
	s_clause 0x1
	global_load_i16 v4, v[4:5], off
	global_load_i16 v5, v[2:3], off
	v_add_co_u32 v2, vcc_lo, v2, s8
	v_add_co_ci_u32_e32 v3, vcc_lo, s9, v3, vcc_lo
	v_add_co_u32 v20, vcc_lo, v20, s25
	v_add_co_ci_u32_e32 v21, vcc_lo, 0, v21, vcc_lo
	global_load_i16 v2, v[2:3], off
	v_cmp_ge_u64_e32 vcc_lo, v[20:21], v[18:19]
	s_waitcnt vmcnt(3)
	v_add_nc_u32_e32 v3, 0x8000, v6
	s_delay_alu instid0(VALU_DEP_1)
	v_and_b32_e32 v6, v3, v29
	s_waitcnt vmcnt(2)
	v_add_nc_u32_e32 v4, 0x8000, v4
	v_bfe_u32 v3, v3, s63, 2
	s_waitcnt vmcnt(1)
	v_add_nc_u32_e32 v5, 0x8000, v5
	v_cmp_eq_u32_e64 s7, v6, v30
	v_and_b32_e32 v6, v4, v29
	v_bfe_u32 v4, v4, s63, 2
	v_cmp_eq_u32_e64 s8, 0, v3
	v_cmp_eq_u32_e64 s9, 1, v3
	;; [unrolled: 1-line block ×4, first 2 shown]
	s_waitcnt vmcnt(0)
	v_add_nc_u32_e32 v2, 0x8000, v2
	v_and_b32_e32 v3, v5, v29
	v_cmp_eq_u32_e64 s12, v6, v30
	v_bfe_u32 v5, v5, s63, 2
	v_cmp_eq_u32_e64 s13, 0, v4
	s_and_b32 s8, s7, s8
	v_cmp_eq_u32_e64 s16, v3, v30
	v_cndmask_b32_e64 v6, 0, 1, s8
	v_and_b32_e32 v3, v2, v29
	v_bfe_u32 v2, v2, s63, 2
	v_cmp_eq_u32_e64 s17, 0, v5
	s_and_b32 s13, s12, s13
	v_cmp_eq_u32_e64 s8, 1, v4
	v_cmp_eq_u32_e64 s14, 2, v4
	;; [unrolled: 1-line block ×3, first 2 shown]
	v_cmp_ne_u32_e64 s18, 0, v6
	v_cndmask_b32_e64 v4, 0, 1, s13
	v_cmp_eq_u32_e64 s21, v3, v30
	v_cmp_eq_u32_e64 s22, 0, v2
	s_and_b32 s17, s16, s17
	s_bcnt1_i32_b32 s96, s18
	v_cmp_ne_u32_e64 s18, 0, v4
	v_cndmask_b32_e64 v3, 0, 1, s17
	s_and_b32 s22, s21, s22
	v_cmp_eq_u32_e64 s17, 1, v2
	v_cmp_eq_u32_e64 s23, 2, v2
	;; [unrolled: 1-line block ×3, first 2 shown]
	v_cndmask_b32_e64 v2, 0, 1, s22
	s_bcnt1_i32_b32 s22, s18
	v_cmp_ne_u32_e64 s18, 0, v3
	s_add_i32 s96, s22, s96
	v_cmp_eq_u32_e64 s13, 1, v5
	v_cmp_ne_u32_e64 s22, 0, v2
	v_cmp_eq_u32_e64 s19, 2, v5
	s_bcnt1_i32_b32 s18, s18
	v_cmp_eq_u32_e64 s20, 3, v5
	s_add_i32 s18, s96, s18
	s_bcnt1_i32_b32 s22, s22
	s_delay_alu instid0(SALU_CYCLE_1) | instskip(NEXT) | instid1(SALU_CYCLE_1)
	s_add_i32 s18, s18, s22
	s_add_u32 s70, s70, s18
	s_addc_u32 s71, s71, 0
	s_and_b32 s9, s7, s9
	s_and_b32 s8, s12, s8
	v_cndmask_b32_e64 v2, 0, 1, s9
	v_cndmask_b32_e64 v3, 0, 1, s8
	s_and_b32 s8, s16, s13
	s_delay_alu instid0(SALU_CYCLE_1) | instskip(SKIP_1) | instid1(VALU_DEP_2)
	v_cndmask_b32_e64 v4, 0, 1, s8
	s_and_b32 s8, s21, s17
	v_cmp_ne_u32_e64 s9, 0, v3
	v_cndmask_b32_e64 v5, 0, 1, s8
	v_cmp_ne_u32_e64 s8, 0, v2
	v_cmp_ne_u32_e64 s13, 0, v4
	s_delay_alu instid0(VALU_DEP_4) | instskip(NEXT) | instid1(VALU_DEP_3)
	s_bcnt1_i32_b32 s9, s9
	v_cmp_ne_u32_e64 s17, 0, v5
	s_delay_alu instid0(VALU_DEP_3) | instskip(NEXT) | instid1(VALU_DEP_2)
	s_bcnt1_i32_b32 s8, s8
	s_bcnt1_i32_b32 s13, s13
	s_add_i32 s8, s9, s8
	s_delay_alu instid0(VALU_DEP_1) | instskip(SKIP_1) | instid1(SALU_CYCLE_1)
	s_bcnt1_i32_b32 s17, s17
	s_add_i32 s8, s8, s13
	s_add_i32 s8, s8, s17
	s_delay_alu instid0(SALU_CYCLE_1) | instskip(SKIP_2) | instid1(SALU_CYCLE_1)
	s_add_u32 s68, s68, s8
	s_addc_u32 s69, s69, 0
	s_and_b32 s8, s7, s10
	v_cndmask_b32_e64 v2, 0, 1, s8
	s_and_b32 s8, s12, s14
	s_delay_alu instid0(SALU_CYCLE_1) | instskip(SKIP_1) | instid1(SALU_CYCLE_1)
	v_cndmask_b32_e64 v3, 0, 1, s8
	s_and_b32 s8, s16, s19
	v_cndmask_b32_e64 v4, 0, 1, s8
	s_and_b32 s8, s21, s23
	s_delay_alu instid0(VALU_DEP_2) | instskip(SKIP_3) | instid1(VALU_DEP_4)
	v_cmp_ne_u32_e64 s9, 0, v3
	v_cndmask_b32_e64 v5, 0, 1, s8
	v_cmp_ne_u32_e64 s8, 0, v2
	v_cmp_ne_u32_e64 s10, 0, v4
	s_bcnt1_i32_b32 s9, s9
	s_delay_alu instid0(VALU_DEP_3) | instskip(NEXT) | instid1(VALU_DEP_3)
	v_cmp_ne_u32_e64 s13, 0, v5
	s_bcnt1_i32_b32 s8, s8
	s_delay_alu instid0(VALU_DEP_2) | instskip(SKIP_1) | instid1(VALU_DEP_1)
	s_bcnt1_i32_b32 s10, s10
	s_add_i32 s8, s9, s8
	s_bcnt1_i32_b32 s13, s13
	s_add_i32 s8, s8, s10
	s_delay_alu instid0(SALU_CYCLE_1) | instskip(NEXT) | instid1(SALU_CYCLE_1)
	s_add_i32 s8, s8, s13
	s_add_u32 s66, s66, s8
	s_addc_u32 s67, s67, 0
	s_and_b32 s7, s7, s11
	v_mov_b32_e32 v6, s66
	v_cndmask_b32_e64 v2, 0, 1, s7
	s_and_b32 s7, s12, s15
	v_mov_b32_e32 v7, s67
	v_cndmask_b32_e64 v3, 0, 1, s7
	s_and_b32 s7, s16, s20
	s_delay_alu instid0(SALU_CYCLE_1) | instskip(SKIP_1) | instid1(VALU_DEP_2)
	v_cndmask_b32_e64 v4, 0, 1, s7
	s_and_b32 s7, s21, s24
	v_cmp_ne_u32_e64 s8, 0, v3
	v_cndmask_b32_e64 v5, 0, 1, s7
	v_cmp_ne_u32_e64 s7, 0, v2
	v_cmp_ne_u32_e64 s9, 0, v4
	v_mov_b32_e32 v2, s70
	s_bcnt1_i32_b32 s8, s8
	v_cmp_ne_u32_e64 s10, 0, v5
	s_bcnt1_i32_b32 s7, s7
	s_bcnt1_i32_b32 s9, s9
	s_add_i32 s7, s8, s7
	v_mov_b32_e32 v4, s68
	s_bcnt1_i32_b32 s8, s10
	s_add_i32 s7, s7, s9
	v_mov_b32_e32 v3, s71
	s_add_i32 s7, s7, s8
	v_mov_b32_e32 v5, s69
	s_add_u32 s64, s64, s7
	s_addc_u32 s65, s65, 0
	s_delay_alu instid0(SALU_CYCLE_1) | instskip(SKIP_1) | instid1(SALU_CYCLE_1)
	v_dual_mov_b32 v8, s64 :: v_dual_mov_b32 v9, s65
	s_or_b32 s58, vcc_lo, s58
	s_and_not1_b32 exec_lo, exec_lo, s58
	s_cbranch_execnz .LBB171_48
; %bb.49:                               ;   in Loop: Header=BB171_12 Depth=1
	s_or_b32 exec_lo, exec_lo, s58
.LBB171_50:                             ;   in Loop: Header=BB171_12 Depth=1
	s_delay_alu instid0(SALU_CYCLE_1) | instskip(SKIP_3) | instid1(VALU_DEP_2)
	s_or_b32 exec_lo, exec_lo, s26
	v_add_co_u32 v18, vcc_lo, v18, v0
	v_add_co_ci_u32_e32 v19, vcc_lo, 0, v19, vcc_lo
	v_dual_mov_b32 v21, 0 :: v_dual_and_b32 v12, 0xffff, v32
	v_cmp_gt_u64_e32 vcc_lo, s[36:37], v[18:19]
	s_and_saveexec_b32 s8, vcc_lo
	s_cbranch_execz .LBB171_52
; %bb.51:                               ;   in Loop: Header=BB171_12 Depth=1
	v_mul_lo_u32 v32, v19, s30
	v_mul_lo_u32 v33, v18, s31
	v_mad_u64_u32 v[20:21], null, v18, s30, 0
	s_delay_alu instid0(VALU_DEP_1) | instskip(NEXT) | instid1(VALU_DEP_1)
	v_add3_u32 v21, v21, v33, v32
	v_lshlrev_b64 v[20:21], 1, v[20:21]
	s_delay_alu instid0(VALU_DEP_1) | instskip(NEXT) | instid1(VALU_DEP_1)
	v_add_co_u32 v20, s7, s33, v20
	v_add_co_ci_u32_e64 v21, s7, s35, v21, s7
	global_load_u16 v21, v[20:21], off
.LBB171_52:                             ;   in Loop: Header=BB171_12 Depth=1
	s_or_b32 exec_lo, exec_lo, s8
	s_and_saveexec_b32 s11, vcc_lo
	s_cbranch_execz .LBB171_59
; %bb.53:                               ;   in Loop: Header=BB171_12 Depth=1
	s_and_b32 s13, s89, 0xfe
	s_mov_b32 s12, 0
	s_branch .LBB171_55
.LBB171_54:                             ;   in Loop: Header=BB171_55 Depth=2
	s_or_b32 exec_lo, exec_lo, s8
	s_waitcnt vmcnt(0)
	v_bfe_i32 v21, v21, 0, 16
	s_and_b32 s9, exec_lo, vcc_lo
	s_delay_alu instid0(SALU_CYCLE_1) | instskip(NEXT) | instid1(VALU_DEP_1)
	s_or_b32 s12, s9, s12
	v_add_nc_u32_e32 v21, 0x8000, v21
	s_delay_alu instid0(VALU_DEP_1) | instskip(SKIP_1) | instid1(VALU_DEP_2)
	v_and_b32_e32 v32, v21, v29
	v_bfe_u32 v21, v21, s13, 2
	v_cmp_eq_u32_e64 s7, v32, v30
	s_delay_alu instid0(VALU_DEP_2) | instskip(SKIP_2) | instid1(VALU_DEP_3)
	v_cmp_eq_u32_e64 s8, 0, v21
	v_cmp_eq_u32_e32 vcc_lo, 1, v21
	v_cmp_eq_u32_e64 s9, 2, v21
	s_and_b32 s8, s7, s8
	s_delay_alu instid0(SALU_CYCLE_1) | instskip(SKIP_4) | instid1(SALU_CYCLE_1)
	v_cndmask_b32_e64 v32, 0, 1, s8
	s_and_b32 s8, s7, vcc_lo
	v_cmp_eq_u32_e32 vcc_lo, 3, v21
	v_cndmask_b32_e64 v33, 0, 1, s8
	s_and_b32 s8, s7, s9
	v_cndmask_b32_e64 v34, 0, 1, s8
	v_cmp_ne_u32_e64 s8, 0, v32
	s_delay_alu instid0(VALU_DEP_3) | instskip(SKIP_1) | instid1(SALU_CYCLE_1)
	v_cmp_ne_u32_e64 s9, 0, v33
	s_and_b32 s7, s7, vcc_lo
	v_cndmask_b32_e64 v21, 0, 1, s7
	s_delay_alu instid0(VALU_DEP_3)
	s_bcnt1_i32_b32 s7, s8
	v_cmp_ne_u32_e64 s10, 0, v34
	v_add_co_u32 v2, vcc_lo, v2, s7
	s_bcnt1_i32_b32 s8, s9
	v_add_co_ci_u32_e32 v3, vcc_lo, 0, v3, vcc_lo
	v_add_co_u32 v4, vcc_lo, v4, s8
	v_add_co_ci_u32_e32 v5, vcc_lo, 0, v5, vcc_lo
	s_bcnt1_i32_b32 s9, s10
	v_cmp_ne_u32_e32 vcc_lo, 0, v21
	v_mov_b32_e32 v21, v20
	v_add_co_u32 v6, s7, v6, s9
	s_delay_alu instid0(VALU_DEP_1) | instskip(SKIP_1) | instid1(SALU_CYCLE_1)
	v_add_co_ci_u32_e64 v7, s7, 0, v7, s7
	s_bcnt1_i32_b32 s7, vcc_lo
	v_add_co_u32 v8, vcc_lo, v8, s7
	v_add_co_ci_u32_e32 v9, vcc_lo, 0, v9, vcc_lo
	s_and_not1_b32 exec_lo, exec_lo, s12
	s_cbranch_execz .LBB171_58
.LBB171_55:                             ;   Parent Loop BB171_12 Depth=1
                                        ; =>  This Inner Loop Header: Depth=2
	v_add_co_u32 v18, vcc_lo, v18, v12
	v_add_co_ci_u32_e32 v19, vcc_lo, 0, v19, vcc_lo
	v_mov_b32_e32 v20, 0
	s_mov_b32 s8, exec_lo
	s_delay_alu instid0(VALU_DEP_2)
	v_cmp_le_u64_e32 vcc_lo, s[36:37], v[18:19]
	v_cmpx_gt_u64_e64 s[36:37], v[18:19]
	s_cbranch_execz .LBB171_54
; %bb.56:                               ;   in Loop: Header=BB171_55 Depth=2
	v_mul_lo_u32 v20, v19, s30
	v_mul_lo_u32 v34, v18, s31
	v_mad_u64_u32 v[32:33], null, v18, s30, 0
	s_delay_alu instid0(VALU_DEP_1) | instskip(NEXT) | instid1(VALU_DEP_1)
	v_add3_u32 v33, v33, v34, v20
	v_lshlrev_b64 v[32:33], 1, v[32:33]
	s_delay_alu instid0(VALU_DEP_1) | instskip(NEXT) | instid1(VALU_DEP_1)
	v_add_co_u32 v32, s7, s33, v32
	v_add_co_ci_u32_e64 v33, s7, s35, v33, s7
	global_load_u16 v20, v[32:33], off
	s_branch .LBB171_54
.LBB171_57:                             ;   in Loop: Header=BB171_12 Depth=1
                                        ; implicit-def: $vgpr8_vgpr9
                                        ; implicit-def: $vgpr4_vgpr5
	s_cbranch_execnz .LBB171_60
	s_branch .LBB171_69
.LBB171_58:                             ;   in Loop: Header=BB171_12 Depth=1
	s_or_b32 exec_lo, exec_lo, s12
.LBB171_59:                             ;   in Loop: Header=BB171_12 Depth=1
	s_delay_alu instid0(SALU_CYCLE_1)
	s_or_b32 exec_lo, exec_lo, s11
	s_branch .LBB171_69
.LBB171_60:                             ;   in Loop: Header=BB171_12 Depth=1
	global_load_u16 v8, v13, s[60:61]
	s_mov_b64 s[64:65], 0
	s_mov_b32 s96, exec_lo
	s_waitcnt vmcnt(0)
	v_readfirstlane_b32 s7, v8
	v_and_b32_e32 v20, 0xffff, v8
	s_delay_alu instid0(VALU_DEP_2) | instskip(NEXT) | instid1(SALU_CYCLE_1)
	s_and_b32 s7, 0xffff, s7
	s_lshl_b32 s63, s7, 2
	s_delay_alu instid0(SALU_CYCLE_1) | instskip(SKIP_1) | instid1(VALU_DEP_1)
	v_cvt_f32_u32_e32 v2, s63
	s_sub_i32 s8, 0, s63
	v_rcp_iflag_f32_e32 v2, v2
	s_waitcnt_depctr 0xfff
	v_mul_f32_e32 v2, 0x4f7ffffe, v2
	s_delay_alu instid0(VALU_DEP_1) | instskip(NEXT) | instid1(VALU_DEP_1)
	v_cvt_u32_f32_e32 v2, v2
	v_readfirstlane_b32 s7, v2
	v_mov_b32_e32 v2, 0
	v_mov_b32_e32 v3, 0
	s_delay_alu instid0(VALU_DEP_3) | instskip(NEXT) | instid1(VALU_DEP_1)
	s_mul_i32 s8, s8, s7
	v_dual_mov_b32 v5, v3 :: v_dual_mov_b32 v4, v2
	s_mul_hi_u32 s8, s7, s8
	v_dual_mov_b32 v7, v3 :: v_dual_mov_b32 v6, v2
	s_add_i32 s7, s7, s8
	v_dual_mov_b32 v9, v3 :: v_dual_mov_b32 v8, v2
	s_mul_hi_u32 s7, s62, s7
	s_delay_alu instid0(SALU_CYCLE_1) | instskip(NEXT) | instid1(SALU_CYCLE_1)
	s_mul_i32 s7, s7, s63
	s_sub_i32 s7, s62, s7
	s_delay_alu instid0(SALU_CYCLE_1) | instskip(SKIP_2) | instid1(SALU_CYCLE_1)
	s_sub_i32 s8, s7, s63
	s_cmp_ge_u32 s7, s63
	s_cselect_b32 s7, s8, s7
	s_sub_i32 s8, s7, s63
	s_cmp_ge_u32 s7, s63
	s_cselect_b32 s7, s8, s7
	s_delay_alu instid0(SALU_CYCLE_1) | instskip(NEXT) | instid1(SALU_CYCLE_1)
	s_sub_i32 s58, s62, s7
	v_cmpx_gt_u32_e64 s58, v14
	s_cbranch_execz .LBB171_64
; %bb.61:                               ;   in Loop: Header=BB171_12 Depth=1
	v_dual_mov_b32 v21, v27 :: v_dual_lshlrev_b32 v12, 3, v20
	v_dual_mov_b32 v19, v15 :: v_dual_mov_b32 v18, v14
	s_and_b32 s97, s89, 0xfe
	s_mov_b32 s98, 0
	s_mov_b64 s[66:67], 0
	s_mov_b64 s[68:69], 0
	;; [unrolled: 1-line block ×3, first 2 shown]
.LBB171_62:                             ;   Parent Loop BB171_12 Depth=1
                                        ; =>  This Inner Loop Header: Depth=2
	ds_load_b64 v[2:3], v21
	v_add_co_u32 v18, vcc_lo, v18, s63
	v_add_co_ci_u32_e32 v19, vcc_lo, 0, v19, vcc_lo
	s_delay_alu instid0(VALU_DEP_1)
	v_cmp_le_u64_e32 vcc_lo, s[58:59], v[18:19]
	s_waitcnt lgkmcnt(0)
	v_bfe_i32 v4, v2, 0, 16
	v_ashrrev_i32_e32 v2, 16, v2
	v_bfe_i32 v5, v3, 0, 16
	v_ashrrev_i32_e32 v3, 16, v3
	s_delay_alu instid0(VALU_DEP_4) | instskip(NEXT) | instid1(VALU_DEP_4)
	v_add_nc_u32_e32 v4, 0x8000, v4
	v_add_nc_u32_e32 v2, 0x8000, v2
	s_delay_alu instid0(VALU_DEP_4) | instskip(NEXT) | instid1(VALU_DEP_4)
	v_add_nc_u32_e32 v5, 0x8000, v5
	v_add_nc_u32_e32 v3, 0x8000, v3
	s_delay_alu instid0(VALU_DEP_4)
	v_and_b32_e32 v6, v4, v29
	v_bfe_u32 v4, v4, s97, 2
	v_and_b32_e32 v7, v2, v29
	v_bfe_u32 v2, v2, s97, 2
	;; [unrolled: 2-line block ×3, first 2 shown]
	v_cmp_eq_u32_e64 s7, v6, v30
	v_cmp_eq_u32_e64 s11, 0, v4
	v_and_b32_e32 v9, v3, v29
	v_bfe_u32 v3, v3, s97, 2
	v_cmp_eq_u32_e64 s8, v7, v30
	v_cmp_eq_u32_e64 s12, 0, v2
	;; [unrolled: 1-line block ×4, first 2 shown]
	s_and_b32 s11, s7, s11
	v_cmp_eq_u32_e64 s10, v9, v30
	v_cmp_eq_u32_e64 s14, 0, v3
	v_cmp_eq_u32_e64 s16, 1, v2
	v_cmp_eq_u32_e64 s20, 2, v2
	v_cmp_eq_u32_e64 s24, 3, v2
	v_cndmask_b32_e64 v2, 0, 1, s11
	s_and_b32 s11, s8, s12
	v_cmp_eq_u32_e64 s18, 1, v3
	v_cmp_eq_u32_e64 s22, 2, v3
	v_cmp_eq_u32_e64 s26, 3, v3
	v_cndmask_b32_e64 v3, 0, 1, s11
	s_and_b32 s11, s9, s13
	v_cmp_eq_u32_e64 s15, 1, v4
	v_cmp_eq_u32_e64 s19, 2, v4
	v_cmp_eq_u32_e64 s23, 3, v4
	;; [unrolled: 5-line block ×3, first 2 shown]
	v_cndmask_b32_e64 v5, 0, 1, s11
	v_cmp_ne_u32_e64 s11, 0, v2
	v_cmp_ne_u32_e64 s12, 0, v3
	;; [unrolled: 1-line block ×3, first 2 shown]
	s_delay_alu instid0(VALU_DEP_4) | instskip(NEXT) | instid1(VALU_DEP_4)
	v_cmp_ne_u32_e64 s14, 0, v5
	s_bcnt1_i32_b32 s11, s11
	s_delay_alu instid0(VALU_DEP_3) | instskip(NEXT) | instid1(VALU_DEP_2)
	s_bcnt1_i32_b32 s12, s12
	s_bcnt1_i32_b32 s13, s13
	s_add_i32 s11, s12, s11
	s_bcnt1_i32_b32 s14, s14
	s_add_i32 s11, s11, s13
	s_delay_alu instid0(SALU_CYCLE_1) | instskip(NEXT) | instid1(SALU_CYCLE_1)
	s_add_i32 s11, s11, s14
	s_add_u32 s70, s70, s11
	s_addc_u32 s71, s71, 0
	s_and_b32 s11, s7, s15
	v_add_nc_u32_e32 v21, v21, v12
	v_cndmask_b32_e64 v2, 0, 1, s11
	s_and_b32 s11, s8, s16
	s_delay_alu instid0(SALU_CYCLE_1) | instskip(SKIP_1) | instid1(SALU_CYCLE_1)
	v_cndmask_b32_e64 v3, 0, 1, s11
	s_and_b32 s11, s9, s17
	v_cndmask_b32_e64 v4, 0, 1, s11
	s_and_b32 s11, s10, s18
	s_delay_alu instid0(VALU_DEP_2) | instskip(SKIP_3) | instid1(VALU_DEP_4)
	v_cmp_ne_u32_e64 s12, 0, v3
	v_cndmask_b32_e64 v5, 0, 1, s11
	v_cmp_ne_u32_e64 s11, 0, v2
	v_cmp_ne_u32_e64 s13, 0, v4
	s_bcnt1_i32_b32 s12, s12
	s_delay_alu instid0(VALU_DEP_3) | instskip(NEXT) | instid1(VALU_DEP_3)
	v_cmp_ne_u32_e64 s14, 0, v5
	s_bcnt1_i32_b32 s11, s11
	s_delay_alu instid0(VALU_DEP_2) | instskip(SKIP_1) | instid1(VALU_DEP_1)
	s_bcnt1_i32_b32 s13, s13
	s_add_i32 s11, s12, s11
	s_bcnt1_i32_b32 s14, s14
	s_add_i32 s11, s11, s13
	s_delay_alu instid0(SALU_CYCLE_1) | instskip(NEXT) | instid1(SALU_CYCLE_1)
	s_add_i32 s11, s11, s14
	s_add_u32 s68, s68, s11
	s_addc_u32 s69, s69, 0
	s_and_b32 s11, s7, s19
	s_delay_alu instid0(SALU_CYCLE_1) | instskip(SKIP_1) | instid1(SALU_CYCLE_1)
	v_cndmask_b32_e64 v2, 0, 1, s11
	s_and_b32 s11, s8, s20
	v_cndmask_b32_e64 v3, 0, 1, s11
	s_and_b32 s11, s9, s21
	s_delay_alu instid0(SALU_CYCLE_1) | instskip(SKIP_1) | instid1(VALU_DEP_2)
	v_cndmask_b32_e64 v4, 0, 1, s11
	s_and_b32 s11, s10, s22
	v_cmp_ne_u32_e64 s12, 0, v3
	v_cndmask_b32_e64 v5, 0, 1, s11
	v_cmp_ne_u32_e64 s11, 0, v2
	v_cmp_ne_u32_e64 s13, 0, v4
	s_delay_alu instid0(VALU_DEP_4) | instskip(NEXT) | instid1(VALU_DEP_3)
	s_bcnt1_i32_b32 s12, s12
	v_cmp_ne_u32_e64 s14, 0, v5
	s_delay_alu instid0(VALU_DEP_3) | instskip(NEXT) | instid1(VALU_DEP_2)
	s_bcnt1_i32_b32 s11, s11
	s_bcnt1_i32_b32 s13, s13
	s_add_i32 s11, s12, s11
	s_delay_alu instid0(VALU_DEP_1) | instskip(SKIP_1) | instid1(SALU_CYCLE_1)
	s_bcnt1_i32_b32 s14, s14
	s_add_i32 s11, s11, s13
	s_add_i32 s11, s11, s14
	s_delay_alu instid0(SALU_CYCLE_1)
	s_add_u32 s66, s66, s11
	s_addc_u32 s67, s67, 0
	s_and_b32 s7, s7, s23
	v_mov_b32_e32 v6, s66
	v_cndmask_b32_e64 v2, 0, 1, s7
	s_and_b32 s7, s8, s24
	v_mov_b32_e32 v7, s67
	v_cndmask_b32_e64 v3, 0, 1, s7
	s_and_b32 s7, s9, s25
	s_delay_alu instid0(SALU_CYCLE_1) | instskip(SKIP_1) | instid1(VALU_DEP_2)
	v_cndmask_b32_e64 v4, 0, 1, s7
	s_and_b32 s7, s10, s26
	v_cmp_ne_u32_e64 s8, 0, v3
	v_cndmask_b32_e64 v5, 0, 1, s7
	v_cmp_ne_u32_e64 s7, 0, v2
	v_mov_b32_e32 v2, s70
	v_cmp_ne_u32_e64 s9, 0, v4
	s_bcnt1_i32_b32 s8, s8
	v_cmp_ne_u32_e64 s10, 0, v5
	s_bcnt1_i32_b32 s7, s7
	v_mov_b32_e32 v4, s68
	s_bcnt1_i32_b32 s9, s9
	s_add_i32 s7, s8, s7
	s_bcnt1_i32_b32 s8, s10
	s_add_i32 s7, s7, s9
	v_mov_b32_e32 v3, s71
	s_add_i32 s7, s7, s8
	v_mov_b32_e32 v5, s69
	s_add_u32 s64, s64, s7
	s_addc_u32 s65, s65, 0
	s_delay_alu instid0(SALU_CYCLE_1) | instskip(SKIP_1) | instid1(SALU_CYCLE_1)
	v_dual_mov_b32 v8, s64 :: v_dual_mov_b32 v9, s65
	s_or_b32 s98, vcc_lo, s98
	s_and_not1_b32 exec_lo, exec_lo, s98
	s_cbranch_execnz .LBB171_62
; %bb.63:                               ;   in Loop: Header=BB171_12 Depth=1
	s_or_b32 exec_lo, exec_lo, s98
.LBB171_64:                             ;   in Loop: Header=BB171_12 Depth=1
	s_delay_alu instid0(SALU_CYCLE_1) | instskip(SKIP_2) | instid1(VALU_DEP_1)
	s_or_b32 exec_lo, exec_lo, s96
	v_add_nc_u32_e32 v12, s58, v0
	s_mov_b32 s14, exec_lo
	v_cmpx_gt_u32_e64 s62, v12
	s_cbranch_execz .LBB171_68
; %bb.65:                               ;   in Loop: Header=BB171_12 Depth=1
	v_dual_mov_b32 v19, v13 :: v_dual_lshlrev_b32 v32, 1, v20
	v_dual_mov_b32 v18, v12 :: v_dual_lshlrev_b32 v21, 1, v12
	s_mov_b32 s13, 0
	s_and_b32 s12, s62, 0x7fffffff
	s_and_b32 s16, s89, 0xfe
	s_mov_b32 s15, s13
.LBB171_66:                             ;   Parent Loop BB171_12 Depth=1
                                        ; =>  This Inner Loop Header: Depth=2
	ds_load_i16 v12, v21
	v_add_co_u32 v18, vcc_lo, v18, v20
	v_add_co_ci_u32_e32 v19, vcc_lo, 0, v19, vcc_lo
	v_add_nc_u32_e32 v21, v21, v32
	s_delay_alu instid0(VALU_DEP_2) | instskip(SKIP_2) | instid1(VALU_DEP_1)
	v_cmp_le_u64_e32 vcc_lo, s[12:13], v[18:19]
	s_waitcnt lgkmcnt(0)
	v_add_nc_u32_e32 v12, 0x8000, v12
	v_and_b32_e32 v33, v12, v29
	v_bfe_u32 v12, v12, s16, 2
	s_delay_alu instid0(VALU_DEP_2) | instskip(NEXT) | instid1(VALU_DEP_2)
	v_cmp_eq_u32_e64 s7, v33, v30
	v_cmp_eq_u32_e64 s8, 0, v12
	v_cmp_eq_u32_e64 s9, 1, v12
	v_cmp_eq_u32_e64 s10, 2, v12
	v_cmp_eq_u32_e64 s11, 3, v12
	s_delay_alu instid0(VALU_DEP_4) | instskip(NEXT) | instid1(SALU_CYCLE_1)
	s_and_b32 s8, s7, s8
	v_cndmask_b32_e64 v12, 0, 1, s8
	s_and_b32 s8, s7, s9
	s_delay_alu instid0(SALU_CYCLE_1)
	v_cndmask_b32_e64 v33, 0, 1, s8
	s_and_b32 s8, s7, s10
	s_and_b32 s7, s7, s11
	v_cndmask_b32_e64 v34, 0, 1, s8
	v_cndmask_b32_e64 v35, 0, 1, s7
	v_cmp_ne_u32_e64 s7, 0, v12
	v_cmp_ne_u32_e64 s8, 0, v33
	s_delay_alu instid0(VALU_DEP_4) | instskip(NEXT) | instid1(VALU_DEP_4)
	v_cmp_ne_u32_e64 s9, 0, v34
	v_cmp_ne_u32_e64 s10, 0, v35
	s_delay_alu instid0(VALU_DEP_4) | instskip(NEXT) | instid1(VALU_DEP_3)
	s_bcnt1_i32_b32 s7, s7
	s_bcnt1_i32_b32 s8, s8
	v_add_co_u32 v2, s7, v2, s7
	s_delay_alu instid0(VALU_DEP_1)
	v_add_co_ci_u32_e64 v3, s7, 0, v3, s7
	v_add_co_u32 v4, s7, v4, s8
	s_bcnt1_i32_b32 s9, s9
	v_add_co_ci_u32_e64 v5, s7, 0, v5, s7
	v_add_co_u32 v6, s7, v6, s9
	s_bcnt1_i32_b32 s10, s10
	v_add_co_ci_u32_e64 v7, s7, 0, v7, s7
	v_add_co_u32 v8, s7, v8, s10
	s_delay_alu instid0(VALU_DEP_1) | instskip(SKIP_1) | instid1(SALU_CYCLE_1)
	v_add_co_ci_u32_e64 v9, s7, 0, v9, s7
	s_or_b32 s15, vcc_lo, s15
	s_and_not1_b32 exec_lo, exec_lo, s15
	s_cbranch_execnz .LBB171_66
; %bb.67:                               ;   in Loop: Header=BB171_12 Depth=1
	s_or_b32 exec_lo, exec_lo, s15
.LBB171_68:                             ;   in Loop: Header=BB171_12 Depth=1
	s_delay_alu instid0(SALU_CYCLE_1)
	s_or_b32 exec_lo, exec_lo, s14
.LBB171_69:                             ;   in Loop: Header=BB171_12 Depth=1
	s_lshl_b32 s7, s85, 7
	s_and_saveexec_b32 s8, s2
	s_cbranch_execz .LBB171_71
; %bb.70:                               ;   in Loop: Header=BB171_12 Depth=1
	v_or_b32_e32 v12, s7, v24
	s_delay_alu instid0(VALU_DEP_1)
	v_lshlrev_b32_e32 v12, 3, v12
	ds_store_b128 v12, v[2:5] offset:3072
	ds_store_b128 v12, v[6:9] offset:3088
.LBB171_71:                             ;   in Loop: Header=BB171_12 Depth=1
	s_or_b32 exec_lo, exec_lo, s8
	s_waitcnt vmcnt(0) lgkmcnt(0)
	s_barrier
	buffer_gl0_inv
	s_and_saveexec_b32 s8, s72
	s_cbranch_execz .LBB171_82
; %bb.72:                               ;   in Loop: Header=BB171_12 Depth=1
	v_mov_b32_e32 v2, 0
	v_mov_b32_e32 v3, 0
	s_and_not1_b32 vcc_lo, exec_lo, s80
	s_cbranch_vccnz .LBB171_81
; %bb.73:                               ;   in Loop: Header=BB171_12 Depth=1
	v_mov_b32_e32 v2, 0
	v_mov_b32_e32 v3, 0
	s_and_not1_b32 vcc_lo, exec_lo, s78
	s_cbranch_vccnz .LBB171_78
; %bb.74:                               ;   in Loop: Header=BB171_12 Depth=1
	v_lshl_add_u32 v4, s85, 10, v28
	s_mov_b32 s9, 0
	s_set_inst_prefetch_distance 0x1
	.p2align	6
.LBB171_75:                             ;   Parent Loop BB171_12 Depth=1
                                        ; =>  This Inner Loop Header: Depth=2
	ds_load_2addr_b64 v[5:8], v4 offset1:4
	ds_load_2addr_b64 v[18:21], v4 offset0:8 offset1:12
	ds_load_2addr_b64 v[32:35], v4 offset0:16 offset1:20
	s_add_i32 s9, s9, 8
	s_delay_alu instid0(SALU_CYCLE_1) | instskip(SKIP_3) | instid1(VALU_DEP_2)
	s_cmp_eq_u32 s79, s9
	s_waitcnt lgkmcnt(2)
	v_add_co_u32 v2, vcc_lo, v5, v2
	v_add_co_ci_u32_e32 v3, vcc_lo, v6, v3, vcc_lo
	v_add_co_u32 v2, vcc_lo, v7, v2
	s_delay_alu instid0(VALU_DEP_2)
	v_add_co_ci_u32_e32 v3, vcc_lo, v8, v3, vcc_lo
	ds_load_2addr_b64 v[5:8], v4 offset0:24 offset1:28
	s_waitcnt lgkmcnt(2)
	v_add_co_u32 v2, vcc_lo, v18, v2
	v_add_co_ci_u32_e32 v3, vcc_lo, v19, v3, vcc_lo
	v_add_nc_u32_e32 v4, 0x100, v4
	s_delay_alu instid0(VALU_DEP_3) | instskip(NEXT) | instid1(VALU_DEP_3)
	v_add_co_u32 v2, vcc_lo, v20, v2
	v_add_co_ci_u32_e32 v3, vcc_lo, v21, v3, vcc_lo
	s_waitcnt lgkmcnt(1)
	s_delay_alu instid0(VALU_DEP_2) | instskip(NEXT) | instid1(VALU_DEP_2)
	v_add_co_u32 v2, vcc_lo, v32, v2
	v_add_co_ci_u32_e32 v3, vcc_lo, v33, v3, vcc_lo
	s_delay_alu instid0(VALU_DEP_2) | instskip(NEXT) | instid1(VALU_DEP_2)
	v_add_co_u32 v2, vcc_lo, v34, v2
	v_add_co_ci_u32_e32 v3, vcc_lo, v35, v3, vcc_lo
	s_waitcnt lgkmcnt(0)
	s_delay_alu instid0(VALU_DEP_2) | instskip(NEXT) | instid1(VALU_DEP_2)
	v_add_co_u32 v2, vcc_lo, v5, v2
	v_add_co_ci_u32_e32 v3, vcc_lo, v6, v3, vcc_lo
	s_delay_alu instid0(VALU_DEP_2) | instskip(NEXT) | instid1(VALU_DEP_2)
	v_add_co_u32 v2, vcc_lo, v7, v2
	v_add_co_ci_u32_e32 v3, vcc_lo, v8, v3, vcc_lo
	s_cbranch_scc0 .LBB171_75
; %bb.76:                               ;   in Loop: Header=BB171_12 Depth=1
	s_set_inst_prefetch_distance 0x2
	s_mov_b32 s9, s79
	s_and_not1_b32 vcc_lo, exec_lo, s81
	s_cbranch_vccz .LBB171_79
	s_branch .LBB171_81
.LBB171_77:                             ;   in Loop: Header=BB171_12 Depth=1
                                        ; implicit-def: $vgpr2_vgpr3
	s_branch .LBB171_45
.LBB171_78:                             ;   in Loop: Header=BB171_12 Depth=1
	s_mov_b32 s9, 0
	s_and_not1_b32 vcc_lo, exec_lo, s81
	s_cbranch_vccnz .LBB171_81
.LBB171_79:                             ;   in Loop: Header=BB171_12 Depth=1
	s_lshl_b32 s10, s85, 10
	s_lshl_b32 s9, s9, 5
	s_delay_alu instid0(SALU_CYCLE_1)
	v_add3_u32 v4, s10, s9, v28
	s_mov_b32 s9, s77
.LBB171_80:                             ;   Parent Loop BB171_12 Depth=1
                                        ; =>  This Inner Loop Header: Depth=2
	ds_load_b64 v[5:6], v4
	v_add_nc_u32_e32 v4, 32, v4
	s_add_i32 s9, s9, -1
	s_delay_alu instid0(SALU_CYCLE_1)
	s_cmp_lg_u32 s9, 0
	s_waitcnt lgkmcnt(0)
	v_add_co_u32 v2, vcc_lo, v5, v2
	v_add_co_ci_u32_e32 v3, vcc_lo, v6, v3, vcc_lo
	s_cbranch_scc1 .LBB171_80
.LBB171_81:                             ;   in Loop: Header=BB171_12 Depth=1
	v_add_lshl_u32 v4, s7, v23, 3
	ds_store_b64 v4, v[2:3] offset:3072
.LBB171_82:                             ;   in Loop: Header=BB171_12 Depth=1
	s_or_b32 exec_lo, exec_lo, s8
	s_lshl_b32 s7, s7, 3
	s_waitcnt lgkmcnt(0)
	v_mov_b32_e32 v6, s7
	s_barrier
	buffer_gl0_inv
	s_and_b32 s22, s89, 0xfe
	v_cmp_eq_u64_e64 s7, 1, v[16:17]
	ds_load_b128 v[2:5], v6 offset:3072
	ds_load_b128 v[6:9], v6 offset:3088
	s_lshl_b32 s20, 3, s22
	s_and_not1_b32 vcc_lo, exec_lo, s53
	s_not_b32 s21, s20
	s_waitcnt lgkmcnt(1)
	v_readfirstlane_b32 s11, v3
	v_readfirstlane_b32 s10, v2
	;; [unrolled: 1-line block ×4, first 2 shown]
	s_waitcnt lgkmcnt(0)
	v_readfirstlane_b32 s15, v7
	v_readfirstlane_b32 s14, v6
	;; [unrolled: 1-line block ×4, first 2 shown]
	s_cbranch_vccnz .LBB171_98
; %bb.83:                               ;   in Loop: Header=BB171_12 Depth=1
	s_cmp_eq_u64 s[10:11], 1
	v_dual_mov_b32 v8, v30 :: v_dual_mov_b32 v9, v29
	v_mov_b32_e32 v18, v31
	s_cselect_b32 s8, -1, 0
                                        ; implicit-def: $sgpr23
                                        ; implicit-def: $sgpr62
                                        ; implicit-def: $sgpr58
	s_delay_alu instid0(SALU_CYCLE_1)
	s_and_b32 s65, s8, s7
	s_mov_b32 s8, -1
	s_and_saveexec_b32 s24, s65
	s_cbranch_execz .LBB171_117
; %bb.84:                               ;   in Loop: Header=BB171_12 Depth=1
	ds_load_b64 v[2:3], v13 offset:5120
	s_waitcnt lgkmcnt(0)
	s_barrier
	buffer_gl0_inv
	v_readfirstlane_b32 s18, v2
	v_readfirstlane_b32 s19, v3
	s_and_saveexec_b32 s8, s6
	s_cbranch_execz .LBB171_86
; %bb.85:                               ;   in Loop: Header=BB171_12 Depth=1
	ds_store_b16 v26, v13
.LBB171_86:                             ;   in Loop: Header=BB171_12 Depth=1
	s_or_b32 exec_lo, exec_lo, s8
	v_and_b32_e32 v8, s21, v30
	v_or_b32_e32 v9, s20, v29
	s_cmp_eq_u64 s[18:19], 0
	s_waitcnt lgkmcnt(0)
	s_barrier
	buffer_gl0_inv
	s_cbranch_scc1 .LBB171_100
; %bb.87:                               ;   in Loop: Header=BB171_12 Depth=1
	s_add_u32 s23, s74, s18
	s_addc_u32 s9, s75, s19
	s_mov_b32 s8, s59
	s_delay_alu instid0(SALU_CYCLE_1)
	s_cmp_lg_u64 s[8:9], 0
	s_cbranch_scc0 .LBB171_144
; %bb.88:                               ;   in Loop: Header=BB171_12 Depth=1
	v_cvt_f32_u32_e32 v2, s49
	s_sub_u32 s26, 0, s49
	s_subb_u32 s54, 0, 0
	s_delay_alu instid0(VALU_DEP_1) | instskip(NEXT) | instid1(VALU_DEP_1)
	v_fmac_f32_e64 v2, 0, 0x4f800000
	v_rcp_f32_e32 v2, v2
	s_waitcnt_depctr 0xfff
	v_mul_f32_e32 v2, 0x5f7ffffc, v2
	s_delay_alu instid0(VALU_DEP_1) | instskip(NEXT) | instid1(VALU_DEP_1)
	v_mul_f32_e32 v3, 0x2f800000, v2
	v_trunc_f32_e32 v3, v3
	s_delay_alu instid0(VALU_DEP_1) | instskip(SKIP_1) | instid1(VALU_DEP_2)
	v_fmac_f32_e32 v2, 0xcf800000, v3
	v_cvt_u32_f32_e32 v3, v3
	v_cvt_u32_f32_e32 v2, v2
	s_delay_alu instid0(VALU_DEP_2) | instskip(NEXT) | instid1(VALU_DEP_2)
	v_readfirstlane_b32 s8, v3
	v_readfirstlane_b32 s25, v2
	s_delay_alu instid0(VALU_DEP_2) | instskip(NEXT) | instid1(VALU_DEP_1)
	s_mul_i32 s55, s26, s8
	s_mul_hi_u32 s62, s26, s25
	s_mul_i32 s58, s54, s25
	s_add_i32 s55, s62, s55
	s_mul_i32 s63, s26, s25
	s_add_i32 s55, s55, s58
	s_mul_hi_u32 s62, s25, s63
	s_mul_hi_u32 s64, s8, s63
	s_mul_i32 s58, s8, s63
	s_mul_hi_u32 s63, s25, s55
	s_mul_i32 s25, s25, s55
	s_mul_hi_u32 s66, s8, s55
	s_add_u32 s25, s62, s25
	s_addc_u32 s62, 0, s63
	s_add_u32 s25, s25, s58
	s_mul_i32 s55, s8, s55
	s_addc_u32 s25, s62, s64
	s_addc_u32 s58, s66, 0
	s_add_u32 s25, s25, s55
	s_addc_u32 s55, 0, s58
	v_add_co_u32 v2, s25, v2, s25
	s_delay_alu instid0(VALU_DEP_1) | instskip(SKIP_1) | instid1(VALU_DEP_1)
	s_cmp_lg_u32 s25, 0
	s_addc_u32 s8, s8, s55
	v_readfirstlane_b32 s25, v2
	s_mul_i32 s55, s26, s8
	s_delay_alu instid0(VALU_DEP_1)
	s_mul_hi_u32 s58, s26, s25
	s_mul_i32 s54, s54, s25
	s_add_i32 s55, s58, s55
	s_mul_i32 s26, s26, s25
	s_add_i32 s55, s55, s54
	s_mul_hi_u32 s58, s8, s26
	s_mul_i32 s62, s8, s26
	s_mul_hi_u32 s26, s25, s26
	s_mul_hi_u32 s63, s25, s55
	s_mul_i32 s25, s25, s55
	s_mul_hi_u32 s54, s8, s55
	s_add_u32 s25, s26, s25
	s_addc_u32 s26, 0, s63
	s_add_u32 s25, s25, s62
	s_mul_i32 s55, s8, s55
	s_addc_u32 s25, s26, s58
	s_addc_u32 s26, s54, 0
	s_add_u32 s25, s25, s55
	s_addc_u32 s26, 0, s26
	v_add_co_u32 v2, s25, v2, s25
	s_delay_alu instid0(VALU_DEP_1) | instskip(SKIP_1) | instid1(VALU_DEP_1)
	s_cmp_lg_u32 s25, 0
	s_addc_u32 s8, s8, s26
	v_readfirstlane_b32 s25, v2
	s_mul_i32 s54, s23, s8
	s_mul_hi_u32 s26, s23, s8
	s_mul_hi_u32 s55, s9, s8
	s_mul_i32 s8, s9, s8
	s_mul_hi_u32 s58, s23, s25
	s_mul_hi_u32 s62, s9, s25
	s_mul_i32 s25, s9, s25
	s_add_u32 s54, s58, s54
	s_addc_u32 s26, 0, s26
	s_add_u32 s25, s54, s25
	s_addc_u32 s25, s26, s62
	s_addc_u32 s26, s55, 0
	s_add_u32 s8, s25, s8
	s_addc_u32 s25, 0, s26
	s_mul_hi_u32 s26, s49, s8
	s_mul_i32 s8, s49, s8
	s_mul_i32 s25, s49, s25
	v_sub_co_u32 v2, s8, s23, s8
	s_add_i32 s26, s26, s25
	s_cmp_lg_u32 s8, 0
	s_delay_alu instid0(VALU_DEP_1) | instskip(SKIP_2) | instid1(VALU_DEP_1)
	v_sub_co_u32 v3, s8, v2, s49
	s_subb_u32 s25, s9, s26
	s_cmp_lg_u32 s8, 0
	v_cmp_le_u32_e32 vcc_lo, s49, v3
	v_sub_co_u32 v4, s8, v3, s49
	s_subb_u32 s26, s25, 0
	s_cmp_lg_u32 s8, 0
	v_cndmask_b32_e64 v5, 0, -1, vcc_lo
	s_subb_u32 s8, s26, 0
	s_cmp_eq_u32 s26, 0
	v_mov_b32_e32 v7, s8
	s_cselect_b32 vcc_lo, -1, 0
	s_cmp_eq_u32 s25, 0
	v_cndmask_b32_e32 v5, -1, v5, vcc_lo
	v_cmp_le_u32_e32 vcc_lo, s49, v2
	s_cselect_b32 s8, -1, 0
	v_cndmask_b32_e64 v6, 0, -1, vcc_lo
	s_delay_alu instid0(VALU_DEP_3) | instskip(NEXT) | instid1(VALU_DEP_2)
	v_cmp_ne_u32_e32 vcc_lo, 0, v5
	v_cndmask_b32_e64 v5, -1, v6, s8
	v_cndmask_b32_e32 v6, s26, v7, vcc_lo
	v_cndmask_b32_e32 v4, v3, v4, vcc_lo
	s_delay_alu instid0(VALU_DEP_3) | instskip(NEXT) | instid1(VALU_DEP_3)
	v_cmp_ne_u32_e32 vcc_lo, 0, v5
	v_cndmask_b32_e32 v3, s25, v6, vcc_lo
	s_delay_alu instid0(VALU_DEP_3)
	v_cndmask_b32_e32 v2, v2, v4, vcc_lo
	s_cbranch_execnz .LBB171_90
.LBB171_89:                             ;   in Loop: Header=BB171_12 Depth=1
	v_cvt_f32_u32_e32 v2, s49
	s_sub_i32 s8, 0, s49
	s_delay_alu instid0(VALU_DEP_1) | instskip(SKIP_2) | instid1(VALU_DEP_1)
	v_rcp_iflag_f32_e32 v2, v2
	s_waitcnt_depctr 0xfff
	v_mul_f32_e32 v2, 0x4f7ffffe, v2
	v_cvt_u32_f32_e32 v2, v2
	s_delay_alu instid0(VALU_DEP_1) | instskip(NEXT) | instid1(VALU_DEP_1)
	v_mul_lo_u32 v3, s8, v2
	v_mul_hi_u32 v3, v2, v3
	s_delay_alu instid0(VALU_DEP_1) | instskip(NEXT) | instid1(VALU_DEP_1)
	v_add_nc_u32_e32 v2, v2, v3
	v_mul_hi_u32 v2, s23, v2
	s_delay_alu instid0(VALU_DEP_1) | instskip(NEXT) | instid1(VALU_DEP_1)
	v_mul_lo_u32 v2, v2, s49
	v_sub_nc_u32_e32 v2, s23, v2
	s_delay_alu instid0(VALU_DEP_1) | instskip(SKIP_1) | instid1(VALU_DEP_2)
	v_subrev_nc_u32_e32 v3, s49, v2
	v_cmp_le_u32_e32 vcc_lo, s49, v2
	v_cndmask_b32_e32 v2, v2, v3, vcc_lo
	s_delay_alu instid0(VALU_DEP_1) | instskip(SKIP_1) | instid1(VALU_DEP_2)
	v_subrev_nc_u32_e32 v3, s49, v2
	v_cmp_le_u32_e32 vcc_lo, s49, v2
	v_cndmask_b32_e32 v12, v2, v3, vcc_lo
	s_delay_alu instid0(VALU_DEP_1)
	v_dual_mov_b32 v2, v12 :: v_dual_mov_b32 v3, v13
.LBB171_90:                             ;   in Loop: Header=BB171_12 Depth=1
	s_delay_alu instid0(VALU_DEP_1) | instskip(NEXT) | instid1(VALU_DEP_2)
	v_sub_co_u32 v2, vcc_lo, s23, v2
	v_sub_co_ci_u32_e32 v3, vcc_lo, s9, v3, vcc_lo
	s_mov_b32 s8, 0
	s_mov_b32 s9, exec_lo
                                        ; implicit-def: $vgpr18
	s_delay_alu instid0(VALU_DEP_1)
	v_cmpx_gt_u64_e64 v[2:3], v[0:1]
	s_cbranch_execz .LBB171_102
; %bb.91:                               ;   in Loop: Header=BB171_12 Depth=1
	v_mov_b32_e32 v6, v25
	v_dual_mov_b32 v5, v1 :: v_dual_mov_b32 v4, v0
	s_mov_b32 s23, 0
                                        ; implicit-def: $sgpr25
	s_set_inst_prefetch_distance 0x1
	s_branch .LBB171_93
	.p2align	6
.LBB171_92:                             ;   in Loop: Header=BB171_93 Depth=2
	s_or_b32 exec_lo, exec_lo, s8
	s_waitcnt lgkmcnt(0)
	s_barrier
	buffer_gl0_inv
	ds_load_b32 v7, v13 offset:3072
	v_add_co_u32 v4, vcc_lo, v4, s49
	v_add_co_ci_u32_e32 v5, vcc_lo, 0, v5, vcc_lo
	v_add_nc_u32_e32 v6, s82, v6
	s_waitcnt lgkmcnt(0)
	s_barrier
	s_delay_alu instid0(VALU_DEP_2) | instskip(SKIP_2) | instid1(VALU_DEP_1)
	v_cmp_ge_u64_e32 vcc_lo, v[4:5], v[2:3]
	buffer_gl0_inv
	v_cmp_ne_u16_e64 s8, 0, v7
	s_or_b32 s26, vcc_lo, s8
	s_delay_alu instid0(SALU_CYCLE_1) | instskip(NEXT) | instid1(SALU_CYCLE_1)
	s_and_b32 s26, exec_lo, s26
	s_or_b32 s23, s26, s23
	s_and_not1_b32 s25, s25, exec_lo
	s_and_b32 s8, s8, exec_lo
	s_delay_alu instid0(SALU_CYCLE_1)
	s_or_b32 s25, s25, s8
	s_and_not1_b32 exec_lo, exec_lo, s23
	s_cbranch_execz .LBB171_101
.LBB171_93:                             ;   Parent Loop BB171_12 Depth=1
                                        ; =>  This Inner Loop Header: Depth=2
	s_delay_alu instid0(VALU_DEP_1)
	v_cmp_gt_u64_e32 vcc_lo, s[18:19], v[4:5]
	v_mov_b32_e32 v7, 0
	s_and_saveexec_b32 s8, vcc_lo
	s_cbranch_execz .LBB171_95
; %bb.94:                               ;   in Loop: Header=BB171_93 Depth=2
	ds_load_u16 v7, v6
.LBB171_95:                             ;   in Loop: Header=BB171_93 Depth=2
	s_or_b32 exec_lo, exec_lo, s8
	s_and_saveexec_b32 s8, vcc_lo
	s_cbranch_execz .LBB171_92
; %bb.96:                               ;   in Loop: Header=BB171_93 Depth=2
	s_waitcnt lgkmcnt(0)
	v_bfe_i32 v12, v7, 0, 16
	s_delay_alu instid0(VALU_DEP_1) | instskip(NEXT) | instid1(VALU_DEP_1)
	v_add_nc_u32_e32 v12, 0x8000, v12
	v_and_b32_e32 v12, v12, v9
	s_delay_alu instid0(VALU_DEP_1)
	v_cmp_eq_u32_e32 vcc_lo, v12, v8
	s_and_b32 exec_lo, exec_lo, vcc_lo
	s_cbranch_execz .LBB171_92
; %bb.97:                               ;   in Loop: Header=BB171_93 Depth=2
	v_perm_b32 v7, v7, 1, 0x5040100
	ds_store_b32 v13, v7 offset:3072
	s_branch .LBB171_92
.LBB171_98:                             ;   in Loop: Header=BB171_12 Depth=1
	s_mov_b32 s25, 0
	s_mov_b32 s24, 0
                                        ; implicit-def: $sgpr58
                                        ; implicit-def: $sgpr62
                                        ; implicit-def: $sgpr23
                                        ; implicit-def: $vgpr6
                                        ; implicit-def: $vgpr2_vgpr3
                                        ; implicit-def: $vgpr8
                                        ; implicit-def: $vgpr9
                                        ; implicit-def: $vgpr18
	s_cbranch_execnz .LBB171_281
.LBB171_99:                             ;   in Loop: Header=BB171_12 Depth=1
	s_mov_b32 s18, s23
	s_mov_b32 s19, s23
	s_and_saveexec_b32 s7, s25
	s_cbranch_execnz .LBB171_477
	s_branch .LBB171_478
.LBB171_100:                            ;   in Loop: Header=BB171_12 Depth=1
	s_mov_b32 s23, -1
	s_mov_b32 s8, 0
                                        ; implicit-def: $sgpr58
                                        ; implicit-def: $vgpr18
	s_mov_b32 s62, s23
	s_cbranch_execnz .LBB171_103
	s_branch .LBB171_116
.LBB171_101:                            ;   in Loop: Header=BB171_12 Depth=1
	s_set_inst_prefetch_distance 0x2
	s_or_b32 exec_lo, exec_lo, s23
	v_lshrrev_b32_e32 v18, 16, v7
	s_and_b32 s8, s25, exec_lo
.LBB171_102:                            ;   in Loop: Header=BB171_12 Depth=1
	s_or_b32 exec_lo, exec_lo, s9
	s_mov_b32 s58, -1
	s_mov_b32 s23, 0
	s_delay_alu instid0(SALU_CYCLE_1)
	s_mov_b32 s62, s23
	s_branch .LBB171_116
.LBB171_103:                            ;   in Loop: Header=BB171_12 Depth=1
	s_mov_b32 s26, s59
	s_delay_alu instid0(SALU_CYCLE_1)
	s_cmp_lg_u64 s[26:27], 0
	s_cbranch_scc0 .LBB171_145
; %bb.104:                              ;   in Loop: Header=BB171_12 Depth=1
	v_cvt_f32_u32_e32 v2, s49
	s_sub_u32 s18, 0, s49
	s_subb_u32 s19, 0, 0
	s_delay_alu instid0(VALU_DEP_1) | instskip(NEXT) | instid1(VALU_DEP_1)
	v_fmac_f32_e64 v2, 0, 0x4f800000
	v_rcp_f32_e32 v2, v2
	s_waitcnt_depctr 0xfff
	v_mul_f32_e32 v2, 0x5f7ffffc, v2
	s_delay_alu instid0(VALU_DEP_1) | instskip(NEXT) | instid1(VALU_DEP_1)
	v_mul_f32_e32 v3, 0x2f800000, v2
	v_trunc_f32_e32 v3, v3
	s_delay_alu instid0(VALU_DEP_1) | instskip(SKIP_1) | instid1(VALU_DEP_2)
	v_fmac_f32_e32 v2, 0xcf800000, v3
	v_cvt_u32_f32_e32 v3, v3
	v_cvt_u32_f32_e32 v2, v2
	s_delay_alu instid0(VALU_DEP_2) | instskip(NEXT) | instid1(VALU_DEP_2)
	v_readfirstlane_b32 s8, v3
	v_readfirstlane_b32 s9, v2
	s_delay_alu instid0(VALU_DEP_2) | instskip(NEXT) | instid1(VALU_DEP_1)
	s_mul_i32 s23, s18, s8
	s_mul_hi_u32 s26, s18, s9
	s_mul_i32 s25, s19, s9
	s_add_i32 s23, s26, s23
	s_mul_i32 s54, s18, s9
	s_add_i32 s23, s23, s25
	s_mul_hi_u32 s26, s9, s54
	s_mul_hi_u32 s55, s8, s54
	s_mul_i32 s25, s8, s54
	s_mul_hi_u32 s54, s9, s23
	s_mul_i32 s9, s9, s23
	s_mul_hi_u32 s58, s8, s23
	s_add_u32 s9, s26, s9
	s_addc_u32 s26, 0, s54
	s_add_u32 s9, s9, s25
	s_mul_i32 s23, s8, s23
	s_addc_u32 s9, s26, s55
	s_addc_u32 s25, s58, 0
	s_add_u32 s9, s9, s23
	s_addc_u32 s23, 0, s25
	v_add_co_u32 v2, s9, v2, s9
	s_delay_alu instid0(VALU_DEP_1) | instskip(SKIP_1) | instid1(VALU_DEP_1)
	s_cmp_lg_u32 s9, 0
	s_addc_u32 s8, s8, s23
	v_readfirstlane_b32 s9, v2
	s_mul_i32 s23, s18, s8
	s_delay_alu instid0(VALU_DEP_1)
	s_mul_hi_u32 s25, s18, s9
	s_mul_i32 s19, s19, s9
	s_add_i32 s23, s25, s23
	s_mul_i32 s18, s18, s9
	s_add_i32 s23, s23, s19
	s_mul_hi_u32 s25, s8, s18
	s_mul_i32 s26, s8, s18
	s_mul_hi_u32 s18, s9, s18
	s_mul_hi_u32 s54, s9, s23
	s_mul_i32 s9, s9, s23
	s_mul_hi_u32 s19, s8, s23
	s_add_u32 s9, s18, s9
	s_addc_u32 s18, 0, s54
	s_add_u32 s9, s9, s26
	s_mul_i32 s23, s8, s23
	s_addc_u32 s9, s18, s25
	s_addc_u32 s18, s19, 0
	s_add_u32 s9, s9, s23
	s_addc_u32 s18, 0, s18
	v_add_co_u32 v2, s9, v2, s9
	s_delay_alu instid0(VALU_DEP_1) | instskip(SKIP_1) | instid1(VALU_DEP_1)
	s_cmp_lg_u32 s9, 0
	s_addc_u32 s8, s8, s18
	v_readfirstlane_b32 s9, v2
	s_mul_i32 s19, s76, s8
	s_mul_hi_u32 s18, s76, s8
	s_mul_hi_u32 s23, s27, s8
	s_mul_i32 s8, s27, s8
	s_mul_hi_u32 s25, s76, s9
	s_mul_hi_u32 s26, s27, s9
	s_mul_i32 s9, s27, s9
	s_add_u32 s19, s25, s19
	s_addc_u32 s18, 0, s18
	s_add_u32 s9, s19, s9
	s_addc_u32 s9, s18, s26
	s_addc_u32 s18, s23, 0
	s_add_u32 s8, s9, s8
	s_addc_u32 s9, 0, s18
	s_mul_hi_u32 s18, s49, s8
	s_mul_i32 s8, s49, s8
	s_mul_i32 s9, s49, s9
	v_sub_co_u32 v2, s8, s76, s8
	s_add_i32 s18, s18, s9
	s_cmp_lg_u32 s8, 0
	s_delay_alu instid0(VALU_DEP_1) | instskip(SKIP_2) | instid1(VALU_DEP_1)
	v_sub_co_u32 v3, s8, v2, s49
	s_subb_u32 s9, s27, s18
	s_cmp_lg_u32 s8, 0
	v_cmp_le_u32_e32 vcc_lo, s49, v3
	v_sub_co_u32 v4, s8, v3, s49
	s_subb_u32 s18, s9, 0
	s_cmp_lg_u32 s8, 0
	v_cndmask_b32_e64 v5, 0, -1, vcc_lo
	s_subb_u32 s8, s18, 0
	s_cmp_eq_u32 s18, 0
	v_mov_b32_e32 v7, s8
	s_cselect_b32 vcc_lo, -1, 0
	s_cmp_eq_u32 s9, 0
	v_cndmask_b32_e32 v5, -1, v5, vcc_lo
	v_cmp_le_u32_e32 vcc_lo, s49, v2
	s_cselect_b32 s8, -1, 0
	v_cndmask_b32_e64 v6, 0, -1, vcc_lo
	s_delay_alu instid0(VALU_DEP_3) | instskip(NEXT) | instid1(VALU_DEP_2)
	v_cmp_ne_u32_e32 vcc_lo, 0, v5
	v_cndmask_b32_e64 v5, -1, v6, s8
	v_cndmask_b32_e32 v6, s18, v7, vcc_lo
	v_cndmask_b32_e32 v4, v3, v4, vcc_lo
	s_delay_alu instid0(VALU_DEP_3) | instskip(NEXT) | instid1(VALU_DEP_3)
	v_cmp_ne_u32_e32 vcc_lo, 0, v5
	v_cndmask_b32_e32 v3, s9, v6, vcc_lo
	s_delay_alu instid0(VALU_DEP_3)
	v_cndmask_b32_e32 v2, v2, v4, vcc_lo
	s_cbranch_execnz .LBB171_106
.LBB171_105:                            ;   in Loop: Header=BB171_12 Depth=1
	v_cvt_f32_u32_e32 v2, s49
	s_sub_i32 s8, 0, s49
	s_delay_alu instid0(VALU_DEP_1) | instskip(SKIP_2) | instid1(VALU_DEP_1)
	v_rcp_iflag_f32_e32 v2, v2
	s_waitcnt_depctr 0xfff
	v_mul_f32_e32 v2, 0x4f7ffffe, v2
	v_cvt_u32_f32_e32 v2, v2
	s_delay_alu instid0(VALU_DEP_1) | instskip(NEXT) | instid1(VALU_DEP_1)
	v_mul_lo_u32 v3, s8, v2
	v_mul_hi_u32 v3, v2, v3
	s_delay_alu instid0(VALU_DEP_1) | instskip(NEXT) | instid1(VALU_DEP_1)
	v_add_nc_u32_e32 v2, v2, v3
	v_mul_hi_u32 v2, s76, v2
	s_delay_alu instid0(VALU_DEP_1) | instskip(NEXT) | instid1(VALU_DEP_1)
	v_mul_lo_u32 v2, v2, s49
	v_sub_nc_u32_e32 v2, s76, v2
	s_delay_alu instid0(VALU_DEP_1) | instskip(SKIP_1) | instid1(VALU_DEP_2)
	v_subrev_nc_u32_e32 v3, s49, v2
	v_cmp_le_u32_e32 vcc_lo, s49, v2
	v_cndmask_b32_e32 v2, v2, v3, vcc_lo
	s_delay_alu instid0(VALU_DEP_1) | instskip(SKIP_1) | instid1(VALU_DEP_2)
	v_subrev_nc_u32_e32 v3, s49, v2
	v_cmp_le_u32_e32 vcc_lo, s49, v2
	v_cndmask_b32_e32 v12, v2, v3, vcc_lo
	s_delay_alu instid0(VALU_DEP_1)
	v_dual_mov_b32 v2, v12 :: v_dual_mov_b32 v3, v13
.LBB171_106:                            ;   in Loop: Header=BB171_12 Depth=1
	s_delay_alu instid0(VALU_DEP_1) | instskip(NEXT) | instid1(VALU_DEP_2)
	v_sub_co_u32 v2, vcc_lo, s76, v2
	v_sub_co_ci_u32_e32 v3, vcc_lo, s27, v3, vcc_lo
	s_mov_b32 s8, 0
	s_mov_b32 s9, exec_lo
                                        ; implicit-def: $vgpr18
	s_delay_alu instid0(VALU_DEP_1)
	v_cmpx_gt_u64_e64 v[2:3], v[0:1]
	s_cbranch_execz .LBB171_115
; %bb.107:                              ;   in Loop: Header=BB171_12 Depth=1
	v_dual_mov_b32 v5, v1 :: v_dual_mov_b32 v4, v0
	s_mov_b32 s18, 0
                                        ; implicit-def: $sgpr19
	s_branch .LBB171_109
.LBB171_108:                            ;   in Loop: Header=BB171_109 Depth=2
	s_or_b32 exec_lo, exec_lo, s8
	s_waitcnt vmcnt(0) lgkmcnt(0)
	s_barrier
	buffer_gl0_inv
	ds_load_b32 v6, v13 offset:3072
	v_add_co_u32 v4, vcc_lo, v4, s49
	v_add_co_ci_u32_e32 v5, vcc_lo, 0, v5, vcc_lo
	s_waitcnt lgkmcnt(0)
	s_barrier
	buffer_gl0_inv
	v_cmp_ge_u64_e32 vcc_lo, v[4:5], v[2:3]
	v_cmp_ne_u16_e64 s8, 0, v6
	s_delay_alu instid0(VALU_DEP_1) | instskip(NEXT) | instid1(SALU_CYCLE_1)
	s_or_b32 s23, vcc_lo, s8
	s_and_b32 s23, exec_lo, s23
	s_delay_alu instid0(SALU_CYCLE_1) | instskip(SKIP_2) | instid1(SALU_CYCLE_1)
	s_or_b32 s18, s23, s18
	s_and_not1_b32 s19, s19, exec_lo
	s_and_b32 s8, s8, exec_lo
	s_or_b32 s19, s19, s8
	s_and_not1_b32 exec_lo, exec_lo, s18
	s_cbranch_execz .LBB171_114
.LBB171_109:                            ;   Parent Loop BB171_12 Depth=1
                                        ; =>  This Inner Loop Header: Depth=2
	s_delay_alu instid0(VALU_DEP_1)
	v_cmp_gt_u64_e32 vcc_lo, s[36:37], v[4:5]
	v_mov_b32_e32 v6, 0
	s_and_saveexec_b32 s23, vcc_lo
	s_cbranch_execz .LBB171_111
; %bb.110:                              ;   in Loop: Header=BB171_109 Depth=2
	v_mul_lo_u32 v12, v5, s30
	v_mul_lo_u32 v18, v4, s31
	v_mad_u64_u32 v[6:7], null, v4, s30, 0
	s_delay_alu instid0(VALU_DEP_1) | instskip(NEXT) | instid1(VALU_DEP_1)
	v_add3_u32 v7, v7, v18, v12
	v_lshlrev_b64 v[6:7], 1, v[6:7]
	s_delay_alu instid0(VALU_DEP_1) | instskip(NEXT) | instid1(VALU_DEP_1)
	v_add_co_u32 v6, s8, s33, v6
	v_add_co_ci_u32_e64 v7, s8, s35, v7, s8
	global_load_u16 v6, v[6:7], off
.LBB171_111:                            ;   in Loop: Header=BB171_109 Depth=2
	s_or_b32 exec_lo, exec_lo, s23
	s_and_saveexec_b32 s8, vcc_lo
	s_cbranch_execz .LBB171_108
; %bb.112:                              ;   in Loop: Header=BB171_109 Depth=2
	s_waitcnt vmcnt(0)
	v_bfe_i32 v7, v6, 0, 16
	s_delay_alu instid0(VALU_DEP_1) | instskip(NEXT) | instid1(VALU_DEP_1)
	v_add_nc_u32_e32 v7, 0x8000, v7
	v_and_b32_e32 v7, v7, v9
	s_delay_alu instid0(VALU_DEP_1)
	v_cmp_eq_u32_e32 vcc_lo, v7, v8
	s_and_b32 exec_lo, exec_lo, vcc_lo
	s_cbranch_execz .LBB171_108
; %bb.113:                              ;   in Loop: Header=BB171_109 Depth=2
	v_perm_b32 v6, v6, 1, 0x5040100
	ds_store_b32 v13, v6 offset:3072
	s_branch .LBB171_108
.LBB171_114:                            ;   in Loop: Header=BB171_12 Depth=1
	s_or_b32 exec_lo, exec_lo, s18
	v_lshrrev_b32_e32 v18, 16, v6
	s_and_b32 s8, s19, exec_lo
.LBB171_115:                            ;   in Loop: Header=BB171_12 Depth=1
	s_or_b32 exec_lo, exec_lo, s9
	s_mov_b32 s62, -1
	s_mov_b32 s23, 0
	s_mov_b32 s58, 0
.LBB171_116:                            ;   in Loop: Header=BB171_12 Depth=1
	s_or_not1_b32 s8, s8, exec_lo
.LBB171_117:                            ;   in Loop: Header=BB171_12 Depth=1
	s_or_b32 exec_lo, exec_lo, s24
	s_mov_b32 s63, 0
	s_mov_b32 s25, 0
	;; [unrolled: 1-line block ×3, first 2 shown]
                                        ; implicit-def: $vgpr6
                                        ; implicit-def: $vgpr2_vgpr3
	s_and_saveexec_b32 s64, s8
	s_cbranch_execz .LBB171_280
; %bb.118:                              ;   in Loop: Header=BB171_12 Depth=1
	v_mov_b32_e32 v2, 1
	v_dual_mov_b32 v3, 0 :: v_dual_mov_b32 v6, 1
	s_xor_b32 s9, s65, -1
	s_delay_alu instid0(SALU_CYCLE_1)
	s_and_saveexec_b32 s8, s9
	s_cbranch_execz .LBB171_128
; %bb.119:                              ;   in Loop: Header=BB171_12 Depth=1
	s_mov_b32 s18, exec_lo
                                        ; implicit-def: $sgpr19
                                        ; implicit-def: $sgpr9
	v_cmpx_ge_u64_e64 s[10:11], v[16:17]
	s_xor_b32 s18, exec_lo, s18
	s_cbranch_execz .LBB171_125
; %bb.120:                              ;   in Loop: Header=BB171_12 Depth=1
	ds_load_b64 v[2:3], v13 offset:5120
	s_waitcnt lgkmcnt(0)
	v_cmp_ne_u64_e32 vcc_lo, 0, v[2:3]
	s_cbranch_vccnz .LBB171_124
; %bb.121:                              ;   in Loop: Header=BB171_12 Depth=1
	s_and_saveexec_b32 s9, s5
	s_cbranch_execz .LBB171_123
; %bb.122:                              ;   in Loop: Header=BB171_12 Depth=1
	v_dual_mov_b32 v2, s10 :: v_dual_mov_b32 v3, s11
	ds_store_b64 v13, v[2:3] offset:5128
.LBB171_123:                            ;   in Loop: Header=BB171_12 Depth=1
	s_or_b32 exec_lo, exec_lo, s9
	s_waitcnt lgkmcnt(0)
	s_barrier
	buffer_gl0_inv
.LBB171_124:                            ;   in Loop: Header=BB171_12 Depth=1
	v_and_b32_e32 v8, s21, v8
	v_or_b32_e32 v9, s20, v9
	s_mov_b32 s9, 0
	s_mov_b32 s19, 8
.LBB171_125:                            ;   in Loop: Header=BB171_12 Depth=1
	s_or_saveexec_b32 s18, s18
	v_mov_b32_e32 v2, v16
	v_dual_mov_b32 v6, s19 :: v_dual_mov_b32 v3, v17
	s_xor_b32 exec_lo, exec_lo, s18
; %bb.126:                              ;   in Loop: Header=BB171_12 Depth=1
	v_sub_co_u32 v2, vcc_lo, v16, s10
	v_subrev_co_ci_u32_e32 v3, vcc_lo, s11, v17, vcc_lo
	v_mov_b32_e32 v6, 0
	s_or_b32 s9, s9, exec_lo
; %bb.127:                              ;   in Loop: Header=BB171_12 Depth=1
	s_or_b32 exec_lo, exec_lo, s18
	s_delay_alu instid0(SALU_CYCLE_1)
	s_and_b32 s24, s9, exec_lo
.LBB171_128:                            ;   in Loop: Header=BB171_12 Depth=1
	s_or_b32 exec_lo, exec_lo, s8
	s_mov_b32 s25, -1
                                        ; implicit-def: $sgpr9
                                        ; implicit-def: $sgpr18
                                        ; implicit-def: $sgpr19
	s_and_saveexec_b32 s8, s24
	s_delay_alu instid0(SALU_CYCLE_1)
	s_xor_b32 s24, exec_lo, s8
	s_cbranch_execz .LBB171_277
; %bb.129:                              ;   in Loop: Header=BB171_12 Depth=1
	v_cmp_eq_u64_e32 vcc_lo, 1, v[2:3]
	s_cmp_eq_u64 s[12:13], 1
                                        ; implicit-def: $sgpr25
                                        ; implicit-def: $sgpr66
                                        ; implicit-def: $sgpr65
	s_cselect_b32 s8, -1, 0
	s_delay_alu instid0(SALU_CYCLE_1)
	s_and_b32 s68, s8, vcc_lo
	s_mov_b32 s8, -1
	s_and_saveexec_b32 s67, s68
	s_cbranch_execz .LBB171_163
; %bb.130:                              ;   in Loop: Header=BB171_12 Depth=1
	ds_load_b64 v[4:5], v13 offset:5120
	s_waitcnt lgkmcnt(0)
	s_barrier
	buffer_gl0_inv
	v_readfirstlane_b32 s18, v4
	v_readfirstlane_b32 s19, v5
	s_and_saveexec_b32 s8, s6
	s_cbranch_execz .LBB171_132
; %bb.131:                              ;   in Loop: Header=BB171_12 Depth=1
	ds_store_b16 v26, v13
.LBB171_132:                            ;   in Loop: Header=BB171_12 Depth=1
	s_or_b32 exec_lo, exec_lo, s8
	s_lshl_b32 s8, 1, s22
	v_or_b32_e32 v9, s20, v9
	v_and_or_b32 v8, v8, s21, s8
	s_cmp_eq_u64 s[18:19], 0
	s_waitcnt lgkmcnt(0)
	s_barrier
	buffer_gl0_inv
	s_cbranch_scc1 .LBB171_146
; %bb.133:                              ;   in Loop: Header=BB171_12 Depth=1
	s_add_u32 s25, s74, s18
	s_addc_u32 s9, s75, s19
	s_mov_b32 s8, s59
	s_delay_alu instid0(SALU_CYCLE_1)
	s_cmp_lg_u64 s[8:9], 0
	s_cbranch_scc0 .LBB171_190
; %bb.134:                              ;   in Loop: Header=BB171_12 Depth=1
	v_cvt_f32_u32_e32 v4, s49
	s_sub_u32 s65, 0, s49
	s_subb_u32 s66, 0, 0
	s_delay_alu instid0(VALU_DEP_1) | instskip(NEXT) | instid1(VALU_DEP_1)
	v_fmac_f32_e64 v4, 0, 0x4f800000
	v_rcp_f32_e32 v4, v4
	s_waitcnt_depctr 0xfff
	v_mul_f32_e32 v4, 0x5f7ffffc, v4
	s_delay_alu instid0(VALU_DEP_1) | instskip(NEXT) | instid1(VALU_DEP_1)
	v_mul_f32_e32 v5, 0x2f800000, v4
	v_trunc_f32_e32 v5, v5
	s_delay_alu instid0(VALU_DEP_1) | instskip(SKIP_1) | instid1(VALU_DEP_2)
	v_fmac_f32_e32 v4, 0xcf800000, v5
	v_cvt_u32_f32_e32 v5, v5
	v_cvt_u32_f32_e32 v4, v4
	s_delay_alu instid0(VALU_DEP_2) | instskip(NEXT) | instid1(VALU_DEP_2)
	v_readfirstlane_b32 s8, v5
	v_readfirstlane_b32 s26, v4
	s_delay_alu instid0(VALU_DEP_2) | instskip(NEXT) | instid1(VALU_DEP_1)
	s_mul_i32 s69, s65, s8
	s_mul_hi_u32 s71, s65, s26
	s_mul_i32 s70, s66, s26
	s_add_i32 s69, s71, s69
	s_mul_i32 s96, s65, s26
	s_add_i32 s69, s69, s70
	s_mul_hi_u32 s71, s26, s96
	s_mul_hi_u32 s97, s8, s96
	s_mul_i32 s70, s8, s96
	s_mul_hi_u32 s96, s26, s69
	s_mul_i32 s26, s26, s69
	s_mul_hi_u32 s98, s8, s69
	s_add_u32 s26, s71, s26
	s_addc_u32 s71, 0, s96
	s_add_u32 s26, s26, s70
	s_mul_i32 s69, s8, s69
	s_addc_u32 s26, s71, s97
	s_addc_u32 s70, s98, 0
	s_add_u32 s26, s26, s69
	s_addc_u32 s69, 0, s70
	v_add_co_u32 v4, s26, v4, s26
	s_delay_alu instid0(VALU_DEP_1) | instskip(SKIP_1) | instid1(VALU_DEP_1)
	s_cmp_lg_u32 s26, 0
	s_addc_u32 s8, s8, s69
	v_readfirstlane_b32 s26, v4
	s_mul_i32 s69, s65, s8
	s_delay_alu instid0(VALU_DEP_1)
	s_mul_hi_u32 s70, s65, s26
	s_mul_i32 s66, s66, s26
	s_add_i32 s69, s70, s69
	s_mul_i32 s65, s65, s26
	s_add_i32 s69, s69, s66
	s_mul_hi_u32 s70, s8, s65
	s_mul_i32 s71, s8, s65
	s_mul_hi_u32 s65, s26, s65
	s_mul_hi_u32 s96, s26, s69
	s_mul_i32 s26, s26, s69
	s_mul_hi_u32 s66, s8, s69
	s_add_u32 s26, s65, s26
	s_addc_u32 s65, 0, s96
	s_add_u32 s26, s26, s71
	s_mul_i32 s69, s8, s69
	s_addc_u32 s26, s65, s70
	s_addc_u32 s65, s66, 0
	s_add_u32 s26, s26, s69
	s_addc_u32 s65, 0, s65
	v_add_co_u32 v4, s26, v4, s26
	s_delay_alu instid0(VALU_DEP_1) | instskip(SKIP_1) | instid1(VALU_DEP_1)
	s_cmp_lg_u32 s26, 0
	s_addc_u32 s8, s8, s65
	v_readfirstlane_b32 s26, v4
	s_mul_i32 s66, s25, s8
	s_mul_hi_u32 s65, s25, s8
	s_mul_hi_u32 s69, s9, s8
	s_mul_i32 s8, s9, s8
	s_mul_hi_u32 s70, s25, s26
	s_mul_hi_u32 s71, s9, s26
	s_mul_i32 s26, s9, s26
	s_add_u32 s66, s70, s66
	s_addc_u32 s65, 0, s65
	s_add_u32 s26, s66, s26
	s_addc_u32 s26, s65, s71
	s_addc_u32 s65, s69, 0
	s_add_u32 s8, s26, s8
	s_addc_u32 s26, 0, s65
	s_mul_hi_u32 s65, s49, s8
	s_mul_i32 s8, s49, s8
	s_mul_i32 s26, s49, s26
	v_sub_co_u32 v4, s8, s25, s8
	s_add_i32 s65, s65, s26
	s_cmp_lg_u32 s8, 0
	s_delay_alu instid0(VALU_DEP_1) | instskip(SKIP_2) | instid1(VALU_DEP_1)
	v_sub_co_u32 v5, s8, v4, s49
	s_subb_u32 s26, s9, s65
	s_cmp_lg_u32 s8, 0
	v_cmp_le_u32_e32 vcc_lo, s49, v5
	v_sub_co_u32 v6, s8, v5, s49
	s_subb_u32 s65, s26, 0
	s_cmp_lg_u32 s8, 0
	v_cndmask_b32_e64 v7, 0, -1, vcc_lo
	s_subb_u32 s8, s65, 0
	s_cmp_eq_u32 s65, 0
	v_mov_b32_e32 v18, s8
	s_cselect_b32 vcc_lo, -1, 0
	s_cmp_eq_u32 s26, 0
	v_cndmask_b32_e32 v7, -1, v7, vcc_lo
	v_cmp_le_u32_e32 vcc_lo, s49, v4
	s_cselect_b32 s8, -1, 0
	v_cndmask_b32_e64 v12, 0, -1, vcc_lo
	s_delay_alu instid0(VALU_DEP_3) | instskip(NEXT) | instid1(VALU_DEP_2)
	v_cmp_ne_u32_e32 vcc_lo, 0, v7
	v_cndmask_b32_e64 v7, -1, v12, s8
	v_cndmask_b32_e32 v12, s65, v18, vcc_lo
	v_cndmask_b32_e32 v6, v5, v6, vcc_lo
	s_delay_alu instid0(VALU_DEP_3) | instskip(NEXT) | instid1(VALU_DEP_3)
	v_cmp_ne_u32_e32 vcc_lo, 0, v7
	v_cndmask_b32_e32 v5, s26, v12, vcc_lo
	s_delay_alu instid0(VALU_DEP_3)
	v_cndmask_b32_e32 v4, v4, v6, vcc_lo
	s_cbranch_execnz .LBB171_136
.LBB171_135:                            ;   in Loop: Header=BB171_12 Depth=1
	v_cvt_f32_u32_e32 v4, s49
	s_sub_i32 s8, 0, s49
	s_delay_alu instid0(VALU_DEP_1) | instskip(SKIP_2) | instid1(VALU_DEP_1)
	v_rcp_iflag_f32_e32 v4, v4
	s_waitcnt_depctr 0xfff
	v_mul_f32_e32 v4, 0x4f7ffffe, v4
	v_cvt_u32_f32_e32 v4, v4
	s_delay_alu instid0(VALU_DEP_1) | instskip(NEXT) | instid1(VALU_DEP_1)
	v_mul_lo_u32 v5, s8, v4
	v_mul_hi_u32 v5, v4, v5
	s_delay_alu instid0(VALU_DEP_1) | instskip(NEXT) | instid1(VALU_DEP_1)
	v_add_nc_u32_e32 v4, v4, v5
	v_mul_hi_u32 v4, s25, v4
	s_delay_alu instid0(VALU_DEP_1) | instskip(NEXT) | instid1(VALU_DEP_1)
	v_mul_lo_u32 v4, v4, s49
	v_sub_nc_u32_e32 v4, s25, v4
	s_delay_alu instid0(VALU_DEP_1) | instskip(SKIP_1) | instid1(VALU_DEP_2)
	v_subrev_nc_u32_e32 v5, s49, v4
	v_cmp_le_u32_e32 vcc_lo, s49, v4
	v_cndmask_b32_e32 v4, v4, v5, vcc_lo
	s_delay_alu instid0(VALU_DEP_1) | instskip(SKIP_1) | instid1(VALU_DEP_2)
	v_subrev_nc_u32_e32 v5, s49, v4
	v_cmp_le_u32_e32 vcc_lo, s49, v4
	v_cndmask_b32_e32 v12, v4, v5, vcc_lo
	s_delay_alu instid0(VALU_DEP_1)
	v_dual_mov_b32 v4, v12 :: v_dual_mov_b32 v5, v13
.LBB171_136:                            ;   in Loop: Header=BB171_12 Depth=1
	s_delay_alu instid0(VALU_DEP_1) | instskip(NEXT) | instid1(VALU_DEP_2)
	v_sub_co_u32 v4, vcc_lo, s25, v4
	v_sub_co_ci_u32_e32 v5, vcc_lo, s9, v5, vcc_lo
	s_mov_b32 s8, 0
	s_mov_b32 s9, exec_lo
                                        ; implicit-def: $vgpr18
	s_delay_alu instid0(VALU_DEP_1)
	v_cmpx_gt_u64_e64 v[4:5], v[0:1]
	s_cbranch_execz .LBB171_148
; %bb.137:                              ;   in Loop: Header=BB171_12 Depth=1
	v_mov_b32_e32 v12, v25
	v_dual_mov_b32 v7, v1 :: v_dual_mov_b32 v6, v0
	s_mov_b32 s25, 0
                                        ; implicit-def: $sgpr26
	s_set_inst_prefetch_distance 0x1
	s_branch .LBB171_139
	.p2align	6
.LBB171_138:                            ;   in Loop: Header=BB171_139 Depth=2
	s_or_b32 exec_lo, exec_lo, s8
	s_waitcnt lgkmcnt(0)
	s_barrier
	buffer_gl0_inv
	ds_load_b32 v18, v13 offset:3072
	v_add_co_u32 v6, vcc_lo, v6, s49
	v_add_co_ci_u32_e32 v7, vcc_lo, 0, v7, vcc_lo
	v_add_nc_u32_e32 v12, s82, v12
	s_waitcnt lgkmcnt(0)
	s_barrier
	s_delay_alu instid0(VALU_DEP_2) | instskip(SKIP_2) | instid1(VALU_DEP_1)
	v_cmp_ge_u64_e32 vcc_lo, v[6:7], v[4:5]
	buffer_gl0_inv
	v_cmp_ne_u16_e64 s8, 0, v18
	s_or_b32 s65, vcc_lo, s8
	s_delay_alu instid0(SALU_CYCLE_1) | instskip(NEXT) | instid1(SALU_CYCLE_1)
	s_and_b32 s65, exec_lo, s65
	s_or_b32 s25, s65, s25
	s_and_not1_b32 s26, s26, exec_lo
	s_and_b32 s8, s8, exec_lo
	s_delay_alu instid0(SALU_CYCLE_1)
	s_or_b32 s26, s26, s8
	s_and_not1_b32 exec_lo, exec_lo, s25
	s_cbranch_execz .LBB171_147
.LBB171_139:                            ;   Parent Loop BB171_12 Depth=1
                                        ; =>  This Inner Loop Header: Depth=2
	s_delay_alu instid0(VALU_DEP_1)
	v_cmp_gt_u64_e32 vcc_lo, s[18:19], v[6:7]
	v_mov_b32_e32 v18, 0
	s_and_saveexec_b32 s8, vcc_lo
	s_cbranch_execz .LBB171_141
; %bb.140:                              ;   in Loop: Header=BB171_139 Depth=2
	ds_load_u16 v18, v12
.LBB171_141:                            ;   in Loop: Header=BB171_139 Depth=2
	s_or_b32 exec_lo, exec_lo, s8
	s_and_saveexec_b32 s8, vcc_lo
	s_cbranch_execz .LBB171_138
; %bb.142:                              ;   in Loop: Header=BB171_139 Depth=2
	s_waitcnt lgkmcnt(0)
	v_bfe_i32 v19, v18, 0, 16
	s_delay_alu instid0(VALU_DEP_1) | instskip(NEXT) | instid1(VALU_DEP_1)
	v_add_nc_u32_e32 v19, 0x8000, v19
	v_and_b32_e32 v19, v19, v9
	s_delay_alu instid0(VALU_DEP_1)
	v_cmp_eq_u32_e32 vcc_lo, v19, v8
	s_and_b32 exec_lo, exec_lo, vcc_lo
	s_cbranch_execz .LBB171_138
; %bb.143:                              ;   in Loop: Header=BB171_139 Depth=2
	v_perm_b32 v18, v18, 1, 0x5040100
	ds_store_b32 v13, v18 offset:3072
	s_branch .LBB171_138
.LBB171_144:                            ;   in Loop: Header=BB171_12 Depth=1
                                        ; implicit-def: $vgpr2_vgpr3
	s_branch .LBB171_89
.LBB171_145:                            ;   in Loop: Header=BB171_12 Depth=1
                                        ; implicit-def: $vgpr2_vgpr3
	s_branch .LBB171_105
.LBB171_146:                            ;   in Loop: Header=BB171_12 Depth=1
	s_mov_b32 s25, -1
	s_mov_b32 s8, 0
                                        ; implicit-def: $sgpr65
                                        ; implicit-def: $vgpr18
	s_mov_b32 s66, s25
	s_cbranch_execnz .LBB171_149
	s_branch .LBB171_162
.LBB171_147:                            ;   in Loop: Header=BB171_12 Depth=1
	s_set_inst_prefetch_distance 0x2
	s_or_b32 exec_lo, exec_lo, s25
	v_lshrrev_b32_e32 v18, 16, v18
	s_and_b32 s8, s26, exec_lo
.LBB171_148:                            ;   in Loop: Header=BB171_12 Depth=1
	s_or_b32 exec_lo, exec_lo, s9
	s_mov_b32 s65, -1
	s_mov_b32 s25, 0
	s_delay_alu instid0(SALU_CYCLE_1)
	s_mov_b32 s66, s25
	s_branch .LBB171_162
.LBB171_149:                            ;   in Loop: Header=BB171_12 Depth=1
	s_mov_b32 s26, s59
	s_delay_alu instid0(SALU_CYCLE_1)
	s_cmp_lg_u64 s[26:27], 0
	s_cbranch_scc0 .LBB171_191
; %bb.150:                              ;   in Loop: Header=BB171_12 Depth=1
	v_cvt_f32_u32_e32 v4, s49
	s_sub_u32 s18, 0, s49
	s_subb_u32 s19, 0, 0
	s_delay_alu instid0(VALU_DEP_1) | instskip(NEXT) | instid1(VALU_DEP_1)
	v_fmac_f32_e64 v4, 0, 0x4f800000
	v_rcp_f32_e32 v4, v4
	s_waitcnt_depctr 0xfff
	v_mul_f32_e32 v4, 0x5f7ffffc, v4
	s_delay_alu instid0(VALU_DEP_1) | instskip(NEXT) | instid1(VALU_DEP_1)
	v_mul_f32_e32 v5, 0x2f800000, v4
	v_trunc_f32_e32 v5, v5
	s_delay_alu instid0(VALU_DEP_1) | instskip(SKIP_1) | instid1(VALU_DEP_2)
	v_fmac_f32_e32 v4, 0xcf800000, v5
	v_cvt_u32_f32_e32 v5, v5
	v_cvt_u32_f32_e32 v4, v4
	s_delay_alu instid0(VALU_DEP_2) | instskip(NEXT) | instid1(VALU_DEP_2)
	v_readfirstlane_b32 s8, v5
	v_readfirstlane_b32 s9, v4
	s_delay_alu instid0(VALU_DEP_2) | instskip(NEXT) | instid1(VALU_DEP_1)
	s_mul_i32 s25, s18, s8
	s_mul_hi_u32 s65, s18, s9
	s_mul_i32 s26, s19, s9
	s_add_i32 s25, s65, s25
	s_mul_i32 s66, s18, s9
	s_add_i32 s25, s25, s26
	s_mul_hi_u32 s65, s9, s66
	s_mul_hi_u32 s69, s8, s66
	s_mul_i32 s26, s8, s66
	s_mul_hi_u32 s66, s9, s25
	s_mul_i32 s9, s9, s25
	s_mul_hi_u32 s70, s8, s25
	s_add_u32 s9, s65, s9
	s_addc_u32 s65, 0, s66
	s_add_u32 s9, s9, s26
	s_mul_i32 s25, s8, s25
	s_addc_u32 s9, s65, s69
	s_addc_u32 s26, s70, 0
	s_add_u32 s9, s9, s25
	s_addc_u32 s25, 0, s26
	v_add_co_u32 v4, s9, v4, s9
	s_delay_alu instid0(VALU_DEP_1) | instskip(SKIP_1) | instid1(VALU_DEP_1)
	s_cmp_lg_u32 s9, 0
	s_addc_u32 s8, s8, s25
	v_readfirstlane_b32 s9, v4
	s_mul_i32 s25, s18, s8
	s_delay_alu instid0(VALU_DEP_1)
	s_mul_hi_u32 s26, s18, s9
	s_mul_i32 s19, s19, s9
	s_add_i32 s25, s26, s25
	s_mul_i32 s18, s18, s9
	s_add_i32 s25, s25, s19
	s_mul_hi_u32 s26, s8, s18
	s_mul_i32 s65, s8, s18
	s_mul_hi_u32 s18, s9, s18
	s_mul_hi_u32 s66, s9, s25
	s_mul_i32 s9, s9, s25
	s_mul_hi_u32 s19, s8, s25
	s_add_u32 s9, s18, s9
	s_addc_u32 s18, 0, s66
	s_add_u32 s9, s9, s65
	s_mul_i32 s25, s8, s25
	s_addc_u32 s9, s18, s26
	s_addc_u32 s18, s19, 0
	s_add_u32 s9, s9, s25
	s_addc_u32 s18, 0, s18
	v_add_co_u32 v4, s9, v4, s9
	s_delay_alu instid0(VALU_DEP_1) | instskip(SKIP_1) | instid1(VALU_DEP_1)
	s_cmp_lg_u32 s9, 0
	s_addc_u32 s8, s8, s18
	v_readfirstlane_b32 s9, v4
	s_mul_i32 s19, s76, s8
	s_mul_hi_u32 s18, s76, s8
	s_mul_hi_u32 s25, s27, s8
	s_mul_i32 s8, s27, s8
	s_mul_hi_u32 s26, s76, s9
	s_mul_hi_u32 s65, s27, s9
	s_mul_i32 s9, s27, s9
	s_add_u32 s19, s26, s19
	s_addc_u32 s18, 0, s18
	s_add_u32 s9, s19, s9
	s_addc_u32 s9, s18, s65
	s_addc_u32 s18, s25, 0
	s_add_u32 s8, s9, s8
	s_addc_u32 s9, 0, s18
	s_mul_hi_u32 s18, s49, s8
	s_mul_i32 s8, s49, s8
	s_mul_i32 s9, s49, s9
	v_sub_co_u32 v4, s8, s76, s8
	s_add_i32 s18, s18, s9
	s_cmp_lg_u32 s8, 0
	s_delay_alu instid0(VALU_DEP_1) | instskip(SKIP_2) | instid1(VALU_DEP_1)
	v_sub_co_u32 v5, s8, v4, s49
	s_subb_u32 s9, s27, s18
	s_cmp_lg_u32 s8, 0
	v_cmp_le_u32_e32 vcc_lo, s49, v5
	v_sub_co_u32 v6, s8, v5, s49
	s_subb_u32 s18, s9, 0
	s_cmp_lg_u32 s8, 0
	v_cndmask_b32_e64 v7, 0, -1, vcc_lo
	s_subb_u32 s8, s18, 0
	s_cmp_eq_u32 s18, 0
	v_mov_b32_e32 v18, s8
	s_cselect_b32 vcc_lo, -1, 0
	s_cmp_eq_u32 s9, 0
	v_cndmask_b32_e32 v7, -1, v7, vcc_lo
	v_cmp_le_u32_e32 vcc_lo, s49, v4
	s_cselect_b32 s8, -1, 0
	v_cndmask_b32_e64 v12, 0, -1, vcc_lo
	s_delay_alu instid0(VALU_DEP_3) | instskip(NEXT) | instid1(VALU_DEP_2)
	v_cmp_ne_u32_e32 vcc_lo, 0, v7
	v_cndmask_b32_e64 v7, -1, v12, s8
	v_cndmask_b32_e32 v12, s18, v18, vcc_lo
	v_cndmask_b32_e32 v6, v5, v6, vcc_lo
	s_delay_alu instid0(VALU_DEP_3) | instskip(NEXT) | instid1(VALU_DEP_3)
	v_cmp_ne_u32_e32 vcc_lo, 0, v7
	v_cndmask_b32_e32 v5, s9, v12, vcc_lo
	s_delay_alu instid0(VALU_DEP_3)
	v_cndmask_b32_e32 v4, v4, v6, vcc_lo
	s_cbranch_execnz .LBB171_152
.LBB171_151:                            ;   in Loop: Header=BB171_12 Depth=1
	v_cvt_f32_u32_e32 v4, s49
	s_sub_i32 s8, 0, s49
	s_delay_alu instid0(VALU_DEP_1) | instskip(SKIP_2) | instid1(VALU_DEP_1)
	v_rcp_iflag_f32_e32 v4, v4
	s_waitcnt_depctr 0xfff
	v_mul_f32_e32 v4, 0x4f7ffffe, v4
	v_cvt_u32_f32_e32 v4, v4
	s_delay_alu instid0(VALU_DEP_1) | instskip(NEXT) | instid1(VALU_DEP_1)
	v_mul_lo_u32 v5, s8, v4
	v_mul_hi_u32 v5, v4, v5
	s_delay_alu instid0(VALU_DEP_1) | instskip(NEXT) | instid1(VALU_DEP_1)
	v_add_nc_u32_e32 v4, v4, v5
	v_mul_hi_u32 v4, s76, v4
	s_delay_alu instid0(VALU_DEP_1) | instskip(NEXT) | instid1(VALU_DEP_1)
	v_mul_lo_u32 v4, v4, s49
	v_sub_nc_u32_e32 v4, s76, v4
	s_delay_alu instid0(VALU_DEP_1) | instskip(SKIP_1) | instid1(VALU_DEP_2)
	v_subrev_nc_u32_e32 v5, s49, v4
	v_cmp_le_u32_e32 vcc_lo, s49, v4
	v_cndmask_b32_e32 v4, v4, v5, vcc_lo
	s_delay_alu instid0(VALU_DEP_1) | instskip(SKIP_1) | instid1(VALU_DEP_2)
	v_subrev_nc_u32_e32 v5, s49, v4
	v_cmp_le_u32_e32 vcc_lo, s49, v4
	v_cndmask_b32_e32 v12, v4, v5, vcc_lo
	s_delay_alu instid0(VALU_DEP_1)
	v_dual_mov_b32 v4, v12 :: v_dual_mov_b32 v5, v13
.LBB171_152:                            ;   in Loop: Header=BB171_12 Depth=1
	s_delay_alu instid0(VALU_DEP_1) | instskip(NEXT) | instid1(VALU_DEP_2)
	v_sub_co_u32 v4, vcc_lo, s76, v4
	v_sub_co_ci_u32_e32 v5, vcc_lo, s27, v5, vcc_lo
	s_mov_b32 s8, 0
	s_mov_b32 s9, exec_lo
                                        ; implicit-def: $vgpr18
	s_delay_alu instid0(VALU_DEP_1)
	v_cmpx_gt_u64_e64 v[4:5], v[0:1]
	s_cbranch_execz .LBB171_161
; %bb.153:                              ;   in Loop: Header=BB171_12 Depth=1
	v_dual_mov_b32 v7, v1 :: v_dual_mov_b32 v6, v0
	s_mov_b32 s18, 0
                                        ; implicit-def: $sgpr19
	s_branch .LBB171_155
.LBB171_154:                            ;   in Loop: Header=BB171_155 Depth=2
	s_or_b32 exec_lo, exec_lo, s8
	s_waitcnt vmcnt(0) lgkmcnt(0)
	s_barrier
	buffer_gl0_inv
	ds_load_b32 v12, v13 offset:3072
	v_add_co_u32 v6, vcc_lo, v6, s49
	v_add_co_ci_u32_e32 v7, vcc_lo, 0, v7, vcc_lo
	s_waitcnt lgkmcnt(0)
	s_barrier
	buffer_gl0_inv
	v_cmp_ge_u64_e32 vcc_lo, v[6:7], v[4:5]
	v_cmp_ne_u16_e64 s8, 0, v12
	s_delay_alu instid0(VALU_DEP_1) | instskip(NEXT) | instid1(SALU_CYCLE_1)
	s_or_b32 s25, vcc_lo, s8
	s_and_b32 s25, exec_lo, s25
	s_delay_alu instid0(SALU_CYCLE_1) | instskip(SKIP_2) | instid1(SALU_CYCLE_1)
	s_or_b32 s18, s25, s18
	s_and_not1_b32 s19, s19, exec_lo
	s_and_b32 s8, s8, exec_lo
	s_or_b32 s19, s19, s8
	s_and_not1_b32 exec_lo, exec_lo, s18
	s_cbranch_execz .LBB171_160
.LBB171_155:                            ;   Parent Loop BB171_12 Depth=1
                                        ; =>  This Inner Loop Header: Depth=2
	s_delay_alu instid0(VALU_DEP_1)
	v_cmp_gt_u64_e32 vcc_lo, s[36:37], v[6:7]
	v_mov_b32_e32 v12, 0
	s_and_saveexec_b32 s25, vcc_lo
	s_cbranch_execz .LBB171_157
; %bb.156:                              ;   in Loop: Header=BB171_155 Depth=2
	v_mul_lo_u32 v12, v7, s30
	v_mul_lo_u32 v20, v6, s31
	v_mad_u64_u32 v[18:19], null, v6, s30, 0
	s_delay_alu instid0(VALU_DEP_1) | instskip(NEXT) | instid1(VALU_DEP_1)
	v_add3_u32 v19, v19, v20, v12
	v_lshlrev_b64 v[18:19], 1, v[18:19]
	s_delay_alu instid0(VALU_DEP_1) | instskip(NEXT) | instid1(VALU_DEP_1)
	v_add_co_u32 v18, s8, s33, v18
	v_add_co_ci_u32_e64 v19, s8, s35, v19, s8
	global_load_u16 v12, v[18:19], off
.LBB171_157:                            ;   in Loop: Header=BB171_155 Depth=2
	s_or_b32 exec_lo, exec_lo, s25
	s_and_saveexec_b32 s8, vcc_lo
	s_cbranch_execz .LBB171_154
; %bb.158:                              ;   in Loop: Header=BB171_155 Depth=2
	s_waitcnt vmcnt(0)
	v_bfe_i32 v18, v12, 0, 16
	s_delay_alu instid0(VALU_DEP_1) | instskip(NEXT) | instid1(VALU_DEP_1)
	v_add_nc_u32_e32 v18, 0x8000, v18
	v_and_b32_e32 v18, v18, v9
	s_delay_alu instid0(VALU_DEP_1)
	v_cmp_eq_u32_e32 vcc_lo, v18, v8
	s_and_b32 exec_lo, exec_lo, vcc_lo
	s_cbranch_execz .LBB171_154
; %bb.159:                              ;   in Loop: Header=BB171_155 Depth=2
	v_perm_b32 v12, v12, 1, 0x5040100
	ds_store_b32 v13, v12 offset:3072
	s_branch .LBB171_154
.LBB171_160:                            ;   in Loop: Header=BB171_12 Depth=1
	s_or_b32 exec_lo, exec_lo, s18
	v_lshrrev_b32_e32 v18, 16, v12
	s_and_b32 s8, s19, exec_lo
.LBB171_161:                            ;   in Loop: Header=BB171_12 Depth=1
	s_or_b32 exec_lo, exec_lo, s9
	s_mov_b32 s66, -1
	s_mov_b32 s25, 0
	s_mov_b32 s65, 0
.LBB171_162:                            ;   in Loop: Header=BB171_12 Depth=1
	s_or_not1_b32 s8, s8, exec_lo
.LBB171_163:                            ;   in Loop: Header=BB171_12 Depth=1
	s_or_b32 exec_lo, exec_lo, s67
	s_mov_b32 s26, 0
                                        ; implicit-def: $vgpr6
	s_and_saveexec_b32 s67, s8
	s_cbranch_execz .LBB171_276
; %bb.164:                              ;   in Loop: Header=BB171_12 Depth=1
	v_mov_b32_e32 v4, 1
	v_dual_mov_b32 v5, 0 :: v_dual_mov_b32 v6, 1
	s_xor_b32 s9, s68, -1
	s_delay_alu instid0(SALU_CYCLE_1)
	s_and_saveexec_b32 s8, s9
	s_cbranch_execz .LBB171_174
; %bb.165:                              ;   in Loop: Header=BB171_12 Depth=1
	s_mov_b32 s18, exec_lo
                                        ; implicit-def: $sgpr19
                                        ; implicit-def: $sgpr9
	v_cmpx_ge_u64_e64 s[12:13], v[2:3]
	s_xor_b32 s18, exec_lo, s18
	s_cbranch_execz .LBB171_171
; %bb.166:                              ;   in Loop: Header=BB171_12 Depth=1
	ds_load_b64 v[4:5], v13 offset:5120
	s_waitcnt lgkmcnt(0)
	v_cmp_ne_u64_e32 vcc_lo, 0, v[4:5]
	s_cbranch_vccnz .LBB171_170
; %bb.167:                              ;   in Loop: Header=BB171_12 Depth=1
	s_and_saveexec_b32 s9, s5
	s_cbranch_execz .LBB171_169
; %bb.168:                              ;   in Loop: Header=BB171_12 Depth=1
	v_dual_mov_b32 v4, s12 :: v_dual_mov_b32 v5, s13
	ds_store_b64 v13, v[4:5] offset:5128
.LBB171_169:                            ;   in Loop: Header=BB171_12 Depth=1
	s_or_b32 exec_lo, exec_lo, s9
	s_waitcnt lgkmcnt(0)
	s_barrier
	buffer_gl0_inv
.LBB171_170:                            ;   in Loop: Header=BB171_12 Depth=1
	s_lshl_b32 s9, 1, s22
	v_or_b32_e32 v9, s20, v9
	v_and_or_b32 v8, v8, s21, s9
	s_mov_b32 s9, 0
	s_mov_b32 s19, 8
.LBB171_171:                            ;   in Loop: Header=BB171_12 Depth=1
	s_or_saveexec_b32 s18, s18
	v_mov_b32_e32 v6, s19
	s_xor_b32 exec_lo, exec_lo, s18
; %bb.172:                              ;   in Loop: Header=BB171_12 Depth=1
	v_sub_co_u32 v2, vcc_lo, v2, s12
	v_subrev_co_ci_u32_e32 v3, vcc_lo, s13, v3, vcc_lo
	v_mov_b32_e32 v6, 0
	s_or_b32 s9, s9, exec_lo
; %bb.173:                              ;   in Loop: Header=BB171_12 Depth=1
	s_or_b32 exec_lo, exec_lo, s18
	s_delay_alu instid0(VALU_DEP_2)
	v_dual_mov_b32 v5, v3 :: v_dual_mov_b32 v4, v2
	s_and_b32 s26, s9, exec_lo
.LBB171_174:                            ;   in Loop: Header=BB171_12 Depth=1
	s_or_b32 exec_lo, exec_lo, s8
	s_mov_b32 s8, -1
                                        ; implicit-def: $sgpr9
                                        ; implicit-def: $sgpr18
                                        ; implicit-def: $sgpr19
	s_and_saveexec_b32 s68, s26
	s_cbranch_execz .LBB171_275
; %bb.175:                              ;   in Loop: Header=BB171_12 Depth=1
	v_cmp_eq_u64_e32 vcc_lo, 1, v[4:5]
	s_cmp_eq_u64 s[14:15], 1
                                        ; implicit-def: $sgpr69
                                        ; implicit-def: $sgpr71
                                        ; implicit-def: $sgpr70
	s_cselect_b32 s8, -1, 0
	s_delay_alu instid0(SALU_CYCLE_1)
	s_and_b32 s97, s8, vcc_lo
	s_mov_b32 s8, -1
	s_and_saveexec_b32 s96, s97
	s_cbranch_execz .LBB171_209
; %bb.176:                              ;   in Loop: Header=BB171_12 Depth=1
	ds_load_b64 v[2:3], v13 offset:5120
	s_waitcnt lgkmcnt(0)
	s_barrier
	buffer_gl0_inv
	v_readfirstlane_b32 s18, v2
	v_readfirstlane_b32 s19, v3
	s_and_saveexec_b32 s8, s6
	s_cbranch_execz .LBB171_178
; %bb.177:                              ;   in Loop: Header=BB171_12 Depth=1
	ds_store_b16 v26, v13
.LBB171_178:                            ;   in Loop: Header=BB171_12 Depth=1
	s_or_b32 exec_lo, exec_lo, s8
	s_lshl_b32 s8, 2, s22
	v_or_b32_e32 v9, s20, v9
	v_and_or_b32 v8, v8, s21, s8
	s_cmp_eq_u64 s[18:19], 0
	s_waitcnt lgkmcnt(0)
	s_barrier
	buffer_gl0_inv
	s_cbranch_scc1 .LBB171_192
; %bb.179:                              ;   in Loop: Header=BB171_12 Depth=1
	s_add_u32 s26, s74, s18
	s_addc_u32 s9, s75, s19
	s_mov_b32 s8, s59
	s_mov_b64 s[54:55], s[102:103]
	s_cmp_lg_u64 s[8:9], 0
	s_cbranch_scc0 .LBB171_227
; %bb.180:                              ;   in Loop: Header=BB171_12 Depth=1
	v_cvt_f32_u32_e32 v2, s49
	s_sub_u32 s70, 0, s49
	s_subb_u32 s71, 0, 0
	s_delay_alu instid0(VALU_DEP_1) | instskip(NEXT) | instid1(VALU_DEP_1)
	v_fmac_f32_e64 v2, 0, 0x4f800000
	v_rcp_f32_e32 v2, v2
	s_waitcnt_depctr 0xfff
	v_mul_f32_e32 v2, 0x5f7ffffc, v2
	s_delay_alu instid0(VALU_DEP_1) | instskip(NEXT) | instid1(VALU_DEP_1)
	v_mul_f32_e32 v3, 0x2f800000, v2
	v_trunc_f32_e32 v3, v3
	s_delay_alu instid0(VALU_DEP_1) | instskip(SKIP_1) | instid1(VALU_DEP_2)
	v_fmac_f32_e32 v2, 0xcf800000, v3
	v_cvt_u32_f32_e32 v3, v3
	v_cvt_u32_f32_e32 v2, v2
	s_delay_alu instid0(VALU_DEP_2) | instskip(NEXT) | instid1(VALU_DEP_2)
	v_readfirstlane_b32 s8, v3
	v_readfirstlane_b32 s69, v2
	s_delay_alu instid0(VALU_DEP_2) | instskip(NEXT) | instid1(VALU_DEP_1)
	s_mul_i32 s98, s70, s8
	s_mul_hi_u32 s100, s70, s69
	s_mul_i32 s99, s71, s69
	s_add_i32 s98, s100, s98
	s_mul_i32 s101, s70, s69
	s_add_i32 s98, s98, s99
	s_mul_hi_u32 s100, s69, s101
	s_mul_hi_u32 s102, s8, s101
	s_mul_i32 s99, s8, s101
	s_mul_hi_u32 s101, s69, s98
	s_mul_i32 s69, s69, s98
	s_mul_hi_u32 s103, s8, s98
	s_add_u32 s69, s100, s69
	s_addc_u32 s100, 0, s101
	s_add_u32 s69, s69, s99
	s_mul_i32 s98, s8, s98
	s_addc_u32 s69, s100, s102
	s_addc_u32 s99, s103, 0
	s_add_u32 s69, s69, s98
	s_addc_u32 s98, 0, s99
	v_add_co_u32 v2, s69, v2, s69
	s_delay_alu instid0(VALU_DEP_1) | instskip(SKIP_1) | instid1(VALU_DEP_1)
	s_cmp_lg_u32 s69, 0
	s_addc_u32 s8, s8, s98
	v_readfirstlane_b32 s69, v2
	s_mul_i32 s98, s70, s8
	s_delay_alu instid0(VALU_DEP_1)
	s_mul_hi_u32 s99, s70, s69
	s_mul_i32 s71, s71, s69
	s_add_i32 s98, s99, s98
	s_mul_i32 s70, s70, s69
	s_add_i32 s98, s98, s71
	s_mul_hi_u32 s99, s8, s70
	s_mul_i32 s100, s8, s70
	s_mul_hi_u32 s70, s69, s70
	s_mul_hi_u32 s101, s69, s98
	s_mul_i32 s69, s69, s98
	s_mul_hi_u32 s71, s8, s98
	s_add_u32 s69, s70, s69
	s_addc_u32 s70, 0, s101
	s_add_u32 s69, s69, s100
	s_mul_i32 s98, s8, s98
	s_addc_u32 s69, s70, s99
	s_addc_u32 s70, s71, 0
	s_add_u32 s69, s69, s98
	s_addc_u32 s70, 0, s70
	v_add_co_u32 v2, s69, v2, s69
	s_delay_alu instid0(VALU_DEP_1) | instskip(SKIP_1) | instid1(VALU_DEP_1)
	s_cmp_lg_u32 s69, 0
	s_addc_u32 s8, s8, s70
	v_readfirstlane_b32 s69, v2
	s_mul_i32 s71, s26, s8
	s_mul_hi_u32 s70, s26, s8
	s_mul_hi_u32 s98, s9, s8
	s_mul_i32 s8, s9, s8
	s_mul_hi_u32 s99, s26, s69
	s_mul_hi_u32 s100, s9, s69
	s_mul_i32 s69, s9, s69
	s_add_u32 s71, s99, s71
	s_addc_u32 s70, 0, s70
	s_add_u32 s69, s71, s69
	s_addc_u32 s69, s70, s100
	s_addc_u32 s70, s98, 0
	s_add_u32 s8, s69, s8
	s_addc_u32 s69, 0, s70
	s_mul_hi_u32 s70, s49, s8
	s_mul_i32 s8, s49, s8
	s_mul_i32 s69, s49, s69
	v_sub_co_u32 v2, s8, s26, s8
	s_add_i32 s70, s70, s69
	s_cmp_lg_u32 s8, 0
	s_delay_alu instid0(VALU_DEP_1) | instskip(SKIP_2) | instid1(VALU_DEP_1)
	v_sub_co_u32 v3, s8, v2, s49
	s_subb_u32 s69, s9, s70
	s_cmp_lg_u32 s8, 0
	v_cmp_le_u32_e32 vcc_lo, s49, v3
	v_sub_co_u32 v6, s8, v3, s49
	s_subb_u32 s70, s69, 0
	s_cmp_lg_u32 s8, 0
	v_cndmask_b32_e64 v7, 0, -1, vcc_lo
	s_subb_u32 s8, s70, 0
	s_cmp_eq_u32 s70, 0
	v_mov_b32_e32 v18, s8
	s_cselect_b32 vcc_lo, -1, 0
	s_cmp_eq_u32 s69, 0
	v_cndmask_b32_e32 v7, -1, v7, vcc_lo
	v_cmp_le_u32_e32 vcc_lo, s49, v2
	s_cselect_b32 s8, -1, 0
	v_cndmask_b32_e64 v12, 0, -1, vcc_lo
	s_delay_alu instid0(VALU_DEP_3) | instskip(NEXT) | instid1(VALU_DEP_2)
	v_cmp_ne_u32_e32 vcc_lo, 0, v7
	v_cndmask_b32_e64 v7, -1, v12, s8
	v_cndmask_b32_e32 v12, s70, v18, vcc_lo
	v_cndmask_b32_e32 v6, v3, v6, vcc_lo
	s_delay_alu instid0(VALU_DEP_3) | instskip(NEXT) | instid1(VALU_DEP_3)
	v_cmp_ne_u32_e32 vcc_lo, 0, v7
	v_cndmask_b32_e32 v3, s69, v12, vcc_lo
	s_delay_alu instid0(VALU_DEP_3)
	v_cndmask_b32_e32 v2, v2, v6, vcc_lo
	s_cbranch_execnz .LBB171_182
.LBB171_181:                            ;   in Loop: Header=BB171_12 Depth=1
	v_cvt_f32_u32_e32 v2, s49
	s_sub_i32 s8, 0, s49
	s_delay_alu instid0(VALU_DEP_1) | instskip(SKIP_2) | instid1(VALU_DEP_1)
	v_rcp_iflag_f32_e32 v2, v2
	s_waitcnt_depctr 0xfff
	v_mul_f32_e32 v2, 0x4f7ffffe, v2
	v_cvt_u32_f32_e32 v2, v2
	s_delay_alu instid0(VALU_DEP_1) | instskip(NEXT) | instid1(VALU_DEP_1)
	v_mul_lo_u32 v3, s8, v2
	v_mul_hi_u32 v3, v2, v3
	s_delay_alu instid0(VALU_DEP_1) | instskip(NEXT) | instid1(VALU_DEP_1)
	v_add_nc_u32_e32 v2, v2, v3
	v_mul_hi_u32 v2, s26, v2
	s_delay_alu instid0(VALU_DEP_1) | instskip(NEXT) | instid1(VALU_DEP_1)
	v_mul_lo_u32 v2, v2, s49
	v_sub_nc_u32_e32 v2, s26, v2
	s_delay_alu instid0(VALU_DEP_1) | instskip(SKIP_1) | instid1(VALU_DEP_2)
	v_subrev_nc_u32_e32 v3, s49, v2
	v_cmp_le_u32_e32 vcc_lo, s49, v2
	v_cndmask_b32_e32 v2, v2, v3, vcc_lo
	s_delay_alu instid0(VALU_DEP_1) | instskip(SKIP_1) | instid1(VALU_DEP_2)
	v_subrev_nc_u32_e32 v3, s49, v2
	v_cmp_le_u32_e32 vcc_lo, s49, v2
	v_cndmask_b32_e32 v12, v2, v3, vcc_lo
	s_delay_alu instid0(VALU_DEP_1)
	v_dual_mov_b32 v2, v12 :: v_dual_mov_b32 v3, v13
.LBB171_182:                            ;   in Loop: Header=BB171_12 Depth=1
	s_delay_alu instid0(VALU_DEP_1) | instskip(NEXT) | instid1(VALU_DEP_2)
	v_sub_co_u32 v2, vcc_lo, s26, v2
	v_sub_co_ci_u32_e32 v3, vcc_lo, s9, v3, vcc_lo
	s_mov_b32 s8, 0
	s_mov_b32 s9, exec_lo
                                        ; implicit-def: $vgpr18
	s_delay_alu instid0(VALU_DEP_1)
	v_cmpx_gt_u64_e64 v[2:3], v[0:1]
	s_mov_b64 s[102:103], s[54:55]
	s_cbranch_execz .LBB171_194
; %bb.183:                              ;   in Loop: Header=BB171_12 Depth=1
	v_mov_b32_e32 v12, v25
	v_dual_mov_b32 v7, v1 :: v_dual_mov_b32 v6, v0
	s_mov_b32 s26, 0
                                        ; implicit-def: $sgpr69
	s_set_inst_prefetch_distance 0x1
	s_branch .LBB171_185
	.p2align	6
.LBB171_184:                            ;   in Loop: Header=BB171_185 Depth=2
	s_or_b32 exec_lo, exec_lo, s8
	s_waitcnt lgkmcnt(0)
	s_barrier
	buffer_gl0_inv
	ds_load_b32 v18, v13 offset:3072
	v_add_co_u32 v6, vcc_lo, v6, s49
	v_add_co_ci_u32_e32 v7, vcc_lo, 0, v7, vcc_lo
	v_add_nc_u32_e32 v12, s82, v12
	s_waitcnt lgkmcnt(0)
	s_barrier
	s_delay_alu instid0(VALU_DEP_2) | instskip(SKIP_2) | instid1(VALU_DEP_1)
	v_cmp_ge_u64_e32 vcc_lo, v[6:7], v[2:3]
	buffer_gl0_inv
	v_cmp_ne_u16_e64 s8, 0, v18
	s_or_b32 s70, vcc_lo, s8
	s_delay_alu instid0(SALU_CYCLE_1) | instskip(NEXT) | instid1(SALU_CYCLE_1)
	s_and_b32 s70, exec_lo, s70
	s_or_b32 s26, s70, s26
	s_and_not1_b32 s69, s69, exec_lo
	s_and_b32 s8, s8, exec_lo
	s_delay_alu instid0(SALU_CYCLE_1)
	s_or_b32 s69, s69, s8
	s_and_not1_b32 exec_lo, exec_lo, s26
	s_cbranch_execz .LBB171_193
.LBB171_185:                            ;   Parent Loop BB171_12 Depth=1
                                        ; =>  This Inner Loop Header: Depth=2
	s_delay_alu instid0(VALU_DEP_1)
	v_cmp_gt_u64_e32 vcc_lo, s[18:19], v[6:7]
	v_mov_b32_e32 v18, 0
	s_and_saveexec_b32 s8, vcc_lo
	s_cbranch_execz .LBB171_187
; %bb.186:                              ;   in Loop: Header=BB171_185 Depth=2
	ds_load_u16 v18, v12
.LBB171_187:                            ;   in Loop: Header=BB171_185 Depth=2
	s_or_b32 exec_lo, exec_lo, s8
	s_and_saveexec_b32 s8, vcc_lo
	s_cbranch_execz .LBB171_184
; %bb.188:                              ;   in Loop: Header=BB171_185 Depth=2
	s_waitcnt lgkmcnt(0)
	v_bfe_i32 v19, v18, 0, 16
	s_delay_alu instid0(VALU_DEP_1) | instskip(NEXT) | instid1(VALU_DEP_1)
	v_add_nc_u32_e32 v19, 0x8000, v19
	v_and_b32_e32 v19, v19, v9
	s_delay_alu instid0(VALU_DEP_1)
	v_cmp_eq_u32_e32 vcc_lo, v19, v8
	s_and_b32 exec_lo, exec_lo, vcc_lo
	s_cbranch_execz .LBB171_184
; %bb.189:                              ;   in Loop: Header=BB171_185 Depth=2
	v_perm_b32 v18, v18, 1, 0x5040100
	ds_store_b32 v13, v18 offset:3072
	s_branch .LBB171_184
.LBB171_190:                            ;   in Loop: Header=BB171_12 Depth=1
                                        ; implicit-def: $vgpr4_vgpr5
	s_branch .LBB171_135
.LBB171_191:                            ;   in Loop: Header=BB171_12 Depth=1
                                        ; implicit-def: $vgpr4_vgpr5
	s_branch .LBB171_151
.LBB171_192:                            ;   in Loop: Header=BB171_12 Depth=1
	s_mov_b32 s69, -1
	s_mov_b32 s8, 0
                                        ; implicit-def: $sgpr70
                                        ; implicit-def: $vgpr18
	s_mov_b32 s71, s69
	s_cbranch_execnz .LBB171_195
	s_branch .LBB171_208
.LBB171_193:                            ;   in Loop: Header=BB171_12 Depth=1
	s_set_inst_prefetch_distance 0x2
	s_or_b32 exec_lo, exec_lo, s26
	v_lshrrev_b32_e32 v18, 16, v18
	s_and_b32 s8, s69, exec_lo
.LBB171_194:                            ;   in Loop: Header=BB171_12 Depth=1
	s_or_b32 exec_lo, exec_lo, s9
	s_mov_b32 s70, -1
	s_mov_b32 s69, 0
	s_delay_alu instid0(SALU_CYCLE_1)
	s_mov_b32 s71, s69
	s_branch .LBB171_208
.LBB171_195:                            ;   in Loop: Header=BB171_12 Depth=1
	s_mov_b32 s26, s59
	s_delay_alu instid0(SALU_CYCLE_1)
	s_cmp_lg_u64 s[26:27], 0
	s_cbranch_scc0 .LBB171_228
; %bb.196:                              ;   in Loop: Header=BB171_12 Depth=1
	v_cvt_f32_u32_e32 v2, s49
	s_sub_u32 s18, 0, s49
	s_subb_u32 s19, 0, 0
	s_delay_alu instid0(VALU_DEP_1) | instskip(NEXT) | instid1(VALU_DEP_1)
	v_fmac_f32_e64 v2, 0, 0x4f800000
	v_rcp_f32_e32 v2, v2
	s_waitcnt_depctr 0xfff
	v_mul_f32_e32 v2, 0x5f7ffffc, v2
	s_delay_alu instid0(VALU_DEP_1) | instskip(NEXT) | instid1(VALU_DEP_1)
	v_mul_f32_e32 v3, 0x2f800000, v2
	v_trunc_f32_e32 v3, v3
	s_delay_alu instid0(VALU_DEP_1) | instskip(SKIP_1) | instid1(VALU_DEP_2)
	v_fmac_f32_e32 v2, 0xcf800000, v3
	v_cvt_u32_f32_e32 v3, v3
	v_cvt_u32_f32_e32 v2, v2
	s_delay_alu instid0(VALU_DEP_2) | instskip(NEXT) | instid1(VALU_DEP_2)
	v_readfirstlane_b32 s8, v3
	v_readfirstlane_b32 s9, v2
	s_delay_alu instid0(VALU_DEP_2) | instskip(NEXT) | instid1(VALU_DEP_1)
	s_mul_i32 s26, s18, s8
	s_mul_hi_u32 s70, s18, s9
	s_mul_i32 s69, s19, s9
	s_add_i32 s26, s70, s26
	s_mul_i32 s71, s18, s9
	s_add_i32 s26, s26, s69
	s_mul_hi_u32 s70, s9, s71
	s_mul_hi_u32 s98, s8, s71
	s_mul_i32 s69, s8, s71
	s_mul_hi_u32 s71, s9, s26
	s_mul_i32 s9, s9, s26
	s_mul_hi_u32 s99, s8, s26
	s_add_u32 s9, s70, s9
	s_addc_u32 s70, 0, s71
	s_add_u32 s9, s9, s69
	s_mul_i32 s26, s8, s26
	s_addc_u32 s9, s70, s98
	s_addc_u32 s69, s99, 0
	s_add_u32 s9, s9, s26
	s_addc_u32 s26, 0, s69
	v_add_co_u32 v2, s9, v2, s9
	s_delay_alu instid0(VALU_DEP_1) | instskip(SKIP_1) | instid1(VALU_DEP_1)
	s_cmp_lg_u32 s9, 0
	s_addc_u32 s8, s8, s26
	v_readfirstlane_b32 s9, v2
	s_mul_i32 s26, s18, s8
	s_delay_alu instid0(VALU_DEP_1)
	s_mul_hi_u32 s69, s18, s9
	s_mul_i32 s19, s19, s9
	s_add_i32 s26, s69, s26
	s_mul_i32 s18, s18, s9
	s_add_i32 s26, s26, s19
	s_mul_hi_u32 s69, s8, s18
	s_mul_i32 s70, s8, s18
	s_mul_hi_u32 s18, s9, s18
	s_mul_hi_u32 s71, s9, s26
	s_mul_i32 s9, s9, s26
	s_mul_hi_u32 s19, s8, s26
	s_add_u32 s9, s18, s9
	s_addc_u32 s18, 0, s71
	s_add_u32 s9, s9, s70
	s_mul_i32 s26, s8, s26
	s_addc_u32 s9, s18, s69
	s_addc_u32 s18, s19, 0
	s_add_u32 s9, s9, s26
	s_addc_u32 s18, 0, s18
	v_add_co_u32 v2, s9, v2, s9
	s_delay_alu instid0(VALU_DEP_1) | instskip(SKIP_1) | instid1(VALU_DEP_1)
	s_cmp_lg_u32 s9, 0
	s_addc_u32 s8, s8, s18
	v_readfirstlane_b32 s9, v2
	s_mul_i32 s19, s76, s8
	s_mul_hi_u32 s18, s76, s8
	s_mul_hi_u32 s26, s27, s8
	s_mul_i32 s8, s27, s8
	s_mul_hi_u32 s69, s76, s9
	s_mul_hi_u32 s70, s27, s9
	s_mul_i32 s9, s27, s9
	s_add_u32 s19, s69, s19
	s_addc_u32 s18, 0, s18
	s_add_u32 s9, s19, s9
	s_addc_u32 s9, s18, s70
	s_addc_u32 s18, s26, 0
	s_add_u32 s8, s9, s8
	s_addc_u32 s9, 0, s18
	s_mul_hi_u32 s18, s49, s8
	s_mul_i32 s8, s49, s8
	s_mul_i32 s9, s49, s9
	v_sub_co_u32 v2, s8, s76, s8
	s_add_i32 s18, s18, s9
	s_cmp_lg_u32 s8, 0
	s_delay_alu instid0(VALU_DEP_1) | instskip(SKIP_2) | instid1(VALU_DEP_1)
	v_sub_co_u32 v3, s8, v2, s49
	s_subb_u32 s9, s27, s18
	s_cmp_lg_u32 s8, 0
	v_cmp_le_u32_e32 vcc_lo, s49, v3
	v_sub_co_u32 v6, s8, v3, s49
	s_subb_u32 s18, s9, 0
	s_cmp_lg_u32 s8, 0
	v_cndmask_b32_e64 v7, 0, -1, vcc_lo
	s_subb_u32 s8, s18, 0
	s_cmp_eq_u32 s18, 0
	v_mov_b32_e32 v18, s8
	s_cselect_b32 vcc_lo, -1, 0
	s_cmp_eq_u32 s9, 0
	v_cndmask_b32_e32 v7, -1, v7, vcc_lo
	v_cmp_le_u32_e32 vcc_lo, s49, v2
	s_cselect_b32 s8, -1, 0
	v_cndmask_b32_e64 v12, 0, -1, vcc_lo
	s_delay_alu instid0(VALU_DEP_3) | instskip(NEXT) | instid1(VALU_DEP_2)
	v_cmp_ne_u32_e32 vcc_lo, 0, v7
	v_cndmask_b32_e64 v7, -1, v12, s8
	v_cndmask_b32_e32 v12, s18, v18, vcc_lo
	v_cndmask_b32_e32 v6, v3, v6, vcc_lo
	s_delay_alu instid0(VALU_DEP_3) | instskip(NEXT) | instid1(VALU_DEP_3)
	v_cmp_ne_u32_e32 vcc_lo, 0, v7
	v_cndmask_b32_e32 v3, s9, v12, vcc_lo
	s_delay_alu instid0(VALU_DEP_3)
	v_cndmask_b32_e32 v2, v2, v6, vcc_lo
	s_cbranch_execnz .LBB171_198
.LBB171_197:                            ;   in Loop: Header=BB171_12 Depth=1
	v_cvt_f32_u32_e32 v2, s49
	s_sub_i32 s8, 0, s49
	s_delay_alu instid0(VALU_DEP_1) | instskip(SKIP_2) | instid1(VALU_DEP_1)
	v_rcp_iflag_f32_e32 v2, v2
	s_waitcnt_depctr 0xfff
	v_mul_f32_e32 v2, 0x4f7ffffe, v2
	v_cvt_u32_f32_e32 v2, v2
	s_delay_alu instid0(VALU_DEP_1) | instskip(NEXT) | instid1(VALU_DEP_1)
	v_mul_lo_u32 v3, s8, v2
	v_mul_hi_u32 v3, v2, v3
	s_delay_alu instid0(VALU_DEP_1) | instskip(NEXT) | instid1(VALU_DEP_1)
	v_add_nc_u32_e32 v2, v2, v3
	v_mul_hi_u32 v2, s76, v2
	s_delay_alu instid0(VALU_DEP_1) | instskip(NEXT) | instid1(VALU_DEP_1)
	v_mul_lo_u32 v2, v2, s49
	v_sub_nc_u32_e32 v2, s76, v2
	s_delay_alu instid0(VALU_DEP_1) | instskip(SKIP_1) | instid1(VALU_DEP_2)
	v_subrev_nc_u32_e32 v3, s49, v2
	v_cmp_le_u32_e32 vcc_lo, s49, v2
	v_cndmask_b32_e32 v2, v2, v3, vcc_lo
	s_delay_alu instid0(VALU_DEP_1) | instskip(SKIP_1) | instid1(VALU_DEP_2)
	v_subrev_nc_u32_e32 v3, s49, v2
	v_cmp_le_u32_e32 vcc_lo, s49, v2
	v_cndmask_b32_e32 v12, v2, v3, vcc_lo
	s_delay_alu instid0(VALU_DEP_1)
	v_dual_mov_b32 v2, v12 :: v_dual_mov_b32 v3, v13
.LBB171_198:                            ;   in Loop: Header=BB171_12 Depth=1
	s_delay_alu instid0(VALU_DEP_1) | instskip(NEXT) | instid1(VALU_DEP_2)
	v_sub_co_u32 v2, vcc_lo, s76, v2
	v_sub_co_ci_u32_e32 v3, vcc_lo, s27, v3, vcc_lo
	s_mov_b32 s8, 0
	s_mov_b32 s9, exec_lo
                                        ; implicit-def: $vgpr18
	s_delay_alu instid0(VALU_DEP_1)
	v_cmpx_gt_u64_e64 v[2:3], v[0:1]
	s_cbranch_execz .LBB171_207
; %bb.199:                              ;   in Loop: Header=BB171_12 Depth=1
	v_dual_mov_b32 v7, v1 :: v_dual_mov_b32 v6, v0
	s_mov_b32 s18, 0
                                        ; implicit-def: $sgpr19
	s_branch .LBB171_201
.LBB171_200:                            ;   in Loop: Header=BB171_201 Depth=2
	s_or_b32 exec_lo, exec_lo, s8
	s_waitcnt vmcnt(0) lgkmcnt(0)
	s_barrier
	buffer_gl0_inv
	ds_load_b32 v12, v13 offset:3072
	v_add_co_u32 v6, vcc_lo, v6, s49
	v_add_co_ci_u32_e32 v7, vcc_lo, 0, v7, vcc_lo
	s_waitcnt lgkmcnt(0)
	s_barrier
	buffer_gl0_inv
	v_cmp_ge_u64_e32 vcc_lo, v[6:7], v[2:3]
	v_cmp_ne_u16_e64 s8, 0, v12
	s_delay_alu instid0(VALU_DEP_1) | instskip(NEXT) | instid1(SALU_CYCLE_1)
	s_or_b32 s26, vcc_lo, s8
	s_and_b32 s26, exec_lo, s26
	s_delay_alu instid0(SALU_CYCLE_1) | instskip(SKIP_2) | instid1(SALU_CYCLE_1)
	s_or_b32 s18, s26, s18
	s_and_not1_b32 s19, s19, exec_lo
	s_and_b32 s8, s8, exec_lo
	s_or_b32 s19, s19, s8
	s_and_not1_b32 exec_lo, exec_lo, s18
	s_cbranch_execz .LBB171_206
.LBB171_201:                            ;   Parent Loop BB171_12 Depth=1
                                        ; =>  This Inner Loop Header: Depth=2
	s_delay_alu instid0(VALU_DEP_1)
	v_cmp_gt_u64_e32 vcc_lo, s[36:37], v[6:7]
	v_mov_b32_e32 v12, 0
	s_and_saveexec_b32 s26, vcc_lo
	s_cbranch_execz .LBB171_203
; %bb.202:                              ;   in Loop: Header=BB171_201 Depth=2
	v_mul_lo_u32 v12, v7, s30
	v_mul_lo_u32 v20, v6, s31
	v_mad_u64_u32 v[18:19], null, v6, s30, 0
	s_delay_alu instid0(VALU_DEP_1) | instskip(NEXT) | instid1(VALU_DEP_1)
	v_add3_u32 v19, v19, v20, v12
	v_lshlrev_b64 v[18:19], 1, v[18:19]
	s_delay_alu instid0(VALU_DEP_1) | instskip(NEXT) | instid1(VALU_DEP_1)
	v_add_co_u32 v18, s8, s33, v18
	v_add_co_ci_u32_e64 v19, s8, s35, v19, s8
	global_load_u16 v12, v[18:19], off
.LBB171_203:                            ;   in Loop: Header=BB171_201 Depth=2
	s_or_b32 exec_lo, exec_lo, s26
	s_and_saveexec_b32 s8, vcc_lo
	s_cbranch_execz .LBB171_200
; %bb.204:                              ;   in Loop: Header=BB171_201 Depth=2
	s_waitcnt vmcnt(0)
	v_bfe_i32 v18, v12, 0, 16
	s_delay_alu instid0(VALU_DEP_1) | instskip(NEXT) | instid1(VALU_DEP_1)
	v_add_nc_u32_e32 v18, 0x8000, v18
	v_and_b32_e32 v18, v18, v9
	s_delay_alu instid0(VALU_DEP_1)
	v_cmp_eq_u32_e32 vcc_lo, v18, v8
	s_and_b32 exec_lo, exec_lo, vcc_lo
	s_cbranch_execz .LBB171_200
; %bb.205:                              ;   in Loop: Header=BB171_201 Depth=2
	v_perm_b32 v12, v12, 1, 0x5040100
	ds_store_b32 v13, v12 offset:3072
	s_branch .LBB171_200
.LBB171_206:                            ;   in Loop: Header=BB171_12 Depth=1
	s_or_b32 exec_lo, exec_lo, s18
	v_lshrrev_b32_e32 v18, 16, v12
	s_and_b32 s8, s19, exec_lo
.LBB171_207:                            ;   in Loop: Header=BB171_12 Depth=1
	s_or_b32 exec_lo, exec_lo, s9
	s_mov_b32 s71, -1
	s_mov_b32 s69, 0
	s_mov_b32 s70, 0
.LBB171_208:                            ;   in Loop: Header=BB171_12 Depth=1
	s_or_not1_b32 s8, s8, exec_lo
.LBB171_209:                            ;   in Loop: Header=BB171_12 Depth=1
	s_or_b32 exec_lo, exec_lo, s96
	s_mov_b32 s26, 0
                                        ; implicit-def: $vgpr6
	s_and_saveexec_b32 s96, s8
	s_cbranch_execz .LBB171_274
; %bb.210:                              ;   in Loop: Header=BB171_12 Depth=1
	v_mov_b32_e32 v2, 1
	v_dual_mov_b32 v3, 0 :: v_dual_mov_b32 v6, 1
	s_xor_b32 s9, s97, -1
	s_delay_alu instid0(SALU_CYCLE_1)
	s_and_saveexec_b32 s8, s9
	s_cbranch_execz .LBB171_220
; %bb.211:                              ;   in Loop: Header=BB171_12 Depth=1
	s_mov_b32 s18, exec_lo
                                        ; implicit-def: $sgpr19
                                        ; implicit-def: $sgpr9
	v_cmpx_ge_u64_e64 s[14:15], v[4:5]
	s_xor_b32 s18, exec_lo, s18
	s_cbranch_execz .LBB171_217
; %bb.212:                              ;   in Loop: Header=BB171_12 Depth=1
	ds_load_b64 v[2:3], v13 offset:5120
	s_waitcnt lgkmcnt(0)
	v_cmp_ne_u64_e32 vcc_lo, 0, v[2:3]
	s_cbranch_vccnz .LBB171_216
; %bb.213:                              ;   in Loop: Header=BB171_12 Depth=1
	s_and_saveexec_b32 s9, s5
	s_cbranch_execz .LBB171_215
; %bb.214:                              ;   in Loop: Header=BB171_12 Depth=1
	v_dual_mov_b32 v2, s14 :: v_dual_mov_b32 v3, s15
	ds_store_b64 v13, v[2:3] offset:5128
.LBB171_215:                            ;   in Loop: Header=BB171_12 Depth=1
	s_or_b32 exec_lo, exec_lo, s9
	s_waitcnt lgkmcnt(0)
	s_barrier
	buffer_gl0_inv
.LBB171_216:                            ;   in Loop: Header=BB171_12 Depth=1
	s_lshl_b32 s9, 2, s22
	v_or_b32_e32 v9, s20, v9
	v_and_or_b32 v8, v8, s21, s9
	s_mov_b32 s9, 0
	s_mov_b32 s19, 8
.LBB171_217:                            ;   in Loop: Header=BB171_12 Depth=1
	s_or_saveexec_b32 s18, s18
	v_mov_b32_e32 v6, s19
	s_xor_b32 exec_lo, exec_lo, s18
; %bb.218:                              ;   in Loop: Header=BB171_12 Depth=1
	v_sub_co_u32 v4, vcc_lo, v4, s14
	v_subrev_co_ci_u32_e32 v5, vcc_lo, s15, v5, vcc_lo
	v_mov_b32_e32 v6, 0
	s_or_b32 s9, s9, exec_lo
; %bb.219:                              ;   in Loop: Header=BB171_12 Depth=1
	s_or_b32 exec_lo, exec_lo, s18
	s_delay_alu instid0(VALU_DEP_2)
	v_dual_mov_b32 v2, v4 :: v_dual_mov_b32 v3, v5
	s_and_b32 s26, s9, exec_lo
.LBB171_220:                            ;   in Loop: Header=BB171_12 Depth=1
	s_or_b32 exec_lo, exec_lo, s8
	s_mov_b32 s19, -1
                                        ; implicit-def: $sgpr8
                                        ; implicit-def: $sgpr18
                                        ; implicit-def: $sgpr9
	s_and_saveexec_b32 s97, s26
	s_cbranch_execz .LBB171_273
; %bb.221:                              ;   in Loop: Header=BB171_12 Depth=1
	v_cmp_eq_u64_e32 vcc_lo, 1, v[2:3]
	s_cmp_eq_u64 s[16:17], 1
	s_mov_b32 s26, -1
	s_cselect_b32 s8, -1, 0
                                        ; implicit-def: $sgpr18
                                        ; implicit-def: $sgpr9
	s_delay_alu instid0(SALU_CYCLE_1) | instskip(NEXT) | instid1(SALU_CYCLE_1)
	s_and_b32 s98, s8, vcc_lo
                                        ; implicit-def: $sgpr8
	s_and_saveexec_b32 s99, s98
	s_cbranch_execz .LBB171_260
; %bb.222:                              ;   in Loop: Header=BB171_12 Depth=1
	ds_load_b64 v[4:5], v13 offset:5120
	s_waitcnt lgkmcnt(0)
	s_barrier
	buffer_gl0_inv
	v_readfirstlane_b32 s18, v4
	v_readfirstlane_b32 s19, v5
	s_and_saveexec_b32 s8, s6
	s_cbranch_execz .LBB171_224
; %bb.223:                              ;   in Loop: Header=BB171_12 Depth=1
	ds_store_b16 v26, v13
.LBB171_224:                            ;   in Loop: Header=BB171_12 Depth=1
	s_or_b32 exec_lo, exec_lo, s8
	v_or_b32_e32 v8, s20, v8
	v_or_b32_e32 v9, s20, v9
	s_cmp_eq_u64 s[18:19], 0
	s_waitcnt lgkmcnt(0)
	s_barrier
	buffer_gl0_inv
	s_cbranch_scc1 .LBB171_229
; %bb.225:                              ;   in Loop: Header=BB171_12 Depth=1
	s_add_u32 s26, s74, s18
	s_addc_u32 s9, s75, s19
	s_mov_b32 s8, s59
	s_mov_b64 s[46:47], s[42:43]
	s_mov_b64 s[44:45], s[40:41]
	;; [unrolled: 1-line block ×4, first 2 shown]
	s_cmp_lg_u64 s[8:9], 0
	s_cbranch_scc0 .LBB171_230
; %bb.226:                              ;   in Loop: Header=BB171_12 Depth=1
	v_cvt_f32_u32_e32 v4, s49
	s_sub_u32 s101, 0, s49
	s_subb_u32 s102, 0, 0
	s_delay_alu instid0(VALU_DEP_1) | instskip(NEXT) | instid1(VALU_DEP_1)
	v_fmac_f32_e64 v4, 0, 0x4f800000
	v_rcp_f32_e32 v4, v4
	s_waitcnt_depctr 0xfff
	v_mul_f32_e32 v4, 0x5f7ffffc, v4
	s_delay_alu instid0(VALU_DEP_1) | instskip(NEXT) | instid1(VALU_DEP_1)
	v_mul_f32_e32 v5, 0x2f800000, v4
	v_trunc_f32_e32 v5, v5
	s_delay_alu instid0(VALU_DEP_1) | instskip(SKIP_1) | instid1(VALU_DEP_2)
	v_fmac_f32_e32 v4, 0xcf800000, v5
	v_cvt_u32_f32_e32 v5, v5
	v_cvt_u32_f32_e32 v4, v4
	s_delay_alu instid0(VALU_DEP_2) | instskip(NEXT) | instid1(VALU_DEP_2)
	v_readfirstlane_b32 s8, v5
	v_readfirstlane_b32 s100, v4
	s_delay_alu instid0(VALU_DEP_2) | instskip(NEXT) | instid1(VALU_DEP_1)
	s_mul_i32 s103, s101, s8
	s_mul_hi_u32 vcc_lo, s101, s100
	s_mul_i32 s104, s102, s100
	s_add_i32 s103, vcc_lo, s103
	s_mul_i32 vcc_hi, s101, s100
	s_add_i32 s103, s103, s104
	s_mul_hi_u32 vcc_lo, s100, vcc_hi
	s_mul_hi_u32 s104, s100, s103
	s_mul_i32 s100, s100, s103
	s_mul_i32 s55, s8, vcc_hi
	s_add_u32 s100, vcc_lo, s100
	s_mul_hi_u32 s54, s8, vcc_hi
	s_addc_u32 s104, 0, s104
	s_mul_hi_u32 vcc_hi, s8, s103
	s_add_u32 s55, s100, s55
	s_mul_i32 s103, s8, s103
	s_addc_u32 s54, s104, s54
	s_addc_u32 s55, vcc_hi, 0
	s_add_u32 s54, s54, s103
	s_addc_u32 s55, 0, s55
	v_add_co_u32 v4, s54, v4, s54
	s_delay_alu instid0(VALU_DEP_1) | instskip(SKIP_1) | instid1(VALU_DEP_1)
	s_cmp_lg_u32 s54, 0
	s_addc_u32 s8, s8, s55
	v_readfirstlane_b32 s54, v4
	s_mul_i32 s55, s101, s8
	s_delay_alu instid0(VALU_DEP_1)
	s_mul_hi_u32 s100, s101, s54
	s_mul_i32 s102, s102, s54
	s_add_i32 s55, s100, s55
	s_mul_i32 s101, s101, s54
	s_add_i32 s55, s55, s102
	s_mul_hi_u32 s100, s8, s101
	s_mul_i32 s103, s8, s101
	s_mul_hi_u32 s101, s54, s101
	s_mul_hi_u32 s104, s54, s55
	s_mul_i32 s54, s54, s55
	s_mul_hi_u32 s102, s8, s55
	s_add_u32 s54, s101, s54
	s_addc_u32 s101, 0, s104
	s_add_u32 s54, s54, s103
	s_mul_i32 s55, s8, s55
	s_addc_u32 s54, s101, s100
	s_addc_u32 s100, s102, 0
	s_add_u32 s54, s54, s55
	s_addc_u32 s55, 0, s100
	v_add_co_u32 v4, s54, v4, s54
	s_delay_alu instid0(VALU_DEP_1) | instskip(SKIP_1) | instid1(VALU_DEP_1)
	s_cmp_lg_u32 s54, 0
	s_addc_u32 s8, s8, s55
	v_readfirstlane_b32 s54, v4
	s_mul_i32 s100, s26, s8
	s_mul_hi_u32 s55, s26, s8
	s_mul_hi_u32 s101, s9, s8
	s_mul_i32 s8, s9, s8
	s_mul_hi_u32 s102, s26, s54
	s_mul_hi_u32 s103, s9, s54
	s_mul_i32 s54, s9, s54
	s_add_u32 s100, s102, s100
	s_addc_u32 s55, 0, s55
	s_add_u32 s54, s100, s54
	s_addc_u32 s54, s55, s103
	s_addc_u32 s55, s101, 0
	s_add_u32 s8, s54, s8
	s_addc_u32 s54, 0, s55
	s_mul_hi_u32 s55, s49, s8
	s_mul_i32 s8, s49, s8
	s_mul_i32 s54, s49, s54
	v_sub_co_u32 v4, s8, s26, s8
	s_add_i32 s55, s55, s54
	s_cmp_lg_u32 s8, 0
	s_delay_alu instid0(VALU_DEP_1) | instskip(SKIP_3) | instid1(VALU_DEP_2)
	v_sub_co_u32 v5, s8, v4, s49
	s_subb_u32 s54, s9, s55
	s_cmp_lg_u32 s8, 0
	v_cmp_le_u32_e32 vcc_lo, s49, v4
	v_cmp_le_u32_e64 s8, s49, v5
	v_sub_co_u32 v6, s55, v5, s49
	s_subb_u32 s100, s54, 0
	s_cmp_lg_u32 s55, 0
	s_delay_alu instid0(VALU_DEP_2)
	v_cndmask_b32_e64 v7, 0, -1, s8
	s_subb_u32 s55, s100, 0
	s_cmp_eq_u32 s100, 0
	v_mov_b32_e32 v18, s55
	v_cndmask_b32_e64 v12, 0, -1, vcc_lo
	s_cselect_b32 vcc_lo, -1, 0
	s_cmp_eq_u32 s54, 0
	v_cndmask_b32_e32 v7, -1, v7, vcc_lo
	s_cselect_b32 vcc_lo, -1, 0
	v_cndmask_b32_e32 v12, -1, v12, vcc_lo
	s_delay_alu instid0(VALU_DEP_2) | instskip(NEXT) | instid1(VALU_DEP_2)
	v_cmp_ne_u32_e32 vcc_lo, 0, v7
	v_cmp_ne_u32_e64 s8, 0, v12
	v_cndmask_b32_e32 v7, s100, v18, vcc_lo
	v_cndmask_b32_e32 v6, v5, v6, vcc_lo
	s_delay_alu instid0(VALU_DEP_2) | instskip(NEXT) | instid1(VALU_DEP_2)
	v_cndmask_b32_e64 v5, s54, v7, s8
	v_cndmask_b32_e64 v4, v4, v6, s8
	s_mov_b32 s8, 0
	s_branch .LBB171_231
.LBB171_227:                            ;   in Loop: Header=BB171_12 Depth=1
                                        ; implicit-def: $vgpr2_vgpr3
	s_branch .LBB171_181
.LBB171_228:                            ;   in Loop: Header=BB171_12 Depth=1
                                        ; implicit-def: $vgpr2_vgpr3
	s_branch .LBB171_197
.LBB171_229:                            ;   in Loop: Header=BB171_12 Depth=1
	s_mov_b32 s8, -1
	s_mov_b32 s26, 0
                                        ; implicit-def: $sgpr9
                                        ; implicit-def: $vgpr18
	s_branch .LBB171_243
.LBB171_230:                            ;   in Loop: Header=BB171_12 Depth=1
	s_mov_b32 s8, -1
                                        ; implicit-def: $vgpr4_vgpr5
.LBB171_231:                            ;   in Loop: Header=BB171_12 Depth=1
	s_delay_alu instid0(SALU_CYCLE_1)
	s_and_not1_b32 vcc_lo, exec_lo, s8
	s_cbranch_vccnz .LBB171_233
; %bb.232:                              ;   in Loop: Header=BB171_12 Depth=1
	v_cvt_f32_u32_e32 v4, s49
	s_sub_i32 s8, 0, s49
	s_delay_alu instid0(VALU_DEP_1) | instskip(SKIP_2) | instid1(VALU_DEP_1)
	v_rcp_iflag_f32_e32 v4, v4
	s_waitcnt_depctr 0xfff
	v_mul_f32_e32 v4, 0x4f7ffffe, v4
	v_cvt_u32_f32_e32 v4, v4
	s_delay_alu instid0(VALU_DEP_1) | instskip(NEXT) | instid1(VALU_DEP_1)
	v_mul_lo_u32 v5, s8, v4
	v_mul_hi_u32 v5, v4, v5
	s_delay_alu instid0(VALU_DEP_1) | instskip(NEXT) | instid1(VALU_DEP_1)
	v_add_nc_u32_e32 v4, v4, v5
	v_mul_hi_u32 v4, s26, v4
	s_delay_alu instid0(VALU_DEP_1) | instskip(NEXT) | instid1(VALU_DEP_1)
	v_mul_lo_u32 v4, v4, s49
	v_sub_nc_u32_e32 v4, s26, v4
	s_delay_alu instid0(VALU_DEP_1) | instskip(SKIP_1) | instid1(VALU_DEP_2)
	v_subrev_nc_u32_e32 v5, s49, v4
	v_cmp_le_u32_e32 vcc_lo, s49, v4
	v_cndmask_b32_e32 v4, v4, v5, vcc_lo
	s_delay_alu instid0(VALU_DEP_1) | instskip(SKIP_1) | instid1(VALU_DEP_2)
	v_subrev_nc_u32_e32 v5, s49, v4
	v_cmp_le_u32_e32 vcc_lo, s49, v4
	v_cndmask_b32_e32 v12, v4, v5, vcc_lo
	s_delay_alu instid0(VALU_DEP_1)
	v_dual_mov_b32 v4, v12 :: v_dual_mov_b32 v5, v13
.LBB171_233:                            ;   in Loop: Header=BB171_12 Depth=1
	s_delay_alu instid0(VALU_DEP_1) | instskip(NEXT) | instid1(VALU_DEP_2)
	v_sub_co_u32 v4, vcc_lo, s26, v4
	v_sub_co_ci_u32_e32 v5, vcc_lo, s9, v5, vcc_lo
	s_mov_b32 s26, 0
	s_mov_b32 s9, exec_lo
                                        ; implicit-def: $vgpr18
	s_delay_alu instid0(VALU_DEP_1)
	v_cmpx_gt_u64_e64 v[4:5], v[0:1]
	s_mov_b64 s[102:103], s[56:57]
	s_mov_b64 s[56:57], s[40:41]
	;; [unrolled: 1-line block ×4, first 2 shown]
	s_load_b128 s[44:47], s[0:1], 0x440
	s_cbranch_execz .LBB171_242
; %bb.234:                              ;   in Loop: Header=BB171_12 Depth=1
	v_mov_b32_e32 v12, v25
	v_dual_mov_b32 v7, v1 :: v_dual_mov_b32 v6, v0
                                        ; implicit-def: $sgpr100
	s_set_inst_prefetch_distance 0x1
	s_branch .LBB171_236
	.p2align	6
.LBB171_235:                            ;   in Loop: Header=BB171_236 Depth=2
	s_or_b32 exec_lo, exec_lo, s8
	s_waitcnt lgkmcnt(0)
	s_barrier
	buffer_gl0_inv
	ds_load_b32 v18, v13 offset:3072
	v_add_co_u32 v6, vcc_lo, v6, s49
	v_add_co_ci_u32_e32 v7, vcc_lo, 0, v7, vcc_lo
	v_add_nc_u32_e32 v12, s82, v12
	s_waitcnt lgkmcnt(0)
	s_barrier
	s_delay_alu instid0(VALU_DEP_2) | instskip(SKIP_2) | instid1(VALU_DEP_1)
	v_cmp_ge_u64_e32 vcc_lo, v[6:7], v[4:5]
	buffer_gl0_inv
	v_cmp_ne_u16_e64 s8, 0, v18
	s_or_b32 s54, vcc_lo, s8
	s_delay_alu instid0(SALU_CYCLE_1) | instskip(NEXT) | instid1(SALU_CYCLE_1)
	s_and_b32 s54, exec_lo, s54
	s_or_b32 s26, s54, s26
	s_and_not1_b32 s54, s100, exec_lo
	s_and_b32 s8, s8, exec_lo
	s_delay_alu instid0(SALU_CYCLE_1)
	s_or_b32 s100, s54, s8
	s_and_not1_b32 exec_lo, exec_lo, s26
	s_cbranch_execz .LBB171_241
.LBB171_236:                            ;   Parent Loop BB171_12 Depth=1
                                        ; =>  This Inner Loop Header: Depth=2
	s_delay_alu instid0(VALU_DEP_1)
	v_cmp_gt_u64_e32 vcc_lo, s[18:19], v[6:7]
	v_mov_b32_e32 v18, 0
	s_and_saveexec_b32 s8, vcc_lo
	s_cbranch_execz .LBB171_238
; %bb.237:                              ;   in Loop: Header=BB171_236 Depth=2
	ds_load_u16 v18, v12
.LBB171_238:                            ;   in Loop: Header=BB171_236 Depth=2
	s_or_b32 exec_lo, exec_lo, s8
	s_and_saveexec_b32 s8, vcc_lo
	s_cbranch_execz .LBB171_235
; %bb.239:                              ;   in Loop: Header=BB171_236 Depth=2
	s_waitcnt lgkmcnt(0)
	v_bfe_i32 v19, v18, 0, 16
	s_delay_alu instid0(VALU_DEP_1) | instskip(NEXT) | instid1(VALU_DEP_1)
	v_add_nc_u32_e32 v19, 0x8000, v19
	v_and_b32_e32 v19, v19, v9
	s_delay_alu instid0(VALU_DEP_1)
	v_cmp_eq_u32_e32 vcc_lo, v19, v8
	s_and_b32 exec_lo, exec_lo, vcc_lo
	s_cbranch_execz .LBB171_235
; %bb.240:                              ;   in Loop: Header=BB171_236 Depth=2
	v_perm_b32 v18, v18, 1, 0x5040100
	ds_store_b32 v13, v18 offset:3072
	s_branch .LBB171_235
.LBB171_241:                            ;   in Loop: Header=BB171_12 Depth=1
	s_set_inst_prefetch_distance 0x2
	s_or_b32 exec_lo, exec_lo, s26
	v_lshrrev_b32_e32 v18, 16, v18
	s_and_b32 s26, s100, exec_lo
.LBB171_242:                            ;   in Loop: Header=BB171_12 Depth=1
	s_or_b32 exec_lo, exec_lo, s9
	s_mov_b32 s9, -1
	s_mov_b32 s8, 0
.LBB171_243:                            ;   in Loop: Header=BB171_12 Depth=1
	s_delay_alu instid0(SALU_CYCLE_1)
	s_and_b32 vcc_lo, exec_lo, s8
	s_mov_b32 s18, s8
	s_cbranch_vccz .LBB171_259
; %bb.244:                              ;   in Loop: Header=BB171_12 Depth=1
	s_mov_b32 s26, s59
	s_waitcnt lgkmcnt(0)
	s_mov_b64 s[46:47], s[42:43]
	s_mov_b64 s[44:45], s[40:41]
	;; [unrolled: 1-line block ×4, first 2 shown]
	s_cmp_lg_u64 s[26:27], 0
	s_cbranch_scc0 .LBB171_246
; %bb.245:                              ;   in Loop: Header=BB171_12 Depth=1
	v_cvt_f32_u32_e32 v4, s49
	s_sub_u32 s18, 0, s49
	s_subb_u32 s19, 0, 0
	s_delay_alu instid0(VALU_DEP_1) | instskip(NEXT) | instid1(VALU_DEP_1)
	v_fmac_f32_e64 v4, 0, 0x4f800000
	v_rcp_f32_e32 v4, v4
	s_waitcnt_depctr 0xfff
	v_mul_f32_e32 v4, 0x5f7ffffc, v4
	s_delay_alu instid0(VALU_DEP_1) | instskip(NEXT) | instid1(VALU_DEP_1)
	v_mul_f32_e32 v5, 0x2f800000, v4
	v_trunc_f32_e32 v5, v5
	s_delay_alu instid0(VALU_DEP_1) | instskip(SKIP_1) | instid1(VALU_DEP_2)
	v_fmac_f32_e32 v4, 0xcf800000, v5
	v_cvt_u32_f32_e32 v5, v5
	v_cvt_u32_f32_e32 v4, v4
	s_delay_alu instid0(VALU_DEP_2) | instskip(NEXT) | instid1(VALU_DEP_2)
	v_readfirstlane_b32 s8, v5
	v_readfirstlane_b32 s9, v4
	s_delay_alu instid0(VALU_DEP_2) | instskip(NEXT) | instid1(VALU_DEP_1)
	s_mul_i32 s26, s18, s8
	s_mul_hi_u32 s55, s18, s9
	s_mul_i32 s54, s19, s9
	s_add_i32 s26, s55, s26
	s_mul_i32 s100, s18, s9
	s_add_i32 s26, s26, s54
	s_mul_hi_u32 s55, s9, s100
	s_mul_hi_u32 s101, s8, s100
	s_mul_i32 s54, s8, s100
	s_mul_hi_u32 s100, s9, s26
	s_mul_i32 s9, s9, s26
	s_mul_hi_u32 s102, s8, s26
	s_add_u32 s9, s55, s9
	s_addc_u32 s55, 0, s100
	s_add_u32 s9, s9, s54
	s_mul_i32 s26, s8, s26
	s_addc_u32 s9, s55, s101
	s_addc_u32 s54, s102, 0
	s_add_u32 s9, s9, s26
	s_addc_u32 s26, 0, s54
	v_add_co_u32 v4, s9, v4, s9
	s_delay_alu instid0(VALU_DEP_1) | instskip(SKIP_1) | instid1(VALU_DEP_1)
	s_cmp_lg_u32 s9, 0
	s_addc_u32 s8, s8, s26
	v_readfirstlane_b32 s9, v4
	s_mul_i32 s26, s18, s8
	s_delay_alu instid0(VALU_DEP_1)
	s_mul_hi_u32 s54, s18, s9
	s_mul_i32 s19, s19, s9
	s_add_i32 s26, s54, s26
	s_mul_i32 s18, s18, s9
	s_add_i32 s26, s26, s19
	s_mul_hi_u32 s54, s8, s18
	s_mul_i32 s55, s8, s18
	s_mul_hi_u32 s18, s9, s18
	s_mul_hi_u32 s100, s9, s26
	s_mul_i32 s9, s9, s26
	s_mul_hi_u32 s19, s8, s26
	s_add_u32 s9, s18, s9
	s_addc_u32 s18, 0, s100
	s_add_u32 s9, s9, s55
	s_mul_i32 s26, s8, s26
	s_addc_u32 s9, s18, s54
	s_addc_u32 s18, s19, 0
	s_add_u32 s9, s9, s26
	s_addc_u32 s18, 0, s18
	v_add_co_u32 v4, s9, v4, s9
	s_delay_alu instid0(VALU_DEP_1) | instskip(SKIP_1) | instid1(VALU_DEP_1)
	s_cmp_lg_u32 s9, 0
	s_addc_u32 s8, s8, s18
	v_readfirstlane_b32 s9, v4
	s_mul_i32 s19, s76, s8
	s_mul_hi_u32 s18, s76, s8
	s_mul_hi_u32 s26, s27, s8
	s_mul_i32 s8, s27, s8
	s_mul_hi_u32 s54, s76, s9
	s_mul_hi_u32 s55, s27, s9
	s_mul_i32 s9, s27, s9
	s_add_u32 s19, s54, s19
	s_addc_u32 s18, 0, s18
	s_add_u32 s9, s19, s9
	s_addc_u32 s9, s18, s55
	s_addc_u32 s18, s26, 0
	s_add_u32 s8, s9, s8
	s_addc_u32 s9, 0, s18
	s_mul_hi_u32 s18, s49, s8
	s_mul_i32 s8, s49, s8
	s_mul_i32 s9, s49, s9
	v_sub_co_u32 v4, s8, s76, s8
	s_add_i32 s18, s18, s9
	s_cmp_lg_u32 s8, 0
	s_delay_alu instid0(VALU_DEP_1) | instskip(SKIP_2) | instid1(VALU_DEP_1)
	v_sub_co_u32 v5, s8, v4, s49
	s_subb_u32 s9, s27, s18
	s_cmp_lg_u32 s8, 0
	v_cmp_le_u32_e32 vcc_lo, s49, v5
	v_sub_co_u32 v6, s8, v5, s49
	s_subb_u32 s18, s9, 0
	s_cmp_lg_u32 s8, 0
	v_cndmask_b32_e64 v7, 0, -1, vcc_lo
	s_subb_u32 s8, s18, 0
	s_cmp_eq_u32 s18, 0
	v_mov_b32_e32 v18, s8
	s_cselect_b32 vcc_lo, -1, 0
	s_cmp_eq_u32 s9, 0
	v_cndmask_b32_e32 v7, -1, v7, vcc_lo
	v_cmp_le_u32_e32 vcc_lo, s49, v4
	s_cselect_b32 s8, -1, 0
	v_cndmask_b32_e64 v12, 0, -1, vcc_lo
	s_delay_alu instid0(VALU_DEP_3) | instskip(NEXT) | instid1(VALU_DEP_2)
	v_cmp_ne_u32_e32 vcc_lo, 0, v7
	v_cndmask_b32_e64 v7, -1, v12, s8
	v_cndmask_b32_e32 v12, s18, v18, vcc_lo
	v_cndmask_b32_e32 v6, v5, v6, vcc_lo
	s_mov_b32 s8, 0
	s_delay_alu instid0(VALU_DEP_3) | instskip(NEXT) | instid1(VALU_DEP_3)
	v_cmp_ne_u32_e32 vcc_lo, 0, v7
	v_cndmask_b32_e32 v5, s9, v12, vcc_lo
	s_delay_alu instid0(VALU_DEP_3)
	v_cndmask_b32_e32 v4, v4, v6, vcc_lo
	s_branch .LBB171_247
.LBB171_246:                            ;   in Loop: Header=BB171_12 Depth=1
	s_mov_b32 s8, -1
                                        ; implicit-def: $vgpr4_vgpr5
.LBB171_247:                            ;   in Loop: Header=BB171_12 Depth=1
	s_delay_alu instid0(SALU_CYCLE_1)
	s_and_not1_b32 vcc_lo, exec_lo, s8
	s_cbranch_vccnz .LBB171_249
; %bb.248:                              ;   in Loop: Header=BB171_12 Depth=1
	v_cvt_f32_u32_e32 v4, s49
	s_sub_i32 s8, 0, s49
	s_delay_alu instid0(VALU_DEP_1) | instskip(SKIP_2) | instid1(VALU_DEP_1)
	v_rcp_iflag_f32_e32 v4, v4
	s_waitcnt_depctr 0xfff
	v_mul_f32_e32 v4, 0x4f7ffffe, v4
	v_cvt_u32_f32_e32 v4, v4
	s_delay_alu instid0(VALU_DEP_1) | instskip(NEXT) | instid1(VALU_DEP_1)
	v_mul_lo_u32 v5, s8, v4
	v_mul_hi_u32 v5, v4, v5
	s_delay_alu instid0(VALU_DEP_1) | instskip(NEXT) | instid1(VALU_DEP_1)
	v_add_nc_u32_e32 v4, v4, v5
	v_mul_hi_u32 v4, s76, v4
	s_delay_alu instid0(VALU_DEP_1) | instskip(NEXT) | instid1(VALU_DEP_1)
	v_mul_lo_u32 v4, v4, s49
	v_sub_nc_u32_e32 v4, s76, v4
	s_delay_alu instid0(VALU_DEP_1) | instskip(SKIP_1) | instid1(VALU_DEP_2)
	v_subrev_nc_u32_e32 v5, s49, v4
	v_cmp_le_u32_e32 vcc_lo, s49, v4
	v_cndmask_b32_e32 v4, v4, v5, vcc_lo
	s_delay_alu instid0(VALU_DEP_1) | instskip(SKIP_1) | instid1(VALU_DEP_2)
	v_subrev_nc_u32_e32 v5, s49, v4
	v_cmp_le_u32_e32 vcc_lo, s49, v4
	v_cndmask_b32_e32 v12, v4, v5, vcc_lo
	s_delay_alu instid0(VALU_DEP_1)
	v_dual_mov_b32 v4, v12 :: v_dual_mov_b32 v5, v13
.LBB171_249:                            ;   in Loop: Header=BB171_12 Depth=1
	s_delay_alu instid0(VALU_DEP_1) | instskip(NEXT) | instid1(VALU_DEP_2)
	v_sub_co_u32 v4, vcc_lo, s76, v4
	v_sub_co_ci_u32_e32 v5, vcc_lo, s27, v5, vcc_lo
	s_mov_b32 s26, 0
	s_mov_b32 s9, exec_lo
                                        ; implicit-def: $vgpr18
	s_delay_alu instid0(VALU_DEP_1)
	v_cmpx_gt_u64_e64 v[4:5], v[0:1]
	s_mov_b64 s[102:103], s[56:57]
	s_mov_b64 s[56:57], s[40:41]
	;; [unrolled: 1-line block ×4, first 2 shown]
	s_load_b128 s[44:47], s[0:1], 0x440
	s_cbranch_execz .LBB171_258
; %bb.250:                              ;   in Loop: Header=BB171_12 Depth=1
	v_dual_mov_b32 v7, v1 :: v_dual_mov_b32 v6, v0
	s_mov_b32 s18, 0
                                        ; implicit-def: $sgpr19
	s_branch .LBB171_252
.LBB171_251:                            ;   in Loop: Header=BB171_252 Depth=2
	s_or_b32 exec_lo, exec_lo, s8
	s_waitcnt vmcnt(0) lgkmcnt(0)
	s_barrier
	buffer_gl0_inv
	ds_load_b32 v12, v13 offset:3072
	v_add_co_u32 v6, vcc_lo, v6, s49
	v_add_co_ci_u32_e32 v7, vcc_lo, 0, v7, vcc_lo
	s_waitcnt lgkmcnt(0)
	s_barrier
	buffer_gl0_inv
	v_cmp_ge_u64_e32 vcc_lo, v[6:7], v[4:5]
	v_cmp_ne_u16_e64 s8, 0, v12
	s_delay_alu instid0(VALU_DEP_1) | instskip(NEXT) | instid1(SALU_CYCLE_1)
	s_or_b32 s26, vcc_lo, s8
	s_and_b32 s26, exec_lo, s26
	s_delay_alu instid0(SALU_CYCLE_1) | instskip(SKIP_2) | instid1(SALU_CYCLE_1)
	s_or_b32 s18, s26, s18
	s_and_not1_b32 s19, s19, exec_lo
	s_and_b32 s8, s8, exec_lo
	s_or_b32 s19, s19, s8
	s_and_not1_b32 exec_lo, exec_lo, s18
	s_cbranch_execz .LBB171_257
.LBB171_252:                            ;   Parent Loop BB171_12 Depth=1
                                        ; =>  This Inner Loop Header: Depth=2
	s_delay_alu instid0(VALU_DEP_1)
	v_cmp_gt_u64_e32 vcc_lo, s[36:37], v[6:7]
	v_mov_b32_e32 v12, 0
	s_and_saveexec_b32 s26, vcc_lo
	s_cbranch_execz .LBB171_254
; %bb.253:                              ;   in Loop: Header=BB171_252 Depth=2
	v_mul_lo_u32 v12, v7, s30
	v_mul_lo_u32 v20, v6, s31
	v_mad_u64_u32 v[18:19], null, v6, s30, 0
	s_delay_alu instid0(VALU_DEP_1) | instskip(NEXT) | instid1(VALU_DEP_1)
	v_add3_u32 v19, v19, v20, v12
	v_lshlrev_b64 v[18:19], 1, v[18:19]
	s_delay_alu instid0(VALU_DEP_1) | instskip(NEXT) | instid1(VALU_DEP_1)
	v_add_co_u32 v18, s8, s33, v18
	v_add_co_ci_u32_e64 v19, s8, s35, v19, s8
	global_load_u16 v12, v[18:19], off
.LBB171_254:                            ;   in Loop: Header=BB171_252 Depth=2
	s_or_b32 exec_lo, exec_lo, s26
	s_and_saveexec_b32 s8, vcc_lo
	s_cbranch_execz .LBB171_251
; %bb.255:                              ;   in Loop: Header=BB171_252 Depth=2
	s_waitcnt vmcnt(0)
	v_bfe_i32 v18, v12, 0, 16
	s_delay_alu instid0(VALU_DEP_1) | instskip(NEXT) | instid1(VALU_DEP_1)
	v_add_nc_u32_e32 v18, 0x8000, v18
	v_and_b32_e32 v18, v18, v9
	s_delay_alu instid0(VALU_DEP_1)
	v_cmp_eq_u32_e32 vcc_lo, v18, v8
	s_and_b32 exec_lo, exec_lo, vcc_lo
	s_cbranch_execz .LBB171_251
; %bb.256:                              ;   in Loop: Header=BB171_252 Depth=2
	v_perm_b32 v12, v12, 1, 0x5040100
	ds_store_b32 v13, v12 offset:3072
	s_branch .LBB171_251
.LBB171_257:                            ;   in Loop: Header=BB171_12 Depth=1
	s_or_b32 exec_lo, exec_lo, s18
	v_lshrrev_b32_e32 v18, 16, v12
	s_and_b32 s26, s19, exec_lo
.LBB171_258:                            ;   in Loop: Header=BB171_12 Depth=1
	s_or_b32 exec_lo, exec_lo, s9
	s_mov_b32 s18, -1
	s_mov_b32 s8, 0
	s_mov_b32 s9, 0
.LBB171_259:                            ;   in Loop: Header=BB171_12 Depth=1
	s_or_not1_b32 s26, s26, exec_lo
.LBB171_260:                            ;   in Loop: Header=BB171_12 Depth=1
	s_or_b32 exec_lo, exec_lo, s99
	s_mov_b32 s99, 0
                                        ; implicit-def: $vgpr6
                                        ; implicit-def: $vgpr4_vgpr5
	s_and_saveexec_b32 s19, s26
	s_cbranch_execz .LBB171_272
; %bb.261:                              ;   in Loop: Header=BB171_12 Depth=1
	v_mov_b32_e32 v4, 1
	v_dual_mov_b32 v5, 0 :: v_dual_mov_b32 v6, 1
	s_xor_b32 s54, s98, -1
	s_delay_alu instid0(SALU_CYCLE_1)
	s_and_saveexec_b32 s26, s54
	s_cbranch_execz .LBB171_271
; %bb.262:                              ;   in Loop: Header=BB171_12 Depth=1
                                        ; implicit-def: $sgpr99
	s_mov_b32 s54, exec_lo
	v_cmpx_ge_u64_e64 s[16:17], v[2:3]
	s_xor_b32 s98, exec_lo, s54
	s_cbranch_execz .LBB171_268
; %bb.263:                              ;   in Loop: Header=BB171_12 Depth=1
	ds_load_b64 v[4:5], v13 offset:5120
	s_waitcnt lgkmcnt(0)
	v_cmp_ne_u64_e32 vcc_lo, 0, v[4:5]
	s_cbranch_vccnz .LBB171_267
; %bb.264:                              ;   in Loop: Header=BB171_12 Depth=1
	s_and_saveexec_b32 s99, s5
	s_cbranch_execz .LBB171_266
; %bb.265:                              ;   in Loop: Header=BB171_12 Depth=1
	v_dual_mov_b32 v4, s16 :: v_dual_mov_b32 v5, s17
	ds_store_b64 v13, v[4:5] offset:5128
.LBB171_266:                            ;   in Loop: Header=BB171_12 Depth=1
	s_or_b32 exec_lo, exec_lo, s99
	s_waitcnt lgkmcnt(0)
	s_barrier
	buffer_gl0_inv
.LBB171_267:                            ;   in Loop: Header=BB171_12 Depth=1
	v_or_b32_e32 v8, s20, v8
	v_or_b32_e32 v9, s20, v9
	s_mov_b32 s99, 8
.LBB171_268:                            ;   in Loop: Header=BB171_12 Depth=1
	s_or_saveexec_b32 s98, s98
	v_mov_b32_e32 v6, s99
	s_xor_b32 exec_lo, exec_lo, s98
; %bb.269:                              ;   in Loop: Header=BB171_12 Depth=1
	v_sub_co_u32 v2, vcc_lo, v2, s16
	v_subrev_co_ci_u32_e32 v3, vcc_lo, s17, v3, vcc_lo
	v_mov_b32_e32 v6, 8
; %bb.270:                              ;   in Loop: Header=BB171_12 Depth=1
	s_or_b32 exec_lo, exec_lo, s98
	s_delay_alu instid0(VALU_DEP_2)
	v_dual_mov_b32 v5, v3 :: v_dual_mov_b32 v4, v2
.LBB171_271:                            ;   in Loop: Header=BB171_12 Depth=1
	s_or_b32 exec_lo, exec_lo, s26
	s_delay_alu instid0(SALU_CYCLE_1)
	s_mov_b32 s99, exec_lo
.LBB171_272:                            ;   in Loop: Header=BB171_12 Depth=1
	s_or_b32 exec_lo, exec_lo, s19
	s_delay_alu instid0(VALU_DEP_1)
	v_dual_mov_b32 v2, v4 :: v_dual_mov_b32 v3, v5
	s_or_not1_b32 s19, s99, exec_lo
.LBB171_273:                            ;   in Loop: Header=BB171_12 Depth=1
	s_or_b32 exec_lo, exec_lo, s97
	s_delay_alu instid0(SALU_CYCLE_1)
	s_and_not1_b32 s26, s69, exec_lo
	s_and_b32 s8, s8, exec_lo
	v_dual_mov_b32 v5, v3 :: v_dual_mov_b32 v4, v2
	s_or_b32 s69, s26, s8
	s_and_not1_b32 s8, s71, exec_lo
	s_and_b32 s18, s18, exec_lo
	s_and_not1_b32 s26, s70, exec_lo
	s_and_b32 s9, s9, exec_lo
	s_or_b32 s71, s8, s18
	s_or_b32 s70, s26, s9
	s_and_b32 s26, s19, exec_lo
.LBB171_274:                            ;   in Loop: Header=BB171_12 Depth=1
	s_or_b32 exec_lo, exec_lo, s96
	s_delay_alu instid0(SALU_CYCLE_1)
	s_and_b32 s19, s69, exec_lo
	s_and_b32 s18, s71, exec_lo
	;; [unrolled: 1-line block ×3, first 2 shown]
	s_or_not1_b32 s8, s26, exec_lo
.LBB171_275:                            ;   in Loop: Header=BB171_12 Depth=1
	s_or_b32 exec_lo, exec_lo, s68
	s_delay_alu instid0(SALU_CYCLE_1)
	s_and_not1_b32 s25, s25, exec_lo
	s_and_b32 s19, s19, exec_lo
	v_dual_mov_b32 v2, v4 :: v_dual_mov_b32 v3, v5
	s_or_b32 s25, s25, s19
	s_and_not1_b32 s19, s66, exec_lo
	s_and_b32 s18, s18, exec_lo
	s_and_not1_b32 s26, s65, exec_lo
	s_and_b32 s9, s9, exec_lo
	s_or_b32 s66, s19, s18
	s_or_b32 s65, s26, s9
	s_and_b32 s26, s8, exec_lo
.LBB171_276:                            ;   in Loop: Header=BB171_12 Depth=1
	s_or_b32 exec_lo, exec_lo, s67
	s_delay_alu instid0(SALU_CYCLE_1)
	s_and_b32 s19, s25, exec_lo
	s_and_b32 s18, s66, exec_lo
	;; [unrolled: 1-line block ×3, first 2 shown]
	s_or_not1_b32 s25, s26, exec_lo
.LBB171_277:                            ;   in Loop: Header=BB171_12 Depth=1
	s_or_b32 exec_lo, exec_lo, s24
	s_mov_b32 s8, 0
	s_mov_b32 s24, 0
	s_and_saveexec_b32 s26, s25
	s_delay_alu instid0(SALU_CYCLE_1)
	s_xor_b32 s25, exec_lo, s26
; %bb.278:                              ;   in Loop: Header=BB171_12 Depth=1
	v_cmp_ne_u32_e32 vcc_lo, 8, v6
	v_cmp_eq_u32_e64 s8, 8, v6
	s_and_not1_b32 s19, s19, exec_lo
	s_and_not1_b32 s18, s18, exec_lo
	;; [unrolled: 1-line block ×3, first 2 shown]
	s_and_b32 s24, vcc_lo, exec_lo
	s_and_b32 s8, s8, exec_lo
; %bb.279:                              ;   in Loop: Header=BB171_12 Depth=1
	s_or_b32 exec_lo, exec_lo, s25
	s_delay_alu instid0(SALU_CYCLE_1)
	s_and_not1_b32 s23, s23, exec_lo
	s_and_b32 s19, s19, exec_lo
	s_and_b32 s18, s18, exec_lo
	s_or_b32 s23, s23, s19
	s_and_not1_b32 s19, s62, exec_lo
	s_and_not1_b32 s25, s58, exec_lo
	s_and_b32 s9, s9, exec_lo
	s_or_b32 s62, s19, s18
	s_or_b32 s58, s25, s9
	s_and_b32 s24, s24, exec_lo
	s_and_b32 s25, s8, exec_lo
.LBB171_280:                            ;   in Loop: Header=BB171_12 Depth=1
	s_or_b32 exec_lo, exec_lo, s64
	s_delay_alu instid0(SALU_CYCLE_1)
	s_and_b32 vcc_lo, exec_lo, s63
	s_cbranch_vccz .LBB171_99
.LBB171_281:                            ;   in Loop: Header=BB171_12 Depth=1
	s_cmp_eq_u64 s[16:17], 1
                                        ; implicit-def: $sgpr18
                                        ; implicit-def: $sgpr19
                                        ; implicit-def: $sgpr23
	s_cselect_b32 s8, -1, 0
	s_delay_alu instid0(SALU_CYCLE_1)
	s_and_b32 s62, s8, s7
	s_mov_b32 s7, -1
	s_and_saveexec_b32 s58, s62
	s_cbranch_execz .LBB171_313
; %bb.282:                              ;   in Loop: Header=BB171_12 Depth=1
	ds_load_b64 v[2:3], v13 offset:5120
	s_waitcnt lgkmcnt(0)
	s_barrier
	buffer_gl0_inv
	v_readfirstlane_b32 s8, v2
	v_readfirstlane_b32 s9, v3
	s_and_saveexec_b32 s7, s6
	s_cbranch_execz .LBB171_284
; %bb.283:                              ;   in Loop: Header=BB171_12 Depth=1
	ds_store_b16 v26, v13
.LBB171_284:                            ;   in Loop: Header=BB171_12 Depth=1
	s_or_b32 exec_lo, exec_lo, s7
	v_or_b32_e32 v30, s20, v30
	v_or_b32_e32 v29, s20, v29
	s_cmp_eq_u64 s[8:9], 0
	s_waitcnt lgkmcnt(0)
	s_barrier
	buffer_gl0_inv
	s_cbranch_scc1 .LBB171_296
; %bb.285:                              ;   in Loop: Header=BB171_12 Depth=1
	s_add_u32 s23, s74, s8
	s_addc_u32 s19, s75, s9
	s_mov_b32 s18, s59
	s_delay_alu instid0(SALU_CYCLE_1)
	s_cmp_lg_u64 s[18:19], 0
	s_cbranch_scc0 .LBB171_340
; %bb.286:                              ;   in Loop: Header=BB171_12 Depth=1
	v_cvt_f32_u32_e32 v2, s49
	s_sub_u32 s26, 0, s49
	s_subb_u32 s63, 0, 0
	s_delay_alu instid0(VALU_DEP_1) | instskip(NEXT) | instid1(VALU_DEP_1)
	v_fmac_f32_e64 v2, 0, 0x4f800000
	v_rcp_f32_e32 v2, v2
	s_waitcnt_depctr 0xfff
	v_mul_f32_e32 v2, 0x5f7ffffc, v2
	s_delay_alu instid0(VALU_DEP_1) | instskip(NEXT) | instid1(VALU_DEP_1)
	v_mul_f32_e32 v3, 0x2f800000, v2
	v_trunc_f32_e32 v3, v3
	s_delay_alu instid0(VALU_DEP_1) | instskip(SKIP_1) | instid1(VALU_DEP_2)
	v_fmac_f32_e32 v2, 0xcf800000, v3
	v_cvt_u32_f32_e32 v3, v3
	v_cvt_u32_f32_e32 v2, v2
	s_delay_alu instid0(VALU_DEP_2) | instskip(NEXT) | instid1(VALU_DEP_2)
	v_readfirstlane_b32 s7, v3
	v_readfirstlane_b32 s18, v2
	s_delay_alu instid0(VALU_DEP_2) | instskip(NEXT) | instid1(VALU_DEP_1)
	s_mul_i32 s64, s26, s7
	s_mul_hi_u32 s66, s26, s18
	s_mul_i32 s65, s63, s18
	s_add_i32 s64, s66, s64
	s_mul_i32 s67, s26, s18
	s_add_i32 s64, s64, s65
	s_mul_hi_u32 s66, s18, s67
	s_mul_hi_u32 s68, s7, s67
	s_mul_i32 s65, s7, s67
	s_mul_hi_u32 s67, s18, s64
	s_mul_i32 s18, s18, s64
	s_mul_hi_u32 s69, s7, s64
	s_add_u32 s18, s66, s18
	s_addc_u32 s66, 0, s67
	s_add_u32 s18, s18, s65
	s_mul_i32 s64, s7, s64
	s_addc_u32 s18, s66, s68
	s_addc_u32 s65, s69, 0
	s_add_u32 s18, s18, s64
	s_addc_u32 s64, 0, s65
	v_add_co_u32 v2, s18, v2, s18
	s_delay_alu instid0(VALU_DEP_1) | instskip(SKIP_1) | instid1(VALU_DEP_1)
	s_cmp_lg_u32 s18, 0
	s_addc_u32 s7, s7, s64
	v_readfirstlane_b32 s18, v2
	s_mul_i32 s64, s26, s7
	s_delay_alu instid0(VALU_DEP_1)
	s_mul_hi_u32 s65, s26, s18
	s_mul_i32 s63, s63, s18
	s_add_i32 s64, s65, s64
	s_mul_i32 s26, s26, s18
	s_add_i32 s64, s64, s63
	s_mul_hi_u32 s65, s7, s26
	s_mul_i32 s66, s7, s26
	s_mul_hi_u32 s26, s18, s26
	s_mul_hi_u32 s67, s18, s64
	s_mul_i32 s18, s18, s64
	s_mul_hi_u32 s63, s7, s64
	s_add_u32 s18, s26, s18
	s_addc_u32 s26, 0, s67
	s_add_u32 s18, s18, s66
	s_mul_i32 s64, s7, s64
	s_addc_u32 s18, s26, s65
	s_addc_u32 s26, s63, 0
	s_add_u32 s18, s18, s64
	s_addc_u32 s26, 0, s26
	v_add_co_u32 v2, s18, v2, s18
	s_delay_alu instid0(VALU_DEP_1) | instskip(SKIP_1) | instid1(VALU_DEP_1)
	s_cmp_lg_u32 s18, 0
	s_addc_u32 s7, s7, s26
	v_readfirstlane_b32 s18, v2
	s_mul_i32 s63, s23, s7
	s_mul_hi_u32 s26, s23, s7
	s_mul_hi_u32 s64, s19, s7
	s_mul_i32 s7, s19, s7
	s_mul_hi_u32 s65, s23, s18
	s_mul_hi_u32 s66, s19, s18
	s_mul_i32 s18, s19, s18
	s_add_u32 s63, s65, s63
	s_addc_u32 s26, 0, s26
	s_add_u32 s18, s63, s18
	s_addc_u32 s18, s26, s66
	s_addc_u32 s26, s64, 0
	s_add_u32 s7, s18, s7
	s_addc_u32 s18, 0, s26
	s_mul_hi_u32 s26, s49, s7
	s_mul_i32 s7, s49, s7
	s_mul_i32 s18, s49, s18
	v_sub_co_u32 v2, s7, s23, s7
	s_add_i32 s26, s26, s18
	s_cmp_lg_u32 s7, 0
	s_delay_alu instid0(VALU_DEP_1) | instskip(SKIP_2) | instid1(VALU_DEP_1)
	v_sub_co_u32 v3, s7, v2, s49
	s_subb_u32 s18, s19, s26
	s_cmp_lg_u32 s7, 0
	v_cmp_le_u32_e32 vcc_lo, s49, v3
	v_sub_co_u32 v4, s7, v3, s49
	s_subb_u32 s26, s18, 0
	s_cmp_lg_u32 s7, 0
	v_cndmask_b32_e64 v5, 0, -1, vcc_lo
	s_subb_u32 s7, s26, 0
	s_cmp_eq_u32 s26, 0
	v_mov_b32_e32 v7, s7
	s_cselect_b32 vcc_lo, -1, 0
	s_cmp_eq_u32 s18, 0
	v_cndmask_b32_e32 v5, -1, v5, vcc_lo
	v_cmp_le_u32_e32 vcc_lo, s49, v2
	s_cselect_b32 s7, -1, 0
	v_cndmask_b32_e64 v6, 0, -1, vcc_lo
	s_delay_alu instid0(VALU_DEP_3) | instskip(NEXT) | instid1(VALU_DEP_2)
	v_cmp_ne_u32_e32 vcc_lo, 0, v5
	v_cndmask_b32_e64 v5, -1, v6, s7
	v_cndmask_b32_e32 v6, s26, v7, vcc_lo
	v_cndmask_b32_e32 v4, v3, v4, vcc_lo
	s_delay_alu instid0(VALU_DEP_3) | instskip(NEXT) | instid1(VALU_DEP_3)
	v_cmp_ne_u32_e32 vcc_lo, 0, v5
	v_cndmask_b32_e32 v3, s18, v6, vcc_lo
	s_delay_alu instid0(VALU_DEP_3)
	v_cndmask_b32_e32 v2, v2, v4, vcc_lo
	s_cbranch_execnz .LBB171_288
.LBB171_287:                            ;   in Loop: Header=BB171_12 Depth=1
	v_cvt_f32_u32_e32 v2, s49
	s_sub_i32 s7, 0, s49
	s_delay_alu instid0(VALU_DEP_1) | instskip(SKIP_2) | instid1(VALU_DEP_1)
	v_rcp_iflag_f32_e32 v2, v2
	s_waitcnt_depctr 0xfff
	v_mul_f32_e32 v2, 0x4f7ffffe, v2
	v_cvt_u32_f32_e32 v2, v2
	s_delay_alu instid0(VALU_DEP_1) | instskip(NEXT) | instid1(VALU_DEP_1)
	v_mul_lo_u32 v3, s7, v2
	v_mul_hi_u32 v3, v2, v3
	s_delay_alu instid0(VALU_DEP_1) | instskip(NEXT) | instid1(VALU_DEP_1)
	v_add_nc_u32_e32 v2, v2, v3
	v_mul_hi_u32 v2, s23, v2
	s_delay_alu instid0(VALU_DEP_1) | instskip(NEXT) | instid1(VALU_DEP_1)
	v_mul_lo_u32 v2, v2, s49
	v_sub_nc_u32_e32 v2, s23, v2
	s_delay_alu instid0(VALU_DEP_1) | instskip(SKIP_1) | instid1(VALU_DEP_2)
	v_subrev_nc_u32_e32 v3, s49, v2
	v_cmp_le_u32_e32 vcc_lo, s49, v2
	v_cndmask_b32_e32 v2, v2, v3, vcc_lo
	s_delay_alu instid0(VALU_DEP_1) | instskip(SKIP_1) | instid1(VALU_DEP_2)
	v_subrev_nc_u32_e32 v3, s49, v2
	v_cmp_le_u32_e32 vcc_lo, s49, v2
	v_cndmask_b32_e32 v12, v2, v3, vcc_lo
	s_delay_alu instid0(VALU_DEP_1)
	v_dual_mov_b32 v2, v12 :: v_dual_mov_b32 v3, v13
.LBB171_288:                            ;   in Loop: Header=BB171_12 Depth=1
	s_delay_alu instid0(VALU_DEP_1) | instskip(NEXT) | instid1(VALU_DEP_2)
	v_sub_co_u32 v2, vcc_lo, s23, v2
	v_sub_co_ci_u32_e32 v3, vcc_lo, s19, v3, vcc_lo
	s_mov_b32 s7, 0
	s_mov_b32 s18, exec_lo
                                        ; implicit-def: $vgpr31
	s_delay_alu instid0(VALU_DEP_1)
	v_cmpx_gt_u64_e64 v[2:3], v[0:1]
	s_cbranch_execz .LBB171_298
; %bb.289:                              ;   in Loop: Header=BB171_12 Depth=1
	v_mov_b32_e32 v6, v25
	v_dual_mov_b32 v5, v1 :: v_dual_mov_b32 v4, v0
	s_mov_b32 s19, 0
                                        ; implicit-def: $sgpr23
	s_set_inst_prefetch_distance 0x1
	s_branch .LBB171_291
	.p2align	6
.LBB171_290:                            ;   in Loop: Header=BB171_291 Depth=2
	s_or_b32 exec_lo, exec_lo, s7
	s_waitcnt lgkmcnt(0)
	s_barrier
	buffer_gl0_inv
	ds_load_b32 v7, v13 offset:3072
	v_add_co_u32 v4, vcc_lo, v4, s49
	v_add_co_ci_u32_e32 v5, vcc_lo, 0, v5, vcc_lo
	v_add_nc_u32_e32 v6, s82, v6
	s_waitcnt lgkmcnt(0)
	s_barrier
	s_delay_alu instid0(VALU_DEP_2) | instskip(SKIP_2) | instid1(VALU_DEP_1)
	v_cmp_ge_u64_e32 vcc_lo, v[4:5], v[2:3]
	buffer_gl0_inv
	v_cmp_ne_u16_e64 s7, 0, v7
	s_or_b32 s26, vcc_lo, s7
	s_delay_alu instid0(SALU_CYCLE_1) | instskip(NEXT) | instid1(SALU_CYCLE_1)
	s_and_b32 s26, exec_lo, s26
	s_or_b32 s19, s26, s19
	s_and_not1_b32 s23, s23, exec_lo
	s_and_b32 s7, s7, exec_lo
	s_delay_alu instid0(SALU_CYCLE_1)
	s_or_b32 s23, s23, s7
	s_and_not1_b32 exec_lo, exec_lo, s19
	s_cbranch_execz .LBB171_297
.LBB171_291:                            ;   Parent Loop BB171_12 Depth=1
                                        ; =>  This Inner Loop Header: Depth=2
	s_delay_alu instid0(VALU_DEP_1)
	v_cmp_gt_u64_e32 vcc_lo, s[8:9], v[4:5]
	v_mov_b32_e32 v7, 0
	s_and_saveexec_b32 s7, vcc_lo
	s_cbranch_execz .LBB171_293
; %bb.292:                              ;   in Loop: Header=BB171_291 Depth=2
	ds_load_u16 v7, v6
.LBB171_293:                            ;   in Loop: Header=BB171_291 Depth=2
	s_or_b32 exec_lo, exec_lo, s7
	s_and_saveexec_b32 s7, vcc_lo
	s_cbranch_execz .LBB171_290
; %bb.294:                              ;   in Loop: Header=BB171_291 Depth=2
	s_waitcnt lgkmcnt(0)
	v_bfe_i32 v8, v7, 0, 16
	s_delay_alu instid0(VALU_DEP_1) | instskip(NEXT) | instid1(VALU_DEP_1)
	v_add_nc_u32_e32 v8, 0x8000, v8
	v_and_b32_e32 v8, v8, v29
	s_delay_alu instid0(VALU_DEP_1)
	v_cmp_eq_u32_e32 vcc_lo, v8, v30
	s_and_b32 exec_lo, exec_lo, vcc_lo
	s_cbranch_execz .LBB171_290
; %bb.295:                              ;   in Loop: Header=BB171_291 Depth=2
	v_perm_b32 v7, v7, 1, 0x5040100
	ds_store_b32 v13, v7 offset:3072
	s_branch .LBB171_290
.LBB171_296:                            ;   in Loop: Header=BB171_12 Depth=1
	s_mov_b32 s18, -1
	s_mov_b32 s7, 0
                                        ; implicit-def: $sgpr19
                                        ; implicit-def: $vgpr31
	s_mov_b32 s23, s18
	s_cbranch_execnz .LBB171_299
	s_branch .LBB171_312
.LBB171_297:                            ;   in Loop: Header=BB171_12 Depth=1
	s_set_inst_prefetch_distance 0x2
	s_or_b32 exec_lo, exec_lo, s19
	v_lshrrev_b32_e32 v31, 16, v7
	s_and_b32 s7, s23, exec_lo
.LBB171_298:                            ;   in Loop: Header=BB171_12 Depth=1
	s_or_b32 exec_lo, exec_lo, s18
	s_mov_b32 s18, 0
	s_mov_b32 s19, -1
	s_mov_b32 s23, s18
	s_branch .LBB171_312
.LBB171_299:                            ;   in Loop: Header=BB171_12 Depth=1
	s_mov_b32 s26, s59
	s_delay_alu instid0(SALU_CYCLE_1)
	s_cmp_lg_u64 s[26:27], 0
	s_cbranch_scc0 .LBB171_341
; %bb.300:                              ;   in Loop: Header=BB171_12 Depth=1
	v_cvt_f32_u32_e32 v2, s49
	s_sub_u32 s9, 0, s49
	s_subb_u32 s18, 0, 0
	s_delay_alu instid0(VALU_DEP_1) | instskip(NEXT) | instid1(VALU_DEP_1)
	v_fmac_f32_e64 v2, 0, 0x4f800000
	v_rcp_f32_e32 v2, v2
	s_waitcnt_depctr 0xfff
	v_mul_f32_e32 v2, 0x5f7ffffc, v2
	s_delay_alu instid0(VALU_DEP_1) | instskip(NEXT) | instid1(VALU_DEP_1)
	v_mul_f32_e32 v3, 0x2f800000, v2
	v_trunc_f32_e32 v3, v3
	s_delay_alu instid0(VALU_DEP_1) | instskip(SKIP_1) | instid1(VALU_DEP_2)
	v_fmac_f32_e32 v2, 0xcf800000, v3
	v_cvt_u32_f32_e32 v3, v3
	v_cvt_u32_f32_e32 v2, v2
	s_delay_alu instid0(VALU_DEP_2) | instskip(NEXT) | instid1(VALU_DEP_2)
	v_readfirstlane_b32 s7, v3
	v_readfirstlane_b32 s8, v2
	s_delay_alu instid0(VALU_DEP_2) | instskip(NEXT) | instid1(VALU_DEP_1)
	s_mul_i32 s19, s9, s7
	s_mul_hi_u32 s26, s9, s8
	s_mul_i32 s23, s18, s8
	s_add_i32 s19, s26, s19
	s_mul_i32 s63, s9, s8
	s_add_i32 s19, s19, s23
	s_mul_hi_u32 s26, s8, s63
	s_mul_hi_u32 s64, s7, s63
	s_mul_i32 s23, s7, s63
	s_mul_hi_u32 s63, s8, s19
	s_mul_i32 s8, s8, s19
	s_mul_hi_u32 s65, s7, s19
	s_add_u32 s8, s26, s8
	s_addc_u32 s26, 0, s63
	s_add_u32 s8, s8, s23
	s_mul_i32 s19, s7, s19
	s_addc_u32 s8, s26, s64
	s_addc_u32 s23, s65, 0
	s_add_u32 s8, s8, s19
	s_addc_u32 s19, 0, s23
	v_add_co_u32 v2, s8, v2, s8
	s_delay_alu instid0(VALU_DEP_1) | instskip(SKIP_1) | instid1(VALU_DEP_1)
	s_cmp_lg_u32 s8, 0
	s_addc_u32 s7, s7, s19
	v_readfirstlane_b32 s8, v2
	s_mul_i32 s19, s9, s7
	s_delay_alu instid0(VALU_DEP_1)
	s_mul_hi_u32 s23, s9, s8
	s_mul_i32 s18, s18, s8
	s_add_i32 s19, s23, s19
	s_mul_i32 s9, s9, s8
	s_add_i32 s19, s19, s18
	s_mul_hi_u32 s23, s7, s9
	s_mul_i32 s26, s7, s9
	s_mul_hi_u32 s9, s8, s9
	s_mul_hi_u32 s63, s8, s19
	s_mul_i32 s8, s8, s19
	s_mul_hi_u32 s18, s7, s19
	s_add_u32 s8, s9, s8
	s_addc_u32 s9, 0, s63
	s_add_u32 s8, s8, s26
	s_mul_i32 s19, s7, s19
	s_addc_u32 s8, s9, s23
	s_addc_u32 s9, s18, 0
	s_add_u32 s8, s8, s19
	s_addc_u32 s9, 0, s9
	v_add_co_u32 v2, s8, v2, s8
	s_delay_alu instid0(VALU_DEP_1) | instskip(SKIP_1) | instid1(VALU_DEP_1)
	s_cmp_lg_u32 s8, 0
	s_addc_u32 s7, s7, s9
	v_readfirstlane_b32 s8, v2
	s_mul_i32 s18, s76, s7
	s_mul_hi_u32 s9, s76, s7
	s_mul_hi_u32 s19, s27, s7
	s_mul_i32 s7, s27, s7
	s_mul_hi_u32 s23, s76, s8
	s_mul_hi_u32 s26, s27, s8
	s_mul_i32 s8, s27, s8
	s_add_u32 s18, s23, s18
	s_addc_u32 s9, 0, s9
	s_add_u32 s8, s18, s8
	s_addc_u32 s8, s9, s26
	s_addc_u32 s9, s19, 0
	s_add_u32 s7, s8, s7
	s_addc_u32 s8, 0, s9
	s_mul_hi_u32 s9, s49, s7
	s_mul_i32 s7, s49, s7
	s_mul_i32 s8, s49, s8
	v_sub_co_u32 v2, s7, s76, s7
	s_add_i32 s9, s9, s8
	s_cmp_lg_u32 s7, 0
	s_delay_alu instid0(VALU_DEP_1) | instskip(SKIP_2) | instid1(VALU_DEP_1)
	v_sub_co_u32 v3, s7, v2, s49
	s_subb_u32 s8, s27, s9
	s_cmp_lg_u32 s7, 0
	v_cmp_le_u32_e32 vcc_lo, s49, v3
	v_sub_co_u32 v4, s7, v3, s49
	s_subb_u32 s9, s8, 0
	s_cmp_lg_u32 s7, 0
	v_cndmask_b32_e64 v5, 0, -1, vcc_lo
	s_subb_u32 s7, s9, 0
	s_cmp_eq_u32 s9, 0
	v_mov_b32_e32 v7, s7
	s_cselect_b32 vcc_lo, -1, 0
	s_cmp_eq_u32 s8, 0
	v_cndmask_b32_e32 v5, -1, v5, vcc_lo
	v_cmp_le_u32_e32 vcc_lo, s49, v2
	s_cselect_b32 s7, -1, 0
	v_cndmask_b32_e64 v6, 0, -1, vcc_lo
	s_delay_alu instid0(VALU_DEP_3) | instskip(NEXT) | instid1(VALU_DEP_2)
	v_cmp_ne_u32_e32 vcc_lo, 0, v5
	v_cndmask_b32_e64 v5, -1, v6, s7
	v_cndmask_b32_e32 v6, s9, v7, vcc_lo
	v_cndmask_b32_e32 v4, v3, v4, vcc_lo
	s_delay_alu instid0(VALU_DEP_3) | instskip(NEXT) | instid1(VALU_DEP_3)
	v_cmp_ne_u32_e32 vcc_lo, 0, v5
	v_cndmask_b32_e32 v3, s8, v6, vcc_lo
	s_delay_alu instid0(VALU_DEP_3)
	v_cndmask_b32_e32 v2, v2, v4, vcc_lo
	s_cbranch_execnz .LBB171_302
.LBB171_301:                            ;   in Loop: Header=BB171_12 Depth=1
	v_cvt_f32_u32_e32 v2, s49
	s_sub_i32 s7, 0, s49
	s_delay_alu instid0(VALU_DEP_1) | instskip(SKIP_2) | instid1(VALU_DEP_1)
	v_rcp_iflag_f32_e32 v2, v2
	s_waitcnt_depctr 0xfff
	v_mul_f32_e32 v2, 0x4f7ffffe, v2
	v_cvt_u32_f32_e32 v2, v2
	s_delay_alu instid0(VALU_DEP_1) | instskip(NEXT) | instid1(VALU_DEP_1)
	v_mul_lo_u32 v3, s7, v2
	v_mul_hi_u32 v3, v2, v3
	s_delay_alu instid0(VALU_DEP_1) | instskip(NEXT) | instid1(VALU_DEP_1)
	v_add_nc_u32_e32 v2, v2, v3
	v_mul_hi_u32 v2, s76, v2
	s_delay_alu instid0(VALU_DEP_1) | instskip(NEXT) | instid1(VALU_DEP_1)
	v_mul_lo_u32 v2, v2, s49
	v_sub_nc_u32_e32 v2, s76, v2
	s_delay_alu instid0(VALU_DEP_1) | instskip(SKIP_1) | instid1(VALU_DEP_2)
	v_subrev_nc_u32_e32 v3, s49, v2
	v_cmp_le_u32_e32 vcc_lo, s49, v2
	v_cndmask_b32_e32 v2, v2, v3, vcc_lo
	s_delay_alu instid0(VALU_DEP_1) | instskip(SKIP_1) | instid1(VALU_DEP_2)
	v_subrev_nc_u32_e32 v3, s49, v2
	v_cmp_le_u32_e32 vcc_lo, s49, v2
	v_cndmask_b32_e32 v12, v2, v3, vcc_lo
	s_delay_alu instid0(VALU_DEP_1)
	v_dual_mov_b32 v2, v12 :: v_dual_mov_b32 v3, v13
.LBB171_302:                            ;   in Loop: Header=BB171_12 Depth=1
	s_delay_alu instid0(VALU_DEP_1) | instskip(NEXT) | instid1(VALU_DEP_2)
	v_sub_co_u32 v2, vcc_lo, s76, v2
	v_sub_co_ci_u32_e32 v3, vcc_lo, s27, v3, vcc_lo
	s_mov_b32 s7, 0
	s_mov_b32 s8, exec_lo
                                        ; implicit-def: $vgpr31
	s_delay_alu instid0(VALU_DEP_1)
	v_cmpx_gt_u64_e64 v[2:3], v[0:1]
	s_cbranch_execz .LBB171_311
; %bb.303:                              ;   in Loop: Header=BB171_12 Depth=1
	v_dual_mov_b32 v5, v1 :: v_dual_mov_b32 v4, v0
	s_mov_b32 s9, 0
                                        ; implicit-def: $sgpr18
	s_branch .LBB171_305
.LBB171_304:                            ;   in Loop: Header=BB171_305 Depth=2
	s_or_b32 exec_lo, exec_lo, s7
	s_waitcnt vmcnt(0) lgkmcnt(0)
	s_barrier
	buffer_gl0_inv
	ds_load_b32 v6, v13 offset:3072
	v_add_co_u32 v4, vcc_lo, v4, s49
	v_add_co_ci_u32_e32 v5, vcc_lo, 0, v5, vcc_lo
	s_waitcnt lgkmcnt(0)
	s_barrier
	buffer_gl0_inv
	v_cmp_ge_u64_e32 vcc_lo, v[4:5], v[2:3]
	v_cmp_ne_u16_e64 s7, 0, v6
	s_delay_alu instid0(VALU_DEP_1) | instskip(NEXT) | instid1(SALU_CYCLE_1)
	s_or_b32 s19, vcc_lo, s7
	s_and_b32 s19, exec_lo, s19
	s_delay_alu instid0(SALU_CYCLE_1) | instskip(SKIP_2) | instid1(SALU_CYCLE_1)
	s_or_b32 s9, s19, s9
	s_and_not1_b32 s18, s18, exec_lo
	s_and_b32 s7, s7, exec_lo
	s_or_b32 s18, s18, s7
	s_and_not1_b32 exec_lo, exec_lo, s9
	s_cbranch_execz .LBB171_310
.LBB171_305:                            ;   Parent Loop BB171_12 Depth=1
                                        ; =>  This Inner Loop Header: Depth=2
	s_delay_alu instid0(VALU_DEP_1)
	v_cmp_gt_u64_e32 vcc_lo, s[36:37], v[4:5]
	v_mov_b32_e32 v6, 0
	s_and_saveexec_b32 s19, vcc_lo
	s_cbranch_execz .LBB171_307
; %bb.306:                              ;   in Loop: Header=BB171_305 Depth=2
	v_mul_lo_u32 v8, v5, s30
	v_mul_lo_u32 v9, v4, s31
	v_mad_u64_u32 v[6:7], null, v4, s30, 0
	s_delay_alu instid0(VALU_DEP_1) | instskip(NEXT) | instid1(VALU_DEP_1)
	v_add3_u32 v7, v7, v9, v8
	v_lshlrev_b64 v[6:7], 1, v[6:7]
	s_delay_alu instid0(VALU_DEP_1) | instskip(NEXT) | instid1(VALU_DEP_1)
	v_add_co_u32 v6, s7, s33, v6
	v_add_co_ci_u32_e64 v7, s7, s35, v7, s7
	global_load_u16 v6, v[6:7], off
.LBB171_307:                            ;   in Loop: Header=BB171_305 Depth=2
	s_or_b32 exec_lo, exec_lo, s19
	s_and_saveexec_b32 s7, vcc_lo
	s_cbranch_execz .LBB171_304
; %bb.308:                              ;   in Loop: Header=BB171_305 Depth=2
	s_waitcnt vmcnt(0)
	v_bfe_i32 v7, v6, 0, 16
	s_delay_alu instid0(VALU_DEP_1) | instskip(NEXT) | instid1(VALU_DEP_1)
	v_add_nc_u32_e32 v7, 0x8000, v7
	v_and_b32_e32 v7, v7, v29
	s_delay_alu instid0(VALU_DEP_1)
	v_cmp_eq_u32_e32 vcc_lo, v7, v30
	s_and_b32 exec_lo, exec_lo, vcc_lo
	s_cbranch_execz .LBB171_304
; %bb.309:                              ;   in Loop: Header=BB171_305 Depth=2
	v_perm_b32 v6, v6, 1, 0x5040100
	ds_store_b32 v13, v6 offset:3072
	s_branch .LBB171_304
.LBB171_310:                            ;   in Loop: Header=BB171_12 Depth=1
	s_or_b32 exec_lo, exec_lo, s9
	v_lshrrev_b32_e32 v31, 16, v6
	s_and_b32 s7, s18, exec_lo
.LBB171_311:                            ;   in Loop: Header=BB171_12 Depth=1
	s_or_b32 exec_lo, exec_lo, s8
	s_mov_b32 s19, 0
	s_mov_b32 s18, -1
	s_mov_b32 s23, 0
.LBB171_312:                            ;   in Loop: Header=BB171_12 Depth=1
	s_or_not1_b32 s7, s7, exec_lo
.LBB171_313:                            ;   in Loop: Header=BB171_12 Depth=1
	s_or_b32 exec_lo, exec_lo, s58
                                        ; implicit-def: $vgpr6
                                        ; implicit-def: $vgpr2_vgpr3
                                        ; implicit-def: $vgpr8
                                        ; implicit-def: $vgpr9
                                        ; implicit-def: $vgpr18
	s_and_saveexec_b32 s58, s7
	s_cbranch_execz .LBB171_476
; %bb.314:                              ;   in Loop: Header=BB171_12 Depth=1
	v_mov_b32_e32 v2, 1
	v_dual_mov_b32 v3, 0 :: v_dual_mov_b32 v6, 1
	s_xor_b32 s8, s62, -1
	s_mov_b32 s26, 0
	s_and_saveexec_b32 s7, s8
	s_cbranch_execz .LBB171_324
; %bb.315:                              ;   in Loop: Header=BB171_12 Depth=1
	s_mov_b32 s9, exec_lo
                                        ; implicit-def: $sgpr26
                                        ; implicit-def: $sgpr8
	v_cmpx_ge_u64_e64 s[16:17], v[16:17]
	s_xor_b32 s9, exec_lo, s9
	s_cbranch_execz .LBB171_321
; %bb.316:                              ;   in Loop: Header=BB171_12 Depth=1
	ds_load_b64 v[2:3], v13 offset:5120
	s_waitcnt lgkmcnt(0)
	v_cmp_ne_u64_e32 vcc_lo, 0, v[2:3]
	s_cbranch_vccnz .LBB171_320
; %bb.317:                              ;   in Loop: Header=BB171_12 Depth=1
	s_and_saveexec_b32 s8, s5
	s_cbranch_execz .LBB171_319
; %bb.318:                              ;   in Loop: Header=BB171_12 Depth=1
	v_dual_mov_b32 v2, s16 :: v_dual_mov_b32 v3, s17
	ds_store_b64 v13, v[2:3] offset:5128
.LBB171_319:                            ;   in Loop: Header=BB171_12 Depth=1
	s_or_b32 exec_lo, exec_lo, s8
	s_waitcnt lgkmcnt(0)
	s_barrier
	buffer_gl0_inv
.LBB171_320:                            ;   in Loop: Header=BB171_12 Depth=1
	v_or_b32_e32 v30, s20, v30
	v_or_b32_e32 v29, s20, v29
	s_mov_b32 s8, 0
	s_mov_b32 s26, 5
.LBB171_321:                            ;   in Loop: Header=BB171_12 Depth=1
	s_or_saveexec_b32 s9, s9
	v_mov_b32_e32 v6, s26
	s_xor_b32 exec_lo, exec_lo, s9
; %bb.322:                              ;   in Loop: Header=BB171_12 Depth=1
	v_sub_co_u32 v16, vcc_lo, v16, s16
	v_subrev_co_ci_u32_e32 v17, vcc_lo, s17, v17, vcc_lo
	v_mov_b32_e32 v6, 0
	s_or_b32 s8, s8, exec_lo
; %bb.323:                              ;   in Loop: Header=BB171_12 Depth=1
	s_or_b32 exec_lo, exec_lo, s9
	s_delay_alu instid0(VALU_DEP_2)
	v_dual_mov_b32 v2, v16 :: v_dual_mov_b32 v3, v17
	s_and_b32 s26, s8, exec_lo
.LBB171_324:                            ;   in Loop: Header=BB171_12 Depth=1
	s_or_b32 exec_lo, exec_lo, s7
	s_mov_b32 s17, -1
                                        ; implicit-def: $sgpr8
                                        ; implicit-def: $sgpr9
                                        ; implicit-def: $sgpr16
	s_and_saveexec_b32 s7, s26
	s_delay_alu instid0(SALU_CYCLE_1)
	s_xor_b32 s62, exec_lo, s7
	s_cbranch_execz .LBB171_473
; %bb.325:                              ;   in Loop: Header=BB171_12 Depth=1
	v_cmp_eq_u64_e32 vcc_lo, 1, v[2:3]
	s_cmp_eq_u64 s[14:15], 1
                                        ; implicit-def: $sgpr16
                                        ; implicit-def: $sgpr17
                                        ; implicit-def: $sgpr63
	s_cselect_b32 s7, -1, 0
	s_delay_alu instid0(SALU_CYCLE_1)
	s_and_b32 s65, s7, vcc_lo
	s_mov_b32 s7, -1
	s_and_saveexec_b32 s64, s65
	s_cbranch_execz .LBB171_359
; %bb.326:                              ;   in Loop: Header=BB171_12 Depth=1
	ds_load_b64 v[4:5], v13 offset:5120
	s_waitcnt lgkmcnt(0)
	s_barrier
	buffer_gl0_inv
	v_readfirstlane_b32 s8, v4
	v_readfirstlane_b32 s9, v5
	s_and_saveexec_b32 s7, s6
	s_cbranch_execz .LBB171_328
; %bb.327:                              ;   in Loop: Header=BB171_12 Depth=1
	ds_store_b16 v26, v13
.LBB171_328:                            ;   in Loop: Header=BB171_12 Depth=1
	s_or_b32 exec_lo, exec_lo, s7
	s_lshl_b32 s7, 2, s22
	v_or_b32_e32 v29, s20, v29
	v_and_or_b32 v30, v30, s21, s7
	s_cmp_eq_u64 s[8:9], 0
	s_waitcnt lgkmcnt(0)
	s_barrier
	buffer_gl0_inv
	s_cbranch_scc1 .LBB171_342
; %bb.329:                              ;   in Loop: Header=BB171_12 Depth=1
	s_add_u32 s26, s74, s8
	s_addc_u32 s17, s75, s9
	s_mov_b32 s16, s59
	s_delay_alu instid0(SALU_CYCLE_1)
	s_cmp_lg_u64 s[16:17], 0
	s_cbranch_scc0 .LBB171_386
; %bb.330:                              ;   in Loop: Header=BB171_12 Depth=1
	v_cvt_f32_u32_e32 v4, s49
	s_sub_u32 s63, 0, s49
	s_subb_u32 s66, 0, 0
	s_delay_alu instid0(VALU_DEP_1) | instskip(NEXT) | instid1(VALU_DEP_1)
	v_fmac_f32_e64 v4, 0, 0x4f800000
	v_rcp_f32_e32 v4, v4
	s_waitcnt_depctr 0xfff
	v_mul_f32_e32 v4, 0x5f7ffffc, v4
	s_delay_alu instid0(VALU_DEP_1) | instskip(NEXT) | instid1(VALU_DEP_1)
	v_mul_f32_e32 v5, 0x2f800000, v4
	v_trunc_f32_e32 v5, v5
	s_delay_alu instid0(VALU_DEP_1) | instskip(SKIP_1) | instid1(VALU_DEP_2)
	v_fmac_f32_e32 v4, 0xcf800000, v5
	v_cvt_u32_f32_e32 v5, v5
	v_cvt_u32_f32_e32 v4, v4
	s_delay_alu instid0(VALU_DEP_2) | instskip(NEXT) | instid1(VALU_DEP_2)
	v_readfirstlane_b32 s7, v5
	v_readfirstlane_b32 s16, v4
	s_delay_alu instid0(VALU_DEP_2) | instskip(NEXT) | instid1(VALU_DEP_1)
	s_mul_i32 s67, s63, s7
	s_mul_hi_u32 s69, s63, s16
	s_mul_i32 s68, s66, s16
	s_add_i32 s67, s69, s67
	s_mul_i32 s70, s63, s16
	s_add_i32 s67, s67, s68
	s_mul_hi_u32 s69, s16, s70
	s_mul_hi_u32 s71, s7, s70
	s_mul_i32 s68, s7, s70
	s_mul_hi_u32 s70, s16, s67
	s_mul_i32 s16, s16, s67
	s_mul_hi_u32 s96, s7, s67
	s_add_u32 s16, s69, s16
	s_addc_u32 s69, 0, s70
	s_add_u32 s16, s16, s68
	s_mul_i32 s67, s7, s67
	s_addc_u32 s16, s69, s71
	s_addc_u32 s68, s96, 0
	s_add_u32 s16, s16, s67
	s_addc_u32 s67, 0, s68
	v_add_co_u32 v4, s16, v4, s16
	s_delay_alu instid0(VALU_DEP_1) | instskip(SKIP_1) | instid1(VALU_DEP_1)
	s_cmp_lg_u32 s16, 0
	s_addc_u32 s7, s7, s67
	v_readfirstlane_b32 s16, v4
	s_mul_i32 s67, s63, s7
	s_delay_alu instid0(VALU_DEP_1)
	s_mul_hi_u32 s68, s63, s16
	s_mul_i32 s66, s66, s16
	s_add_i32 s67, s68, s67
	s_mul_i32 s63, s63, s16
	s_add_i32 s67, s67, s66
	s_mul_hi_u32 s68, s7, s63
	s_mul_i32 s69, s7, s63
	s_mul_hi_u32 s63, s16, s63
	s_mul_hi_u32 s70, s16, s67
	s_mul_i32 s16, s16, s67
	s_mul_hi_u32 s66, s7, s67
	s_add_u32 s16, s63, s16
	s_addc_u32 s63, 0, s70
	s_add_u32 s16, s16, s69
	s_mul_i32 s67, s7, s67
	s_addc_u32 s16, s63, s68
	s_addc_u32 s63, s66, 0
	s_add_u32 s16, s16, s67
	s_addc_u32 s63, 0, s63
	v_add_co_u32 v4, s16, v4, s16
	s_delay_alu instid0(VALU_DEP_1) | instskip(SKIP_1) | instid1(VALU_DEP_1)
	s_cmp_lg_u32 s16, 0
	s_addc_u32 s7, s7, s63
	v_readfirstlane_b32 s16, v4
	s_mul_i32 s66, s26, s7
	s_mul_hi_u32 s63, s26, s7
	s_mul_hi_u32 s67, s17, s7
	s_mul_i32 s7, s17, s7
	s_mul_hi_u32 s68, s26, s16
	s_mul_hi_u32 s69, s17, s16
	s_mul_i32 s16, s17, s16
	s_add_u32 s66, s68, s66
	s_addc_u32 s63, 0, s63
	s_add_u32 s16, s66, s16
	s_addc_u32 s16, s63, s69
	s_addc_u32 s63, s67, 0
	s_add_u32 s7, s16, s7
	s_addc_u32 s16, 0, s63
	s_mul_hi_u32 s63, s49, s7
	s_mul_i32 s7, s49, s7
	s_mul_i32 s16, s49, s16
	v_sub_co_u32 v4, s7, s26, s7
	s_add_i32 s63, s63, s16
	s_cmp_lg_u32 s7, 0
	s_delay_alu instid0(VALU_DEP_1) | instskip(SKIP_2) | instid1(VALU_DEP_1)
	v_sub_co_u32 v5, s7, v4, s49
	s_subb_u32 s16, s17, s63
	s_cmp_lg_u32 s7, 0
	v_cmp_le_u32_e32 vcc_lo, s49, v5
	v_sub_co_u32 v6, s7, v5, s49
	s_subb_u32 s63, s16, 0
	s_cmp_lg_u32 s7, 0
	v_cndmask_b32_e64 v7, 0, -1, vcc_lo
	s_subb_u32 s7, s63, 0
	s_cmp_eq_u32 s63, 0
	v_mov_b32_e32 v9, s7
	s_cselect_b32 vcc_lo, -1, 0
	s_cmp_eq_u32 s16, 0
	v_cndmask_b32_e32 v7, -1, v7, vcc_lo
	v_cmp_le_u32_e32 vcc_lo, s49, v4
	s_cselect_b32 s7, -1, 0
	v_cndmask_b32_e64 v8, 0, -1, vcc_lo
	s_delay_alu instid0(VALU_DEP_3) | instskip(NEXT) | instid1(VALU_DEP_2)
	v_cmp_ne_u32_e32 vcc_lo, 0, v7
	v_cndmask_b32_e64 v7, -1, v8, s7
	v_cndmask_b32_e32 v8, s63, v9, vcc_lo
	v_cndmask_b32_e32 v6, v5, v6, vcc_lo
	s_delay_alu instid0(VALU_DEP_3) | instskip(NEXT) | instid1(VALU_DEP_3)
	v_cmp_ne_u32_e32 vcc_lo, 0, v7
	v_cndmask_b32_e32 v5, s16, v8, vcc_lo
	s_delay_alu instid0(VALU_DEP_3)
	v_cndmask_b32_e32 v4, v4, v6, vcc_lo
	s_cbranch_execnz .LBB171_332
.LBB171_331:                            ;   in Loop: Header=BB171_12 Depth=1
	v_cvt_f32_u32_e32 v4, s49
	s_sub_i32 s7, 0, s49
	s_delay_alu instid0(VALU_DEP_1) | instskip(SKIP_2) | instid1(VALU_DEP_1)
	v_rcp_iflag_f32_e32 v4, v4
	s_waitcnt_depctr 0xfff
	v_mul_f32_e32 v4, 0x4f7ffffe, v4
	v_cvt_u32_f32_e32 v4, v4
	s_delay_alu instid0(VALU_DEP_1) | instskip(NEXT) | instid1(VALU_DEP_1)
	v_mul_lo_u32 v5, s7, v4
	v_mul_hi_u32 v5, v4, v5
	s_delay_alu instid0(VALU_DEP_1) | instskip(NEXT) | instid1(VALU_DEP_1)
	v_add_nc_u32_e32 v4, v4, v5
	v_mul_hi_u32 v4, s26, v4
	s_delay_alu instid0(VALU_DEP_1) | instskip(NEXT) | instid1(VALU_DEP_1)
	v_mul_lo_u32 v4, v4, s49
	v_sub_nc_u32_e32 v4, s26, v4
	s_delay_alu instid0(VALU_DEP_1) | instskip(SKIP_1) | instid1(VALU_DEP_2)
	v_subrev_nc_u32_e32 v5, s49, v4
	v_cmp_le_u32_e32 vcc_lo, s49, v4
	v_cndmask_b32_e32 v4, v4, v5, vcc_lo
	s_delay_alu instid0(VALU_DEP_1) | instskip(SKIP_1) | instid1(VALU_DEP_2)
	v_subrev_nc_u32_e32 v5, s49, v4
	v_cmp_le_u32_e32 vcc_lo, s49, v4
	v_cndmask_b32_e32 v12, v4, v5, vcc_lo
	s_delay_alu instid0(VALU_DEP_1)
	v_dual_mov_b32 v4, v12 :: v_dual_mov_b32 v5, v13
.LBB171_332:                            ;   in Loop: Header=BB171_12 Depth=1
	s_delay_alu instid0(VALU_DEP_1) | instskip(NEXT) | instid1(VALU_DEP_2)
	v_sub_co_u32 v4, vcc_lo, s26, v4
	v_sub_co_ci_u32_e32 v5, vcc_lo, s17, v5, vcc_lo
	s_mov_b32 s7, 0
	s_mov_b32 s16, exec_lo
                                        ; implicit-def: $vgpr31
	s_delay_alu instid0(VALU_DEP_1)
	v_cmpx_gt_u64_e64 v[4:5], v[0:1]
	s_cbranch_execz .LBB171_344
; %bb.333:                              ;   in Loop: Header=BB171_12 Depth=1
	v_mov_b32_e32 v8, v25
	v_dual_mov_b32 v7, v1 :: v_dual_mov_b32 v6, v0
	s_mov_b32 s17, 0
                                        ; implicit-def: $sgpr26
	s_set_inst_prefetch_distance 0x1
	s_branch .LBB171_335
	.p2align	6
.LBB171_334:                            ;   in Loop: Header=BB171_335 Depth=2
	s_or_b32 exec_lo, exec_lo, s7
	s_waitcnt lgkmcnt(0)
	s_barrier
	buffer_gl0_inv
	ds_load_b32 v9, v13 offset:3072
	v_add_co_u32 v6, vcc_lo, v6, s49
	v_add_co_ci_u32_e32 v7, vcc_lo, 0, v7, vcc_lo
	v_add_nc_u32_e32 v8, s82, v8
	s_waitcnt lgkmcnt(0)
	s_barrier
	s_delay_alu instid0(VALU_DEP_2) | instskip(SKIP_2) | instid1(VALU_DEP_1)
	v_cmp_ge_u64_e32 vcc_lo, v[6:7], v[4:5]
	buffer_gl0_inv
	v_cmp_ne_u16_e64 s7, 0, v9
	s_or_b32 s63, vcc_lo, s7
	s_delay_alu instid0(SALU_CYCLE_1) | instskip(NEXT) | instid1(SALU_CYCLE_1)
	s_and_b32 s63, exec_lo, s63
	s_or_b32 s17, s63, s17
	s_and_not1_b32 s26, s26, exec_lo
	s_and_b32 s7, s7, exec_lo
	s_delay_alu instid0(SALU_CYCLE_1)
	s_or_b32 s26, s26, s7
	s_and_not1_b32 exec_lo, exec_lo, s17
	s_cbranch_execz .LBB171_343
.LBB171_335:                            ;   Parent Loop BB171_12 Depth=1
                                        ; =>  This Inner Loop Header: Depth=2
	s_delay_alu instid0(VALU_DEP_1)
	v_cmp_gt_u64_e32 vcc_lo, s[8:9], v[6:7]
	v_mov_b32_e32 v9, 0
	s_and_saveexec_b32 s7, vcc_lo
	s_cbranch_execz .LBB171_337
; %bb.336:                              ;   in Loop: Header=BB171_335 Depth=2
	ds_load_u16 v9, v8
.LBB171_337:                            ;   in Loop: Header=BB171_335 Depth=2
	s_or_b32 exec_lo, exec_lo, s7
	s_and_saveexec_b32 s7, vcc_lo
	s_cbranch_execz .LBB171_334
; %bb.338:                              ;   in Loop: Header=BB171_335 Depth=2
	s_waitcnt lgkmcnt(0)
	v_bfe_i32 v12, v9, 0, 16
	s_delay_alu instid0(VALU_DEP_1) | instskip(NEXT) | instid1(VALU_DEP_1)
	v_add_nc_u32_e32 v12, 0x8000, v12
	v_and_b32_e32 v12, v12, v29
	s_delay_alu instid0(VALU_DEP_1)
	v_cmp_eq_u32_e32 vcc_lo, v12, v30
	s_and_b32 exec_lo, exec_lo, vcc_lo
	s_cbranch_execz .LBB171_334
; %bb.339:                              ;   in Loop: Header=BB171_335 Depth=2
	v_perm_b32 v9, v9, 1, 0x5040100
	ds_store_b32 v13, v9 offset:3072
	s_branch .LBB171_334
.LBB171_340:                            ;   in Loop: Header=BB171_12 Depth=1
                                        ; implicit-def: $vgpr2_vgpr3
	s_branch .LBB171_287
.LBB171_341:                            ;   in Loop: Header=BB171_12 Depth=1
                                        ; implicit-def: $vgpr2_vgpr3
	s_branch .LBB171_301
.LBB171_342:                            ;   in Loop: Header=BB171_12 Depth=1
	s_mov_b32 s16, -1
	s_mov_b32 s7, 0
                                        ; implicit-def: $sgpr17
                                        ; implicit-def: $vgpr31
	s_mov_b32 s63, s16
	s_cbranch_execnz .LBB171_345
	s_branch .LBB171_358
.LBB171_343:                            ;   in Loop: Header=BB171_12 Depth=1
	s_set_inst_prefetch_distance 0x2
	s_or_b32 exec_lo, exec_lo, s17
	v_lshrrev_b32_e32 v31, 16, v9
	s_and_b32 s7, s26, exec_lo
.LBB171_344:                            ;   in Loop: Header=BB171_12 Depth=1
	s_or_b32 exec_lo, exec_lo, s16
	s_mov_b32 s16, 0
	s_mov_b32 s17, -1
	s_mov_b32 s63, s16
	s_branch .LBB171_358
.LBB171_345:                            ;   in Loop: Header=BB171_12 Depth=1
	s_mov_b32 s26, s59
	s_delay_alu instid0(SALU_CYCLE_1)
	s_cmp_lg_u64 s[26:27], 0
	s_cbranch_scc0 .LBB171_387
; %bb.346:                              ;   in Loop: Header=BB171_12 Depth=1
	v_cvt_f32_u32_e32 v4, s49
	s_sub_u32 s9, 0, s49
	s_subb_u32 s16, 0, 0
	s_delay_alu instid0(VALU_DEP_1) | instskip(NEXT) | instid1(VALU_DEP_1)
	v_fmac_f32_e64 v4, 0, 0x4f800000
	v_rcp_f32_e32 v4, v4
	s_waitcnt_depctr 0xfff
	v_mul_f32_e32 v4, 0x5f7ffffc, v4
	s_delay_alu instid0(VALU_DEP_1) | instskip(NEXT) | instid1(VALU_DEP_1)
	v_mul_f32_e32 v5, 0x2f800000, v4
	v_trunc_f32_e32 v5, v5
	s_delay_alu instid0(VALU_DEP_1) | instskip(SKIP_1) | instid1(VALU_DEP_2)
	v_fmac_f32_e32 v4, 0xcf800000, v5
	v_cvt_u32_f32_e32 v5, v5
	v_cvt_u32_f32_e32 v4, v4
	s_delay_alu instid0(VALU_DEP_2) | instskip(NEXT) | instid1(VALU_DEP_2)
	v_readfirstlane_b32 s7, v5
	v_readfirstlane_b32 s8, v4
	s_delay_alu instid0(VALU_DEP_2) | instskip(NEXT) | instid1(VALU_DEP_1)
	s_mul_i32 s17, s9, s7
	s_mul_hi_u32 s63, s9, s8
	s_mul_i32 s26, s16, s8
	s_add_i32 s17, s63, s17
	s_mul_i32 s66, s9, s8
	s_add_i32 s17, s17, s26
	s_mul_hi_u32 s63, s8, s66
	s_mul_hi_u32 s67, s7, s66
	s_mul_i32 s26, s7, s66
	s_mul_hi_u32 s66, s8, s17
	s_mul_i32 s8, s8, s17
	s_mul_hi_u32 s68, s7, s17
	s_add_u32 s8, s63, s8
	s_addc_u32 s63, 0, s66
	s_add_u32 s8, s8, s26
	s_mul_i32 s17, s7, s17
	s_addc_u32 s8, s63, s67
	s_addc_u32 s26, s68, 0
	s_add_u32 s8, s8, s17
	s_addc_u32 s17, 0, s26
	v_add_co_u32 v4, s8, v4, s8
	s_delay_alu instid0(VALU_DEP_1) | instskip(SKIP_1) | instid1(VALU_DEP_1)
	s_cmp_lg_u32 s8, 0
	s_addc_u32 s7, s7, s17
	v_readfirstlane_b32 s8, v4
	s_mul_i32 s17, s9, s7
	s_delay_alu instid0(VALU_DEP_1)
	s_mul_hi_u32 s26, s9, s8
	s_mul_i32 s16, s16, s8
	s_add_i32 s17, s26, s17
	s_mul_i32 s9, s9, s8
	s_add_i32 s17, s17, s16
	s_mul_hi_u32 s26, s7, s9
	s_mul_i32 s63, s7, s9
	s_mul_hi_u32 s9, s8, s9
	s_mul_hi_u32 s66, s8, s17
	s_mul_i32 s8, s8, s17
	s_mul_hi_u32 s16, s7, s17
	s_add_u32 s8, s9, s8
	s_addc_u32 s9, 0, s66
	s_add_u32 s8, s8, s63
	s_mul_i32 s17, s7, s17
	s_addc_u32 s8, s9, s26
	s_addc_u32 s9, s16, 0
	s_add_u32 s8, s8, s17
	s_addc_u32 s9, 0, s9
	v_add_co_u32 v4, s8, v4, s8
	s_delay_alu instid0(VALU_DEP_1) | instskip(SKIP_1) | instid1(VALU_DEP_1)
	s_cmp_lg_u32 s8, 0
	s_addc_u32 s7, s7, s9
	v_readfirstlane_b32 s8, v4
	s_mul_i32 s16, s76, s7
	s_mul_hi_u32 s9, s76, s7
	s_mul_hi_u32 s17, s27, s7
	s_mul_i32 s7, s27, s7
	s_mul_hi_u32 s26, s76, s8
	s_mul_hi_u32 s63, s27, s8
	s_mul_i32 s8, s27, s8
	s_add_u32 s16, s26, s16
	s_addc_u32 s9, 0, s9
	s_add_u32 s8, s16, s8
	s_addc_u32 s8, s9, s63
	s_addc_u32 s9, s17, 0
	s_add_u32 s7, s8, s7
	s_addc_u32 s8, 0, s9
	s_mul_hi_u32 s9, s49, s7
	s_mul_i32 s7, s49, s7
	s_mul_i32 s8, s49, s8
	v_sub_co_u32 v4, s7, s76, s7
	s_add_i32 s9, s9, s8
	s_cmp_lg_u32 s7, 0
	s_delay_alu instid0(VALU_DEP_1) | instskip(SKIP_2) | instid1(VALU_DEP_1)
	v_sub_co_u32 v5, s7, v4, s49
	s_subb_u32 s8, s27, s9
	s_cmp_lg_u32 s7, 0
	v_cmp_le_u32_e32 vcc_lo, s49, v5
	v_sub_co_u32 v6, s7, v5, s49
	s_subb_u32 s9, s8, 0
	s_cmp_lg_u32 s7, 0
	v_cndmask_b32_e64 v7, 0, -1, vcc_lo
	s_subb_u32 s7, s9, 0
	s_cmp_eq_u32 s9, 0
	v_mov_b32_e32 v9, s7
	s_cselect_b32 vcc_lo, -1, 0
	s_cmp_eq_u32 s8, 0
	v_cndmask_b32_e32 v7, -1, v7, vcc_lo
	v_cmp_le_u32_e32 vcc_lo, s49, v4
	s_cselect_b32 s7, -1, 0
	v_cndmask_b32_e64 v8, 0, -1, vcc_lo
	s_delay_alu instid0(VALU_DEP_3) | instskip(NEXT) | instid1(VALU_DEP_2)
	v_cmp_ne_u32_e32 vcc_lo, 0, v7
	v_cndmask_b32_e64 v7, -1, v8, s7
	v_cndmask_b32_e32 v8, s9, v9, vcc_lo
	v_cndmask_b32_e32 v6, v5, v6, vcc_lo
	s_delay_alu instid0(VALU_DEP_3) | instskip(NEXT) | instid1(VALU_DEP_3)
	v_cmp_ne_u32_e32 vcc_lo, 0, v7
	v_cndmask_b32_e32 v5, s8, v8, vcc_lo
	s_delay_alu instid0(VALU_DEP_3)
	v_cndmask_b32_e32 v4, v4, v6, vcc_lo
	s_cbranch_execnz .LBB171_348
.LBB171_347:                            ;   in Loop: Header=BB171_12 Depth=1
	v_cvt_f32_u32_e32 v4, s49
	s_sub_i32 s7, 0, s49
	s_delay_alu instid0(VALU_DEP_1) | instskip(SKIP_2) | instid1(VALU_DEP_1)
	v_rcp_iflag_f32_e32 v4, v4
	s_waitcnt_depctr 0xfff
	v_mul_f32_e32 v4, 0x4f7ffffe, v4
	v_cvt_u32_f32_e32 v4, v4
	s_delay_alu instid0(VALU_DEP_1) | instskip(NEXT) | instid1(VALU_DEP_1)
	v_mul_lo_u32 v5, s7, v4
	v_mul_hi_u32 v5, v4, v5
	s_delay_alu instid0(VALU_DEP_1) | instskip(NEXT) | instid1(VALU_DEP_1)
	v_add_nc_u32_e32 v4, v4, v5
	v_mul_hi_u32 v4, s76, v4
	s_delay_alu instid0(VALU_DEP_1) | instskip(NEXT) | instid1(VALU_DEP_1)
	v_mul_lo_u32 v4, v4, s49
	v_sub_nc_u32_e32 v4, s76, v4
	s_delay_alu instid0(VALU_DEP_1) | instskip(SKIP_1) | instid1(VALU_DEP_2)
	v_subrev_nc_u32_e32 v5, s49, v4
	v_cmp_le_u32_e32 vcc_lo, s49, v4
	v_cndmask_b32_e32 v4, v4, v5, vcc_lo
	s_delay_alu instid0(VALU_DEP_1) | instskip(SKIP_1) | instid1(VALU_DEP_2)
	v_subrev_nc_u32_e32 v5, s49, v4
	v_cmp_le_u32_e32 vcc_lo, s49, v4
	v_cndmask_b32_e32 v12, v4, v5, vcc_lo
	s_delay_alu instid0(VALU_DEP_1)
	v_dual_mov_b32 v4, v12 :: v_dual_mov_b32 v5, v13
.LBB171_348:                            ;   in Loop: Header=BB171_12 Depth=1
	s_delay_alu instid0(VALU_DEP_1) | instskip(NEXT) | instid1(VALU_DEP_2)
	v_sub_co_u32 v4, vcc_lo, s76, v4
	v_sub_co_ci_u32_e32 v5, vcc_lo, s27, v5, vcc_lo
	s_mov_b32 s7, 0
	s_mov_b32 s8, exec_lo
                                        ; implicit-def: $vgpr31
	s_delay_alu instid0(VALU_DEP_1)
	v_cmpx_gt_u64_e64 v[4:5], v[0:1]
	s_cbranch_execz .LBB171_357
; %bb.349:                              ;   in Loop: Header=BB171_12 Depth=1
	v_dual_mov_b32 v7, v1 :: v_dual_mov_b32 v6, v0
	s_mov_b32 s9, 0
                                        ; implicit-def: $sgpr16
	s_branch .LBB171_351
.LBB171_350:                            ;   in Loop: Header=BB171_351 Depth=2
	s_or_b32 exec_lo, exec_lo, s7
	s_waitcnt vmcnt(0) lgkmcnt(0)
	s_barrier
	buffer_gl0_inv
	ds_load_b32 v8, v13 offset:3072
	v_add_co_u32 v6, vcc_lo, v6, s49
	v_add_co_ci_u32_e32 v7, vcc_lo, 0, v7, vcc_lo
	s_waitcnt lgkmcnt(0)
	s_barrier
	buffer_gl0_inv
	v_cmp_ge_u64_e32 vcc_lo, v[6:7], v[4:5]
	v_cmp_ne_u16_e64 s7, 0, v8
	s_delay_alu instid0(VALU_DEP_1) | instskip(NEXT) | instid1(SALU_CYCLE_1)
	s_or_b32 s17, vcc_lo, s7
	s_and_b32 s17, exec_lo, s17
	s_delay_alu instid0(SALU_CYCLE_1) | instskip(SKIP_2) | instid1(SALU_CYCLE_1)
	s_or_b32 s9, s17, s9
	s_and_not1_b32 s16, s16, exec_lo
	s_and_b32 s7, s7, exec_lo
	s_or_b32 s16, s16, s7
	s_and_not1_b32 exec_lo, exec_lo, s9
	s_cbranch_execz .LBB171_356
.LBB171_351:                            ;   Parent Loop BB171_12 Depth=1
                                        ; =>  This Inner Loop Header: Depth=2
	s_delay_alu instid0(VALU_DEP_1)
	v_cmp_gt_u64_e32 vcc_lo, s[36:37], v[6:7]
	v_mov_b32_e32 v8, 0
	s_and_saveexec_b32 s17, vcc_lo
	s_cbranch_execz .LBB171_353
; %bb.352:                              ;   in Loop: Header=BB171_351 Depth=2
	v_mul_lo_u32 v12, v7, s30
	v_mul_lo_u32 v16, v6, s31
	v_mad_u64_u32 v[8:9], null, v6, s30, 0
	s_delay_alu instid0(VALU_DEP_1) | instskip(NEXT) | instid1(VALU_DEP_1)
	v_add3_u32 v9, v9, v16, v12
	v_lshlrev_b64 v[8:9], 1, v[8:9]
	s_delay_alu instid0(VALU_DEP_1) | instskip(NEXT) | instid1(VALU_DEP_1)
	v_add_co_u32 v8, s7, s33, v8
	v_add_co_ci_u32_e64 v9, s7, s35, v9, s7
	global_load_u16 v8, v[8:9], off
.LBB171_353:                            ;   in Loop: Header=BB171_351 Depth=2
	s_or_b32 exec_lo, exec_lo, s17
	s_and_saveexec_b32 s7, vcc_lo
	s_cbranch_execz .LBB171_350
; %bb.354:                              ;   in Loop: Header=BB171_351 Depth=2
	s_waitcnt vmcnt(0)
	v_bfe_i32 v9, v8, 0, 16
	s_delay_alu instid0(VALU_DEP_1) | instskip(NEXT) | instid1(VALU_DEP_1)
	v_add_nc_u32_e32 v9, 0x8000, v9
	v_and_b32_e32 v9, v9, v29
	s_delay_alu instid0(VALU_DEP_1)
	v_cmp_eq_u32_e32 vcc_lo, v9, v30
	s_and_b32 exec_lo, exec_lo, vcc_lo
	s_cbranch_execz .LBB171_350
; %bb.355:                              ;   in Loop: Header=BB171_351 Depth=2
	v_perm_b32 v8, v8, 1, 0x5040100
	ds_store_b32 v13, v8 offset:3072
	s_branch .LBB171_350
.LBB171_356:                            ;   in Loop: Header=BB171_12 Depth=1
	s_or_b32 exec_lo, exec_lo, s9
	v_lshrrev_b32_e32 v31, 16, v8
	s_and_b32 s7, s16, exec_lo
.LBB171_357:                            ;   in Loop: Header=BB171_12 Depth=1
	s_or_b32 exec_lo, exec_lo, s8
	s_mov_b32 s17, 0
	s_mov_b32 s16, -1
	s_mov_b32 s63, 0
.LBB171_358:                            ;   in Loop: Header=BB171_12 Depth=1
	s_or_not1_b32 s7, s7, exec_lo
.LBB171_359:                            ;   in Loop: Header=BB171_12 Depth=1
	s_or_b32 exec_lo, exec_lo, s64
	s_mov_b32 s26, 0
                                        ; implicit-def: $vgpr6
	s_and_saveexec_b32 s64, s7
	s_cbranch_execz .LBB171_472
; %bb.360:                              ;   in Loop: Header=BB171_12 Depth=1
	v_mov_b32_e32 v4, 1
	v_dual_mov_b32 v5, 0 :: v_dual_mov_b32 v6, 1
	s_xor_b32 s8, s65, -1
	s_delay_alu instid0(SALU_CYCLE_1)
	s_and_saveexec_b32 s7, s8
	s_cbranch_execz .LBB171_370
; %bb.361:                              ;   in Loop: Header=BB171_12 Depth=1
	s_mov_b32 s9, exec_lo
                                        ; implicit-def: $sgpr26
                                        ; implicit-def: $sgpr8
	v_cmpx_ge_u64_e64 s[14:15], v[2:3]
	s_xor_b32 s9, exec_lo, s9
	s_cbranch_execz .LBB171_367
; %bb.362:                              ;   in Loop: Header=BB171_12 Depth=1
	ds_load_b64 v[4:5], v13 offset:5120
	s_waitcnt lgkmcnt(0)
	v_cmp_ne_u64_e32 vcc_lo, 0, v[4:5]
	s_cbranch_vccnz .LBB171_366
; %bb.363:                              ;   in Loop: Header=BB171_12 Depth=1
	s_and_saveexec_b32 s8, s5
	s_cbranch_execz .LBB171_365
; %bb.364:                              ;   in Loop: Header=BB171_12 Depth=1
	v_dual_mov_b32 v4, s14 :: v_dual_mov_b32 v5, s15
	ds_store_b64 v13, v[4:5] offset:5128
.LBB171_365:                            ;   in Loop: Header=BB171_12 Depth=1
	s_or_b32 exec_lo, exec_lo, s8
	s_waitcnt lgkmcnt(0)
	s_barrier
	buffer_gl0_inv
.LBB171_366:                            ;   in Loop: Header=BB171_12 Depth=1
	s_lshl_b32 s8, 2, s22
	v_or_b32_e32 v29, s20, v29
	v_and_or_b32 v30, v30, s21, s8
	s_mov_b32 s8, 0
	s_mov_b32 s26, 5
.LBB171_367:                            ;   in Loop: Header=BB171_12 Depth=1
	s_or_saveexec_b32 s9, s9
	v_mov_b32_e32 v6, s26
	s_xor_b32 exec_lo, exec_lo, s9
; %bb.368:                              ;   in Loop: Header=BB171_12 Depth=1
	v_sub_co_u32 v2, vcc_lo, v2, s14
	v_subrev_co_ci_u32_e32 v3, vcc_lo, s15, v3, vcc_lo
	v_mov_b32_e32 v6, 0
	s_or_b32 s8, s8, exec_lo
; %bb.369:                              ;   in Loop: Header=BB171_12 Depth=1
	s_or_b32 exec_lo, exec_lo, s9
	s_delay_alu instid0(VALU_DEP_2)
	v_dual_mov_b32 v5, v3 :: v_dual_mov_b32 v4, v2
	s_and_b32 s26, s8, exec_lo
.LBB171_370:                            ;   in Loop: Header=BB171_12 Depth=1
	s_or_b32 exec_lo, exec_lo, s7
	s_mov_b32 s7, -1
                                        ; implicit-def: $sgpr8
                                        ; implicit-def: $sgpr9
                                        ; implicit-def: $sgpr14
	s_and_saveexec_b32 s65, s26
	s_cbranch_execz .LBB171_471
; %bb.371:                              ;   in Loop: Header=BB171_12 Depth=1
	v_cmp_eq_u64_e32 vcc_lo, 1, v[4:5]
	s_cmp_eq_u64 s[12:13], 1
                                        ; implicit-def: $sgpr14
                                        ; implicit-def: $sgpr15
                                        ; implicit-def: $sgpr66
	s_cselect_b32 s7, -1, 0
	s_delay_alu instid0(SALU_CYCLE_1)
	s_and_b32 s68, s7, vcc_lo
	s_mov_b32 s7, -1
	s_and_saveexec_b32 s67, s68
	s_cbranch_execz .LBB171_405
; %bb.372:                              ;   in Loop: Header=BB171_12 Depth=1
	ds_load_b64 v[2:3], v13 offset:5120
	s_waitcnt lgkmcnt(0)
	s_barrier
	buffer_gl0_inv
	v_readfirstlane_b32 s8, v2
	v_readfirstlane_b32 s9, v3
	s_and_saveexec_b32 s7, s6
	s_cbranch_execz .LBB171_374
; %bb.373:                              ;   in Loop: Header=BB171_12 Depth=1
	ds_store_b16 v26, v13
.LBB171_374:                            ;   in Loop: Header=BB171_12 Depth=1
	s_or_b32 exec_lo, exec_lo, s7
	s_lshl_b32 s7, 1, s22
	v_or_b32_e32 v29, s20, v29
	v_and_or_b32 v30, v30, s21, s7
	s_cmp_eq_u64 s[8:9], 0
	s_waitcnt lgkmcnt(0)
	s_barrier
	buffer_gl0_inv
	s_cbranch_scc1 .LBB171_388
; %bb.375:                              ;   in Loop: Header=BB171_12 Depth=1
	s_add_u32 s26, s74, s8
	s_addc_u32 s15, s75, s9
	s_mov_b32 s14, s59
	s_delay_alu instid0(SALU_CYCLE_1)
	s_cmp_lg_u64 s[14:15], 0
	s_cbranch_scc0 .LBB171_423
; %bb.376:                              ;   in Loop: Header=BB171_12 Depth=1
	v_cvt_f32_u32_e32 v2, s49
	s_sub_u32 s66, 0, s49
	s_subb_u32 s69, 0, 0
	s_delay_alu instid0(VALU_DEP_1) | instskip(NEXT) | instid1(VALU_DEP_1)
	v_fmac_f32_e64 v2, 0, 0x4f800000
	v_rcp_f32_e32 v2, v2
	s_waitcnt_depctr 0xfff
	v_mul_f32_e32 v2, 0x5f7ffffc, v2
	s_delay_alu instid0(VALU_DEP_1) | instskip(NEXT) | instid1(VALU_DEP_1)
	v_mul_f32_e32 v3, 0x2f800000, v2
	v_trunc_f32_e32 v3, v3
	s_delay_alu instid0(VALU_DEP_1) | instskip(SKIP_1) | instid1(VALU_DEP_2)
	v_fmac_f32_e32 v2, 0xcf800000, v3
	v_cvt_u32_f32_e32 v3, v3
	v_cvt_u32_f32_e32 v2, v2
	s_delay_alu instid0(VALU_DEP_2) | instskip(NEXT) | instid1(VALU_DEP_2)
	v_readfirstlane_b32 s7, v3
	v_readfirstlane_b32 s14, v2
	s_delay_alu instid0(VALU_DEP_2) | instskip(NEXT) | instid1(VALU_DEP_1)
	s_mul_i32 s70, s66, s7
	s_mul_hi_u32 s96, s66, s14
	s_mul_i32 s71, s69, s14
	s_add_i32 s70, s96, s70
	s_mul_i32 s97, s66, s14
	s_add_i32 s70, s70, s71
	s_mul_hi_u32 s96, s14, s97
	s_mul_hi_u32 s98, s7, s97
	s_mul_i32 s71, s7, s97
	s_mul_hi_u32 s97, s14, s70
	s_mul_i32 s14, s14, s70
	s_mul_hi_u32 s99, s7, s70
	s_add_u32 s14, s96, s14
	s_addc_u32 s96, 0, s97
	s_add_u32 s14, s14, s71
	s_mul_i32 s70, s7, s70
	s_addc_u32 s14, s96, s98
	s_addc_u32 s71, s99, 0
	s_add_u32 s14, s14, s70
	s_addc_u32 s70, 0, s71
	v_add_co_u32 v2, s14, v2, s14
	s_delay_alu instid0(VALU_DEP_1) | instskip(SKIP_1) | instid1(VALU_DEP_1)
	s_cmp_lg_u32 s14, 0
	s_addc_u32 s7, s7, s70
	v_readfirstlane_b32 s14, v2
	s_mul_i32 s70, s66, s7
	s_delay_alu instid0(VALU_DEP_1)
	s_mul_hi_u32 s71, s66, s14
	s_mul_i32 s69, s69, s14
	s_add_i32 s70, s71, s70
	s_mul_i32 s66, s66, s14
	s_add_i32 s70, s70, s69
	s_mul_hi_u32 s71, s7, s66
	s_mul_i32 s96, s7, s66
	s_mul_hi_u32 s66, s14, s66
	s_mul_hi_u32 s97, s14, s70
	s_mul_i32 s14, s14, s70
	s_mul_hi_u32 s69, s7, s70
	s_add_u32 s14, s66, s14
	s_addc_u32 s66, 0, s97
	s_add_u32 s14, s14, s96
	s_mul_i32 s70, s7, s70
	s_addc_u32 s14, s66, s71
	s_addc_u32 s66, s69, 0
	s_add_u32 s14, s14, s70
	s_addc_u32 s66, 0, s66
	v_add_co_u32 v2, s14, v2, s14
	s_delay_alu instid0(VALU_DEP_1) | instskip(SKIP_1) | instid1(VALU_DEP_1)
	s_cmp_lg_u32 s14, 0
	s_addc_u32 s7, s7, s66
	v_readfirstlane_b32 s14, v2
	s_mul_i32 s69, s26, s7
	s_mul_hi_u32 s66, s26, s7
	s_mul_hi_u32 s70, s15, s7
	s_mul_i32 s7, s15, s7
	s_mul_hi_u32 s71, s26, s14
	s_mul_hi_u32 s96, s15, s14
	s_mul_i32 s14, s15, s14
	s_add_u32 s69, s71, s69
	s_addc_u32 s66, 0, s66
	s_add_u32 s14, s69, s14
	s_addc_u32 s14, s66, s96
	s_addc_u32 s66, s70, 0
	s_add_u32 s7, s14, s7
	s_addc_u32 s14, 0, s66
	s_mul_hi_u32 s66, s49, s7
	s_mul_i32 s7, s49, s7
	s_mul_i32 s14, s49, s14
	v_sub_co_u32 v2, s7, s26, s7
	s_add_i32 s66, s66, s14
	s_cmp_lg_u32 s7, 0
	s_delay_alu instid0(VALU_DEP_1) | instskip(SKIP_2) | instid1(VALU_DEP_1)
	v_sub_co_u32 v3, s7, v2, s49
	s_subb_u32 s14, s15, s66
	s_cmp_lg_u32 s7, 0
	v_cmp_le_u32_e32 vcc_lo, s49, v3
	v_sub_co_u32 v6, s7, v3, s49
	s_subb_u32 s66, s14, 0
	s_cmp_lg_u32 s7, 0
	v_cndmask_b32_e64 v7, 0, -1, vcc_lo
	s_subb_u32 s7, s66, 0
	s_cmp_eq_u32 s66, 0
	v_mov_b32_e32 v9, s7
	s_cselect_b32 vcc_lo, -1, 0
	s_cmp_eq_u32 s14, 0
	v_cndmask_b32_e32 v7, -1, v7, vcc_lo
	v_cmp_le_u32_e32 vcc_lo, s49, v2
	s_cselect_b32 s7, -1, 0
	v_cndmask_b32_e64 v8, 0, -1, vcc_lo
	s_delay_alu instid0(VALU_DEP_3) | instskip(NEXT) | instid1(VALU_DEP_2)
	v_cmp_ne_u32_e32 vcc_lo, 0, v7
	v_cndmask_b32_e64 v7, -1, v8, s7
	v_cndmask_b32_e32 v8, s66, v9, vcc_lo
	v_cndmask_b32_e32 v6, v3, v6, vcc_lo
	s_delay_alu instid0(VALU_DEP_3) | instskip(NEXT) | instid1(VALU_DEP_3)
	v_cmp_ne_u32_e32 vcc_lo, 0, v7
	v_cndmask_b32_e32 v3, s14, v8, vcc_lo
	s_delay_alu instid0(VALU_DEP_3)
	v_cndmask_b32_e32 v2, v2, v6, vcc_lo
	s_cbranch_execnz .LBB171_378
.LBB171_377:                            ;   in Loop: Header=BB171_12 Depth=1
	v_cvt_f32_u32_e32 v2, s49
	s_sub_i32 s7, 0, s49
	s_delay_alu instid0(VALU_DEP_1) | instskip(SKIP_2) | instid1(VALU_DEP_1)
	v_rcp_iflag_f32_e32 v2, v2
	s_waitcnt_depctr 0xfff
	v_mul_f32_e32 v2, 0x4f7ffffe, v2
	v_cvt_u32_f32_e32 v2, v2
	s_delay_alu instid0(VALU_DEP_1) | instskip(NEXT) | instid1(VALU_DEP_1)
	v_mul_lo_u32 v3, s7, v2
	v_mul_hi_u32 v3, v2, v3
	s_delay_alu instid0(VALU_DEP_1) | instskip(NEXT) | instid1(VALU_DEP_1)
	v_add_nc_u32_e32 v2, v2, v3
	v_mul_hi_u32 v2, s26, v2
	s_delay_alu instid0(VALU_DEP_1) | instskip(NEXT) | instid1(VALU_DEP_1)
	v_mul_lo_u32 v2, v2, s49
	v_sub_nc_u32_e32 v2, s26, v2
	s_delay_alu instid0(VALU_DEP_1) | instskip(SKIP_1) | instid1(VALU_DEP_2)
	v_subrev_nc_u32_e32 v3, s49, v2
	v_cmp_le_u32_e32 vcc_lo, s49, v2
	v_cndmask_b32_e32 v2, v2, v3, vcc_lo
	s_delay_alu instid0(VALU_DEP_1) | instskip(SKIP_1) | instid1(VALU_DEP_2)
	v_subrev_nc_u32_e32 v3, s49, v2
	v_cmp_le_u32_e32 vcc_lo, s49, v2
	v_cndmask_b32_e32 v12, v2, v3, vcc_lo
	s_delay_alu instid0(VALU_DEP_1)
	v_dual_mov_b32 v2, v12 :: v_dual_mov_b32 v3, v13
.LBB171_378:                            ;   in Loop: Header=BB171_12 Depth=1
	s_delay_alu instid0(VALU_DEP_1) | instskip(NEXT) | instid1(VALU_DEP_2)
	v_sub_co_u32 v2, vcc_lo, s26, v2
	v_sub_co_ci_u32_e32 v3, vcc_lo, s15, v3, vcc_lo
	s_mov_b32 s7, 0
	s_mov_b32 s14, exec_lo
                                        ; implicit-def: $vgpr31
	s_delay_alu instid0(VALU_DEP_1)
	v_cmpx_gt_u64_e64 v[2:3], v[0:1]
	s_cbranch_execz .LBB171_390
; %bb.379:                              ;   in Loop: Header=BB171_12 Depth=1
	v_mov_b32_e32 v8, v25
	v_dual_mov_b32 v7, v1 :: v_dual_mov_b32 v6, v0
	s_mov_b32 s15, 0
                                        ; implicit-def: $sgpr26
	s_set_inst_prefetch_distance 0x1
	s_branch .LBB171_381
	.p2align	6
.LBB171_380:                            ;   in Loop: Header=BB171_381 Depth=2
	s_or_b32 exec_lo, exec_lo, s7
	s_waitcnt lgkmcnt(0)
	s_barrier
	buffer_gl0_inv
	ds_load_b32 v9, v13 offset:3072
	v_add_co_u32 v6, vcc_lo, v6, s49
	v_add_co_ci_u32_e32 v7, vcc_lo, 0, v7, vcc_lo
	v_add_nc_u32_e32 v8, s82, v8
	s_waitcnt lgkmcnt(0)
	s_barrier
	s_delay_alu instid0(VALU_DEP_2) | instskip(SKIP_2) | instid1(VALU_DEP_1)
	v_cmp_ge_u64_e32 vcc_lo, v[6:7], v[2:3]
	buffer_gl0_inv
	v_cmp_ne_u16_e64 s7, 0, v9
	s_or_b32 s66, vcc_lo, s7
	s_delay_alu instid0(SALU_CYCLE_1) | instskip(NEXT) | instid1(SALU_CYCLE_1)
	s_and_b32 s66, exec_lo, s66
	s_or_b32 s15, s66, s15
	s_and_not1_b32 s26, s26, exec_lo
	s_and_b32 s7, s7, exec_lo
	s_delay_alu instid0(SALU_CYCLE_1)
	s_or_b32 s26, s26, s7
	s_and_not1_b32 exec_lo, exec_lo, s15
	s_cbranch_execz .LBB171_389
.LBB171_381:                            ;   Parent Loop BB171_12 Depth=1
                                        ; =>  This Inner Loop Header: Depth=2
	s_delay_alu instid0(VALU_DEP_1)
	v_cmp_gt_u64_e32 vcc_lo, s[8:9], v[6:7]
	v_mov_b32_e32 v9, 0
	s_and_saveexec_b32 s7, vcc_lo
	s_cbranch_execz .LBB171_383
; %bb.382:                              ;   in Loop: Header=BB171_381 Depth=2
	ds_load_u16 v9, v8
.LBB171_383:                            ;   in Loop: Header=BB171_381 Depth=2
	s_or_b32 exec_lo, exec_lo, s7
	s_and_saveexec_b32 s7, vcc_lo
	s_cbranch_execz .LBB171_380
; %bb.384:                              ;   in Loop: Header=BB171_381 Depth=2
	s_waitcnt lgkmcnt(0)
	v_bfe_i32 v12, v9, 0, 16
	s_delay_alu instid0(VALU_DEP_1) | instskip(NEXT) | instid1(VALU_DEP_1)
	v_add_nc_u32_e32 v12, 0x8000, v12
	v_and_b32_e32 v12, v12, v29
	s_delay_alu instid0(VALU_DEP_1)
	v_cmp_eq_u32_e32 vcc_lo, v12, v30
	s_and_b32 exec_lo, exec_lo, vcc_lo
	s_cbranch_execz .LBB171_380
; %bb.385:                              ;   in Loop: Header=BB171_381 Depth=2
	v_perm_b32 v9, v9, 1, 0x5040100
	ds_store_b32 v13, v9 offset:3072
	s_branch .LBB171_380
.LBB171_386:                            ;   in Loop: Header=BB171_12 Depth=1
                                        ; implicit-def: $vgpr4_vgpr5
	s_branch .LBB171_331
.LBB171_387:                            ;   in Loop: Header=BB171_12 Depth=1
                                        ; implicit-def: $vgpr4_vgpr5
	s_branch .LBB171_347
.LBB171_388:                            ;   in Loop: Header=BB171_12 Depth=1
	s_mov_b32 s14, -1
	s_mov_b32 s7, 0
                                        ; implicit-def: $sgpr15
                                        ; implicit-def: $vgpr31
	s_mov_b32 s66, s14
	s_cbranch_execnz .LBB171_391
	s_branch .LBB171_404
.LBB171_389:                            ;   in Loop: Header=BB171_12 Depth=1
	s_set_inst_prefetch_distance 0x2
	s_or_b32 exec_lo, exec_lo, s15
	v_lshrrev_b32_e32 v31, 16, v9
	s_and_b32 s7, s26, exec_lo
.LBB171_390:                            ;   in Loop: Header=BB171_12 Depth=1
	s_or_b32 exec_lo, exec_lo, s14
	s_mov_b32 s14, 0
	s_mov_b32 s15, -1
	s_mov_b32 s66, s14
	s_branch .LBB171_404
.LBB171_391:                            ;   in Loop: Header=BB171_12 Depth=1
	s_mov_b32 s26, s59
	s_delay_alu instid0(SALU_CYCLE_1)
	s_cmp_lg_u64 s[26:27], 0
	s_cbranch_scc0 .LBB171_424
; %bb.392:                              ;   in Loop: Header=BB171_12 Depth=1
	v_cvt_f32_u32_e32 v2, s49
	s_sub_u32 s9, 0, s49
	s_subb_u32 s14, 0, 0
	s_delay_alu instid0(VALU_DEP_1) | instskip(NEXT) | instid1(VALU_DEP_1)
	v_fmac_f32_e64 v2, 0, 0x4f800000
	v_rcp_f32_e32 v2, v2
	s_waitcnt_depctr 0xfff
	v_mul_f32_e32 v2, 0x5f7ffffc, v2
	s_delay_alu instid0(VALU_DEP_1) | instskip(NEXT) | instid1(VALU_DEP_1)
	v_mul_f32_e32 v3, 0x2f800000, v2
	v_trunc_f32_e32 v3, v3
	s_delay_alu instid0(VALU_DEP_1) | instskip(SKIP_1) | instid1(VALU_DEP_2)
	v_fmac_f32_e32 v2, 0xcf800000, v3
	v_cvt_u32_f32_e32 v3, v3
	v_cvt_u32_f32_e32 v2, v2
	s_delay_alu instid0(VALU_DEP_2) | instskip(NEXT) | instid1(VALU_DEP_2)
	v_readfirstlane_b32 s7, v3
	v_readfirstlane_b32 s8, v2
	s_delay_alu instid0(VALU_DEP_2) | instskip(NEXT) | instid1(VALU_DEP_1)
	s_mul_i32 s15, s9, s7
	s_mul_hi_u32 s66, s9, s8
	s_mul_i32 s26, s14, s8
	s_add_i32 s15, s66, s15
	s_mul_i32 s69, s9, s8
	s_add_i32 s15, s15, s26
	s_mul_hi_u32 s66, s8, s69
	s_mul_hi_u32 s70, s7, s69
	s_mul_i32 s26, s7, s69
	s_mul_hi_u32 s69, s8, s15
	s_mul_i32 s8, s8, s15
	s_mul_hi_u32 s71, s7, s15
	s_add_u32 s8, s66, s8
	s_addc_u32 s66, 0, s69
	s_add_u32 s8, s8, s26
	s_mul_i32 s15, s7, s15
	s_addc_u32 s8, s66, s70
	s_addc_u32 s26, s71, 0
	s_add_u32 s8, s8, s15
	s_addc_u32 s15, 0, s26
	v_add_co_u32 v2, s8, v2, s8
	s_delay_alu instid0(VALU_DEP_1) | instskip(SKIP_1) | instid1(VALU_DEP_1)
	s_cmp_lg_u32 s8, 0
	s_addc_u32 s7, s7, s15
	v_readfirstlane_b32 s8, v2
	s_mul_i32 s15, s9, s7
	s_delay_alu instid0(VALU_DEP_1)
	s_mul_hi_u32 s26, s9, s8
	s_mul_i32 s14, s14, s8
	s_add_i32 s15, s26, s15
	s_mul_i32 s9, s9, s8
	s_add_i32 s15, s15, s14
	s_mul_hi_u32 s26, s7, s9
	s_mul_i32 s66, s7, s9
	s_mul_hi_u32 s9, s8, s9
	s_mul_hi_u32 s69, s8, s15
	s_mul_i32 s8, s8, s15
	s_mul_hi_u32 s14, s7, s15
	s_add_u32 s8, s9, s8
	s_addc_u32 s9, 0, s69
	s_add_u32 s8, s8, s66
	s_mul_i32 s15, s7, s15
	s_addc_u32 s8, s9, s26
	s_addc_u32 s9, s14, 0
	s_add_u32 s8, s8, s15
	s_addc_u32 s9, 0, s9
	v_add_co_u32 v2, s8, v2, s8
	s_delay_alu instid0(VALU_DEP_1) | instskip(SKIP_1) | instid1(VALU_DEP_1)
	s_cmp_lg_u32 s8, 0
	s_addc_u32 s7, s7, s9
	v_readfirstlane_b32 s8, v2
	s_mul_i32 s14, s76, s7
	s_mul_hi_u32 s9, s76, s7
	s_mul_hi_u32 s15, s27, s7
	s_mul_i32 s7, s27, s7
	s_mul_hi_u32 s26, s76, s8
	s_mul_hi_u32 s66, s27, s8
	s_mul_i32 s8, s27, s8
	s_add_u32 s14, s26, s14
	s_addc_u32 s9, 0, s9
	s_add_u32 s8, s14, s8
	s_addc_u32 s8, s9, s66
	s_addc_u32 s9, s15, 0
	s_add_u32 s7, s8, s7
	s_addc_u32 s8, 0, s9
	s_mul_hi_u32 s9, s49, s7
	s_mul_i32 s7, s49, s7
	s_mul_i32 s8, s49, s8
	v_sub_co_u32 v2, s7, s76, s7
	s_add_i32 s9, s9, s8
	s_cmp_lg_u32 s7, 0
	s_delay_alu instid0(VALU_DEP_1) | instskip(SKIP_2) | instid1(VALU_DEP_1)
	v_sub_co_u32 v3, s7, v2, s49
	s_subb_u32 s8, s27, s9
	s_cmp_lg_u32 s7, 0
	v_cmp_le_u32_e32 vcc_lo, s49, v3
	v_sub_co_u32 v6, s7, v3, s49
	s_subb_u32 s9, s8, 0
	s_cmp_lg_u32 s7, 0
	v_cndmask_b32_e64 v7, 0, -1, vcc_lo
	s_subb_u32 s7, s9, 0
	s_cmp_eq_u32 s9, 0
	v_mov_b32_e32 v9, s7
	s_cselect_b32 vcc_lo, -1, 0
	s_cmp_eq_u32 s8, 0
	v_cndmask_b32_e32 v7, -1, v7, vcc_lo
	v_cmp_le_u32_e32 vcc_lo, s49, v2
	s_cselect_b32 s7, -1, 0
	v_cndmask_b32_e64 v8, 0, -1, vcc_lo
	s_delay_alu instid0(VALU_DEP_3) | instskip(NEXT) | instid1(VALU_DEP_2)
	v_cmp_ne_u32_e32 vcc_lo, 0, v7
	v_cndmask_b32_e64 v7, -1, v8, s7
	v_cndmask_b32_e32 v8, s9, v9, vcc_lo
	v_cndmask_b32_e32 v6, v3, v6, vcc_lo
	s_delay_alu instid0(VALU_DEP_3) | instskip(NEXT) | instid1(VALU_DEP_3)
	v_cmp_ne_u32_e32 vcc_lo, 0, v7
	v_cndmask_b32_e32 v3, s8, v8, vcc_lo
	s_delay_alu instid0(VALU_DEP_3)
	v_cndmask_b32_e32 v2, v2, v6, vcc_lo
	s_cbranch_execnz .LBB171_394
.LBB171_393:                            ;   in Loop: Header=BB171_12 Depth=1
	v_cvt_f32_u32_e32 v2, s49
	s_sub_i32 s7, 0, s49
	s_delay_alu instid0(VALU_DEP_1) | instskip(SKIP_2) | instid1(VALU_DEP_1)
	v_rcp_iflag_f32_e32 v2, v2
	s_waitcnt_depctr 0xfff
	v_mul_f32_e32 v2, 0x4f7ffffe, v2
	v_cvt_u32_f32_e32 v2, v2
	s_delay_alu instid0(VALU_DEP_1) | instskip(NEXT) | instid1(VALU_DEP_1)
	v_mul_lo_u32 v3, s7, v2
	v_mul_hi_u32 v3, v2, v3
	s_delay_alu instid0(VALU_DEP_1) | instskip(NEXT) | instid1(VALU_DEP_1)
	v_add_nc_u32_e32 v2, v2, v3
	v_mul_hi_u32 v2, s76, v2
	s_delay_alu instid0(VALU_DEP_1) | instskip(NEXT) | instid1(VALU_DEP_1)
	v_mul_lo_u32 v2, v2, s49
	v_sub_nc_u32_e32 v2, s76, v2
	s_delay_alu instid0(VALU_DEP_1) | instskip(SKIP_1) | instid1(VALU_DEP_2)
	v_subrev_nc_u32_e32 v3, s49, v2
	v_cmp_le_u32_e32 vcc_lo, s49, v2
	v_cndmask_b32_e32 v2, v2, v3, vcc_lo
	s_delay_alu instid0(VALU_DEP_1) | instskip(SKIP_1) | instid1(VALU_DEP_2)
	v_subrev_nc_u32_e32 v3, s49, v2
	v_cmp_le_u32_e32 vcc_lo, s49, v2
	v_cndmask_b32_e32 v12, v2, v3, vcc_lo
	s_delay_alu instid0(VALU_DEP_1)
	v_dual_mov_b32 v2, v12 :: v_dual_mov_b32 v3, v13
.LBB171_394:                            ;   in Loop: Header=BB171_12 Depth=1
	s_delay_alu instid0(VALU_DEP_1) | instskip(NEXT) | instid1(VALU_DEP_2)
	v_sub_co_u32 v2, vcc_lo, s76, v2
	v_sub_co_ci_u32_e32 v3, vcc_lo, s27, v3, vcc_lo
	s_mov_b32 s7, 0
	s_mov_b32 s8, exec_lo
                                        ; implicit-def: $vgpr31
	s_delay_alu instid0(VALU_DEP_1)
	v_cmpx_gt_u64_e64 v[2:3], v[0:1]
	s_cbranch_execz .LBB171_403
; %bb.395:                              ;   in Loop: Header=BB171_12 Depth=1
	v_dual_mov_b32 v7, v1 :: v_dual_mov_b32 v6, v0
	s_mov_b32 s9, 0
                                        ; implicit-def: $sgpr14
	s_branch .LBB171_397
.LBB171_396:                            ;   in Loop: Header=BB171_397 Depth=2
	s_or_b32 exec_lo, exec_lo, s7
	s_waitcnt vmcnt(0) lgkmcnt(0)
	s_barrier
	buffer_gl0_inv
	ds_load_b32 v8, v13 offset:3072
	v_add_co_u32 v6, vcc_lo, v6, s49
	v_add_co_ci_u32_e32 v7, vcc_lo, 0, v7, vcc_lo
	s_waitcnt lgkmcnt(0)
	s_barrier
	buffer_gl0_inv
	v_cmp_ge_u64_e32 vcc_lo, v[6:7], v[2:3]
	v_cmp_ne_u16_e64 s7, 0, v8
	s_delay_alu instid0(VALU_DEP_1) | instskip(NEXT) | instid1(SALU_CYCLE_1)
	s_or_b32 s15, vcc_lo, s7
	s_and_b32 s15, exec_lo, s15
	s_delay_alu instid0(SALU_CYCLE_1) | instskip(SKIP_2) | instid1(SALU_CYCLE_1)
	s_or_b32 s9, s15, s9
	s_and_not1_b32 s14, s14, exec_lo
	s_and_b32 s7, s7, exec_lo
	s_or_b32 s14, s14, s7
	s_and_not1_b32 exec_lo, exec_lo, s9
	s_cbranch_execz .LBB171_402
.LBB171_397:                            ;   Parent Loop BB171_12 Depth=1
                                        ; =>  This Inner Loop Header: Depth=2
	s_delay_alu instid0(VALU_DEP_1)
	v_cmp_gt_u64_e32 vcc_lo, s[36:37], v[6:7]
	v_mov_b32_e32 v8, 0
	s_and_saveexec_b32 s15, vcc_lo
	s_cbranch_execz .LBB171_399
; %bb.398:                              ;   in Loop: Header=BB171_397 Depth=2
	v_mul_lo_u32 v12, v7, s30
	v_mul_lo_u32 v16, v6, s31
	v_mad_u64_u32 v[8:9], null, v6, s30, 0
	s_delay_alu instid0(VALU_DEP_1) | instskip(NEXT) | instid1(VALU_DEP_1)
	v_add3_u32 v9, v9, v16, v12
	v_lshlrev_b64 v[8:9], 1, v[8:9]
	s_delay_alu instid0(VALU_DEP_1) | instskip(NEXT) | instid1(VALU_DEP_1)
	v_add_co_u32 v8, s7, s33, v8
	v_add_co_ci_u32_e64 v9, s7, s35, v9, s7
	global_load_u16 v8, v[8:9], off
.LBB171_399:                            ;   in Loop: Header=BB171_397 Depth=2
	s_or_b32 exec_lo, exec_lo, s15
	s_and_saveexec_b32 s7, vcc_lo
	s_cbranch_execz .LBB171_396
; %bb.400:                              ;   in Loop: Header=BB171_397 Depth=2
	s_waitcnt vmcnt(0)
	v_bfe_i32 v9, v8, 0, 16
	s_delay_alu instid0(VALU_DEP_1) | instskip(NEXT) | instid1(VALU_DEP_1)
	v_add_nc_u32_e32 v9, 0x8000, v9
	v_and_b32_e32 v9, v9, v29
	s_delay_alu instid0(VALU_DEP_1)
	v_cmp_eq_u32_e32 vcc_lo, v9, v30
	s_and_b32 exec_lo, exec_lo, vcc_lo
	s_cbranch_execz .LBB171_396
; %bb.401:                              ;   in Loop: Header=BB171_397 Depth=2
	v_perm_b32 v8, v8, 1, 0x5040100
	ds_store_b32 v13, v8 offset:3072
	s_branch .LBB171_396
.LBB171_402:                            ;   in Loop: Header=BB171_12 Depth=1
	s_or_b32 exec_lo, exec_lo, s9
	v_lshrrev_b32_e32 v31, 16, v8
	s_and_b32 s7, s14, exec_lo
.LBB171_403:                            ;   in Loop: Header=BB171_12 Depth=1
	s_or_b32 exec_lo, exec_lo, s8
	s_mov_b32 s15, 0
	s_mov_b32 s14, -1
	s_mov_b32 s66, 0
.LBB171_404:                            ;   in Loop: Header=BB171_12 Depth=1
	s_or_not1_b32 s7, s7, exec_lo
.LBB171_405:                            ;   in Loop: Header=BB171_12 Depth=1
	s_or_b32 exec_lo, exec_lo, s67
	s_mov_b32 s26, 0
                                        ; implicit-def: $vgpr6
	s_and_saveexec_b32 s67, s7
	s_cbranch_execz .LBB171_470
; %bb.406:                              ;   in Loop: Header=BB171_12 Depth=1
	v_mov_b32_e32 v2, 1
	v_dual_mov_b32 v3, 0 :: v_dual_mov_b32 v6, 1
	s_xor_b32 s8, s68, -1
	s_delay_alu instid0(SALU_CYCLE_1)
	s_and_saveexec_b32 s7, s8
	s_cbranch_execz .LBB171_416
; %bb.407:                              ;   in Loop: Header=BB171_12 Depth=1
	s_mov_b32 s9, exec_lo
                                        ; implicit-def: $sgpr26
                                        ; implicit-def: $sgpr8
	v_cmpx_ge_u64_e64 s[12:13], v[4:5]
	s_xor_b32 s9, exec_lo, s9
	s_cbranch_execz .LBB171_413
; %bb.408:                              ;   in Loop: Header=BB171_12 Depth=1
	ds_load_b64 v[2:3], v13 offset:5120
	s_waitcnt lgkmcnt(0)
	v_cmp_ne_u64_e32 vcc_lo, 0, v[2:3]
	s_cbranch_vccnz .LBB171_412
; %bb.409:                              ;   in Loop: Header=BB171_12 Depth=1
	s_and_saveexec_b32 s8, s5
	s_cbranch_execz .LBB171_411
; %bb.410:                              ;   in Loop: Header=BB171_12 Depth=1
	v_dual_mov_b32 v2, s12 :: v_dual_mov_b32 v3, s13
	ds_store_b64 v13, v[2:3] offset:5128
.LBB171_411:                            ;   in Loop: Header=BB171_12 Depth=1
	s_or_b32 exec_lo, exec_lo, s8
	s_waitcnt lgkmcnt(0)
	s_barrier
	buffer_gl0_inv
.LBB171_412:                            ;   in Loop: Header=BB171_12 Depth=1
	s_lshl_b32 s8, 1, s22
	v_or_b32_e32 v29, s20, v29
	v_and_or_b32 v30, v30, s21, s8
	s_mov_b32 s8, 0
	s_mov_b32 s26, 5
.LBB171_413:                            ;   in Loop: Header=BB171_12 Depth=1
	s_or_saveexec_b32 s9, s9
	v_mov_b32_e32 v6, s26
	s_xor_b32 exec_lo, exec_lo, s9
; %bb.414:                              ;   in Loop: Header=BB171_12 Depth=1
	v_sub_co_u32 v4, vcc_lo, v4, s12
	v_subrev_co_ci_u32_e32 v5, vcc_lo, s13, v5, vcc_lo
	v_mov_b32_e32 v6, 0
	s_or_b32 s8, s8, exec_lo
; %bb.415:                              ;   in Loop: Header=BB171_12 Depth=1
	s_or_b32 exec_lo, exec_lo, s9
	s_delay_alu instid0(VALU_DEP_2)
	v_dual_mov_b32 v2, v4 :: v_dual_mov_b32 v3, v5
	s_and_b32 s26, s8, exec_lo
.LBB171_416:                            ;   in Loop: Header=BB171_12 Depth=1
	s_or_b32 exec_lo, exec_lo, s7
	s_mov_b32 s12, -1
                                        ; implicit-def: $sgpr7
                                        ; implicit-def: $sgpr8
                                        ; implicit-def: $sgpr9
	s_and_saveexec_b32 s22, s26
	s_cbranch_execz .LBB171_469
; %bb.417:                              ;   in Loop: Header=BB171_12 Depth=1
	v_cmp_eq_u64_e32 vcc_lo, 1, v[2:3]
	s_cmp_eq_u64 s[10:11], 1
	s_mov_b32 s13, -1
	s_cselect_b32 s7, -1, 0
                                        ; implicit-def: $sgpr8
                                        ; implicit-def: $sgpr9
	s_delay_alu instid0(SALU_CYCLE_1) | instskip(NEXT) | instid1(SALU_CYCLE_1)
	s_and_b32 s68, s7, vcc_lo
                                        ; implicit-def: $sgpr7
	s_and_saveexec_b32 s69, s68
	s_cbranch_execz .LBB171_456
; %bb.418:                              ;   in Loop: Header=BB171_12 Depth=1
	ds_load_b64 v[4:5], v13 offset:5120
	s_waitcnt lgkmcnt(0)
	s_barrier
	buffer_gl0_inv
	v_readfirstlane_b32 s8, v4
	v_readfirstlane_b32 s9, v5
	s_and_saveexec_b32 s7, s6
	s_cbranch_execz .LBB171_420
; %bb.419:                              ;   in Loop: Header=BB171_12 Depth=1
	ds_store_b16 v26, v13
.LBB171_420:                            ;   in Loop: Header=BB171_12 Depth=1
	s_or_b32 exec_lo, exec_lo, s7
	v_and_b32_e32 v30, s21, v30
	v_or_b32_e32 v29, s20, v29
	s_cmp_eq_u64 s[8:9], 0
	s_waitcnt lgkmcnt(0)
	s_barrier
	buffer_gl0_inv
	s_cbranch_scc1 .LBB171_425
; %bb.421:                              ;   in Loop: Header=BB171_12 Depth=1
	s_add_u32 s26, s74, s8
	s_addc_u32 s13, s75, s9
	s_mov_b32 s12, s59
	s_delay_alu instid0(SALU_CYCLE_1)
	s_cmp_lg_u64 s[12:13], 0
	s_cbranch_scc0 .LBB171_426
; %bb.422:                              ;   in Loop: Header=BB171_12 Depth=1
	v_cvt_f32_u32_e32 v4, s49
	s_sub_u32 s70, 0, s49
	s_subb_u32 s71, 0, 0
	s_delay_alu instid0(VALU_DEP_1) | instskip(NEXT) | instid1(VALU_DEP_1)
	v_fmac_f32_e64 v4, 0, 0x4f800000
	v_rcp_f32_e32 v4, v4
	s_waitcnt_depctr 0xfff
	v_mul_f32_e32 v4, 0x5f7ffffc, v4
	s_delay_alu instid0(VALU_DEP_1) | instskip(NEXT) | instid1(VALU_DEP_1)
	v_mul_f32_e32 v5, 0x2f800000, v4
	v_trunc_f32_e32 v5, v5
	s_delay_alu instid0(VALU_DEP_1) | instskip(SKIP_1) | instid1(VALU_DEP_2)
	v_fmac_f32_e32 v4, 0xcf800000, v5
	v_cvt_u32_f32_e32 v5, v5
	v_cvt_u32_f32_e32 v4, v4
	s_delay_alu instid0(VALU_DEP_2) | instskip(NEXT) | instid1(VALU_DEP_2)
	v_readfirstlane_b32 s7, v5
	v_readfirstlane_b32 s12, v4
	s_delay_alu instid0(VALU_DEP_2) | instskip(NEXT) | instid1(VALU_DEP_1)
	s_mul_i32 s96, s70, s7
	s_mul_hi_u32 s98, s70, s12
	s_mul_i32 s97, s71, s12
	s_add_i32 s96, s98, s96
	s_mul_i32 s99, s70, s12
	s_add_i32 s96, s96, s97
	s_mul_hi_u32 s98, s12, s99
	s_mul_hi_u32 s100, s7, s99
	s_mul_i32 s97, s7, s99
	s_mul_hi_u32 s99, s12, s96
	s_mul_i32 s12, s12, s96
	s_mul_hi_u32 s101, s7, s96
	s_add_u32 s12, s98, s12
	s_addc_u32 s98, 0, s99
	s_add_u32 s12, s12, s97
	s_mul_i32 s96, s7, s96
	s_addc_u32 s12, s98, s100
	s_addc_u32 s97, s101, 0
	s_add_u32 s12, s12, s96
	s_addc_u32 s96, 0, s97
	v_add_co_u32 v4, s12, v4, s12
	s_delay_alu instid0(VALU_DEP_1) | instskip(SKIP_1) | instid1(VALU_DEP_1)
	s_cmp_lg_u32 s12, 0
	s_addc_u32 s7, s7, s96
	v_readfirstlane_b32 s12, v4
	s_mul_i32 s96, s70, s7
	s_delay_alu instid0(VALU_DEP_1)
	s_mul_hi_u32 s97, s70, s12
	s_mul_i32 s71, s71, s12
	s_add_i32 s96, s97, s96
	s_mul_i32 s70, s70, s12
	s_add_i32 s96, s96, s71
	s_mul_hi_u32 s97, s7, s70
	s_mul_i32 s98, s7, s70
	s_mul_hi_u32 s70, s12, s70
	s_mul_hi_u32 s99, s12, s96
	s_mul_i32 s12, s12, s96
	s_mul_hi_u32 s71, s7, s96
	s_add_u32 s12, s70, s12
	s_addc_u32 s70, 0, s99
	s_add_u32 s12, s12, s98
	s_mul_i32 s96, s7, s96
	s_addc_u32 s12, s70, s97
	s_addc_u32 s70, s71, 0
	s_add_u32 s12, s12, s96
	s_addc_u32 s70, 0, s70
	v_add_co_u32 v4, s12, v4, s12
	s_delay_alu instid0(VALU_DEP_1) | instskip(SKIP_1) | instid1(VALU_DEP_1)
	s_cmp_lg_u32 s12, 0
	s_addc_u32 s7, s7, s70
	v_readfirstlane_b32 s12, v4
	s_mul_i32 s71, s26, s7
	s_mul_hi_u32 s70, s26, s7
	s_mul_hi_u32 s96, s13, s7
	s_mul_i32 s7, s13, s7
	s_mul_hi_u32 s97, s26, s12
	s_mul_hi_u32 s98, s13, s12
	s_mul_i32 s12, s13, s12
	s_add_u32 s71, s97, s71
	s_addc_u32 s70, 0, s70
	s_add_u32 s12, s71, s12
	s_addc_u32 s12, s70, s98
	s_addc_u32 s70, s96, 0
	s_add_u32 s7, s12, s7
	s_addc_u32 s12, 0, s70
	s_mul_hi_u32 s70, s49, s7
	s_mul_i32 s7, s49, s7
	s_mul_i32 s12, s49, s12
	v_sub_co_u32 v4, s7, s26, s7
	s_add_i32 s70, s70, s12
	s_cmp_lg_u32 s7, 0
	s_delay_alu instid0(VALU_DEP_1) | instskip(SKIP_2) | instid1(VALU_DEP_1)
	v_sub_co_u32 v5, s7, v4, s49
	s_subb_u32 s12, s13, s70
	s_cmp_lg_u32 s7, 0
	v_cmp_le_u32_e32 vcc_lo, s49, v5
	v_sub_co_u32 v6, s7, v5, s49
	s_subb_u32 s70, s12, 0
	s_cmp_lg_u32 s7, 0
	v_cndmask_b32_e64 v7, 0, -1, vcc_lo
	s_subb_u32 s7, s70, 0
	s_cmp_eq_u32 s70, 0
	v_mov_b32_e32 v9, s7
	s_cselect_b32 vcc_lo, -1, 0
	s_cmp_eq_u32 s12, 0
	v_cndmask_b32_e32 v7, -1, v7, vcc_lo
	v_cmp_le_u32_e32 vcc_lo, s49, v4
	s_cselect_b32 s7, -1, 0
	v_cndmask_b32_e64 v8, 0, -1, vcc_lo
	s_delay_alu instid0(VALU_DEP_3) | instskip(NEXT) | instid1(VALU_DEP_2)
	v_cmp_ne_u32_e32 vcc_lo, 0, v7
	v_cndmask_b32_e64 v7, -1, v8, s7
	v_cndmask_b32_e32 v8, s70, v9, vcc_lo
	v_cndmask_b32_e32 v6, v5, v6, vcc_lo
	s_mov_b32 s7, 0
	s_delay_alu instid0(VALU_DEP_3) | instskip(NEXT) | instid1(VALU_DEP_3)
	v_cmp_ne_u32_e32 vcc_lo, 0, v7
	v_cndmask_b32_e32 v5, s12, v8, vcc_lo
	s_delay_alu instid0(VALU_DEP_3)
	v_cndmask_b32_e32 v4, v4, v6, vcc_lo
	s_branch .LBB171_427
.LBB171_423:                            ;   in Loop: Header=BB171_12 Depth=1
                                        ; implicit-def: $vgpr2_vgpr3
	s_branch .LBB171_377
.LBB171_424:                            ;   in Loop: Header=BB171_12 Depth=1
                                        ; implicit-def: $vgpr2_vgpr3
	s_branch .LBB171_393
.LBB171_425:                            ;   in Loop: Header=BB171_12 Depth=1
	s_mov_b32 s7, -1
	s_mov_b32 s12, 0
                                        ; implicit-def: $sgpr8
                                        ; implicit-def: $vgpr31
	s_branch .LBB171_439
.LBB171_426:                            ;   in Loop: Header=BB171_12 Depth=1
	s_mov_b32 s7, -1
                                        ; implicit-def: $vgpr4_vgpr5
.LBB171_427:                            ;   in Loop: Header=BB171_12 Depth=1
	s_delay_alu instid0(SALU_CYCLE_1)
	s_and_not1_b32 vcc_lo, exec_lo, s7
	s_cbranch_vccnz .LBB171_429
; %bb.428:                              ;   in Loop: Header=BB171_12 Depth=1
	v_cvt_f32_u32_e32 v4, s49
	s_sub_i32 s7, 0, s49
	s_delay_alu instid0(VALU_DEP_1) | instskip(SKIP_2) | instid1(VALU_DEP_1)
	v_rcp_iflag_f32_e32 v4, v4
	s_waitcnt_depctr 0xfff
	v_mul_f32_e32 v4, 0x4f7ffffe, v4
	v_cvt_u32_f32_e32 v4, v4
	s_delay_alu instid0(VALU_DEP_1) | instskip(NEXT) | instid1(VALU_DEP_1)
	v_mul_lo_u32 v5, s7, v4
	v_mul_hi_u32 v5, v4, v5
	s_delay_alu instid0(VALU_DEP_1) | instskip(NEXT) | instid1(VALU_DEP_1)
	v_add_nc_u32_e32 v4, v4, v5
	v_mul_hi_u32 v4, s26, v4
	s_delay_alu instid0(VALU_DEP_1) | instskip(NEXT) | instid1(VALU_DEP_1)
	v_mul_lo_u32 v4, v4, s49
	v_sub_nc_u32_e32 v4, s26, v4
	s_delay_alu instid0(VALU_DEP_1) | instskip(SKIP_1) | instid1(VALU_DEP_2)
	v_subrev_nc_u32_e32 v5, s49, v4
	v_cmp_le_u32_e32 vcc_lo, s49, v4
	v_cndmask_b32_e32 v4, v4, v5, vcc_lo
	s_delay_alu instid0(VALU_DEP_1) | instskip(SKIP_1) | instid1(VALU_DEP_2)
	v_subrev_nc_u32_e32 v5, s49, v4
	v_cmp_le_u32_e32 vcc_lo, s49, v4
	v_cndmask_b32_e32 v12, v4, v5, vcc_lo
	s_delay_alu instid0(VALU_DEP_1)
	v_dual_mov_b32 v4, v12 :: v_dual_mov_b32 v5, v13
.LBB171_429:                            ;   in Loop: Header=BB171_12 Depth=1
	s_delay_alu instid0(VALU_DEP_1) | instskip(NEXT) | instid1(VALU_DEP_2)
	v_sub_co_u32 v4, vcc_lo, s26, v4
	v_sub_co_ci_u32_e32 v5, vcc_lo, s13, v5, vcc_lo
	s_mov_b32 s12, 0
	s_mov_b32 s13, exec_lo
                                        ; implicit-def: $vgpr31
	s_delay_alu instid0(VALU_DEP_1)
	v_cmpx_gt_u64_e64 v[4:5], v[0:1]
	s_cbranch_execz .LBB171_438
; %bb.430:                              ;   in Loop: Header=BB171_12 Depth=1
	v_mov_b32_e32 v8, v25
	v_dual_mov_b32 v7, v1 :: v_dual_mov_b32 v6, v0
                                        ; implicit-def: $sgpr26
	s_set_inst_prefetch_distance 0x1
	s_branch .LBB171_432
	.p2align	6
.LBB171_431:                            ;   in Loop: Header=BB171_432 Depth=2
	s_or_b32 exec_lo, exec_lo, s7
	s_waitcnt lgkmcnt(0)
	s_barrier
	buffer_gl0_inv
	ds_load_b32 v9, v13 offset:3072
	v_add_co_u32 v6, vcc_lo, v6, s49
	v_add_co_ci_u32_e32 v7, vcc_lo, 0, v7, vcc_lo
	v_add_nc_u32_e32 v8, s82, v8
	s_waitcnt lgkmcnt(0)
	s_barrier
	s_delay_alu instid0(VALU_DEP_2) | instskip(SKIP_2) | instid1(VALU_DEP_1)
	v_cmp_ge_u64_e32 vcc_lo, v[6:7], v[4:5]
	buffer_gl0_inv
	v_cmp_ne_u16_e64 s7, 0, v9
	s_or_b32 s70, vcc_lo, s7
	s_delay_alu instid0(SALU_CYCLE_1) | instskip(NEXT) | instid1(SALU_CYCLE_1)
	s_and_b32 s70, exec_lo, s70
	s_or_b32 s12, s70, s12
	s_and_not1_b32 s26, s26, exec_lo
	s_and_b32 s7, s7, exec_lo
	s_delay_alu instid0(SALU_CYCLE_1)
	s_or_b32 s26, s26, s7
	s_and_not1_b32 exec_lo, exec_lo, s12
	s_cbranch_execz .LBB171_437
.LBB171_432:                            ;   Parent Loop BB171_12 Depth=1
                                        ; =>  This Inner Loop Header: Depth=2
	s_delay_alu instid0(VALU_DEP_1)
	v_cmp_gt_u64_e32 vcc_lo, s[8:9], v[6:7]
	v_mov_b32_e32 v9, 0
	s_and_saveexec_b32 s7, vcc_lo
	s_cbranch_execz .LBB171_434
; %bb.433:                              ;   in Loop: Header=BB171_432 Depth=2
	ds_load_u16 v9, v8
.LBB171_434:                            ;   in Loop: Header=BB171_432 Depth=2
	s_or_b32 exec_lo, exec_lo, s7
	s_and_saveexec_b32 s7, vcc_lo
	s_cbranch_execz .LBB171_431
; %bb.435:                              ;   in Loop: Header=BB171_432 Depth=2
	s_waitcnt lgkmcnt(0)
	v_bfe_i32 v12, v9, 0, 16
	s_delay_alu instid0(VALU_DEP_1) | instskip(NEXT) | instid1(VALU_DEP_1)
	v_add_nc_u32_e32 v12, 0x8000, v12
	v_and_b32_e32 v12, v12, v29
	s_delay_alu instid0(VALU_DEP_1)
	v_cmp_eq_u32_e32 vcc_lo, v12, v30
	s_and_b32 exec_lo, exec_lo, vcc_lo
	s_cbranch_execz .LBB171_431
; %bb.436:                              ;   in Loop: Header=BB171_432 Depth=2
	v_perm_b32 v9, v9, 1, 0x5040100
	ds_store_b32 v13, v9 offset:3072
	s_branch .LBB171_431
.LBB171_437:                            ;   in Loop: Header=BB171_12 Depth=1
	s_set_inst_prefetch_distance 0x2
	s_or_b32 exec_lo, exec_lo, s12
	v_lshrrev_b32_e32 v31, 16, v9
	s_and_b32 s12, s26, exec_lo
.LBB171_438:                            ;   in Loop: Header=BB171_12 Depth=1
	s_or_b32 exec_lo, exec_lo, s13
	s_mov_b32 s7, 0
	s_mov_b32 s8, -1
.LBB171_439:                            ;   in Loop: Header=BB171_12 Depth=1
	s_and_b32 vcc_lo, exec_lo, s7
	s_mov_b32 s9, s7
	s_cbranch_vccz .LBB171_455
; %bb.440:                              ;   in Loop: Header=BB171_12 Depth=1
	s_mov_b32 s26, s59
	s_delay_alu instid0(SALU_CYCLE_1)
	s_cmp_lg_u64 s[26:27], 0
	s_cbranch_scc0 .LBB171_442
; %bb.441:                              ;   in Loop: Header=BB171_12 Depth=1
	v_cvt_f32_u32_e32 v4, s49
	s_sub_u32 s9, 0, s49
	s_subb_u32 s12, 0, 0
	s_delay_alu instid0(VALU_DEP_1) | instskip(NEXT) | instid1(VALU_DEP_1)
	v_fmac_f32_e64 v4, 0, 0x4f800000
	v_rcp_f32_e32 v4, v4
	s_waitcnt_depctr 0xfff
	v_mul_f32_e32 v4, 0x5f7ffffc, v4
	s_delay_alu instid0(VALU_DEP_1) | instskip(NEXT) | instid1(VALU_DEP_1)
	v_mul_f32_e32 v5, 0x2f800000, v4
	v_trunc_f32_e32 v5, v5
	s_delay_alu instid0(VALU_DEP_1) | instskip(SKIP_1) | instid1(VALU_DEP_2)
	v_fmac_f32_e32 v4, 0xcf800000, v5
	v_cvt_u32_f32_e32 v5, v5
	v_cvt_u32_f32_e32 v4, v4
	s_delay_alu instid0(VALU_DEP_2) | instskip(NEXT) | instid1(VALU_DEP_2)
	v_readfirstlane_b32 s7, v5
	v_readfirstlane_b32 s8, v4
	s_delay_alu instid0(VALU_DEP_2) | instskip(NEXT) | instid1(VALU_DEP_1)
	s_mul_i32 s13, s9, s7
	s_mul_hi_u32 s70, s9, s8
	s_mul_i32 s26, s12, s8
	s_add_i32 s13, s70, s13
	s_mul_i32 s71, s9, s8
	s_add_i32 s13, s13, s26
	s_mul_hi_u32 s70, s8, s71
	s_mul_hi_u32 s96, s7, s71
	s_mul_i32 s26, s7, s71
	s_mul_hi_u32 s71, s8, s13
	s_mul_i32 s8, s8, s13
	s_mul_hi_u32 s97, s7, s13
	s_add_u32 s8, s70, s8
	s_addc_u32 s70, 0, s71
	s_add_u32 s8, s8, s26
	s_mul_i32 s13, s7, s13
	s_addc_u32 s8, s70, s96
	s_addc_u32 s26, s97, 0
	s_add_u32 s8, s8, s13
	s_addc_u32 s13, 0, s26
	v_add_co_u32 v4, s8, v4, s8
	s_delay_alu instid0(VALU_DEP_1) | instskip(SKIP_1) | instid1(VALU_DEP_1)
	s_cmp_lg_u32 s8, 0
	s_addc_u32 s7, s7, s13
	v_readfirstlane_b32 s8, v4
	s_mul_i32 s13, s9, s7
	s_delay_alu instid0(VALU_DEP_1)
	s_mul_hi_u32 s26, s9, s8
	s_mul_i32 s12, s12, s8
	s_add_i32 s13, s26, s13
	s_mul_i32 s9, s9, s8
	s_add_i32 s13, s13, s12
	s_mul_hi_u32 s26, s7, s9
	s_mul_i32 s70, s7, s9
	s_mul_hi_u32 s9, s8, s9
	s_mul_hi_u32 s71, s8, s13
	s_mul_i32 s8, s8, s13
	s_mul_hi_u32 s12, s7, s13
	s_add_u32 s8, s9, s8
	s_addc_u32 s9, 0, s71
	s_add_u32 s8, s8, s70
	s_mul_i32 s13, s7, s13
	s_addc_u32 s8, s9, s26
	s_addc_u32 s9, s12, 0
	s_add_u32 s8, s8, s13
	s_addc_u32 s9, 0, s9
	v_add_co_u32 v4, s8, v4, s8
	s_delay_alu instid0(VALU_DEP_1) | instskip(SKIP_1) | instid1(VALU_DEP_1)
	s_cmp_lg_u32 s8, 0
	s_addc_u32 s7, s7, s9
	v_readfirstlane_b32 s8, v4
	s_mul_i32 s12, s76, s7
	s_mul_hi_u32 s9, s76, s7
	s_mul_hi_u32 s13, s27, s7
	s_mul_i32 s7, s27, s7
	s_mul_hi_u32 s26, s76, s8
	s_mul_hi_u32 s70, s27, s8
	s_mul_i32 s8, s27, s8
	s_add_u32 s12, s26, s12
	s_addc_u32 s9, 0, s9
	s_add_u32 s8, s12, s8
	s_addc_u32 s8, s9, s70
	s_addc_u32 s9, s13, 0
	s_add_u32 s7, s8, s7
	s_addc_u32 s8, 0, s9
	s_mul_hi_u32 s9, s49, s7
	s_mul_i32 s7, s49, s7
	s_mul_i32 s8, s49, s8
	v_sub_co_u32 v4, s7, s76, s7
	s_add_i32 s9, s9, s8
	s_cmp_lg_u32 s7, 0
	s_delay_alu instid0(VALU_DEP_1) | instskip(SKIP_2) | instid1(VALU_DEP_1)
	v_sub_co_u32 v5, s7, v4, s49
	s_subb_u32 s8, s27, s9
	s_cmp_lg_u32 s7, 0
	v_cmp_le_u32_e32 vcc_lo, s49, v5
	v_sub_co_u32 v6, s7, v5, s49
	s_subb_u32 s9, s8, 0
	s_cmp_lg_u32 s7, 0
	v_cndmask_b32_e64 v7, 0, -1, vcc_lo
	s_subb_u32 s7, s9, 0
	s_cmp_eq_u32 s9, 0
	v_mov_b32_e32 v9, s7
	s_cselect_b32 vcc_lo, -1, 0
	s_cmp_eq_u32 s8, 0
	v_cndmask_b32_e32 v7, -1, v7, vcc_lo
	v_cmp_le_u32_e32 vcc_lo, s49, v4
	s_cselect_b32 s7, -1, 0
	v_cndmask_b32_e64 v8, 0, -1, vcc_lo
	s_delay_alu instid0(VALU_DEP_3) | instskip(NEXT) | instid1(VALU_DEP_2)
	v_cmp_ne_u32_e32 vcc_lo, 0, v7
	v_cndmask_b32_e64 v7, -1, v8, s7
	v_cndmask_b32_e32 v8, s9, v9, vcc_lo
	v_cndmask_b32_e32 v6, v5, v6, vcc_lo
	s_mov_b32 s7, 0
	s_delay_alu instid0(VALU_DEP_3) | instskip(NEXT) | instid1(VALU_DEP_3)
	v_cmp_ne_u32_e32 vcc_lo, 0, v7
	v_cndmask_b32_e32 v5, s8, v8, vcc_lo
	s_delay_alu instid0(VALU_DEP_3)
	v_cndmask_b32_e32 v4, v4, v6, vcc_lo
	s_branch .LBB171_443
.LBB171_442:                            ;   in Loop: Header=BB171_12 Depth=1
	s_mov_b32 s7, -1
                                        ; implicit-def: $vgpr4_vgpr5
.LBB171_443:                            ;   in Loop: Header=BB171_12 Depth=1
	s_delay_alu instid0(SALU_CYCLE_1)
	s_and_not1_b32 vcc_lo, exec_lo, s7
	s_cbranch_vccnz .LBB171_445
; %bb.444:                              ;   in Loop: Header=BB171_12 Depth=1
	v_cvt_f32_u32_e32 v4, s49
	s_sub_i32 s7, 0, s49
	s_delay_alu instid0(VALU_DEP_1) | instskip(SKIP_2) | instid1(VALU_DEP_1)
	v_rcp_iflag_f32_e32 v4, v4
	s_waitcnt_depctr 0xfff
	v_mul_f32_e32 v4, 0x4f7ffffe, v4
	v_cvt_u32_f32_e32 v4, v4
	s_delay_alu instid0(VALU_DEP_1) | instskip(NEXT) | instid1(VALU_DEP_1)
	v_mul_lo_u32 v5, s7, v4
	v_mul_hi_u32 v5, v4, v5
	s_delay_alu instid0(VALU_DEP_1) | instskip(NEXT) | instid1(VALU_DEP_1)
	v_add_nc_u32_e32 v4, v4, v5
	v_mul_hi_u32 v4, s76, v4
	s_delay_alu instid0(VALU_DEP_1) | instskip(NEXT) | instid1(VALU_DEP_1)
	v_mul_lo_u32 v4, v4, s49
	v_sub_nc_u32_e32 v4, s76, v4
	s_delay_alu instid0(VALU_DEP_1) | instskip(SKIP_1) | instid1(VALU_DEP_2)
	v_subrev_nc_u32_e32 v5, s49, v4
	v_cmp_le_u32_e32 vcc_lo, s49, v4
	v_cndmask_b32_e32 v4, v4, v5, vcc_lo
	s_delay_alu instid0(VALU_DEP_1) | instskip(SKIP_1) | instid1(VALU_DEP_2)
	v_subrev_nc_u32_e32 v5, s49, v4
	v_cmp_le_u32_e32 vcc_lo, s49, v4
	v_cndmask_b32_e32 v12, v4, v5, vcc_lo
	s_delay_alu instid0(VALU_DEP_1)
	v_dual_mov_b32 v4, v12 :: v_dual_mov_b32 v5, v13
.LBB171_445:                            ;   in Loop: Header=BB171_12 Depth=1
	s_delay_alu instid0(VALU_DEP_1) | instskip(NEXT) | instid1(VALU_DEP_2)
	v_sub_co_u32 v4, vcc_lo, s76, v4
	v_sub_co_ci_u32_e32 v5, vcc_lo, s27, v5, vcc_lo
	s_mov_b32 s12, 0
	s_mov_b32 s8, exec_lo
                                        ; implicit-def: $vgpr31
	s_delay_alu instid0(VALU_DEP_1)
	v_cmpx_gt_u64_e64 v[4:5], v[0:1]
	s_cbranch_execz .LBB171_454
; %bb.446:                              ;   in Loop: Header=BB171_12 Depth=1
	v_dual_mov_b32 v7, v1 :: v_dual_mov_b32 v6, v0
	s_mov_b32 s9, 0
                                        ; implicit-def: $sgpr12
	s_branch .LBB171_448
.LBB171_447:                            ;   in Loop: Header=BB171_448 Depth=2
	s_or_b32 exec_lo, exec_lo, s7
	s_waitcnt vmcnt(0) lgkmcnt(0)
	s_barrier
	buffer_gl0_inv
	ds_load_b32 v8, v13 offset:3072
	v_add_co_u32 v6, vcc_lo, v6, s49
	v_add_co_ci_u32_e32 v7, vcc_lo, 0, v7, vcc_lo
	s_waitcnt lgkmcnt(0)
	s_barrier
	buffer_gl0_inv
	v_cmp_ge_u64_e32 vcc_lo, v[6:7], v[4:5]
	v_cmp_ne_u16_e64 s7, 0, v8
	s_delay_alu instid0(VALU_DEP_1) | instskip(NEXT) | instid1(SALU_CYCLE_1)
	s_or_b32 s13, vcc_lo, s7
	s_and_b32 s13, exec_lo, s13
	s_delay_alu instid0(SALU_CYCLE_1) | instskip(SKIP_2) | instid1(SALU_CYCLE_1)
	s_or_b32 s9, s13, s9
	s_and_not1_b32 s12, s12, exec_lo
	s_and_b32 s7, s7, exec_lo
	s_or_b32 s12, s12, s7
	s_and_not1_b32 exec_lo, exec_lo, s9
	s_cbranch_execz .LBB171_453
.LBB171_448:                            ;   Parent Loop BB171_12 Depth=1
                                        ; =>  This Inner Loop Header: Depth=2
	s_delay_alu instid0(VALU_DEP_1)
	v_cmp_gt_u64_e32 vcc_lo, s[36:37], v[6:7]
	v_mov_b32_e32 v8, 0
	s_and_saveexec_b32 s13, vcc_lo
	s_cbranch_execz .LBB171_450
; %bb.449:                              ;   in Loop: Header=BB171_448 Depth=2
	v_mul_lo_u32 v12, v7, s30
	v_mul_lo_u32 v16, v6, s31
	v_mad_u64_u32 v[8:9], null, v6, s30, 0
	s_delay_alu instid0(VALU_DEP_1) | instskip(NEXT) | instid1(VALU_DEP_1)
	v_add3_u32 v9, v9, v16, v12
	v_lshlrev_b64 v[8:9], 1, v[8:9]
	s_delay_alu instid0(VALU_DEP_1) | instskip(NEXT) | instid1(VALU_DEP_1)
	v_add_co_u32 v8, s7, s33, v8
	v_add_co_ci_u32_e64 v9, s7, s35, v9, s7
	global_load_u16 v8, v[8:9], off
.LBB171_450:                            ;   in Loop: Header=BB171_448 Depth=2
	s_or_b32 exec_lo, exec_lo, s13
	s_and_saveexec_b32 s7, vcc_lo
	s_cbranch_execz .LBB171_447
; %bb.451:                              ;   in Loop: Header=BB171_448 Depth=2
	s_waitcnt vmcnt(0)
	v_bfe_i32 v9, v8, 0, 16
	s_delay_alu instid0(VALU_DEP_1) | instskip(NEXT) | instid1(VALU_DEP_1)
	v_add_nc_u32_e32 v9, 0x8000, v9
	v_and_b32_e32 v9, v9, v29
	s_delay_alu instid0(VALU_DEP_1)
	v_cmp_eq_u32_e32 vcc_lo, v9, v30
	s_and_b32 exec_lo, exec_lo, vcc_lo
	s_cbranch_execz .LBB171_447
; %bb.452:                              ;   in Loop: Header=BB171_448 Depth=2
	v_perm_b32 v8, v8, 1, 0x5040100
	ds_store_b32 v13, v8 offset:3072
	s_branch .LBB171_447
.LBB171_453:                            ;   in Loop: Header=BB171_12 Depth=1
	s_or_b32 exec_lo, exec_lo, s9
	v_lshrrev_b32_e32 v31, 16, v8
	s_and_b32 s12, s12, exec_lo
.LBB171_454:                            ;   in Loop: Header=BB171_12 Depth=1
	s_or_b32 exec_lo, exec_lo, s8
	s_mov_b32 s8, 0
	s_mov_b32 s7, -1
	s_mov_b32 s9, 0
.LBB171_455:                            ;   in Loop: Header=BB171_12 Depth=1
	s_or_not1_b32 s13, s12, exec_lo
.LBB171_456:                            ;   in Loop: Header=BB171_12 Depth=1
	s_or_b32 exec_lo, exec_lo, s69
	s_mov_b32 s26, 0
                                        ; implicit-def: $vgpr6
                                        ; implicit-def: $vgpr4_vgpr5
	s_and_saveexec_b32 s12, s13
	s_cbranch_execz .LBB171_468
; %bb.457:                              ;   in Loop: Header=BB171_12 Depth=1
	v_mov_b32_e32 v4, 1
	v_dual_mov_b32 v5, 0 :: v_dual_mov_b32 v6, 1
	s_xor_b32 s26, s68, -1
	s_delay_alu instid0(SALU_CYCLE_1)
	s_and_saveexec_b32 s13, s26
	s_cbranch_execz .LBB171_467
; %bb.458:                              ;   in Loop: Header=BB171_12 Depth=1
	s_mov_b32 s26, exec_lo
                                        ; implicit-def: $sgpr68
	v_cmpx_ge_u64_e64 s[10:11], v[2:3]
	s_xor_b32 s26, exec_lo, s26
	s_cbranch_execz .LBB171_464
; %bb.459:                              ;   in Loop: Header=BB171_12 Depth=1
	ds_load_b64 v[4:5], v13 offset:5120
	s_waitcnt lgkmcnt(0)
	v_cmp_ne_u64_e32 vcc_lo, 0, v[4:5]
	s_cbranch_vccnz .LBB171_463
; %bb.460:                              ;   in Loop: Header=BB171_12 Depth=1
	s_and_saveexec_b32 s68, s5
	s_cbranch_execz .LBB171_462
; %bb.461:                              ;   in Loop: Header=BB171_12 Depth=1
	v_dual_mov_b32 v4, s10 :: v_dual_mov_b32 v5, s11
	ds_store_b64 v13, v[4:5] offset:5128
.LBB171_462:                            ;   in Loop: Header=BB171_12 Depth=1
	s_or_b32 exec_lo, exec_lo, s68
	s_waitcnt lgkmcnt(0)
	s_barrier
	buffer_gl0_inv
.LBB171_463:                            ;   in Loop: Header=BB171_12 Depth=1
	v_and_b32_e32 v30, s21, v30
	v_or_b32_e32 v29, s20, v29
	s_mov_b32 s68, 5
.LBB171_464:                            ;   in Loop: Header=BB171_12 Depth=1
	s_or_saveexec_b32 s20, s26
	v_mov_b32_e32 v6, s68
	s_xor_b32 exec_lo, exec_lo, s20
; %bb.465:                              ;   in Loop: Header=BB171_12 Depth=1
	v_sub_co_u32 v2, vcc_lo, v2, s10
	v_subrev_co_ci_u32_e32 v3, vcc_lo, s11, v3, vcc_lo
	v_mov_b32_e32 v6, 5
; %bb.466:                              ;   in Loop: Header=BB171_12 Depth=1
	s_or_b32 exec_lo, exec_lo, s20
	s_delay_alu instid0(VALU_DEP_2)
	v_dual_mov_b32 v5, v3 :: v_dual_mov_b32 v4, v2
.LBB171_467:                            ;   in Loop: Header=BB171_12 Depth=1
	s_or_b32 exec_lo, exec_lo, s13
	s_delay_alu instid0(SALU_CYCLE_1)
	s_mov_b32 s26, exec_lo
.LBB171_468:                            ;   in Loop: Header=BB171_12 Depth=1
	s_or_b32 exec_lo, exec_lo, s12
	s_delay_alu instid0(VALU_DEP_1)
	v_dual_mov_b32 v2, v4 :: v_dual_mov_b32 v3, v5
	s_or_not1_b32 s12, s26, exec_lo
.LBB171_469:                            ;   in Loop: Header=BB171_12 Depth=1
	s_or_b32 exec_lo, exec_lo, s22
	s_delay_alu instid0(SALU_CYCLE_1)
	s_and_not1_b32 s10, s14, exec_lo
	s_and_b32 s7, s7, exec_lo
	s_and_b32 s8, s8, exec_lo
	s_or_b32 s14, s10, s7
	s_and_not1_b32 s7, s15, exec_lo
	s_and_not1_b32 s10, s66, exec_lo
	s_and_b32 s9, s9, exec_lo
	v_dual_mov_b32 v5, v3 :: v_dual_mov_b32 v4, v2
	s_or_b32 s15, s7, s8
	s_or_b32 s66, s10, s9
	s_and_b32 s26, s12, exec_lo
.LBB171_470:                            ;   in Loop: Header=BB171_12 Depth=1
	s_or_b32 exec_lo, exec_lo, s67
	s_delay_alu instid0(SALU_CYCLE_1)
	s_and_b32 s14, s14, exec_lo
	s_and_b32 s9, s15, exec_lo
	;; [unrolled: 1-line block ×3, first 2 shown]
	s_or_not1_b32 s7, s26, exec_lo
.LBB171_471:                            ;   in Loop: Header=BB171_12 Depth=1
	s_or_b32 exec_lo, exec_lo, s65
	s_delay_alu instid0(SALU_CYCLE_1)
	s_and_not1_b32 s10, s16, exec_lo
	s_and_b32 s11, s14, exec_lo
	s_and_b32 s9, s9, exec_lo
	s_or_b32 s16, s10, s11
	s_and_not1_b32 s10, s17, exec_lo
	s_and_not1_b32 s11, s63, exec_lo
	s_and_b32 s8, s8, exec_lo
	v_dual_mov_b32 v2, v4 :: v_dual_mov_b32 v3, v5
	s_or_b32 s17, s10, s9
	s_or_b32 s63, s11, s8
	s_and_b32 s26, s7, exec_lo
.LBB171_472:                            ;   in Loop: Header=BB171_12 Depth=1
	s_or_b32 exec_lo, exec_lo, s64
	s_delay_alu instid0(SALU_CYCLE_1)
	s_and_b32 s16, s16, exec_lo
	s_and_b32 s9, s17, exec_lo
	;; [unrolled: 1-line block ×3, first 2 shown]
	s_or_not1_b32 s17, s26, exec_lo
.LBB171_473:                            ;   in Loop: Header=BB171_12 Depth=1
	s_or_b32 exec_lo, exec_lo, s62
	s_mov_b32 s7, s25
	s_mov_b32 s10, s24
	s_and_saveexec_b32 s11, s17
; %bb.474:                              ;   in Loop: Header=BB171_12 Depth=1
	v_cmp_eq_u32_e32 vcc_lo, 5, v6
	v_cmp_ne_u32_e64 s7, 5, v6
	s_and_not1_b32 s10, s24, exec_lo
	s_and_not1_b32 s12, s25, exec_lo
	;; [unrolled: 1-line block ×3, first 2 shown]
	s_and_b32 s13, vcc_lo, exec_lo
	s_and_b32 s7, s7, exec_lo
	s_and_not1_b32 s9, s9, exec_lo
	s_and_not1_b32 s8, s8, exec_lo
	s_or_b32 s10, s10, s7
	s_or_b32 s7, s12, s13
; %bb.475:                              ;   in Loop: Header=BB171_12 Depth=1
	s_or_b32 exec_lo, exec_lo, s11
	s_delay_alu instid0(SALU_CYCLE_1)
	s_and_not1_b32 s11, s18, exec_lo
	s_and_b32 s12, s16, exec_lo
	s_and_b32 s9, s9, exec_lo
	s_or_b32 s18, s11, s12
	s_and_not1_b32 s11, s19, exec_lo
	s_and_not1_b32 s12, s23, exec_lo
	s_and_b32 s8, s8, exec_lo
	v_dual_mov_b32 v8, v30 :: v_dual_mov_b32 v9, v29
	v_mov_b32_e32 v18, v31
	s_or_b32 s19, s11, s9
	s_or_b32 s23, s12, s8
	s_and_not1_b32 s8, s24, exec_lo
	s_and_b32 s9, s10, exec_lo
	s_and_not1_b32 s10, s25, exec_lo
	s_and_b32 s7, s7, exec_lo
	s_or_b32 s24, s8, s9
	s_or_b32 s25, s10, s7
.LBB171_476:                            ;   in Loop: Header=BB171_12 Depth=1
	s_or_b32 exec_lo, exec_lo, s58
	s_mov_b32 s62, s23
	s_mov_b32 s58, s23
	s_and_saveexec_b32 s7, s25
.LBB171_477:                            ;   in Loop: Header=BB171_12 Depth=1
	v_mov_b32_e32 v6, 0
	s_and_not1_b32 s23, s23, exec_lo
	s_and_not1_b32 s18, s18, exec_lo
	s_and_not1_b32 s19, s19, exec_lo
	s_and_not1_b32 s62, s62, exec_lo
	s_and_not1_b32 s58, s58, exec_lo
	s_or_b32 s24, s24, exec_lo
.LBB171_478:                            ;   in Loop: Header=BB171_12 Depth=1
	s_or_b32 exec_lo, exec_lo, s7
	s_delay_alu instid0(SALU_CYCLE_1)
	s_and_not1_b32 s7, s95, exec_lo
	s_and_b32 s9, s23, exec_lo
	s_and_not1_b32 s10, s92, exec_lo
	s_or_b32 s95, s7, s9
	s_and_not1_b32 s7, s94, exec_lo
	s_and_b32 s9, s18, exec_lo
	s_and_b32 s11, s19, exec_lo
	s_or_b32 s94, s7, s9
	s_or_b32 s92, s10, s11
	s_and_not1_b32 s7, s93, exec_lo
	s_and_b32 s9, s62, exec_lo
	s_and_not1_b32 s10, s91, exec_lo
	s_and_b32 s11, s58, exec_lo
	s_mov_b32 s8, -1
	s_or_b32 s93, s7, s9
	s_or_b32 s91, s10, s11
                                        ; implicit-def: $vgpr29
                                        ; implicit-def: $vgpr30
                                        ; implicit-def: $vgpr16_vgpr17
                                        ; implicit-def: $vgpr31
	s_and_saveexec_b32 s7, s24
	s_delay_alu instid0(SALU_CYCLE_1)
	s_xor_b32 s7, exec_lo, s7
	s_cbranch_execz .LBB171_11
; %bb.479:                              ;   in Loop: Header=BB171_12 Depth=1
	s_mov_b32 s9, -1
	s_mov_b32 s10, exec_lo
	v_cmpx_eq_u32_e32 0, v6
	s_cbranch_execz .LBB171_10
; %bb.480:                              ;   in Loop: Header=BB171_12 Depth=1
	s_xor_b32 s85, s85, 1
	s_add_i32 s11, s89, -2
	s_cmp_eq_u32 s89, 0
	s_mov_b32 s89, s11
	s_cselect_b32 s8, -1, 0
	s_xor_b32 s9, exec_lo, -1
	s_or_not1_b32 s8, s8, exec_lo
	s_branch .LBB171_10
.LBB171_481:
	s_or_b32 exec_lo, exec_lo, s83
	s_xor_b32 s7, s90, -1
	s_xor_b32 s9, s87, -1
	;; [unrolled: 1-line block ×5, first 2 shown]
	s_mov_b32 s8, 0
	s_and_saveexec_b32 s12, s11
	s_delay_alu instid0(SALU_CYCLE_1)
	s_xor_b32 s12, exec_lo, s12
	s_cbranch_execz .LBB171_538
; %bb.482:
	s_and_saveexec_b32 s11, s10
	s_delay_alu instid0(SALU_CYCLE_1)
	s_xor_b32 s13, exec_lo, s11
	s_cbranch_execz .LBB171_536
; %bb.483:
	;; [unrolled: 5-line block ×4, first 2 shown]
	s_and_saveexec_b32 s7, s6
	s_delay_alu instid0(SALU_CYCLE_1)
	s_xor_b32 s6, exec_lo, s7
; %bb.486:
	v_xor_b32_e32 v18, 0xffff8000, v8
; %bb.487:
	s_or_b32 exec_lo, exec_lo, s6
	s_and_saveexec_b32 s6, s5
	s_cbranch_execz .LBB171_489
; %bb.488:
	v_mov_b32_e32 v2, 0
	s_delay_alu instid0(VALU_DEP_1)
	v_mov_b32_e32 v3, v2
	ds_store_b64 v2, v[2:3] offset:5136
.LBB171_489:
	s_or_b32 exec_lo, exec_lo, s6
	v_mov_b32_e32 v14, 0
	s_waitcnt lgkmcnt(0)
	s_barrier
	buffer_gl0_inv
	s_and_saveexec_b32 s5, s4
	s_cbranch_execz .LBB171_491
; %bb.490:
	global_load_u16 v14, v[10:11], off
.LBB171_491:
	s_or_b32 exec_lo, exec_lo, s5
	s_add_u32 s5, s36, 31
	s_addc_u32 s7, s37, 0
	s_and_b32 s6, s5, 0xffffffe0
	s_mul_i32 s5, s48, s51
	s_mul_hi_u32 s8, s48, s50
	s_mul_i32 s9, s48, s50
	s_add_i32 s8, s8, s5
	s_sub_u32 s5, s34, s9
	s_subb_u32 s8, 0, s8
	s_mul_i32 s9, s5, s43
	s_mul_hi_u32 s10, s5, s42
	s_mul_i32 s8, s8, s42
	s_add_i32 s9, s10, s9
	s_mul_i32 s16, s5, s42
	s_add_i32 s17, s9, s8
	s_mul_i32 s8, s48, s41
	s_mul_hi_u32 s9, s48, s40
	s_mul_i32 s5, s52, s29
	s_add_i32 s9, s9, s8
	s_mul_hi_u32 s8, s52, s28
	s_mul_i32 s10, s52, s28
	s_add_i32 s5, s8, s5
	s_sub_u32 s18, s34, s10
	s_subb_u32 s5, 0, s5
	s_mul_i32 s10, s18, s47
	s_mul_hi_u32 s11, s18, s46
	s_mul_i32 s8, s48, s40
	s_add_i32 s10, s11, s10
	s_mul_i32 s5, s5, s46
	s_mul_i32 s11, s52, s45
	s_mul_hi_u32 s20, s52, s44
	s_add_i32 s19, s10, s5
	s_add_i32 s21, s20, s11
	s_lshl_b64 s[22:23], s[8:9], 1
	s_clause 0x1
	s_load_b64 s[8:9], s[0:1], 0x368
	s_load_b64 s[10:11], s[0:1], 0x510
	s_add_u32 s0, s56, s22
	s_addc_u32 s5, s57, s23
	s_lshl_b64 s[16:17], s[16:17], 1
	s_mul_i32 s20, s52, s44
	s_add_u32 s1, s0, s16
	s_addc_u32 s5, s5, s17
	s_lshl_b64 s[16:17], s[20:21], 3
	s_mul_i32 s18, s18, s46
	s_add_u32 s0, s102, s16
	s_addc_u32 s20, s103, s17
	s_lshl_b64 s[16:17], s[18:19], 3
	s_mov_b32 s19, 0
	s_add_u32 s16, s0, s16
	s_addc_u32 s17, s20, s17
	s_mov_b32 s0, -1
	s_mov_b32 s18, 0
	s_mov_b32 s20, exec_lo
	v_cmpx_gt_u64_e64 s[6:7], v[0:1]
	s_cbranch_execz .LBB171_507
; %bb.492:
	v_bfe_i32 v2, v18, 0, 16
	v_mov_b32_e32 v9, v1
	v_dual_mov_b32 v3, 0 :: v_dual_mov_b32 v8, v0
                                        ; implicit-def: $sgpr21
                                        ; implicit-def: $vgpr6_vgpr7
	s_delay_alu instid0(VALU_DEP_3)
	v_add_nc_u32_e32 v15, 0x8000, v2
	s_branch .LBB171_494
.LBB171_493:                            ;   in Loop: Header=BB171_494 Depth=1
	s_or_b32 exec_lo, exec_lo, s22
	s_xor_b32 s22, s24, -1
	s_and_b32 s0, exec_lo, s0
	v_dual_mov_b32 v14, v16 :: v_dual_mov_b32 v9, v5
	s_or_b32 s18, s0, s18
	v_mov_b32_e32 v8, v4
	s_and_not1_b32 s0, s21, exec_lo
	s_and_b32 s21, s22, exec_lo
	s_delay_alu instid0(SALU_CYCLE_1)
	s_or_b32 s21, s0, s21
	s_and_not1_b32 exec_lo, exec_lo, s18
	s_cbranch_execz .LBB171_506
.LBB171_494:                            ; =>This Inner Loop Header: Depth=1
	s_delay_alu instid0(VALU_DEP_2) | instskip(SKIP_3) | instid1(VALU_DEP_2)
	v_add_co_u32 v4, vcc_lo, v8, s49
	v_add_co_ci_u32_e32 v5, vcc_lo, 0, v9, vcc_lo
	v_mov_b32_e32 v16, 0
	s_mov_b32 s0, exec_lo
	v_cmpx_gt_u64_e64 s[36:37], v[4:5]
	s_cbranch_execz .LBB171_496
; %bb.495:                              ;   in Loop: Header=BB171_494 Depth=1
	v_mul_lo_u32 v2, v5, s30
	v_mul_lo_u32 v16, v4, s31
	v_mad_u64_u32 v[12:13], null, v4, s30, 0
	s_delay_alu instid0(VALU_DEP_1) | instskip(NEXT) | instid1(VALU_DEP_1)
	v_add3_u32 v13, v13, v16, v2
	v_lshlrev_b64 v[12:13], 1, v[12:13]
	s_delay_alu instid0(VALU_DEP_1) | instskip(NEXT) | instid1(VALU_DEP_2)
	v_add_co_u32 v12, vcc_lo, s33, v12
	v_add_co_ci_u32_e32 v13, vcc_lo, s35, v13, vcc_lo
	global_load_u16 v16, v[12:13], off
.LBB171_496:                            ;   in Loop: Header=BB171_494 Depth=1
	s_or_b32 exec_lo, exec_lo, s0
	s_waitcnt vmcnt(0)
	v_bfe_i32 v2, v14, 0, 16
	s_delay_alu instid0(VALU_DEP_1) | instskip(NEXT) | instid1(VALU_DEP_1)
	v_add_nc_u32_e32 v2, 0x8000, v2
	v_cmp_gt_u32_e32 vcc_lo, v2, v15
	v_cndmask_b32_e64 v12, 0, 1, vcc_lo
	v_cmp_lt_u32_e32 vcc_lo, v2, v15
	v_cndmask_b32_e64 v2, 0, 1, vcc_lo
	v_cmp_gt_u64_e32 vcc_lo, s[36:37], v[8:9]
	s_delay_alu instid0(VALU_DEP_2) | instskip(NEXT) | instid1(VALU_DEP_1)
	v_cndmask_b32_e64 v2, v2, v12, s3
	v_and_b32_e32 v2, 1, v2
	s_delay_alu instid0(VALU_DEP_1) | instskip(NEXT) | instid1(VALU_DEP_1)
	v_cmp_eq_u32_e64 s0, 1, v2
	s_and_b32 s23, vcc_lo, s0
	s_delay_alu instid0(SALU_CYCLE_1) | instskip(NEXT) | instid1(VALU_DEP_1)
	v_cndmask_b32_e64 v2, 0, 1, s23
	v_cmp_ne_u32_e32 vcc_lo, 0, v2
	s_cmp_lg_u32 vcc_lo, 0
	s_cselect_b32 s0, -1, 0
	s_delay_alu instid0(SALU_CYCLE_1) | instskip(NEXT) | instid1(SALU_CYCLE_1)
	s_and_b32 s0, s2, s0
	s_and_saveexec_b32 s22, s0
	s_cbranch_execz .LBB171_500
; %bb.497:                              ;   in Loop: Header=BB171_494 Depth=1
	s_mov_b32 s26, exec_lo
	s_bcnt1_i32_b32 s24, vcc_lo
	v_mbcnt_lo_u32_b32 v12, s26, 0
	s_mov_b32 s25, exec_lo
                                        ; implicit-def: $vgpr6_vgpr7
	s_delay_alu instid0(VALU_DEP_1)
	v_cmpx_eq_u32_e32 0, v12
	s_cbranch_execz .LBB171_499
; %bb.498:                              ;   in Loop: Header=BB171_494 Depth=1
	s_bcnt1_i32_b32 s0, s26
	s_delay_alu instid0(SALU_CYCLE_1) | instskip(NEXT) | instid1(SALU_CYCLE_1)
	s_mul_i32 s0, s24, s0
	v_mov_b32_e32 v2, s0
	s_waitcnt lgkmcnt(0)
	ds_add_rtn_u64 v[6:7], v3, v[2:3] offset:5136
.LBB171_499:                            ;   in Loop: Header=BB171_494 Depth=1
	s_or_b32 exec_lo, exec_lo, s25
	s_waitcnt lgkmcnt(0)
	v_readfirstlane_b32 s27, v7
	v_readfirstlane_b32 s26, v6
	s_delay_alu instid0(VALU_DEP_1)
	v_mad_u64_u32 v[6:7], null, s24, v12, s[26:27]
.LBB171_500:                            ;   in Loop: Header=BB171_494 Depth=1
	s_or_b32 exec_lo, exec_lo, s22
	s_waitcnt lgkmcnt(0)
	ds_bpermute_b32 v6, v3, v6
	ds_bpermute_b32 v7, v3, v7
	s_mov_b32 s0, -1
	s_mov_b32 s25, -1
                                        ; implicit-def: $sgpr24
	s_and_saveexec_b32 s22, s23
	s_cbranch_execz .LBB171_504
; %bb.501:                              ;   in Loop: Header=BB171_494 Depth=1
	v_and_b32_e32 v2, vcc_lo, v22
	s_mov_b32 s23, 0
	s_mov_b32 s24, exec_lo
	s_delay_alu instid0(VALU_DEP_1) | instskip(SKIP_1) | instid1(VALU_DEP_1)
	v_bcnt_u32_b32 v2, v2, 0
	s_waitcnt lgkmcnt(0)
	v_add_co_u32 v12, vcc_lo, v6, v2
	v_add_co_ci_u32_e32 v13, vcc_lo, 0, v7, vcc_lo
	s_delay_alu instid0(VALU_DEP_1)
	v_cmpx_gt_u64_e64 s[38:39], v[12:13]
	s_cbranch_execz .LBB171_503
; %bb.502:                              ;   in Loop: Header=BB171_494 Depth=1
	v_mul_lo_u32 v2, v13, s8
	v_mul_lo_u32 v17, v12, s9
	v_mad_u64_u32 v[19:20], null, v12, s8, 0
	v_mul_lo_u32 v13, v13, s10
	v_mul_lo_u32 v21, v12, s11
	v_mad_u64_u32 v[23:24], null, v12, s10, 0
	s_mov_b32 s23, exec_lo
	s_delay_alu instid0(VALU_DEP_4) | instskip(NEXT) | instid1(VALU_DEP_2)
	v_add3_u32 v20, v20, v17, v2
	v_add3_u32 v24, v24, v21, v13
	s_delay_alu instid0(VALU_DEP_2) | instskip(NEXT) | instid1(VALU_DEP_2)
	v_lshlrev_b64 v[12:13], 1, v[19:20]
	v_lshlrev_b64 v[19:20], 3, v[23:24]
	s_delay_alu instid0(VALU_DEP_2) | instskip(NEXT) | instid1(VALU_DEP_3)
	v_add_co_u32 v12, vcc_lo, s1, v12
	v_add_co_ci_u32_e32 v13, vcc_lo, s5, v13, vcc_lo
	s_delay_alu instid0(VALU_DEP_3) | instskip(NEXT) | instid1(VALU_DEP_4)
	v_add_co_u32 v19, vcc_lo, s16, v19
	v_add_co_ci_u32_e32 v20, vcc_lo, s17, v20, vcc_lo
	global_store_b16 v[12:13], v14, off
	global_store_b64 v[19:20], v[8:9], off
.LBB171_503:                            ;   in Loop: Header=BB171_494 Depth=1
	s_or_b32 exec_lo, exec_lo, s24
	s_mov_b32 s24, -1
	s_or_not1_b32 s25, s23, exec_lo
.LBB171_504:                            ;   in Loop: Header=BB171_494 Depth=1
	s_or_b32 exec_lo, exec_lo, s22
	s_and_saveexec_b32 s22, s25
	s_cbranch_execz .LBB171_493
; %bb.505:                              ;   in Loop: Header=BB171_494 Depth=1
	v_cmp_le_u64_e32 vcc_lo, s[6:7], v[4:5]
	s_and_not1_b32 s24, s24, exec_lo
	s_or_not1_b32 s0, vcc_lo, exec_lo
	s_branch .LBB171_493
.LBB171_506:
	s_or_b32 exec_lo, exec_lo, s18
	s_delay_alu instid0(SALU_CYCLE_1)
	s_mov_b32 s18, exec_lo
	s_or_not1_b32 s0, s21, exec_lo
.LBB171_507:
	s_or_b32 exec_lo, exec_lo, s20
	s_and_saveexec_b32 s3, s0
	s_cbranch_execz .LBB171_530
; %bb.508:
	v_dual_mov_b32 v3, 0 :: v_dual_mov_b32 v8, 0
	s_waitcnt vmcnt(0) lgkmcnt(0)
	s_waitcnt_vscnt null, 0x0
	s_barrier
	buffer_gl0_inv
	s_and_saveexec_b32 s0, s4
	s_cbranch_execz .LBB171_510
; %bb.509:
	global_load_u16 v8, v[10:11], off
.LBB171_510:
	s_or_b32 exec_lo, exec_lo, s0
	s_mov_b32 s19, 0
                                        ; implicit-def: $sgpr4
                                        ; implicit-def: $sgpr20
                                        ; implicit-def: $sgpr21
                                        ; implicit-def: $vgpr4_vgpr5
	s_branch .LBB171_513
.LBB171_511:                            ;   in Loop: Header=BB171_513 Depth=1
	s_or_b32 exec_lo, exec_lo, s24
	v_dual_mov_b32 v0, v6 :: v_dual_mov_b32 v1, v7
	s_and_not1_b32 s0, s21, exec_lo
	s_and_b32 s21, s26, exec_lo
	s_and_not1_b32 s20, s20, exec_lo
	s_and_b32 s23, s23, exec_lo
	s_or_b32 s21, s0, s21
	s_or_b32 s20, s20, s23
.LBB171_512:                            ;   in Loop: Header=BB171_513 Depth=1
	s_or_b32 exec_lo, exec_lo, s22
	s_xor_b32 s0, s21, -1
	s_and_b32 s22, exec_lo, s20
	s_delay_alu instid0(SALU_CYCLE_1) | instskip(SKIP_2) | instid1(SALU_CYCLE_1)
	s_or_b32 s19, s22, s19
	s_and_not1_b32 s4, s4, exec_lo
	s_and_b32 s0, s0, exec_lo
	s_or_b32 s4, s4, s0
	s_and_not1_b32 exec_lo, exec_lo, s19
	s_cbranch_execz .LBB171_528
.LBB171_513:                            ; =>This Inner Loop Header: Depth=1
	s_or_b32 s21, s21, exec_lo
	s_or_b32 s20, s20, exec_lo
	s_mov_b32 s22, exec_lo
	v_cmpx_gt_u64_e64 s[6:7], v[0:1]
	s_cbranch_execz .LBB171_512
; %bb.514:                              ;   in Loop: Header=BB171_513 Depth=1
	v_add_co_u32 v6, vcc_lo, v0, s49
	v_add_co_ci_u32_e32 v7, vcc_lo, 0, v1, vcc_lo
	v_mov_b32_e32 v10, 0
	s_mov_b32 s0, exec_lo
	s_delay_alu instid0(VALU_DEP_2)
	v_cmpx_gt_u64_e64 s[36:37], v[6:7]
	s_cbranch_execz .LBB171_516
; %bb.515:                              ;   in Loop: Header=BB171_513 Depth=1
	v_mul_lo_u32 v2, v7, s30
	v_mul_lo_u32 v11, v6, s31
	v_mad_u64_u32 v[9:10], null, v6, s30, 0
	s_delay_alu instid0(VALU_DEP_1) | instskip(NEXT) | instid1(VALU_DEP_1)
	v_add3_u32 v10, v10, v11, v2
	v_lshlrev_b64 v[9:10], 1, v[9:10]
	s_delay_alu instid0(VALU_DEP_1) | instskip(NEXT) | instid1(VALU_DEP_2)
	v_add_co_u32 v9, vcc_lo, s33, v9
	v_add_co_ci_u32_e32 v10, vcc_lo, s35, v10, vcc_lo
	global_load_u16 v10, v[9:10], off
.LBB171_516:                            ;   in Loop: Header=BB171_513 Depth=1
	s_or_b32 exec_lo, exec_lo, s0
	v_cmp_gt_u64_e32 vcc_lo, s[36:37], v[0:1]
	s_waitcnt vmcnt(0)
	v_cmp_eq_u16_e64 s0, v8, v18
	s_delay_alu instid0(VALU_DEP_1) | instskip(NEXT) | instid1(SALU_CYCLE_1)
	s_and_b32 s24, vcc_lo, s0
	v_cndmask_b32_e64 v2, 0, 1, s24
	s_delay_alu instid0(VALU_DEP_1) | instskip(SKIP_2) | instid1(SALU_CYCLE_1)
	v_cmp_ne_u32_e32 vcc_lo, 0, v2
	s_cmp_lg_u32 vcc_lo, 0
	s_cselect_b32 s0, -1, 0
	s_and_b32 s0, s2, s0
	s_delay_alu instid0(SALU_CYCLE_1)
	s_and_saveexec_b32 s23, s0
	s_cbranch_execz .LBB171_520
; %bb.517:                              ;   in Loop: Header=BB171_513 Depth=1
	s_mov_b32 s27, exec_lo
	s_bcnt1_i32_b32 s25, vcc_lo
	v_mbcnt_lo_u32_b32 v9, s27, 0
	s_mov_b32 s26, exec_lo
                                        ; implicit-def: $vgpr4_vgpr5
	s_delay_alu instid0(VALU_DEP_1)
	v_cmpx_eq_u32_e32 0, v9
	s_cbranch_execz .LBB171_519
; %bb.518:                              ;   in Loop: Header=BB171_513 Depth=1
	s_bcnt1_i32_b32 s0, s27
	s_delay_alu instid0(SALU_CYCLE_1) | instskip(NEXT) | instid1(SALU_CYCLE_1)
	s_mul_i32 s0, s25, s0
	v_mov_b32_e32 v2, s0
	ds_add_rtn_u64 v[4:5], v3, v[2:3] offset:5136
.LBB171_519:                            ;   in Loop: Header=BB171_513 Depth=1
	s_or_b32 exec_lo, exec_lo, s26
	s_waitcnt lgkmcnt(0)
	v_readfirstlane_b32 s27, v5
	v_readfirstlane_b32 s26, v4
	s_delay_alu instid0(VALU_DEP_1)
	v_mad_u64_u32 v[4:5], null, s25, v9, s[26:27]
.LBB171_520:                            ;   in Loop: Header=BB171_513 Depth=1
	s_or_b32 exec_lo, exec_lo, s23
	ds_bpermute_b32 v4, v3, v4
	ds_bpermute_b32 v5, v3, v5
	s_cmp_eq_u32 vcc_lo, 0
	s_mov_b32 s23, -1
	s_cselect_b32 s25, -1, 0
	s_mov_b32 s26, -1
	s_waitcnt lgkmcnt(0)
	v_cmp_gt_u64_e64 s0, s[38:39], v[4:5]
	s_delay_alu instid0(VALU_DEP_1) | instskip(SKIP_3) | instid1(SALU_CYCLE_1)
	s_or_b32 s0, s25, s0
	s_mov_b32 s25, -1
	v_cndmask_b32_e64 v8, v8, v10, s0
	s_and_b32 s27, s24, s0
	s_and_saveexec_b32 s24, s27
	s_cbranch_execz .LBB171_526
; %bb.521:                              ;   in Loop: Header=BB171_513 Depth=1
	v_and_b32_e32 v2, vcc_lo, v22
	v_sub_co_u32 v8, vcc_lo, s38, v4
	v_sub_co_ci_u32_e32 v9, vcc_lo, s39, v5, vcc_lo
	s_delay_alu instid0(VALU_DEP_3) | instskip(SKIP_2) | instid1(VALU_DEP_1)
	v_bcnt_u32_b32 v2, v2, 0
	s_mov_b32 s27, -1
	s_mov_b32 s26, exec_lo
	v_cmp_le_u64_e64 s25, v[8:9], v[2:3]
	v_cmpx_gt_u64_e64 v[8:9], v[2:3]
	s_cbranch_execz .LBB171_525
; %bb.522:                              ;   in Loop: Header=BB171_513 Depth=1
	v_add_co_u32 v8, vcc_lo, v4, v2
	v_add_co_ci_u32_e32 v9, vcc_lo, 0, v5, vcc_lo
	s_delay_alu instid0(VALU_DEP_4) | instskip(SKIP_1) | instid1(VALU_DEP_1)
	s_mov_b32 s28, s25
	s_mov_b32 s27, exec_lo
	v_cmpx_gt_u64_e64 s[38:39], v[8:9]
	s_cbranch_execz .LBB171_524
; %bb.523:                              ;   in Loop: Header=BB171_513 Depth=1
	v_mul_lo_u32 v2, v9, s8
	v_mul_lo_u32 v15, v8, s9
	v_mad_u64_u32 v[11:12], null, v8, s8, 0
	v_mul_lo_u32 v9, v9, s10
	v_mul_lo_u32 v16, v8, s11
	v_mad_u64_u32 v[13:14], null, v8, s10, 0
	s_or_b32 s28, s25, exec_lo
	s_delay_alu instid0(VALU_DEP_4) | instskip(NEXT) | instid1(VALU_DEP_2)
	v_add3_u32 v12, v12, v15, v2
	v_add3_u32 v14, v14, v16, v9
	s_delay_alu instid0(VALU_DEP_2) | instskip(NEXT) | instid1(VALU_DEP_2)
	v_lshlrev_b64 v[8:9], 1, v[11:12]
	v_lshlrev_b64 v[11:12], 3, v[13:14]
	s_delay_alu instid0(VALU_DEP_2) | instskip(NEXT) | instid1(VALU_DEP_3)
	v_add_co_u32 v8, vcc_lo, s1, v8
	v_add_co_ci_u32_e32 v9, vcc_lo, s5, v9, vcc_lo
	s_delay_alu instid0(VALU_DEP_3) | instskip(NEXT) | instid1(VALU_DEP_4)
	v_add_co_u32 v11, vcc_lo, s16, v11
	v_add_co_ci_u32_e32 v12, vcc_lo, s17, v12, vcc_lo
	global_store_b16 v[8:9], v18, off
	global_store_b64 v[11:12], v[0:1], off
.LBB171_524:                            ;   in Loop: Header=BB171_513 Depth=1
	s_or_b32 exec_lo, exec_lo, s27
	s_delay_alu instid0(SALU_CYCLE_1)
	s_and_not1_b32 s25, s25, exec_lo
	s_and_b32 s28, s28, exec_lo
	s_xor_b32 s27, exec_lo, -1
	s_or_b32 s25, s25, s28
.LBB171_525:                            ;   in Loop: Header=BB171_513 Depth=1
	s_or_b32 exec_lo, exec_lo, s26
	v_mov_b32_e32 v8, v10
	s_or_not1_b32 s26, s27, exec_lo
	s_or_b32 s0, s0, exec_lo
	s_or_not1_b32 s25, s25, exec_lo
.LBB171_526:                            ;   in Loop: Header=BB171_513 Depth=1
	s_or_b32 exec_lo, exec_lo, s24
	s_and_saveexec_b32 s24, s25
	s_cbranch_execz .LBB171_511
; %bb.527:                              ;   in Loop: Header=BB171_513 Depth=1
	s_xor_b32 s0, s0, -1
	s_or_b32 s26, s26, exec_lo
	s_or_not1_b32 s23, s0, exec_lo
	s_branch .LBB171_511
.LBB171_528:
	s_or_b32 exec_lo, exec_lo, s19
	s_mov_b32 s0, 0
	s_and_saveexec_b32 s1, s4
	s_delay_alu instid0(SALU_CYCLE_1)
	s_xor_b32 s1, exec_lo, s1
	s_cbranch_execnz .LBB171_560
.LBB171_529:
	s_or_b32 exec_lo, exec_lo, s1
	s_delay_alu instid0(SALU_CYCLE_1)
	s_and_b32 s19, s0, exec_lo
	s_and_not1_b32 s18, s18, exec_lo
.LBB171_530:
	s_or_b32 exec_lo, exec_lo, s3
	s_and_saveexec_b32 s0, s18
	s_delay_alu instid0(SALU_CYCLE_1)
	s_xor_b32 s0, exec_lo, s0
	s_cbranch_execnz .LBB171_556
.LBB171_531:
	s_or_b32 exec_lo, exec_lo, s0
	s_waitcnt lgkmcnt(0)
	s_and_b32 s8, s19, exec_lo
.LBB171_532:
	s_and_not1_saveexec_b32 s0, s15
	s_cbranch_execnz .LBB171_552
.LBB171_533:
	s_or_b32 exec_lo, exec_lo, s0
	s_delay_alu instid0(SALU_CYCLE_1)
	s_and_b32 s8, s8, exec_lo
.LBB171_534:
	s_and_not1_saveexec_b32 s0, s14
	s_cbranch_execnz .LBB171_548
.LBB171_535:
	s_or_b32 exec_lo, exec_lo, s0
	s_delay_alu instid0(SALU_CYCLE_1)
	s_and_b32 s8, s8, exec_lo
.LBB171_536:
	s_and_not1_saveexec_b32 s0, s13
	s_cbranch_execnz .LBB171_544
.LBB171_537:
	s_or_b32 exec_lo, exec_lo, s0
	s_delay_alu instid0(SALU_CYCLE_1)
	s_and_b32 s8, s8, exec_lo
.LBB171_538:
	s_and_not1_saveexec_b32 s0, s12
	s_cbranch_execnz .LBB171_542
; %bb.539:
	s_or_b32 exec_lo, exec_lo, s0
	s_and_saveexec_b32 s0, s8
.LBB171_540:
	; divergent unreachable
.LBB171_541:
	s_nop 0
	s_sendmsg sendmsg(MSG_DEALLOC_VGPRS)
	s_endpgm
.LBB171_542:
	s_cbranch_execnz .LBB171_546
; %bb.543:
	s_or_b32 s8, s8, exec_lo
	s_or_b32 exec_lo, exec_lo, s0
	s_and_saveexec_b32 s0, s8
	s_cbranch_execnz .LBB171_540
	s_branch .LBB171_541
.LBB171_544:
	s_cbranch_execnz .LBB171_550
; %bb.545:
	s_or_b32 s8, s8, exec_lo
	s_branch .LBB171_537
.LBB171_546:
	s_trap 2
	s_sendmsg_rtn_b32 s0, sendmsg(MSG_RTN_GET_DOORBELL)
	s_mov_b32 ttmp2, m0
	s_waitcnt lgkmcnt(0)
	s_and_b32 s0, s0, 0x3ff
	s_delay_alu instid0(SALU_CYCLE_1) | instskip(NEXT) | instid1(SALU_CYCLE_1)
	s_bitset1_b32 s0, 10
	s_mov_b32 m0, s0
	s_sendmsg sendmsg(MSG_INTERRUPT)
	s_mov_b32 m0, ttmp2
.LBB171_547:                            ; =>This Inner Loop Header: Depth=1
	s_sethalt 5
	s_branch .LBB171_547
.LBB171_548:
	s_cbranch_execnz .LBB171_554
; %bb.549:
	s_or_b32 s8, s8, exec_lo
	s_branch .LBB171_535
.LBB171_550:
	s_trap 2
	s_sendmsg_rtn_b32 s0, sendmsg(MSG_RTN_GET_DOORBELL)
	s_mov_b32 ttmp2, m0
	s_waitcnt lgkmcnt(0)
	s_and_b32 s0, s0, 0x3ff
	s_delay_alu instid0(SALU_CYCLE_1) | instskip(NEXT) | instid1(SALU_CYCLE_1)
	s_bitset1_b32 s0, 10
	s_mov_b32 m0, s0
	s_sendmsg sendmsg(MSG_INTERRUPT)
	s_mov_b32 m0, ttmp2
.LBB171_551:                            ; =>This Inner Loop Header: Depth=1
	s_sethalt 5
	s_branch .LBB171_551
.LBB171_552:
	s_cbranch_execnz .LBB171_558
; %bb.553:
	s_or_b32 s8, s8, exec_lo
	s_branch .LBB171_533
.LBB171_554:
	s_trap 2
	s_sendmsg_rtn_b32 s0, sendmsg(MSG_RTN_GET_DOORBELL)
	s_mov_b32 ttmp2, m0
	s_waitcnt lgkmcnt(0)
	s_and_b32 s0, s0, 0x3ff
	s_delay_alu instid0(SALU_CYCLE_1) | instskip(NEXT) | instid1(SALU_CYCLE_1)
	s_bitset1_b32 s0, 10
	s_mov_b32 m0, s0
	s_sendmsg sendmsg(MSG_INTERRUPT)
	s_mov_b32 m0, ttmp2
.LBB171_555:                            ; =>This Inner Loop Header: Depth=1
	s_sethalt 5
	s_branch .LBB171_555
.LBB171_556:
	s_cbranch_execnz .LBB171_562
; %bb.557:
	s_or_b32 s19, s19, exec_lo
	s_branch .LBB171_531
.LBB171_558:
	s_trap 2
	s_sendmsg_rtn_b32 s0, sendmsg(MSG_RTN_GET_DOORBELL)
	s_mov_b32 ttmp2, m0
	s_waitcnt lgkmcnt(0)
	s_and_b32 s0, s0, 0x3ff
	s_delay_alu instid0(SALU_CYCLE_1) | instskip(NEXT) | instid1(SALU_CYCLE_1)
	s_bitset1_b32 s0, 10
	s_mov_b32 m0, s0
	s_sendmsg sendmsg(MSG_INTERRUPT)
	s_mov_b32 m0, ttmp2
.LBB171_559:                            ; =>This Inner Loop Header: Depth=1
	s_sethalt 5
	s_branch .LBB171_559
.LBB171_560:
	s_cbranch_execnz .LBB171_564
; %bb.561:
	s_mov_b32 s0, exec_lo
	s_branch .LBB171_529
.LBB171_562:
	s_trap 2
	s_sendmsg_rtn_b32 s0, sendmsg(MSG_RTN_GET_DOORBELL)
	s_mov_b32 ttmp2, m0
	s_waitcnt lgkmcnt(0)
	s_and_b32 s0, s0, 0x3ff
	s_delay_alu instid0(SALU_CYCLE_1) | instskip(NEXT) | instid1(SALU_CYCLE_1)
	s_bitset1_b32 s0, 10
	s_mov_b32 m0, s0
	s_sendmsg sendmsg(MSG_INTERRUPT)
	s_mov_b32 m0, ttmp2
.LBB171_563:                            ; =>This Inner Loop Header: Depth=1
	s_sethalt 5
	s_branch .LBB171_563
.LBB171_564:
	s_trap 2
	s_sendmsg_rtn_b32 s0, sendmsg(MSG_RTN_GET_DOORBELL)
	s_mov_b32 ttmp2, m0
	s_waitcnt lgkmcnt(0)
	s_and_b32 s0, s0, 0x3ff
	s_delay_alu instid0(SALU_CYCLE_1) | instskip(NEXT) | instid1(SALU_CYCLE_1)
	s_bitset1_b32 s0, 10
	s_mov_b32 m0, s0
	s_sendmsg sendmsg(MSG_INTERRUPT)
	s_mov_b32 m0, ttmp2
.LBB171_565:                            ; =>This Inner Loop Header: Depth=1
	s_sethalt 5
	s_branch .LBB171_565
	.section	.rodata,"a",@progbits
	.p2align	6, 0x0
	.amdhsa_kernel _ZN2at6native6sbtopk10gatherTopKIsmLi2ELb0EEEvNS_4cuda6detail10TensorInfoIKT_T0_EES8_S8_bS8_S8_NS5_IS6_S8_EES8_NS5_IlS8_EES8_PS6_
		.amdhsa_group_segment_fixed_size 5152
		.amdhsa_private_segment_fixed_size 0
		.amdhsa_kernarg_size 1568
		.amdhsa_user_sgpr_count 13
		.amdhsa_user_sgpr_dispatch_ptr 0
		.amdhsa_user_sgpr_queue_ptr 0
		.amdhsa_user_sgpr_kernarg_segment_ptr 1
		.amdhsa_user_sgpr_dispatch_id 0
		.amdhsa_user_sgpr_private_segment_size 0
		.amdhsa_wavefront_size32 1
		.amdhsa_uses_dynamic_stack 0
		.amdhsa_enable_private_segment 0
		.amdhsa_system_sgpr_workgroup_id_x 1
		.amdhsa_system_sgpr_workgroup_id_y 1
		.amdhsa_system_sgpr_workgroup_id_z 1
		.amdhsa_system_sgpr_workgroup_info 0
		.amdhsa_system_vgpr_workitem_id 0
		.amdhsa_next_free_vgpr 36
		.amdhsa_next_free_sgpr 105
		.amdhsa_reserve_vcc 1
		.amdhsa_float_round_mode_32 0
		.amdhsa_float_round_mode_16_64 0
		.amdhsa_float_denorm_mode_32 3
		.amdhsa_float_denorm_mode_16_64 3
		.amdhsa_dx10_clamp 1
		.amdhsa_ieee_mode 1
		.amdhsa_fp16_overflow 0
		.amdhsa_workgroup_processor_mode 1
		.amdhsa_memory_ordered 1
		.amdhsa_forward_progress 0
		.amdhsa_shared_vgpr_count 0
		.amdhsa_exception_fp_ieee_invalid_op 0
		.amdhsa_exception_fp_denorm_src 0
		.amdhsa_exception_fp_ieee_div_zero 0
		.amdhsa_exception_fp_ieee_overflow 0
		.amdhsa_exception_fp_ieee_underflow 0
		.amdhsa_exception_fp_ieee_inexact 0
		.amdhsa_exception_int_div_zero 0
	.end_amdhsa_kernel
	.section	.text._ZN2at6native6sbtopk10gatherTopKIsmLi2ELb0EEEvNS_4cuda6detail10TensorInfoIKT_T0_EES8_S8_bS8_S8_NS5_IS6_S8_EES8_NS5_IlS8_EES8_PS6_,"axG",@progbits,_ZN2at6native6sbtopk10gatherTopKIsmLi2ELb0EEEvNS_4cuda6detail10TensorInfoIKT_T0_EES8_S8_bS8_S8_NS5_IS6_S8_EES8_NS5_IlS8_EES8_PS6_,comdat
.Lfunc_end171:
	.size	_ZN2at6native6sbtopk10gatherTopKIsmLi2ELb0EEEvNS_4cuda6detail10TensorInfoIKT_T0_EES8_S8_bS8_S8_NS5_IS6_S8_EES8_NS5_IlS8_EES8_PS6_, .Lfunc_end171-_ZN2at6native6sbtopk10gatherTopKIsmLi2ELb0EEEvNS_4cuda6detail10TensorInfoIKT_T0_EES8_S8_bS8_S8_NS5_IS6_S8_EES8_NS5_IlS8_EES8_PS6_
                                        ; -- End function
	.section	.AMDGPU.csdata,"",@progbits
; Kernel info:
; codeLenInByte = 29284
; NumSgprs: 107
; NumVgprs: 36
; ScratchSize: 0
; MemoryBound: 0
; FloatMode: 240
; IeeeMode: 1
; LDSByteSize: 5152 bytes/workgroup (compile time only)
; SGPRBlocks: 13
; VGPRBlocks: 4
; NumSGPRsForWavesPerEU: 107
; NumVGPRsForWavesPerEU: 36
; Occupancy: 16
; WaveLimiterHint : 1
; COMPUTE_PGM_RSRC2:SCRATCH_EN: 0
; COMPUTE_PGM_RSRC2:USER_SGPR: 13
; COMPUTE_PGM_RSRC2:TRAP_HANDLER: 0
; COMPUTE_PGM_RSRC2:TGID_X_EN: 1
; COMPUTE_PGM_RSRC2:TGID_Y_EN: 1
; COMPUTE_PGM_RSRC2:TGID_Z_EN: 1
; COMPUTE_PGM_RSRC2:TIDIG_COMP_CNT: 0
	.section	.text._ZN2at6native6mbtopk23computeBlockDigitCountsIsmjLi3EEEvNS_4cuda6detail10TensorInfoIKT_T0_EEjPjjS8_iijT1_PSB_Ps,"axG",@progbits,_ZN2at6native6mbtopk23computeBlockDigitCountsIsmjLi3EEEvNS_4cuda6detail10TensorInfoIKT_T0_EEjPjjS8_iijT1_PSB_Ps,comdat
	.protected	_ZN2at6native6mbtopk23computeBlockDigitCountsIsmjLi3EEEvNS_4cuda6detail10TensorInfoIKT_T0_EEjPjjS8_iijT1_PSB_Ps ; -- Begin function _ZN2at6native6mbtopk23computeBlockDigitCountsIsmjLi3EEEvNS_4cuda6detail10TensorInfoIKT_T0_EEjPjjS8_iijT1_PSB_Ps
	.globl	_ZN2at6native6mbtopk23computeBlockDigitCountsIsmjLi3EEEvNS_4cuda6detail10TensorInfoIKT_T0_EEjPjjS8_iijT1_PSB_Ps
	.p2align	8
	.type	_ZN2at6native6mbtopk23computeBlockDigitCountsIsmjLi3EEEvNS_4cuda6detail10TensorInfoIKT_T0_EEjPjjS8_iijT1_PSB_Ps,@function
_ZN2at6native6mbtopk23computeBlockDigitCountsIsmjLi3EEEvNS_4cuda6detail10TensorInfoIKT_T0_EEjPjjS8_iijT1_PSB_Ps: ; @_ZN2at6native6mbtopk23computeBlockDigitCountsIsmjLi3EEEvNS_4cuda6detail10TensorInfoIKT_T0_EEjPjjS8_iijT1_PSB_Ps
; %bb.0:
	s_clause 0x2
	s_load_b128 s[8:11], s[0:1], 0x1c0
	s_load_b32 s5, s[0:1], 0x1b0
	s_load_b64 s[2:3], s[0:1], 0x1e0
	s_waitcnt lgkmcnt(0)
	v_cvt_f32_u32_e32 v1, s10
	s_sub_i32 s6, 0, s10
	s_mul_i32 s3, s3, s15
	s_delay_alu instid0(SALU_CYCLE_1) | instskip(NEXT) | instid1(VALU_DEP_1)
	s_add_i32 s3, s3, s14
	v_rcp_iflag_f32_e32 v1, v1
	s_mul_i32 s24, s3, s2
	s_delay_alu instid0(SALU_CYCLE_1) | instskip(SKIP_2) | instid1(VALU_DEP_1)
	s_add_i32 s24, s24, s13
	s_waitcnt_depctr 0xfff
	v_mul_f32_e32 v1, 0x4f7ffffe, v1
	v_cvt_u32_f32_e32 v1, v1
	s_delay_alu instid0(VALU_DEP_1) | instskip(NEXT) | instid1(VALU_DEP_1)
	v_readfirstlane_b32 s4, v1
	s_mul_i32 s6, s6, s4
	s_delay_alu instid0(SALU_CYCLE_1) | instskip(NEXT) | instid1(SALU_CYCLE_1)
	s_mul_hi_u32 s2, s4, s6
	s_add_i32 s4, s4, s2
	s_delay_alu instid0(SALU_CYCLE_1) | instskip(NEXT) | instid1(SALU_CYCLE_1)
	s_mul_hi_u32 s2, s24, s4
	s_mul_i32 s3, s2, s10
	s_add_i32 s4, s2, 1
	s_sub_i32 s3, s24, s3
	s_delay_alu instid0(SALU_CYCLE_1)
	s_sub_i32 s6, s3, s10
	s_cmp_ge_u32 s3, s10
	s_cselect_b32 s2, s4, s2
	s_cselect_b32 s3, s6, s3
	s_add_i32 s4, s2, 1
	s_cmp_ge_u32 s3, s10
	s_mov_b32 s3, 0
	s_cselect_b32 s2, s4, s2
	s_delay_alu instid0(SALU_CYCLE_1)
	s_cmp_ge_u32 s2, s5
	s_cbranch_scc1 .LBB172_27
; %bb.1:
	s_clause 0x1
	s_load_b128 s[12:15], s[0:1], 0x10
	s_load_b128 s[4:7], s[0:1], 0x1d0
	s_lshl_b64 s[16:17], s[2:3], 2
	s_mov_b64 s[20:21], 0
	s_waitcnt lgkmcnt(0)
	v_cmp_lt_u64_e64 s18, s[2:3], s[14:15]
	s_add_u32 s22, s4, s16
	s_addc_u32 s23, s5, s17
	s_mov_b64 s[4:5], 0
	s_delay_alu instid0(VALU_DEP_1)
	s_and_b32 vcc_lo, exec_lo, s18
	s_cbranch_vccz .LBB172_15
; %bb.2:
	v_cmp_lt_u64_e64 s3, s[20:21], s[12:13]
	s_delay_alu instid0(VALU_DEP_1)
	s_and_b32 vcc_lo, exec_lo, s3
	s_cbranch_vccz .LBB172_16
.LBB172_3:
	v_cmp_gt_u32_e32 vcc_lo, 0x100, v0
	v_lshlrev_b32_e32 v1, 2, v0
	s_and_saveexec_b32 s3, vcc_lo
	s_cbranch_execz .LBB172_5
.LBB172_4:
	v_mov_b32_e32 v2, 0
	ds_store_b32 v1, v2
.LBB172_5:
	s_or_b32 exec_lo, exec_lo, s3
	s_load_b32 s3, s[0:1], 0x1a0
	s_mul_i32 s5, s2, s10
	s_waitcnt lgkmcnt(0)
	s_sub_i32 s5, s24, s5
	s_barrier
	s_mul_i32 s16, s9, s5
	s_add_i32 s5, s5, 1
	s_lshl_b32 s25, s16, 8
	buffer_gl0_inv
	s_sub_i32 s16, s3, s25
	s_delay_alu instid0(SALU_CYCLE_1) | instskip(SKIP_4) | instid1(VALU_DEP_1)
	s_add_u32 s16, s16, 0xff
	s_addc_u32 s17, 0, 0
	s_cmp_lt_u32 s5, s10
	v_alignbit_b32 v2, s17, s16, 8
	s_mov_b32 s10, 0
	v_readfirstlane_b32 s16, v2
	s_delay_alu instid0(VALU_DEP_1) | instskip(NEXT) | instid1(SALU_CYCLE_1)
	s_cselect_b32 s9, s9, s16
	s_cmp_lt_i32 s9, 1
	s_cbranch_scc1 .LBB172_23
; %bb.6:
	s_clause 0x2
	s_load_b64 s[26:27], s[0:1], 0xe0
	s_load_b128 s[16:19], s[0:1], 0xd0
	s_load_b64 s[28:29], s[0:1], 0x0
	s_load_b32 s5, s[22:23], 0x0
	s_mul_i32 s15, s20, s15
	s_mul_hi_u32 s22, s20, s14
	s_mul_i32 s14, s20, s14
	s_add_i32 s22, s22, s15
	s_sub_u32 s2, s2, s14
	s_mul_i32 s23, s4, s13
	s_mul_hi_u32 s30, s4, s12
	s_mul_i32 s31, s4, s12
	s_load_b64 s[12:13], s[0:1], 0x1b8
	s_subb_u32 s0, 0, s22
	s_add_i32 s30, s30, s23
	v_add_nc_u32_e32 v2, s25, v0
	s_waitcnt lgkmcnt(0)
	s_mul_i32 s1, s2, s27
	s_mul_hi_u32 s14, s2, s26
	s_mul_i32 s15, s0, s26
	s_add_i32 s1, s14, s1
	s_mul_i32 s17, s4, s17
	s_add_i32 s15, s1, s15
	s_mul_hi_u32 s22, s4, s16
	s_mul_i32 s0, s4, s16
	s_sub_u32 s4, s20, s31
	s_subb_u32 s14, s21, s30
	s_add_i32 s1, s22, s17
	s_mul_i32 s16, s4, s19
	s_mul_hi_u32 s17, s4, s18
	s_mul_i32 s14, s14, s18
	s_add_i32 s16, s17, s16
	s_lshl_b64 s[0:1], s[0:1], 1
	s_add_i32 s17, s16, s14
	s_mul_i32 s16, s4, s18
	s_add_u32 s4, s28, s0
	s_addc_u32 s18, s29, s1
	s_lshl_b64 s[0:1], s[16:17], 1
	s_mul_i32 s14, s2, s26
	s_add_u32 s2, s4, s0
	s_addc_u32 s4, s18, s1
	s_lshl_b64 s[0:1], s[14:15], 1
	s_delay_alu instid0(SALU_CYCLE_1)
	s_add_u32 s2, s2, s0
	s_addc_u32 s4, s4, s1
	s_and_b32 s1, s8, 0xff
	s_cmp_eq_u32 s9, 1
	s_cbranch_scc1 .LBB172_18
; %bb.7:
	v_dual_mov_b32 v3, 1 :: v_dual_mov_b32 v4, v2
	s_and_b32 s8, s9, 0x7ffffffe
	s_branch .LBB172_9
.LBB172_8:                              ;   in Loop: Header=BB172_9 Depth=1
	s_or_b32 exec_lo, exec_lo, s14
	v_add_nc_u32_e32 v4, 0x200, v4
	s_add_i32 s10, s10, 2
	s_delay_alu instid0(SALU_CYCLE_1)
	s_cmp_eq_u32 s8, s10
	s_cbranch_scc1 .LBB172_17
.LBB172_9:                              ; =>This Inner Loop Header: Depth=1
	s_mov_b32 s14, exec_lo
	s_delay_alu instid0(VALU_DEP_1)
	v_cmpx_gt_u32_e64 s3, v4
	s_cbranch_execz .LBB172_12
; %bb.10:                               ;   in Loop: Header=BB172_9 Depth=1
	v_mad_u64_u32 v[5:6], null, v4, s12, 0
	s_delay_alu instid0(VALU_DEP_1) | instskip(NEXT) | instid1(VALU_DEP_1)
	v_mad_u64_u32 v[7:8], null, v4, s13, v[6:7]
	v_mov_b32_e32 v6, v7
	s_delay_alu instid0(VALU_DEP_1) | instskip(NEXT) | instid1(VALU_DEP_1)
	v_lshlrev_b64 v[5:6], 1, v[5:6]
	v_add_co_u32 v5, s0, s2, v5
	s_delay_alu instid0(VALU_DEP_1) | instskip(SKIP_3) | instid1(VALU_DEP_1)
	v_add_co_ci_u32_e64 v6, s0, s4, v6, s0
	global_load_i16 v5, v[5:6], off
	s_waitcnt vmcnt(0)
	v_add_nc_u32_e32 v5, 0x8000, v5
	v_xor_b32_e32 v6, s5, v5
	s_delay_alu instid0(VALU_DEP_1) | instskip(NEXT) | instid1(VALU_DEP_1)
	v_and_b32_e32 v6, s11, v6
	v_cmp_eq_u32_e64 s0, 0, v6
	s_delay_alu instid0(VALU_DEP_1)
	s_and_b32 exec_lo, exec_lo, s0
	s_cbranch_execz .LBB172_12
; %bb.11:                               ;   in Loop: Header=BB172_9 Depth=1
	v_bfe_u32 v5, v5, s1, 8
	s_delay_alu instid0(VALU_DEP_1)
	v_lshlrev_b32_e32 v5, 2, v5
	ds_add_u32 v5, v3
.LBB172_12:                             ;   in Loop: Header=BB172_9 Depth=1
	s_or_b32 exec_lo, exec_lo, s14
	v_add_nc_u32_e32 v5, 0x100, v4
	s_mov_b32 s14, exec_lo
	s_delay_alu instid0(VALU_DEP_1)
	v_cmpx_gt_u32_e64 s3, v5
	s_cbranch_execz .LBB172_8
; %bb.13:                               ;   in Loop: Header=BB172_9 Depth=1
	v_mad_u64_u32 v[6:7], null, v5, s12, 0
	s_delay_alu instid0(VALU_DEP_1) | instskip(NEXT) | instid1(VALU_DEP_1)
	v_mad_u64_u32 v[8:9], null, v5, s13, v[7:8]
	v_mov_b32_e32 v7, v8
	s_delay_alu instid0(VALU_DEP_1) | instskip(NEXT) | instid1(VALU_DEP_1)
	v_lshlrev_b64 v[5:6], 1, v[6:7]
	v_add_co_u32 v5, s0, s2, v5
	s_delay_alu instid0(VALU_DEP_1) | instskip(SKIP_3) | instid1(VALU_DEP_1)
	v_add_co_ci_u32_e64 v6, s0, s4, v6, s0
	global_load_i16 v5, v[5:6], off
	s_waitcnt vmcnt(0)
	v_add_nc_u32_e32 v5, 0x8000, v5
	v_xor_b32_e32 v6, s5, v5
	s_delay_alu instid0(VALU_DEP_1) | instskip(NEXT) | instid1(VALU_DEP_1)
	v_and_b32_e32 v6, s11, v6
	v_cmp_eq_u32_e64 s0, 0, v6
	s_delay_alu instid0(VALU_DEP_1)
	s_and_b32 exec_lo, exec_lo, s0
	s_cbranch_execz .LBB172_8
; %bb.14:                               ;   in Loop: Header=BB172_9 Depth=1
	v_bfe_u32 v5, v5, s1, 8
	s_delay_alu instid0(VALU_DEP_1)
	v_lshlrev_b32_e32 v5, 2, v5
	ds_add_u32 v5, v3
	s_branch .LBB172_8
.LBB172_15:
	v_cvt_f32_u32_e32 v1, s14
	s_sub_i32 s5, 0, s14
	s_mov_b32 s21, 0
	s_delay_alu instid0(VALU_DEP_1) | instskip(SKIP_2) | instid1(VALU_DEP_1)
	v_rcp_iflag_f32_e32 v1, v1
	s_waitcnt_depctr 0xfff
	v_mul_f32_e32 v1, 0x4f7ffffe, v1
	v_cvt_u32_f32_e32 v1, v1
	s_delay_alu instid0(VALU_DEP_1) | instskip(NEXT) | instid1(VALU_DEP_1)
	v_readfirstlane_b32 s3, v1
	s_mul_i32 s5, s5, s3
	s_delay_alu instid0(SALU_CYCLE_1) | instskip(NEXT) | instid1(SALU_CYCLE_1)
	s_mul_hi_u32 s5, s3, s5
	s_add_i32 s3, s3, s5
	s_delay_alu instid0(SALU_CYCLE_1) | instskip(NEXT) | instid1(SALU_CYCLE_1)
	s_mul_hi_u32 s3, s2, s3
	s_mul_i32 s5, s3, s14
	s_add_i32 s16, s3, 1
	s_sub_i32 s5, s2, s5
	s_delay_alu instid0(SALU_CYCLE_1)
	s_sub_i32 s17, s5, s14
	s_cmp_ge_u32 s5, s14
	s_cselect_b32 s3, s16, s3
	s_cselect_b32 s5, s17, s5
	s_add_i32 s16, s3, 1
	s_cmp_ge_u32 s5, s14
	s_cselect_b32 s20, s16, s3
	s_delay_alu instid0(SALU_CYCLE_1) | instskip(NEXT) | instid1(VALU_DEP_1)
	v_cmp_lt_u64_e64 s3, s[20:21], s[12:13]
	s_and_b32 vcc_lo, exec_lo, s3
	s_cbranch_vccnz .LBB172_3
.LBB172_16:
	v_cvt_f32_u32_e32 v1, s12
	s_sub_i32 s4, 0, s12
	s_delay_alu instid0(VALU_DEP_1) | instskip(SKIP_2) | instid1(VALU_DEP_1)
	v_rcp_iflag_f32_e32 v1, v1
	s_waitcnt_depctr 0xfff
	v_mul_f32_e32 v1, 0x4f7ffffe, v1
	v_cvt_u32_f32_e32 v1, v1
	s_delay_alu instid0(VALU_DEP_1) | instskip(NEXT) | instid1(VALU_DEP_1)
	v_readfirstlane_b32 s3, v1
	s_mul_i32 s4, s4, s3
	s_delay_alu instid0(SALU_CYCLE_1) | instskip(NEXT) | instid1(SALU_CYCLE_1)
	s_mul_hi_u32 s4, s3, s4
	s_add_i32 s3, s3, s4
	s_delay_alu instid0(SALU_CYCLE_1) | instskip(NEXT) | instid1(SALU_CYCLE_1)
	s_mul_hi_u32 s3, s20, s3
	s_mul_i32 s4, s3, s12
	s_add_i32 s5, s3, 1
	s_sub_i32 s4, s20, s4
	s_delay_alu instid0(SALU_CYCLE_1)
	s_sub_i32 s16, s4, s12
	s_cmp_ge_u32 s4, s12
	s_cselect_b32 s3, s5, s3
	s_cselect_b32 s4, s16, s4
	s_add_i32 s5, s3, 1
	s_cmp_ge_u32 s4, s12
	s_cselect_b32 s4, s5, s3
	v_cmp_gt_u32_e32 vcc_lo, 0x100, v0
	v_lshlrev_b32_e32 v1, 2, v0
	s_and_saveexec_b32 s3, vcc_lo
	s_cbranch_execnz .LBB172_4
	s_branch .LBB172_5
.LBB172_17:
	s_lshl_b32 s10, s8, 8
.LBB172_18:
	s_bitcmp0_b32 s9, 0
	s_cbranch_scc1 .LBB172_23
; %bb.19:
	v_add_nc_u32_e32 v2, s10, v2
	s_delay_alu instid0(VALU_DEP_1) | instskip(NEXT) | instid1(VALU_DEP_1)
	v_cmp_gt_u32_e64 s0, s3, v2
	s_and_saveexec_b32 s3, s0
	s_cbranch_execz .LBB172_22
; %bb.20:
	v_mad_u64_u32 v[3:4], null, v2, s12, 0
	s_delay_alu instid0(VALU_DEP_1) | instskip(NEXT) | instid1(VALU_DEP_1)
	v_mad_u64_u32 v[5:6], null, v2, s13, v[4:5]
	v_mov_b32_e32 v4, v5
	s_delay_alu instid0(VALU_DEP_1) | instskip(NEXT) | instid1(VALU_DEP_1)
	v_lshlrev_b64 v[2:3], 1, v[3:4]
	v_add_co_u32 v2, s0, s2, v2
	s_delay_alu instid0(VALU_DEP_1) | instskip(SKIP_3) | instid1(VALU_DEP_1)
	v_add_co_ci_u32_e64 v3, s0, s4, v3, s0
	global_load_i16 v2, v[2:3], off
	s_waitcnt vmcnt(0)
	v_add_nc_u32_e32 v2, 0x8000, v2
	v_xor_b32_e32 v3, s5, v2
	s_delay_alu instid0(VALU_DEP_1) | instskip(NEXT) | instid1(VALU_DEP_1)
	v_and_b32_e32 v3, s11, v3
	v_cmp_eq_u32_e64 s0, 0, v3
	s_delay_alu instid0(VALU_DEP_1)
	s_and_b32 exec_lo, exec_lo, s0
	s_cbranch_execz .LBB172_22
; %bb.21:
	v_bfe_u32 v2, v2, s1, 8
	s_delay_alu instid0(VALU_DEP_1)
	v_dual_mov_b32 v3, 1 :: v_dual_lshlrev_b32 v2, 2, v2
	ds_add_u32 v2, v3
.LBB172_22:
	s_or_b32 exec_lo, exec_lo, s3
.LBB172_23:
	v_mov_b32_e32 v2, 0
	s_waitcnt lgkmcnt(0)
	s_barrier
	buffer_gl0_inv
	s_and_saveexec_b32 s0, vcc_lo
	s_cbranch_execz .LBB172_25
; %bb.24:
	ds_load_b32 v2, v1
.LBB172_25:
	s_or_b32 exec_lo, exec_lo, s0
	s_and_saveexec_b32 s0, vcc_lo
	s_cbranch_execz .LBB172_27
; %bb.26:
	v_lshl_or_b32 v0, s24, 8, v0
	v_mov_b32_e32 v1, 0
	s_delay_alu instid0(VALU_DEP_1) | instskip(NEXT) | instid1(VALU_DEP_1)
	v_lshlrev_b64 v[0:1], 1, v[0:1]
	v_add_co_u32 v0, vcc_lo, s6, v0
	s_delay_alu instid0(VALU_DEP_2)
	v_add_co_ci_u32_e32 v1, vcc_lo, s7, v1, vcc_lo
	s_waitcnt lgkmcnt(0)
	global_store_b16 v[0:1], v2, off
.LBB172_27:
	s_nop 0
	s_sendmsg sendmsg(MSG_DEALLOC_VGPRS)
	s_endpgm
	.section	.rodata,"a",@progbits
	.p2align	6, 0x0
	.amdhsa_kernel _ZN2at6native6mbtopk23computeBlockDigitCountsIsmjLi3EEEvNS_4cuda6detail10TensorInfoIKT_T0_EEjPjjS8_iijT1_PSB_Ps
		.amdhsa_group_segment_fixed_size 1024
		.amdhsa_private_segment_fixed_size 0
		.amdhsa_kernarg_size 736
		.amdhsa_user_sgpr_count 13
		.amdhsa_user_sgpr_dispatch_ptr 0
		.amdhsa_user_sgpr_queue_ptr 0
		.amdhsa_user_sgpr_kernarg_segment_ptr 1
		.amdhsa_user_sgpr_dispatch_id 0
		.amdhsa_user_sgpr_private_segment_size 0
		.amdhsa_wavefront_size32 1
		.amdhsa_uses_dynamic_stack 0
		.amdhsa_enable_private_segment 0
		.amdhsa_system_sgpr_workgroup_id_x 1
		.amdhsa_system_sgpr_workgroup_id_y 1
		.amdhsa_system_sgpr_workgroup_id_z 1
		.amdhsa_system_sgpr_workgroup_info 0
		.amdhsa_system_vgpr_workitem_id 0
		.amdhsa_next_free_vgpr 10
		.amdhsa_next_free_sgpr 32
		.amdhsa_reserve_vcc 1
		.amdhsa_float_round_mode_32 0
		.amdhsa_float_round_mode_16_64 0
		.amdhsa_float_denorm_mode_32 3
		.amdhsa_float_denorm_mode_16_64 3
		.amdhsa_dx10_clamp 1
		.amdhsa_ieee_mode 1
		.amdhsa_fp16_overflow 0
		.amdhsa_workgroup_processor_mode 1
		.amdhsa_memory_ordered 1
		.amdhsa_forward_progress 0
		.amdhsa_shared_vgpr_count 0
		.amdhsa_exception_fp_ieee_invalid_op 0
		.amdhsa_exception_fp_denorm_src 0
		.amdhsa_exception_fp_ieee_div_zero 0
		.amdhsa_exception_fp_ieee_overflow 0
		.amdhsa_exception_fp_ieee_underflow 0
		.amdhsa_exception_fp_ieee_inexact 0
		.amdhsa_exception_int_div_zero 0
	.end_amdhsa_kernel
	.section	.text._ZN2at6native6mbtopk23computeBlockDigitCountsIsmjLi3EEEvNS_4cuda6detail10TensorInfoIKT_T0_EEjPjjS8_iijT1_PSB_Ps,"axG",@progbits,_ZN2at6native6mbtopk23computeBlockDigitCountsIsmjLi3EEEvNS_4cuda6detail10TensorInfoIKT_T0_EEjPjjS8_iijT1_PSB_Ps,comdat
.Lfunc_end172:
	.size	_ZN2at6native6mbtopk23computeBlockDigitCountsIsmjLi3EEEvNS_4cuda6detail10TensorInfoIKT_T0_EEjPjjS8_iijT1_PSB_Ps, .Lfunc_end172-_ZN2at6native6mbtopk23computeBlockDigitCountsIsmjLi3EEEvNS_4cuda6detail10TensorInfoIKT_T0_EEjPjjS8_iijT1_PSB_Ps
                                        ; -- End function
	.section	.AMDGPU.csdata,"",@progbits
; Kernel info:
; codeLenInByte = 1536
; NumSgprs: 34
; NumVgprs: 10
; ScratchSize: 0
; MemoryBound: 0
; FloatMode: 240
; IeeeMode: 1
; LDSByteSize: 1024 bytes/workgroup (compile time only)
; SGPRBlocks: 4
; VGPRBlocks: 1
; NumSGPRsForWavesPerEU: 34
; NumVGPRsForWavesPerEU: 10
; Occupancy: 16
; WaveLimiterHint : 1
; COMPUTE_PGM_RSRC2:SCRATCH_EN: 0
; COMPUTE_PGM_RSRC2:USER_SGPR: 13
; COMPUTE_PGM_RSRC2:TRAP_HANDLER: 0
; COMPUTE_PGM_RSRC2:TGID_X_EN: 1
; COMPUTE_PGM_RSRC2:TGID_Y_EN: 1
; COMPUTE_PGM_RSRC2:TGID_Z_EN: 1
; COMPUTE_PGM_RSRC2:TIDIG_COMP_CNT: 0
	.section	.text._ZN2at6native6mbtopk10gatherTopKIsmLi3EEEvNS_4cuda6detail10TensorInfoIKT_T0_EES8_S8_bjS8_NS5_IS6_S8_EES8_NS5_IlS8_EES8_jjPS6_PjSD_j,"axG",@progbits,_ZN2at6native6mbtopk10gatherTopKIsmLi3EEEvNS_4cuda6detail10TensorInfoIKT_T0_EES8_S8_bjS8_NS5_IS6_S8_EES8_NS5_IlS8_EES8_jjPS6_PjSD_j,comdat
	.protected	_ZN2at6native6mbtopk10gatherTopKIsmLi3EEEvNS_4cuda6detail10TensorInfoIKT_T0_EES8_S8_bjS8_NS5_IS6_S8_EES8_NS5_IlS8_EES8_jjPS6_PjSD_j ; -- Begin function _ZN2at6native6mbtopk10gatherTopKIsmLi3EEEvNS_4cuda6detail10TensorInfoIKT_T0_EES8_S8_bjS8_NS5_IS6_S8_EES8_NS5_IlS8_EES8_jjPS6_PjSD_j
	.globl	_ZN2at6native6mbtopk10gatherTopKIsmLi3EEEvNS_4cuda6detail10TensorInfoIKT_T0_EES8_S8_bjS8_NS5_IS6_S8_EES8_NS5_IlS8_EES8_jjPS6_PjSD_j
	.p2align	8
	.type	_ZN2at6native6mbtopk10gatherTopKIsmLi3EEEvNS_4cuda6detail10TensorInfoIKT_T0_EES8_S8_bjS8_NS5_IS6_S8_EES8_NS5_IlS8_EES8_jjPS6_PjSD_j,@function
_ZN2at6native6mbtopk10gatherTopKIsmLi3EEEvNS_4cuda6detail10TensorInfoIKT_T0_EES8_S8_bjS8_NS5_IS6_S8_EES8_NS5_IlS8_EES8_jjPS6_PjSD_j: ; @_ZN2at6native6mbtopk10gatherTopKIsmLi3EEEvNS_4cuda6detail10TensorInfoIKT_T0_EES8_S8_bjS8_NS5_IS6_S8_EES8_NS5_IlS8_EES8_jjPS6_PjSD_j
; %bb.0:
	s_clause 0x1
	s_load_b64 s[2:3], s[0:1], 0x538
	s_load_b32 s4, s[0:1], 0x530
	s_waitcnt lgkmcnt(0)
	s_mul_i32 s3, s3, s15
	s_delay_alu instid0(SALU_CYCLE_1) | instskip(NEXT) | instid1(SALU_CYCLE_1)
	s_add_i32 s3, s3, s14
	s_mul_i32 s2, s3, s2
	s_delay_alu instid0(SALU_CYCLE_1) | instskip(NEXT) | instid1(SALU_CYCLE_1)
	s_add_i32 s2, s2, s13
	s_cmp_ge_u32 s2, s4
	s_cbranch_scc1 .LBB173_54
; %bb.1:
	s_load_b64 s[34:35], s[0:1], 0x510
	s_mov_b32 s45, 0
	s_waitcnt lgkmcnt(0)
	v_cvt_f32_u32_e32 v1, s35
	s_sub_i32 s4, 0, s35
	s_lshl_b32 s33, s34, 8
	s_delay_alu instid0(VALU_DEP_1) | instskip(SKIP_2) | instid1(VALU_DEP_1)
	v_rcp_iflag_f32_e32 v1, v1
	s_waitcnt_depctr 0xfff
	v_mul_f32_e32 v1, 0x4f7ffffe, v1
	v_cvt_u32_f32_e32 v1, v1
	s_delay_alu instid0(VALU_DEP_1) | instskip(NEXT) | instid1(VALU_DEP_1)
	v_readfirstlane_b32 s3, v1
	s_mul_i32 s4, s4, s3
	s_delay_alu instid0(SALU_CYCLE_1) | instskip(NEXT) | instid1(SALU_CYCLE_1)
	s_mul_hi_u32 s4, s3, s4
	s_add_i32 s3, s3, s4
	s_clause 0x1
	s_load_b128 s[4:7], s[0:1], 0x1a0
	s_load_b128 s[8:11], s[0:1], 0x10
	s_mul_hi_u32 s3, s2, s3
	s_delay_alu instid0(SALU_CYCLE_1) | instskip(SKIP_2) | instid1(SALU_CYCLE_1)
	s_mul_i32 s12, s3, s35
	s_add_i32 s13, s3, 1
	s_sub_i32 s12, s2, s12
	s_sub_i32 s14, s12, s35
	s_cmp_ge_u32 s12, s35
	s_cselect_b32 s3, s13, s3
	s_cselect_b32 s12, s14, s12
	s_add_i32 s13, s3, 1
	s_cmp_ge_u32 s12, s35
	s_cselect_b32 s44, s13, s3
	s_delay_alu instid0(SALU_CYCLE_1) | instskip(NEXT) | instid1(SALU_CYCLE_1)
	s_mul_i32 s52, s44, s35
	s_sub_i32 s72, s2, s52
	s_delay_alu instid0(SALU_CYCLE_1) | instskip(NEXT) | instid1(SALU_CYCLE_1)
	s_add_i32 s2, s72, 1
	s_cmp_lt_u32 s2, s35
	s_cbranch_scc1 .LBB173_3
; %bb.2:
	s_mul_i32 s2, s72, s33
	s_waitcnt lgkmcnt(0)
	s_sub_u32 s2, s4, s2
	s_subb_u32 s3, s5, 0
	s_add_u32 s2, s2, 0xff
	s_addc_u32 s3, s3, 0
	s_delay_alu instid0(SALU_CYCLE_1) | instskip(NEXT) | instid1(SALU_CYCLE_1)
	s_ashr_i32 s12, s3, 31
	s_lshr_b32 s12, s12, 24
	s_delay_alu instid0(SALU_CYCLE_1) | instskip(SKIP_1) | instid1(SALU_CYCLE_1)
	s_add_u32 s2, s2, s12
	s_addc_u32 s3, s3, 0
	v_alignbit_b32 v1, s3, s2, 8
	s_delay_alu instid0(VALU_DEP_1)
	v_readfirstlane_b32 s34, v1
.LBB173_3:
	s_waitcnt lgkmcnt(0)
	v_cmp_lt_u64_e64 s2, s[44:45], s[10:11]
	s_mov_b64 s[46:47], 0
	s_mov_b64 s[48:49], 0
	s_delay_alu instid0(VALU_DEP_1)
	s_and_b32 vcc_lo, exec_lo, s2
	s_cbranch_vccnz .LBB173_5
; %bb.4:
	v_cvt_f32_u32_e32 v1, s10
	s_sub_i32 s3, 0, s10
	s_mov_b32 s49, 0
	s_delay_alu instid0(VALU_DEP_1) | instskip(SKIP_2) | instid1(VALU_DEP_1)
	v_rcp_iflag_f32_e32 v1, v1
	s_waitcnt_depctr 0xfff
	v_mul_f32_e32 v1, 0x4f7ffffe, v1
	v_cvt_u32_f32_e32 v1, v1
	s_delay_alu instid0(VALU_DEP_1) | instskip(NEXT) | instid1(VALU_DEP_1)
	v_readfirstlane_b32 s2, v1
	s_mul_i32 s3, s3, s2
	s_delay_alu instid0(SALU_CYCLE_1) | instskip(NEXT) | instid1(SALU_CYCLE_1)
	s_mul_hi_u32 s3, s2, s3
	s_add_i32 s2, s2, s3
	s_delay_alu instid0(SALU_CYCLE_1) | instskip(NEXT) | instid1(SALU_CYCLE_1)
	s_mul_hi_u32 s2, s44, s2
	s_mul_i32 s3, s2, s10
	s_add_i32 s12, s2, 1
	s_sub_i32 s3, s44, s3
	s_delay_alu instid0(SALU_CYCLE_1)
	s_sub_i32 s13, s3, s10
	s_cmp_ge_u32 s3, s10
	s_cselect_b32 s2, s12, s2
	s_cselect_b32 s3, s13, s3
	s_add_i32 s12, s2, 1
	s_cmp_ge_u32 s3, s10
	s_cselect_b32 s48, s12, s2
.LBB173_5:
	s_load_b128 s[20:23], s[0:1], 0x1d0
	v_cmp_lt_u64_e64 s2, s[48:49], s[8:9]
	s_delay_alu instid0(VALU_DEP_1)
	s_and_b32 vcc_lo, exec_lo, s2
	s_cbranch_vccnz .LBB173_7
; %bb.6:
	v_cvt_f32_u32_e32 v1, s8
	s_sub_i32 s3, 0, s8
	s_delay_alu instid0(VALU_DEP_1) | instskip(SKIP_2) | instid1(VALU_DEP_1)
	v_rcp_iflag_f32_e32 v1, v1
	s_waitcnt_depctr 0xfff
	v_mul_f32_e32 v1, 0x4f7ffffe, v1
	v_cvt_u32_f32_e32 v1, v1
	s_delay_alu instid0(VALU_DEP_1) | instskip(NEXT) | instid1(VALU_DEP_1)
	v_readfirstlane_b32 s2, v1
	s_mul_i32 s3, s3, s2
	s_delay_alu instid0(SALU_CYCLE_1) | instskip(NEXT) | instid1(SALU_CYCLE_1)
	s_mul_hi_u32 s3, s2, s3
	s_add_i32 s2, s2, s3
	s_delay_alu instid0(SALU_CYCLE_1) | instskip(NEXT) | instid1(SALU_CYCLE_1)
	s_mul_hi_u32 s2, s48, s2
	s_mul_i32 s3, s2, s8
	s_add_i32 s12, s2, 1
	s_sub_i32 s3, s48, s3
	s_delay_alu instid0(SALU_CYCLE_1)
	s_sub_i32 s13, s3, s8
	s_cmp_ge_u32 s3, s8
	s_cselect_b32 s2, s12, s2
	s_cselect_b32 s3, s13, s3
	s_add_i32 s12, s2, 1
	s_cmp_ge_u32 s3, s8
	s_cselect_b32 s46, s12, s2
.LBB173_7:
	s_waitcnt lgkmcnt(0)
	v_cmp_lt_u64_e64 s2, s[44:45], s[22:23]
	s_mov_b64 s[50:51], 0
	s_mov_b64 s[58:59], 0
	s_delay_alu instid0(VALU_DEP_1)
	s_and_b32 vcc_lo, exec_lo, s2
	s_cbranch_vccnz .LBB173_9
; %bb.8:
	v_cvt_f32_u32_e32 v1, s22
	s_sub_i32 s3, 0, s22
	s_mov_b32 s59, 0
	s_delay_alu instid0(VALU_DEP_1) | instskip(SKIP_2) | instid1(VALU_DEP_1)
	v_rcp_iflag_f32_e32 v1, v1
	s_waitcnt_depctr 0xfff
	v_mul_f32_e32 v1, 0x4f7ffffe, v1
	v_cvt_u32_f32_e32 v1, v1
	s_delay_alu instid0(VALU_DEP_1) | instskip(NEXT) | instid1(VALU_DEP_1)
	v_readfirstlane_b32 s2, v1
	s_mul_i32 s3, s3, s2
	s_delay_alu instid0(SALU_CYCLE_1) | instskip(NEXT) | instid1(SALU_CYCLE_1)
	s_mul_hi_u32 s3, s2, s3
	s_add_i32 s2, s2, s3
	s_delay_alu instid0(SALU_CYCLE_1) | instskip(NEXT) | instid1(SALU_CYCLE_1)
	s_mul_hi_u32 s2, s44, s2
	s_mul_i32 s3, s2, s22
	s_add_i32 s12, s2, 1
	s_sub_i32 s3, s44, s3
	s_delay_alu instid0(SALU_CYCLE_1)
	s_sub_i32 s13, s3, s22
	s_cmp_ge_u32 s3, s22
	s_cselect_b32 s2, s12, s2
	s_cselect_b32 s3, s13, s3
	s_add_i32 s12, s2, 1
	s_cmp_ge_u32 s3, s22
	s_cselect_b32 s58, s12, s2
.LBB173_9:
	s_load_b128 s[24:27], s[0:1], 0x378
	v_cmp_lt_u64_e64 s2, s[58:59], s[20:21]
	s_delay_alu instid0(VALU_DEP_1)
	s_and_b32 vcc_lo, exec_lo, s2
	s_cbranch_vccnz .LBB173_11
; %bb.10:
	v_cvt_f32_u32_e32 v1, s20
	s_sub_i32 s3, 0, s20
	s_delay_alu instid0(VALU_DEP_1) | instskip(SKIP_2) | instid1(VALU_DEP_1)
	v_rcp_iflag_f32_e32 v1, v1
	s_waitcnt_depctr 0xfff
	v_mul_f32_e32 v1, 0x4f7ffffe, v1
	v_cvt_u32_f32_e32 v1, v1
	s_delay_alu instid0(VALU_DEP_1) | instskip(NEXT) | instid1(VALU_DEP_1)
	v_readfirstlane_b32 s2, v1
	s_mul_i32 s3, s3, s2
	s_delay_alu instid0(SALU_CYCLE_1) | instskip(NEXT) | instid1(SALU_CYCLE_1)
	s_mul_hi_u32 s3, s2, s3
	s_add_i32 s2, s2, s3
	s_delay_alu instid0(SALU_CYCLE_1) | instskip(NEXT) | instid1(SALU_CYCLE_1)
	s_mul_hi_u32 s2, s58, s2
	s_mul_i32 s3, s2, s20
	s_add_i32 s12, s2, 1
	s_sub_i32 s3, s58, s3
	s_delay_alu instid0(SALU_CYCLE_1)
	s_sub_i32 s13, s3, s20
	s_cmp_ge_u32 s3, s20
	s_cselect_b32 s2, s12, s2
	s_cselect_b32 s3, s13, s3
	s_add_i32 s12, s2, 1
	s_cmp_ge_u32 s3, s20
	s_cselect_b32 s50, s12, s2
.LBB173_11:
	s_waitcnt lgkmcnt(0)
	v_cmp_lt_u64_e64 s2, s[44:45], s[26:27]
	s_mov_b64 s[54:55], 0
	s_mov_b64 s[64:65], 0
	s_delay_alu instid0(VALU_DEP_1)
	s_and_b32 vcc_lo, exec_lo, s2
	s_cbranch_vccnz .LBB173_13
; %bb.12:
	v_cvt_f32_u32_e32 v1, s26
	s_sub_i32 s3, 0, s26
	s_mov_b32 s65, 0
	s_delay_alu instid0(VALU_DEP_1) | instskip(SKIP_2) | instid1(VALU_DEP_1)
	v_rcp_iflag_f32_e32 v1, v1
	s_waitcnt_depctr 0xfff
	v_mul_f32_e32 v1, 0x4f7ffffe, v1
	v_cvt_u32_f32_e32 v1, v1
	s_delay_alu instid0(VALU_DEP_1) | instskip(NEXT) | instid1(VALU_DEP_1)
	v_readfirstlane_b32 s2, v1
	s_mul_i32 s3, s3, s2
	s_delay_alu instid0(SALU_CYCLE_1) | instskip(NEXT) | instid1(SALU_CYCLE_1)
	s_mul_hi_u32 s3, s2, s3
	s_add_i32 s2, s2, s3
	s_delay_alu instid0(SALU_CYCLE_1) | instskip(NEXT) | instid1(SALU_CYCLE_1)
	s_mul_hi_u32 s2, s44, s2
	s_mul_i32 s3, s2, s26
	s_add_i32 s12, s2, 1
	s_sub_i32 s3, s44, s3
	s_delay_alu instid0(SALU_CYCLE_1)
	s_sub_i32 s13, s3, s26
	s_cmp_ge_u32 s3, s26
	s_cselect_b32 s2, s12, s2
	s_cselect_b32 s3, s13, s3
	s_add_i32 s12, s2, 1
	s_cmp_ge_u32 s3, s26
	s_cselect_b32 s64, s12, s2
.LBB173_13:
	s_clause 0x5
	s_load_b64 s[62:63], s[0:1], 0xe0
	s_load_b128 s[40:43], s[0:1], 0xd0
	s_load_b64 s[60:61], s[0:1], 0x2a0
	s_load_b128 s[36:39], s[0:1], 0x290
	;; [unrolled: 2-line block ×3, first 2 shown]
	v_cmp_lt_u64_e64 s2, s[64:65], s[24:25]
	s_delay_alu instid0(VALU_DEP_1)
	s_and_b32 vcc_lo, exec_lo, s2
	s_cbranch_vccnz .LBB173_15
; %bb.14:
	v_cvt_f32_u32_e32 v1, s24
	s_sub_i32 s3, 0, s24
	s_delay_alu instid0(VALU_DEP_1) | instskip(SKIP_2) | instid1(VALU_DEP_1)
	v_rcp_iflag_f32_e32 v1, v1
	s_waitcnt_depctr 0xfff
	v_mul_f32_e32 v1, 0x4f7ffffe, v1
	v_cvt_u32_f32_e32 v1, v1
	s_delay_alu instid0(VALU_DEP_1) | instskip(NEXT) | instid1(VALU_DEP_1)
	v_readfirstlane_b32 s2, v1
	s_mul_i32 s3, s3, s2
	s_delay_alu instid0(SALU_CYCLE_1) | instskip(NEXT) | instid1(SALU_CYCLE_1)
	s_mul_hi_u32 s3, s2, s3
	s_add_i32 s2, s2, s3
	s_delay_alu instid0(SALU_CYCLE_1) | instskip(NEXT) | instid1(SALU_CYCLE_1)
	s_mul_hi_u32 s2, s64, s2
	s_mul_i32 s3, s2, s24
	s_add_i32 s12, s2, 1
	s_sub_i32 s3, s64, s3
	s_delay_alu instid0(SALU_CYCLE_1)
	s_sub_i32 s13, s3, s24
	s_cmp_ge_u32 s3, s24
	s_cselect_b32 s2, s12, s2
	s_cselect_b32 s3, s13, s3
	s_add_i32 s12, s2, 1
	s_cmp_ge_u32 s3, s24
	s_cselect_b32 s54, s12, s2
.LBB173_15:
	s_clause 0x1
	s_load_b128 s[12:15], s[0:1], 0x518
	s_load_b64 s[66:67], s[0:1], 0x0
	s_lshl_b64 s[2:3], s[44:45], 1
	v_mov_b32_e32 v1, 0
	s_mov_b32 s53, 0
	s_waitcnt lgkmcnt(0)
	s_add_u32 s2, s12, s2
	s_addc_u32 s3, s13, s3
	global_load_u16 v8, v1, s[2:3]
	v_cmp_ne_u32_e64 s2, 0, v0
	v_cmp_eq_u32_e64 s3, 0, v0
	s_delay_alu instid0(VALU_DEP_1)
	s_and_saveexec_b32 s45, s3
	s_cbranch_execz .LBB173_31
; %bb.16:
	s_load_b64 s[12:13], s[0:1], 0x528
	s_lshl_b64 s[68:69], s[52:53], 2
	s_mov_b32 s47, 0
	s_add_u32 s16, s14, s68
	s_addc_u32 s17, s15, s69
	s_mov_b32 s51, 0
	s_waitcnt lgkmcnt(0)
	s_add_u32 s18, s12, s68
	s_addc_u32 s19, s13, s69
	s_cmp_lt_u32 s35, 4
	s_cbranch_scc1 .LBB173_28
; %bb.17:
	s_mov_b32 s52, 0
.LBB173_18:                             ; =>This Inner Loop Header: Depth=1
	s_add_u32 s16, s14, s68
	s_addc_u32 s17, s15, s69
	s_add_u32 s70, s12, s68
	s_load_b128 s[16:19], s[16:17], 0x0
	s_addc_u32 s71, s13, s69
	s_cmp_ge_u32 s52, s72
	s_cbranch_scc0 .LBB173_25
; %bb.19:                               ;   in Loop: Header=BB173_18 Depth=1
	s_add_i32 s55, s52, 1
	s_delay_alu instid0(SALU_CYCLE_1)
	s_cmp_ge_u32 s55, s72
	s_cbranch_scc0 .LBB173_26
.LBB173_20:                             ;   in Loop: Header=BB173_18 Depth=1
	s_add_i32 s55, s55, 1
	s_delay_alu instid0(SALU_CYCLE_1)
	s_cmp_ge_u32 s55, s72
	s_cbranch_scc0 .LBB173_27
.LBB173_21:                             ;   in Loop: Header=BB173_18 Depth=1
	s_add_i32 s55, s55, 1
	s_delay_alu instid0(SALU_CYCLE_1)
	s_cmp_ge_u32 s55, s72
	s_cbranch_scc1 .LBB173_23
.LBB173_22:                             ;   in Loop: Header=BB173_18 Depth=1
	s_load_b32 s70, s[70:71], 0xc
	s_waitcnt lgkmcnt(0)
	s_add_i32 s53, s53, s19
	s_add_i32 s47, s70, s47
.LBB173_23:                             ;   in Loop: Header=BB173_18 Depth=1
	s_waitcnt lgkmcnt(0)
	s_add_i32 s16, s16, s51
	s_delay_alu instid0(SALU_CYCLE_1) | instskip(NEXT) | instid1(SALU_CYCLE_1)
	s_add_i32 s16, s16, s17
	s_add_i32 s16, s16, s18
	s_delay_alu instid0(SALU_CYCLE_1)
	s_add_i32 s51, s16, s19
	s_add_u32 s14, s14, 16
	s_addc_u32 s15, s15, 0
	s_add_u32 s12, s12, 16
	s_addc_u32 s13, s13, 0
	s_add_i32 s70, s55, 4
	s_add_u32 s18, s12, s68
	s_addc_u32 s19, s13, s69
	s_add_u32 s16, s14, s68
	s_addc_u32 s17, s15, s69
	s_add_i32 s55, s55, 1
	s_cmp_ge_u32 s70, s35
	s_cbranch_scc1 .LBB173_29
; %bb.24:                               ;   in Loop: Header=BB173_18 Depth=1
	s_mov_b32 s52, s55
	s_branch .LBB173_18
.LBB173_25:                             ;   in Loop: Header=BB173_18 Depth=1
	s_load_b32 s55, s[70:71], 0x0
	s_waitcnt lgkmcnt(0)
	s_add_i32 s53, s16, s53
	s_add_i32 s47, s55, s47
	;; [unrolled: 1-line block ×3, first 2 shown]
	s_delay_alu instid0(SALU_CYCLE_1)
	s_cmp_ge_u32 s55, s72
	s_cbranch_scc1 .LBB173_20
.LBB173_26:                             ;   in Loop: Header=BB173_18 Depth=1
	s_load_b32 s73, s[70:71], 0x4
	s_waitcnt lgkmcnt(0)
	s_add_i32 s53, s53, s17
	s_add_i32 s47, s73, s47
	;; [unrolled: 1-line block ×3, first 2 shown]
	s_delay_alu instid0(SALU_CYCLE_1)
	s_cmp_ge_u32 s55, s72
	s_cbranch_scc1 .LBB173_21
.LBB173_27:                             ;   in Loop: Header=BB173_18 Depth=1
	s_load_b32 s73, s[70:71], 0x8
	s_waitcnt lgkmcnt(0)
	s_add_i32 s53, s53, s18
	s_add_i32 s47, s73, s47
	;; [unrolled: 1-line block ×3, first 2 shown]
	s_delay_alu instid0(SALU_CYCLE_1)
	s_cmp_ge_u32 s55, s72
	s_cbranch_scc0 .LBB173_22
	s_branch .LBB173_23
.LBB173_28:
	s_mov_b32 s12, 0
	s_delay_alu instid0(SALU_CYCLE_1)
	s_cmp_ge_u32 s12, s35
	s_cbranch_scc0 .LBB173_52
	s_branch .LBB173_30
.LBB173_29:
	s_add_i32 s12, s52, 4
	s_delay_alu instid0(SALU_CYCLE_1)
	s_cmp_ge_u32 s12, s35
	s_cbranch_scc0 .LBB173_52
.LBB173_30:
	v_dual_mov_b32 v1, s47 :: v_dual_mov_b32 v2, s51
	v_dual_mov_b32 v3, s53 :: v_dual_mov_b32 v4, 0
	ds_store_b96 v4, v[1:3] offset:1056
.LBB173_31:
	s_or_b32 exec_lo, exec_lo, s45
	s_clause 0x1
	s_load_b128 s[12:15], s[0:1], 0x1b8
	s_load_b128 s[16:19], s[0:1], 0x360
	s_cmp_eq_u32 s34, 0
	s_waitcnt vmcnt(0) lgkmcnt(0)
	s_barrier
	buffer_gl0_inv
	s_cbranch_scc1 .LBB173_54
; %bb.32:
	s_mul_i32 s27, s64, s27
	s_mul_hi_u32 s35, s64, s26
	s_mul_i32 s26, s64, s26
	s_add_i32 s35, s35, s27
	s_sub_u32 s26, s44, s26
	s_subb_u32 s35, 0, s35
	s_mul_i32 s27, s26, s57
	s_mul_hi_u32 s45, s26, s56
	s_mul_i32 s35, s35, s56
	s_add_i32 s27, s45, s27
	s_mul_i32 s21, s50, s21
	s_add_i32 s27, s27, s35
	s_mul_hi_u32 s35, s50, s20
	s_mul_i32 s20, s50, s20
	s_add_i32 s35, s35, s21
	s_sub_u32 s20, s58, s20
	s_subb_u32 s35, s59, s35
	s_mul_i32 s21, s20, s39
	s_mul_hi_u32 s39, s20, s38
	s_mul_i32 s35, s35, s38
	s_add_i32 s21, s39, s21
	s_mul_i32 s37, s50, s37
	s_mul_hi_u32 s45, s50, s36
	s_add_i32 s39, s21, s35
	s_mul_i32 s21, s58, s23
	s_mul_hi_u32 s23, s58, s22
	s_mul_i32 s22, s58, s22
	s_add_i32 s37, s45, s37
	s_add_i32 s23, s23, s21
	s_sub_u32 s35, s44, s22
	s_subb_u32 s23, 0, s23
	s_mul_i32 s21, s35, s61
	s_mul_hi_u32 s22, s35, s60
	s_mul_i32 s23, s23, s60
	s_add_i32 s21, s22, s21
	s_mul_i32 s9, s46, s9
	s_mul_hi_u32 s22, s46, s8
	s_mul_i32 s8, s46, s8
	s_add_i32 s21, s21, s23
	s_add_i32 s22, s22, s9
	s_sub_u32 s8, s48, s8
	s_subb_u32 s22, s49, s22
	s_mul_i32 s9, s8, s43
	s_mul_hi_u32 s23, s8, s42
	s_mul_i32 s22, s22, s42
	s_add_i32 s9, s23, s9
	s_mul_i32 s23, s46, s41
	s_mul_hi_u32 s41, s46, s40
	s_add_i32 s9, s9, s22
	s_mul_i32 s11, s48, s11
	s_mul_hi_u32 s22, s48, s10
	s_mul_i32 s10, s48, s10
	s_add_i32 s23, s41, s23
	s_add_i32 s22, s22, s11
	s_sub_u32 s10, s44, s10
	s_subb_u32 s22, 0, s22
	s_mul_i32 s11, s10, s63
	s_mul_hi_u32 s41, s10, s62
	s_mul_i32 s22, s22, s62
	s_add_i32 s11, s41, s11
	s_mul_i32 s38, s20, s38
	s_add_i32 s11, s11, s22
	s_mul_i32 s20, s54, s25
	s_mul_hi_u32 s22, s54, s24
	s_mul_i32 s24, s54, s24
	s_add_i32 s22, s22, s20
	s_sub_u32 s24, s64, s24
	s_subb_u32 s22, s65, s22
	s_mul_i32 s20, s24, s31
	s_mul_hi_u32 s25, s24, s30
	s_mul_i32 s8, s8, s42
	s_add_i32 s20, s25, s20
	s_mul_i32 s25, s22, s30
	s_mul_i32 s22, s46, s40
	s_add_i32 s25, s20, s25
	s_mul_i32 s20, s54, s29
	s_mul_hi_u32 s29, s54, s28
	s_lshl_b64 s[22:23], s[22:23], 1
	s_add_i32 s29, s29, s20
	s_add_u32 s20, s66, s22
	s_addc_u32 s22, s67, s23
	s_lshl_b64 s[8:9], s[8:9], 1
	s_mul_i32 s10, s10, s62
	v_mov_b32_e32 v5, 0
	v_bfe_i32 v4, v8, 0, 16
	s_add_u32 s20, s20, s8
	s_addc_u32 s22, s22, s9
	s_lshl_b64 s[8:9], s[10:11], 1
	s_mul_i32 s36, s50, s36
	s_add_u32 s10, s20, s8
	s_addc_u32 s11, s22, s9
	s_lshl_b64 s[8:9], s[36:37], 1
	v_add_nc_u32_e32 v9, 0x8000, v4
	v_add_nc_u32_e32 v4, -1, v0
	ds_load_b96 v[1:3], v5 offset:1056
	s_add_u32 s14, s14, s8
	s_addc_u32 s15, s15, s9
	s_lshl_b64 s[8:9], s[38:39], 1
	s_mul_i32 s20, s35, s60
	s_add_u32 s14, s14, s8
	s_addc_u32 s15, s15, s9
	s_lshl_b64 s[8:9], s[20:21], 1
	s_mul_i32 s28, s54, s28
	;; [unrolled: 4-line block ×4, first 2 shown]
	s_add_u32 s18, s18, s8
	s_load_b32 s20, s[0:1], 0x1b0
	s_addc_u32 s19, s19, s9
	s_lshl_b64 s[8:9], s[26:27], 3
	s_waitcnt lgkmcnt(0)
	v_add_nc_u32_e32 v1, v1, v2
	s_add_u32 s18, s18, s8
	s_addc_u32 s19, s19, s9
	s_load_b64 s[8:9], s[0:1], 0x508
	v_lshrrev_b32_e32 v2, 5, v0
	v_mad_u64_u32 v[6:7], null, s72, s33, v[0:1]
	v_lshlrev_b32_e32 v12, 3, v0
	v_lshrrev_b32_e32 v13, 2, v0
	v_lshrrev_b32_e32 v14, 5, v4
	v_mbcnt_lo_u32_b32 v10, -1, 0
	v_add_lshl_u32 v11, v2, v0, 2
	v_cmp_gt_u32_e64 s0, 32, v0
	v_add_lshl_u32 v0, v13, v12, 2
	v_add_lshl_u32 v12, v14, v4, 2
	v_and_b32_e32 v13, 15, v10
	v_bfe_i32 v14, v10, 4, 1
	v_dual_mov_b32 v4, v6 :: v_dual_add_nc_u32 v15, -1, v10
	s_bitcmp1_b32 s20, 0
                                        ; implicit-def: $vgpr16
	s_cselect_b32 s1, -1, 0
	s_branch .LBB173_35
.LBB173_33:                             ;   in Loop: Header=BB173_35 Depth=1
	s_or_b32 exec_lo, exec_lo, s20
	v_add_nc_u32_e32 v1, v2, v1
.LBB173_34:                             ;   in Loop: Header=BB173_35 Depth=1
	v_add_nc_u32_e32 v3, v17, v3
	v_add_nc_u32_e32 v4, 0x100, v4
	s_add_i32 s34, s34, -1
	s_delay_alu instid0(SALU_CYCLE_1)
	s_cmp_lg_u32 s34, 0
	s_cbranch_scc0 .LBB173_54
.LBB173_35:                             ; =>This Inner Loop Header: Depth=1
	v_mov_b32_e32 v2, v5
	v_mov_b32_e32 v6, v5
	s_mov_b32 s20, exec_lo
	v_cmpx_gt_u64_e64 s[4:5], v[4:5]
	s_cbranch_execz .LBB173_37
; %bb.36:                               ;   in Loop: Header=BB173_35 Depth=1
	v_mad_u64_u32 v[6:7], null, v4, s12, 0
	s_delay_alu instid0(VALU_DEP_1) | instskip(NEXT) | instid1(VALU_DEP_1)
	v_mov_b32_e32 v2, v7
	v_mad_u64_u32 v[16:17], null, v4, s13, v[2:3]
	s_delay_alu instid0(VALU_DEP_1) | instskip(NEXT) | instid1(VALU_DEP_1)
	v_mov_b32_e32 v7, v16
	v_lshlrev_b64 v[6:7], 1, v[6:7]
	s_delay_alu instid0(VALU_DEP_1) | instskip(NEXT) | instid1(VALU_DEP_2)
	v_add_co_u32 v6, vcc_lo, s10, v6
	v_add_co_ci_u32_e32 v7, vcc_lo, s11, v7, vcc_lo
	global_load_u16 v16, v[6:7], off
	s_waitcnt vmcnt(0)
	v_bfe_i32 v2, v16, 0, 16
	s_delay_alu instid0(VALU_DEP_1) | instskip(NEXT) | instid1(VALU_DEP_1)
	v_add_nc_u32_e32 v2, 0x8000, v2
	v_cmp_gt_u32_e32 vcc_lo, v2, v9
	v_cndmask_b32_e64 v6, 0, 1, vcc_lo
	v_cmp_lt_u32_e32 vcc_lo, v2, v9
	v_cndmask_b32_e64 v2, 0, 1, vcc_lo
	v_cmp_eq_u16_e32 vcc_lo, v16, v8
	s_delay_alu instid0(VALU_DEP_2) | instskip(SKIP_1) | instid1(VALU_DEP_2)
	v_cndmask_b32_e64 v2, v2, v6, s1
	v_cndmask_b32_e64 v6, 0, 1, vcc_lo
	v_and_b32_e32 v2, 1, v2
.LBB173_37:                             ;   in Loop: Header=BB173_35 Depth=1
	s_or_b32 exec_lo, exec_lo, s20
	ds_store_b32 v11, v2
	s_waitcnt lgkmcnt(0)
	s_waitcnt_vscnt null, 0x0
	s_barrier
	buffer_gl0_inv
	s_and_saveexec_b32 s20, s0
	s_cbranch_execz .LBB173_39
; %bb.38:                               ;   in Loop: Header=BB173_35 Depth=1
	ds_load_2addr_b32 v[17:18], v0 offset1:1
	ds_load_2addr_b32 v[19:20], v0 offset0:2 offset1:3
	ds_load_2addr_b32 v[21:22], v0 offset0:4 offset1:5
	;; [unrolled: 1-line block ×3, first 2 shown]
	v_cmp_ne_u32_e32 vcc_lo, 0, v13
	; wave barrier
	s_waitcnt lgkmcnt(3)
	v_add_nc_u32_e32 v7, v18, v17
	s_waitcnt lgkmcnt(2)
	s_delay_alu instid0(VALU_DEP_1) | instskip(SKIP_1) | instid1(VALU_DEP_1)
	v_add3_u32 v7, v7, v19, v20
	s_waitcnt lgkmcnt(1)
	v_add3_u32 v7, v7, v21, v22
	s_waitcnt lgkmcnt(0)
	s_delay_alu instid0(VALU_DEP_1) | instskip(NEXT) | instid1(VALU_DEP_1)
	v_add3_u32 v7, v7, v23, v24
	v_mov_b32_dpp v18, v7 row_shr:1 row_mask:0xf bank_mask:0xf
	s_delay_alu instid0(VALU_DEP_1) | instskip(SKIP_1) | instid1(VALU_DEP_2)
	v_cndmask_b32_e32 v18, 0, v18, vcc_lo
	v_cmp_lt_u32_e32 vcc_lo, 1, v13
	v_add_nc_u32_e32 v7, v18, v7
	s_delay_alu instid0(VALU_DEP_1) | instskip(NEXT) | instid1(VALU_DEP_1)
	v_mov_b32_dpp v18, v7 row_shr:2 row_mask:0xf bank_mask:0xf
	v_cndmask_b32_e32 v18, 0, v18, vcc_lo
	v_cmp_lt_u32_e32 vcc_lo, 3, v13
	s_delay_alu instid0(VALU_DEP_2) | instskip(NEXT) | instid1(VALU_DEP_1)
	v_add_nc_u32_e32 v7, v7, v18
	v_mov_b32_dpp v18, v7 row_shr:4 row_mask:0xf bank_mask:0xf
	s_delay_alu instid0(VALU_DEP_1) | instskip(SKIP_1) | instid1(VALU_DEP_2)
	v_cndmask_b32_e32 v18, 0, v18, vcc_lo
	v_cmp_lt_u32_e32 vcc_lo, 7, v13
	v_add_nc_u32_e32 v7, v7, v18
	s_delay_alu instid0(VALU_DEP_1) | instskip(NEXT) | instid1(VALU_DEP_1)
	v_mov_b32_dpp v18, v7 row_shr:8 row_mask:0xf bank_mask:0xf
	v_cndmask_b32_e32 v18, 0, v18, vcc_lo
	v_cmp_gt_i32_e32 vcc_lo, 0, v15
	s_delay_alu instid0(VALU_DEP_2)
	v_add_nc_u32_e32 v7, v7, v18
	v_cndmask_b32_e32 v19, v15, v10, vcc_lo
	ds_swizzle_b32 v18, v7 offset:swizzle(BROADCAST,32,15)
	v_lshlrev_b32_e32 v19, 2, v19
	s_waitcnt lgkmcnt(0)
	v_and_b32_e32 v18, v14, v18
	s_delay_alu instid0(VALU_DEP_1) | instskip(SKIP_3) | instid1(VALU_DEP_1)
	v_add_nc_u32_e32 v7, v7, v18
	ds_bpermute_b32 v7, v19, v7
	s_waitcnt lgkmcnt(0)
	v_add_nc_u32_e32 v7, v7, v17
	v_cndmask_b32_e64 v7, v7, v2, s3
	ds_store_b32 v0, v7
	; wave barrier
	ds_load_2addr_b32 v[17:18], v0 offset0:1 offset1:2
	ds_load_2addr_b32 v[19:20], v0 offset0:3 offset1:4
	;; [unrolled: 1-line block ×3, first 2 shown]
	ds_load_b32 v23, v0 offset:28
	s_waitcnt lgkmcnt(3)
	v_add_nc_u32_e32 v7, v17, v7
	s_delay_alu instid0(VALU_DEP_1) | instskip(SKIP_1) | instid1(VALU_DEP_1)
	v_add_nc_u32_e32 v17, v18, v7
	s_waitcnt lgkmcnt(2)
	v_add_nc_u32_e32 v18, v19, v17
	s_delay_alu instid0(VALU_DEP_1) | instskip(SKIP_1) | instid1(VALU_DEP_1)
	v_add_nc_u32_e32 v19, v20, v18
	;; [unrolled: 4-line block ×3, first 2 shown]
	s_waitcnt lgkmcnt(0)
	v_add_nc_u32_e32 v22, v23, v21
	ds_store_2addr_b32 v0, v7, v17 offset0:1 offset1:2
	ds_store_2addr_b32 v0, v18, v19 offset0:3 offset1:4
	;; [unrolled: 1-line block ×3, first 2 shown]
	ds_store_b32 v0, v22 offset:28
.LBB173_39:                             ;   in Loop: Header=BB173_35 Depth=1
	s_or_b32 exec_lo, exec_lo, s20
	v_mov_b32_e32 v7, 0
	s_waitcnt lgkmcnt(0)
	s_barrier
	buffer_gl0_inv
	s_and_saveexec_b32 s20, s2
	s_cbranch_execz .LBB173_41
; %bb.40:                               ;   in Loop: Header=BB173_35 Depth=1
	ds_load_b32 v7, v12
.LBB173_41:                             ;   in Loop: Header=BB173_35 Depth=1
	s_or_b32 exec_lo, exec_lo, s20
	ds_load_b32 v17, v5 offset:1048
	s_mov_b32 s20, exec_lo
	s_waitcnt lgkmcnt(0)
	s_barrier
	buffer_gl0_inv
	v_cmpx_ne_u32_e32 0, v2
	s_cbranch_execz .LBB173_43
; %bb.42:                               ;   in Loop: Header=BB173_35 Depth=1
	v_add_nc_u32_e32 v24, v7, v3
	s_delay_alu instid0(VALU_DEP_1) | instskip(NEXT) | instid1(VALU_DEP_1)
	v_mad_u64_u32 v[20:21], null, v24, s8, 0
	v_mov_b32_e32 v7, v21
	v_mad_u64_u32 v[18:19], null, v24, s16, 0
	s_delay_alu instid0(VALU_DEP_1) | instskip(NEXT) | instid1(VALU_DEP_1)
	v_mov_b32_e32 v2, v19
	v_mad_u64_u32 v[21:22], null, v24, s17, v[2:3]
	s_delay_alu instid0(VALU_DEP_4) | instskip(NEXT) | instid1(VALU_DEP_2)
	v_mad_u64_u32 v[22:23], null, v24, s9, v[7:8]
	v_mov_b32_e32 v19, v21
	s_delay_alu instid0(VALU_DEP_2) | instskip(NEXT) | instid1(VALU_DEP_2)
	v_mov_b32_e32 v21, v22
	v_lshlrev_b64 v[18:19], 1, v[18:19]
	s_delay_alu instid0(VALU_DEP_2) | instskip(NEXT) | instid1(VALU_DEP_2)
	v_lshlrev_b64 v[20:21], 3, v[20:21]
	v_add_co_u32 v18, vcc_lo, s14, v18
	s_delay_alu instid0(VALU_DEP_3) | instskip(NEXT) | instid1(VALU_DEP_3)
	v_add_co_ci_u32_e32 v19, vcc_lo, s15, v19, vcc_lo
	v_add_co_u32 v20, vcc_lo, s18, v20
	s_delay_alu instid0(VALU_DEP_4)
	v_add_co_ci_u32_e32 v21, vcc_lo, s19, v21, vcc_lo
	global_store_b16 v[18:19], v16, off
	global_store_b64 v[20:21], v[4:5], off
.LBB173_43:                             ;   in Loop: Header=BB173_35 Depth=1
	s_or_b32 exec_lo, exec_lo, s20
	v_mov_b32_e32 v2, v5
	s_delay_alu instid0(VALU_DEP_1)
	v_cmp_le_u64_e32 vcc_lo, s[6:7], v[1:2]
	s_cbranch_vccnz .LBB173_34
; %bb.44:                               ;   in Loop: Header=BB173_35 Depth=1
	ds_store_b32 v11, v6
	s_waitcnt lgkmcnt(0)
	s_waitcnt_vscnt null, 0x0
	s_barrier
	buffer_gl0_inv
	s_and_saveexec_b32 s20, s0
	s_cbranch_execz .LBB173_46
; %bb.45:                               ;   in Loop: Header=BB173_35 Depth=1
	ds_load_2addr_b32 v[18:19], v0 offset1:1
	ds_load_2addr_b32 v[20:21], v0 offset0:2 offset1:3
	ds_load_2addr_b32 v[22:23], v0 offset0:4 offset1:5
	ds_load_2addr_b32 v[24:25], v0 offset0:6 offset1:7
	v_cmp_ne_u32_e32 vcc_lo, 0, v13
	; wave barrier
	s_waitcnt lgkmcnt(3)
	v_add_nc_u32_e32 v2, v19, v18
	s_waitcnt lgkmcnt(2)
	s_delay_alu instid0(VALU_DEP_1) | instskip(SKIP_1) | instid1(VALU_DEP_1)
	v_add3_u32 v2, v2, v20, v21
	s_waitcnt lgkmcnt(1)
	v_add3_u32 v2, v2, v22, v23
	s_waitcnt lgkmcnt(0)
	s_delay_alu instid0(VALU_DEP_1) | instskip(NEXT) | instid1(VALU_DEP_1)
	v_add3_u32 v2, v2, v24, v25
	v_mov_b32_dpp v7, v2 row_shr:1 row_mask:0xf bank_mask:0xf
	s_delay_alu instid0(VALU_DEP_1) | instskip(SKIP_1) | instid1(VALU_DEP_2)
	v_cndmask_b32_e32 v7, 0, v7, vcc_lo
	v_cmp_lt_u32_e32 vcc_lo, 1, v13
	v_add_nc_u32_e32 v2, v7, v2
	s_delay_alu instid0(VALU_DEP_1) | instskip(NEXT) | instid1(VALU_DEP_1)
	v_mov_b32_dpp v7, v2 row_shr:2 row_mask:0xf bank_mask:0xf
	v_cndmask_b32_e32 v7, 0, v7, vcc_lo
	v_cmp_lt_u32_e32 vcc_lo, 3, v13
	s_delay_alu instid0(VALU_DEP_2) | instskip(NEXT) | instid1(VALU_DEP_1)
	v_add_nc_u32_e32 v2, v2, v7
	v_mov_b32_dpp v7, v2 row_shr:4 row_mask:0xf bank_mask:0xf
	s_delay_alu instid0(VALU_DEP_1) | instskip(SKIP_1) | instid1(VALU_DEP_2)
	v_cndmask_b32_e32 v7, 0, v7, vcc_lo
	v_cmp_lt_u32_e32 vcc_lo, 7, v13
	v_add_nc_u32_e32 v2, v2, v7
	s_delay_alu instid0(VALU_DEP_1) | instskip(NEXT) | instid1(VALU_DEP_1)
	v_mov_b32_dpp v7, v2 row_shr:8 row_mask:0xf bank_mask:0xf
	v_cndmask_b32_e32 v7, 0, v7, vcc_lo
	v_cmp_gt_i32_e32 vcc_lo, 0, v15
	s_delay_alu instid0(VALU_DEP_2) | instskip(SKIP_4) | instid1(VALU_DEP_1)
	v_dual_cndmask_b32 v19, v15, v10 :: v_dual_add_nc_u32 v2, v2, v7
	ds_swizzle_b32 v7, v2 offset:swizzle(BROADCAST,32,15)
	v_lshlrev_b32_e32 v19, 2, v19
	s_waitcnt lgkmcnt(0)
	v_and_b32_e32 v7, v14, v7
	v_add_nc_u32_e32 v2, v2, v7
	ds_bpermute_b32 v2, v19, v2
	s_waitcnt lgkmcnt(0)
	v_add_nc_u32_e32 v2, v2, v18
	s_delay_alu instid0(VALU_DEP_1)
	v_cndmask_b32_e64 v2, v2, v6, s3
	ds_store_b32 v0, v2
	; wave barrier
	ds_load_2addr_b32 v[18:19], v0 offset0:1 offset1:2
	ds_load_2addr_b32 v[20:21], v0 offset0:3 offset1:4
	;; [unrolled: 1-line block ×3, first 2 shown]
	ds_load_b32 v7, v0 offset:28
	s_waitcnt lgkmcnt(3)
	v_add_nc_u32_e32 v2, v18, v2
	s_delay_alu instid0(VALU_DEP_1) | instskip(SKIP_1) | instid1(VALU_DEP_1)
	v_add_nc_u32_e32 v18, v19, v2
	s_waitcnt lgkmcnt(2)
	v_add_nc_u32_e32 v19, v20, v18
	s_delay_alu instid0(VALU_DEP_1) | instskip(SKIP_1) | instid1(VALU_DEP_1)
	v_add_nc_u32_e32 v20, v21, v19
	;; [unrolled: 4-line block ×3, first 2 shown]
	s_waitcnt lgkmcnt(0)
	v_add_nc_u32_e32 v7, v7, v22
	ds_store_2addr_b32 v0, v2, v18 offset0:1 offset1:2
	ds_store_2addr_b32 v0, v19, v20 offset0:3 offset1:4
	;; [unrolled: 1-line block ×3, first 2 shown]
	ds_store_b32 v0, v7 offset:28
.LBB173_46:                             ;   in Loop: Header=BB173_35 Depth=1
	s_or_b32 exec_lo, exec_lo, s20
	v_mov_b32_e32 v7, 0
	s_waitcnt lgkmcnt(0)
	s_barrier
	buffer_gl0_inv
	s_and_saveexec_b32 s20, s2
	s_cbranch_execz .LBB173_48
; %bb.47:                               ;   in Loop: Header=BB173_35 Depth=1
	ds_load_b32 v7, v12
.LBB173_48:                             ;   in Loop: Header=BB173_35 Depth=1
	s_or_b32 exec_lo, exec_lo, s20
	ds_load_b32 v2, v5 offset:1048
	s_mov_b32 s20, exec_lo
	s_waitcnt lgkmcnt(0)
	s_barrier
	buffer_gl0_inv
	v_cmpx_ne_u32_e32 0, v6
	s_cbranch_execz .LBB173_33
; %bb.49:                               ;   in Loop: Header=BB173_35 Depth=1
	v_dual_mov_b32 v7, v5 :: v_dual_add_nc_u32 v6, v7, v1
	s_delay_alu instid0(VALU_DEP_1)
	v_cmp_gt_u64_e32 vcc_lo, s[6:7], v[6:7]
	s_and_b32 exec_lo, exec_lo, vcc_lo
	s_cbranch_execz .LBB173_33
; %bb.50:                               ;   in Loop: Header=BB173_35 Depth=1
	v_mad_u64_u32 v[18:19], null, v6, s16, 0
	v_mad_u64_u32 v[20:21], null, v6, s8, 0
	s_delay_alu instid0(VALU_DEP_2) | instskip(NEXT) | instid1(VALU_DEP_2)
	v_mov_b32_e32 v7, v19
	v_mov_b32_e32 v19, v21
	s_delay_alu instid0(VALU_DEP_2) | instskip(NEXT) | instid1(VALU_DEP_2)
	v_mad_u64_u32 v[21:22], null, v6, s17, v[7:8]
	v_mad_u64_u32 v[22:23], null, v6, s9, v[19:20]
	s_delay_alu instid0(VALU_DEP_2) | instskip(NEXT) | instid1(VALU_DEP_2)
	v_mov_b32_e32 v19, v21
	v_mov_b32_e32 v21, v22
	s_delay_alu instid0(VALU_DEP_2) | instskip(NEXT) | instid1(VALU_DEP_2)
	v_lshlrev_b64 v[6:7], 1, v[18:19]
	v_lshlrev_b64 v[18:19], 3, v[20:21]
	s_delay_alu instid0(VALU_DEP_2) | instskip(NEXT) | instid1(VALU_DEP_3)
	v_add_co_u32 v6, vcc_lo, s14, v6
	v_add_co_ci_u32_e32 v7, vcc_lo, s15, v7, vcc_lo
	s_delay_alu instid0(VALU_DEP_3) | instskip(NEXT) | instid1(VALU_DEP_4)
	v_add_co_u32 v18, vcc_lo, s18, v18
	v_add_co_ci_u32_e32 v19, vcc_lo, s19, v19, vcc_lo
	global_store_b16 v[6:7], v16, off
	global_store_b64 v[18:19], v[4:5], off
	s_branch .LBB173_33
	.p2align	6
.LBB173_51:                             ;   in Loop: Header=BB173_52 Depth=1
	s_add_u32 s16, s16, 4
	s_addc_u32 s17, s17, 0
	s_waitcnt lgkmcnt(0)
	s_add_i32 s51, s13, s51
	s_add_u32 s18, s18, 4
	s_addc_u32 s19, s19, 0
	s_add_i32 s12, s12, 1
	s_delay_alu instid0(SALU_CYCLE_1)
	s_cmp_lt_u32 s12, s35
	s_cbranch_scc0 .LBB173_30
.LBB173_52:                             ; =>This Inner Loop Header: Depth=1
	s_load_b32 s13, s[16:17], 0x0
	s_cmp_ge_u32 s12, s72
	s_cbranch_scc1 .LBB173_51
; %bb.53:                               ;   in Loop: Header=BB173_52 Depth=1
	s_load_b32 s14, s[18:19], 0x0
	s_waitcnt lgkmcnt(0)
	s_add_i32 s53, s13, s53
	s_add_i32 s47, s14, s47
	s_branch .LBB173_51
.LBB173_54:
	s_nop 0
	s_sendmsg sendmsg(MSG_DEALLOC_VGPRS)
	s_endpgm
	.section	.rodata,"a",@progbits
	.p2align	6, 0x0
	.amdhsa_kernel _ZN2at6native6mbtopk10gatherTopKIsmLi3EEEvNS_4cuda6detail10TensorInfoIKT_T0_EES8_S8_bjS8_NS5_IS6_S8_EES8_NS5_IlS8_EES8_jjPS6_PjSD_j
		.amdhsa_group_segment_fixed_size 1068
		.amdhsa_private_segment_fixed_size 0
		.amdhsa_kernarg_size 1592
		.amdhsa_user_sgpr_count 13
		.amdhsa_user_sgpr_dispatch_ptr 0
		.amdhsa_user_sgpr_queue_ptr 0
		.amdhsa_user_sgpr_kernarg_segment_ptr 1
		.amdhsa_user_sgpr_dispatch_id 0
		.amdhsa_user_sgpr_private_segment_size 0
		.amdhsa_wavefront_size32 1
		.amdhsa_uses_dynamic_stack 0
		.amdhsa_enable_private_segment 0
		.amdhsa_system_sgpr_workgroup_id_x 1
		.amdhsa_system_sgpr_workgroup_id_y 1
		.amdhsa_system_sgpr_workgroup_id_z 1
		.amdhsa_system_sgpr_workgroup_info 0
		.amdhsa_system_vgpr_workitem_id 0
		.amdhsa_next_free_vgpr 26
		.amdhsa_next_free_sgpr 74
		.amdhsa_reserve_vcc 1
		.amdhsa_float_round_mode_32 0
		.amdhsa_float_round_mode_16_64 0
		.amdhsa_float_denorm_mode_32 3
		.amdhsa_float_denorm_mode_16_64 3
		.amdhsa_dx10_clamp 1
		.amdhsa_ieee_mode 1
		.amdhsa_fp16_overflow 0
		.amdhsa_workgroup_processor_mode 1
		.amdhsa_memory_ordered 1
		.amdhsa_forward_progress 0
		.amdhsa_shared_vgpr_count 0
		.amdhsa_exception_fp_ieee_invalid_op 0
		.amdhsa_exception_fp_denorm_src 0
		.amdhsa_exception_fp_ieee_div_zero 0
		.amdhsa_exception_fp_ieee_overflow 0
		.amdhsa_exception_fp_ieee_underflow 0
		.amdhsa_exception_fp_ieee_inexact 0
		.amdhsa_exception_int_div_zero 0
	.end_amdhsa_kernel
	.section	.text._ZN2at6native6mbtopk10gatherTopKIsmLi3EEEvNS_4cuda6detail10TensorInfoIKT_T0_EES8_S8_bjS8_NS5_IS6_S8_EES8_NS5_IlS8_EES8_jjPS6_PjSD_j,"axG",@progbits,_ZN2at6native6mbtopk10gatherTopKIsmLi3EEEvNS_4cuda6detail10TensorInfoIKT_T0_EES8_S8_bjS8_NS5_IS6_S8_EES8_NS5_IlS8_EES8_jjPS6_PjSD_j,comdat
.Lfunc_end173:
	.size	_ZN2at6native6mbtopk10gatherTopKIsmLi3EEEvNS_4cuda6detail10TensorInfoIKT_T0_EES8_S8_bjS8_NS5_IS6_S8_EES8_NS5_IlS8_EES8_jjPS6_PjSD_j, .Lfunc_end173-_ZN2at6native6mbtopk10gatherTopKIsmLi3EEEvNS_4cuda6detail10TensorInfoIKT_T0_EES8_S8_bjS8_NS5_IS6_S8_EES8_NS5_IlS8_EES8_jjPS6_PjSD_j
                                        ; -- End function
	.section	.AMDGPU.csdata,"",@progbits
; Kernel info:
; codeLenInByte = 3904
; NumSgprs: 76
; NumVgprs: 26
; ScratchSize: 0
; MemoryBound: 0
; FloatMode: 240
; IeeeMode: 1
; LDSByteSize: 1068 bytes/workgroup (compile time only)
; SGPRBlocks: 9
; VGPRBlocks: 3
; NumSGPRsForWavesPerEU: 76
; NumVGPRsForWavesPerEU: 26
; Occupancy: 16
; WaveLimiterHint : 1
; COMPUTE_PGM_RSRC2:SCRATCH_EN: 0
; COMPUTE_PGM_RSRC2:USER_SGPR: 13
; COMPUTE_PGM_RSRC2:TRAP_HANDLER: 0
; COMPUTE_PGM_RSRC2:TGID_X_EN: 1
; COMPUTE_PGM_RSRC2:TGID_Y_EN: 1
; COMPUTE_PGM_RSRC2:TGID_Z_EN: 1
; COMPUTE_PGM_RSRC2:TIDIG_COMP_CNT: 0
	.section	.text._ZN2at6native6sbtopk10gatherTopKIsmLi3ELb0EEEvNS_4cuda6detail10TensorInfoIKT_T0_EES8_S8_bS8_S8_NS5_IS6_S8_EES8_NS5_IlS8_EES8_PS6_,"axG",@progbits,_ZN2at6native6sbtopk10gatherTopKIsmLi3ELb0EEEvNS_4cuda6detail10TensorInfoIKT_T0_EES8_S8_bS8_S8_NS5_IS6_S8_EES8_NS5_IlS8_EES8_PS6_,comdat
	.protected	_ZN2at6native6sbtopk10gatherTopKIsmLi3ELb0EEEvNS_4cuda6detail10TensorInfoIKT_T0_EES8_S8_bS8_S8_NS5_IS6_S8_EES8_NS5_IlS8_EES8_PS6_ ; -- Begin function _ZN2at6native6sbtopk10gatherTopKIsmLi3ELb0EEEvNS_4cuda6detail10TensorInfoIKT_T0_EES8_S8_bS8_S8_NS5_IS6_S8_EES8_NS5_IlS8_EES8_PS6_
	.globl	_ZN2at6native6sbtopk10gatherTopKIsmLi3ELb0EEEvNS_4cuda6detail10TensorInfoIKT_T0_EES8_S8_bS8_S8_NS5_IS6_S8_EES8_NS5_IlS8_EES8_PS6_
	.p2align	8
	.type	_ZN2at6native6sbtopk10gatherTopKIsmLi3ELb0EEEvNS_4cuda6detail10TensorInfoIKT_T0_EES8_S8_bS8_S8_NS5_IS6_S8_EES8_NS5_IlS8_EES8_PS6_,@function
_ZN2at6native6sbtopk10gatherTopKIsmLi3ELb0EEEvNS_4cuda6detail10TensorInfoIKT_T0_EES8_S8_bS8_S8_NS5_IS6_S8_EES8_NS5_IlS8_EES8_PS6_: ; @_ZN2at6native6sbtopk10gatherTopKIsmLi3ELb0EEEvNS_4cuda6detail10TensorInfoIKT_T0_EES8_S8_bS8_S8_NS5_IS6_S8_EES8_NS5_IlS8_EES8_PS6_
; %bb.0:
	s_clause 0x1
	s_load_b64 s[22:23], s[0:1], 0x520
	s_load_b128 s[28:31], s[0:1], 0x1b8
	s_add_u32 s20, s0, 0x520
	s_addc_u32 s21, s1, 0
	s_mov_b32 s35, 0
	s_waitcnt lgkmcnt(0)
	s_mul_i32 s2, s23, s15
	s_delay_alu instid0(SALU_CYCLE_1) | instskip(NEXT) | instid1(SALU_CYCLE_1)
	s_add_i32 s2, s2, s14
	s_mul_i32 s2, s2, s22
	s_delay_alu instid0(SALU_CYCLE_1) | instskip(NEXT) | instid1(SALU_CYCLE_1)
	s_add_i32 s34, s2, s13
	v_cmp_ge_u64_e64 s2, s[34:35], s[28:29]
	s_delay_alu instid0(VALU_DEP_1)
	s_and_b32 vcc_lo, exec_lo, s2
	s_cbranch_vccnz .LBB174_547
; %bb.1:
	s_load_b128 s[8:11], s[0:1], 0x10
	s_mov_b64 s[2:3], 0
	s_mov_b64 s[6:7], 0
	s_waitcnt lgkmcnt(0)
	v_cmp_lt_u64_e64 s4, s[34:35], s[10:11]
	s_delay_alu instid0(VALU_DEP_1)
	s_and_b32 vcc_lo, exec_lo, s4
	s_cbranch_vccnz .LBB174_3
; %bb.2:
	v_cvt_f32_u32_e32 v1, s10
	s_sub_i32 s4, 0, s10
	s_mov_b32 s7, 0
	s_delay_alu instid0(VALU_DEP_1) | instskip(SKIP_2) | instid1(VALU_DEP_1)
	v_rcp_iflag_f32_e32 v1, v1
	s_waitcnt_depctr 0xfff
	v_mul_f32_e32 v1, 0x4f7ffffe, v1
	v_cvt_u32_f32_e32 v1, v1
	s_delay_alu instid0(VALU_DEP_1) | instskip(NEXT) | instid1(VALU_DEP_1)
	v_readfirstlane_b32 s3, v1
	s_mul_i32 s4, s4, s3
	s_delay_alu instid0(SALU_CYCLE_1) | instskip(NEXT) | instid1(SALU_CYCLE_1)
	s_mul_hi_u32 s4, s3, s4
	s_add_i32 s3, s3, s4
	s_delay_alu instid0(SALU_CYCLE_1) | instskip(NEXT) | instid1(SALU_CYCLE_1)
	s_mul_hi_u32 s3, s34, s3
	s_mul_i32 s4, s3, s10
	s_add_i32 s5, s3, 1
	s_sub_i32 s4, s34, s4
	s_delay_alu instid0(SALU_CYCLE_1)
	s_sub_i32 s6, s4, s10
	s_cmp_ge_u32 s4, s10
	s_cselect_b32 s3, s5, s3
	s_cselect_b32 s4, s6, s4
	s_add_i32 s5, s3, 1
	s_cmp_ge_u32 s4, s10
	s_cselect_b32 s6, s5, s3
.LBB174_3:
	s_load_b128 s[40:43], s[0:1], 0x1d8
	v_cmp_lt_u64_e64 s3, s[6:7], s[8:9]
	s_delay_alu instid0(VALU_DEP_1)
	s_and_b32 vcc_lo, exec_lo, s3
	s_cbranch_vccnz .LBB174_5
; %bb.4:
	v_cvt_f32_u32_e32 v1, s8
	s_sub_i32 s3, 0, s8
	s_delay_alu instid0(VALU_DEP_1) | instskip(SKIP_2) | instid1(VALU_DEP_1)
	v_rcp_iflag_f32_e32 v1, v1
	s_waitcnt_depctr 0xfff
	v_mul_f32_e32 v1, 0x4f7ffffe, v1
	v_cvt_u32_f32_e32 v1, v1
	s_delay_alu instid0(VALU_DEP_1) | instskip(NEXT) | instid1(VALU_DEP_1)
	v_readfirstlane_b32 s2, v1
	s_mul_i32 s3, s3, s2
	s_delay_alu instid0(SALU_CYCLE_1) | instskip(NEXT) | instid1(SALU_CYCLE_1)
	s_mul_hi_u32 s3, s2, s3
	s_add_i32 s2, s2, s3
	s_delay_alu instid0(SALU_CYCLE_1) | instskip(NEXT) | instid1(SALU_CYCLE_1)
	s_mul_hi_u32 s2, s6, s2
	s_mul_i32 s3, s2, s8
	s_add_i32 s4, s2, 1
	s_sub_i32 s3, s6, s3
	s_delay_alu instid0(SALU_CYCLE_1)
	s_sub_i32 s5, s3, s8
	s_cmp_ge_u32 s3, s8
	s_cselect_b32 s2, s4, s2
	s_cselect_b32 s3, s5, s3
	s_add_i32 s4, s2, 1
	s_cmp_ge_u32 s3, s8
	s_cselect_b32 s2, s4, s2
.LBB174_5:
	s_waitcnt lgkmcnt(0)
	v_cmp_lt_u64_e64 s3, s[34:35], s[42:43]
	s_mov_b64 s[28:29], 0
	s_mov_b64 s[56:57], 0
	s_delay_alu instid0(VALU_DEP_1)
	s_and_b32 vcc_lo, exec_lo, s3
	s_cbranch_vccnz .LBB174_7
; %bb.6:
	v_cvt_f32_u32_e32 v1, s42
	s_sub_i32 s4, 0, s42
	s_mov_b32 s57, 0
	s_delay_alu instid0(VALU_DEP_1) | instskip(SKIP_2) | instid1(VALU_DEP_1)
	v_rcp_iflag_f32_e32 v1, v1
	s_waitcnt_depctr 0xfff
	v_mul_f32_e32 v1, 0x4f7ffffe, v1
	v_cvt_u32_f32_e32 v1, v1
	s_delay_alu instid0(VALU_DEP_1) | instskip(NEXT) | instid1(VALU_DEP_1)
	v_readfirstlane_b32 s3, v1
	s_mul_i32 s4, s4, s3
	s_delay_alu instid0(SALU_CYCLE_1) | instskip(NEXT) | instid1(SALU_CYCLE_1)
	s_mul_hi_u32 s4, s3, s4
	s_add_i32 s3, s3, s4
	s_delay_alu instid0(SALU_CYCLE_1) | instskip(NEXT) | instid1(SALU_CYCLE_1)
	s_mul_hi_u32 s3, s34, s3
	s_mul_i32 s4, s3, s42
	s_add_i32 s5, s3, 1
	s_sub_i32 s4, s34, s4
	s_delay_alu instid0(SALU_CYCLE_1)
	s_sub_i32 s12, s4, s42
	s_cmp_ge_u32 s4, s42
	s_cselect_b32 s3, s5, s3
	s_cselect_b32 s4, s12, s4
	s_add_i32 s5, s3, 1
	s_cmp_ge_u32 s4, s42
	s_cselect_b32 s56, s5, s3
.LBB174_7:
	s_load_b128 s[44:47], s[0:1], 0x380
	v_cmp_lt_u64_e64 s3, s[56:57], s[40:41]
	s_delay_alu instid0(VALU_DEP_1)
	s_and_b32 vcc_lo, exec_lo, s3
	s_cbranch_vccnz .LBB174_9
; %bb.8:
	v_cvt_f32_u32_e32 v1, s40
	s_sub_i32 s4, 0, s40
	s_delay_alu instid0(VALU_DEP_1) | instskip(SKIP_2) | instid1(VALU_DEP_1)
	v_rcp_iflag_f32_e32 v1, v1
	s_waitcnt_depctr 0xfff
	v_mul_f32_e32 v1, 0x4f7ffffe, v1
	v_cvt_u32_f32_e32 v1, v1
	s_delay_alu instid0(VALU_DEP_1) | instskip(NEXT) | instid1(VALU_DEP_1)
	v_readfirstlane_b32 s3, v1
	s_mul_i32 s4, s4, s3
	s_delay_alu instid0(SALU_CYCLE_1) | instskip(NEXT) | instid1(SALU_CYCLE_1)
	s_mul_hi_u32 s4, s3, s4
	s_add_i32 s3, s3, s4
	s_delay_alu instid0(SALU_CYCLE_1) | instskip(NEXT) | instid1(SALU_CYCLE_1)
	s_mul_hi_u32 s3, s56, s3
	s_mul_i32 s4, s3, s40
	s_add_i32 s5, s3, 1
	s_sub_i32 s4, s56, s4
	s_delay_alu instid0(SALU_CYCLE_1)
	s_sub_i32 s12, s4, s40
	s_cmp_ge_u32 s4, s40
	s_cselect_b32 s3, s5, s3
	s_cselect_b32 s4, s12, s4
	s_add_i32 s5, s3, 1
	s_cmp_ge_u32 s4, s40
	s_cselect_b32 s28, s5, s3
.LBB174_9:
	s_clause 0x1
	s_load_b64 s[14:15], s[0:1], 0xe0
	s_load_b128 s[16:19], s[0:1], 0xd0
	s_waitcnt lgkmcnt(0)
	v_cmp_lt_u64_e64 s3, s[34:35], s[46:47]
	s_mov_b64 s[60:61], 0
	s_mov_b64 s[62:63], 0
	s_delay_alu instid0(VALU_DEP_1)
	s_and_b32 vcc_lo, exec_lo, s3
	s_cbranch_vccnz .LBB174_11
; %bb.10:
	v_cvt_f32_u32_e32 v1, s46
	s_sub_i32 s4, 0, s46
	s_mov_b32 s63, 0
	s_delay_alu instid0(VALU_DEP_1) | instskip(SKIP_2) | instid1(VALU_DEP_1)
	v_rcp_iflag_f32_e32 v1, v1
	s_waitcnt_depctr 0xfff
	v_mul_f32_e32 v1, 0x4f7ffffe, v1
	v_cvt_u32_f32_e32 v1, v1
	s_delay_alu instid0(VALU_DEP_1) | instskip(NEXT) | instid1(VALU_DEP_1)
	v_readfirstlane_b32 s3, v1
	s_mul_i32 s4, s4, s3
	s_delay_alu instid0(SALU_CYCLE_1) | instskip(NEXT) | instid1(SALU_CYCLE_1)
	s_mul_hi_u32 s4, s3, s4
	s_add_i32 s3, s3, s4
	s_delay_alu instid0(SALU_CYCLE_1) | instskip(NEXT) | instid1(SALU_CYCLE_1)
	s_mul_hi_u32 s3, s34, s3
	s_mul_i32 s4, s3, s46
	s_add_i32 s5, s3, 1
	s_sub_i32 s4, s34, s4
	s_delay_alu instid0(SALU_CYCLE_1)
	s_sub_i32 s12, s4, s46
	s_cmp_ge_u32 s4, s46
	s_cselect_b32 s3, s5, s3
	s_cselect_b32 s4, s12, s4
	s_add_i32 s5, s3, 1
	s_cmp_ge_u32 s4, s46
	s_cselect_b32 s62, s5, s3
.LBB174_11:
	s_load_b64 s[24:25], s[0:1], 0x0
	v_cmp_lt_u64_e64 s3, s[62:63], s[44:45]
	s_delay_alu instid0(VALU_DEP_1)
	s_and_b32 vcc_lo, exec_lo, s3
	s_cbranch_vccnz .LBB174_13
; %bb.12:
	v_cvt_f32_u32_e32 v1, s44
	s_sub_i32 s4, 0, s44
	s_delay_alu instid0(VALU_DEP_1) | instskip(SKIP_2) | instid1(VALU_DEP_1)
	v_rcp_iflag_f32_e32 v1, v1
	s_waitcnt_depctr 0xfff
	v_mul_f32_e32 v1, 0x4f7ffffe, v1
	v_cvt_u32_f32_e32 v1, v1
	s_delay_alu instid0(VALU_DEP_1) | instskip(NEXT) | instid1(VALU_DEP_1)
	v_readfirstlane_b32 s3, v1
	s_mul_i32 s4, s4, s3
	s_delay_alu instid0(SALU_CYCLE_1) | instskip(NEXT) | instid1(SALU_CYCLE_1)
	s_mul_hi_u32 s4, s3, s4
	s_add_i32 s3, s3, s4
	s_delay_alu instid0(SALU_CYCLE_1) | instskip(NEXT) | instid1(SALU_CYCLE_1)
	s_mul_hi_u32 s3, s62, s3
	s_mul_i32 s4, s3, s44
	s_add_i32 s5, s3, 1
	s_sub_i32 s4, s62, s4
	s_delay_alu instid0(SALU_CYCLE_1)
	s_sub_i32 s12, s4, s44
	s_cmp_ge_u32 s4, s44
	s_cselect_b32 s3, s5, s3
	s_cselect_b32 s4, s12, s4
	s_add_i32 s5, s3, 1
	s_cmp_ge_u32 s4, s44
	s_cselect_b32 s60, s5, s3
.LBB174_13:
	s_clause 0x1
	s_load_b64 s[4:5], s[0:1], 0x370
	s_load_b128 s[36:39], s[0:1], 0x1a0
                                        ; implicit-def: $vgpr36 : SGPR spill to VGPR lane
	s_mov_b32 s71, 0
	s_waitcnt lgkmcnt(0)
	v_writelane_b32 v36, s4, 0
	v_writelane_b32 v36, s5, 1
	v_cmp_eq_u32_e64 s5, 0, v0
	s_delay_alu instid0(VALU_DEP_1)
	s_and_saveexec_b32 s3, s5
	s_cbranch_execz .LBB174_15
; %bb.14:
	v_dual_mov_b32 v1, 0 :: v_dual_mov_b32 v4, s37
	s_delay_alu instid0(VALU_DEP_1)
	v_dual_mov_b32 v3, s36 :: v_dual_mov_b32 v2, v1
	ds_store_b32 v1, v1 offset:5144
	ds_store_b128 v1, v[1:4] offset:5120
.LBB174_15:
	s_or_b32 exec_lo, exec_lo, s3
	s_mul_i32 s3, s2, s9
	s_mul_hi_u32 s4, s2, s8
	s_mul_i32 s8, s2, s8
	s_add_i32 s4, s4, s3
	s_sub_u32 s8, s6, s8
	s_subb_u32 s4, s7, s4
	s_mul_i32 s3, s8, s19
	s_mul_hi_u32 s9, s8, s18
	s_mul_i32 s4, s4, s18
	s_add_i32 s3, s9, s3
	s_mul_i32 s9, s2, s17
	s_mul_hi_u32 s12, s2, s16
	s_add_i32 s7, s3, s4
	s_add_i32 s3, s12, s9
	s_mul_i32 s4, s6, s11
	s_mul_hi_u32 s9, s6, s10
	s_mul_i32 s6, s6, s10
	s_add_i32 s9, s9, s4
	s_sub_u32 s4, s34, s6
	s_mul_i32 s6, s8, s18
	s_mul_i32 s8, s4, s15
	s_mul_hi_u32 s11, s4, s14
	s_subb_u32 s9, 0, s9
	s_mul_i32 s2, s2, s16
	s_add_i32 s8, s11, s8
	s_mul_i32 s9, s9, s14
	s_load_b32 s10, s[0:1], 0x1b0
	s_lshl_b64 s[2:3], s[2:3], 1
	s_add_i32 s9, s8, s9
	s_add_u32 s11, s24, s2
	v_mad_u64_u32 v[1:2], null, v0, s30, 0
	s_addc_u32 s12, s25, s3
	s_lshl_b64 s[2:3], s[6:7], 1
	s_waitcnt lgkmcnt(0)
	s_barrier
	buffer_gl0_inv
	s_load_b32 s7, s[20:21], 0xc
	v_mad_u64_u32 v[3:4], null, v0, s31, v[2:3]
	s_mul_i32 s8, s4, s14
	v_mbcnt_lo_u32_b32 v23, -1, 0
	s_add_u32 s4, s11, s2
	s_addc_u32 s6, s12, s3
	s_lshl_b64 s[2:3], s[8:9], 1
	v_cmp_gt_u32_e32 vcc_lo, 32, v0
	s_add_u32 s29, s4, s2
	s_addc_u32 s33, s6, s3
	v_dual_mov_b32 v2, v3 :: v_dual_mov_b32 v13, 0
	v_cmp_gt_i32_e64 s4, 4, v23
	s_bitcmp1_b32 s10, 0
	v_lshrrev_b32_e32 v4, 3, v0
	s_cselect_b32 s3, -1, 0
	v_lshlrev_b64 v[2:3], 1, v[1:2]
	s_xor_b32 s61, s3, -1
	s_and_b32 s84, vcc_lo, s4
	s_waitcnt lgkmcnt(0)
	s_and_b32 s35, s7, 0xffff
	s_bfe_u32 s8, s7, 0xb0005
	s_add_u32 s86, s35, -1
	s_addc_u32 s87, 0, -1
	s_add_u32 s88, s86, s36
	s_addc_u32 s27, s87, s37
	s_cmp_lt_u32 s13, s22
	v_add_co_u32 v10, vcc_lo, s29, v2
	s_cselect_b32 s9, 12, 18
	v_dual_mov_b32 v1, v13 :: v_dual_lshlrev_b32 v14, 2, v0
	v_add_co_ci_u32_e32 v11, vcc_lo, s33, v3, vcc_lo
	v_lshlrev_b64 v[2:3], v23, -1
	v_dual_mov_b32 v16, s38 :: v_dual_lshlrev_b32 v25, 1, v0
	s_add_u32 s72, s20, s9
	s_addc_u32 s73, s21, 0
	s_add_i32 s9, s8, -1
	s_bfe_u32 s89, s35, 0x30005
	s_cmp_gt_u32 s9, 6
	v_cmp_lt_u64_e64 s85, 0x600, s[36:37]
	v_cmp_gt_u64_e64 s4, s[36:37], v[0:1]
	v_cmp_eq_u32_e64 s2, 0, v23
	v_dual_mov_b32 v15, v13 :: v_dual_and_b32 v24, 0x7c, v4
	v_cmp_gt_u32_e64 s6, 2, v0
	v_dual_mov_b32 v17, s39 :: v_dual_add_nc_u32 v26, 0xc00, v25
	v_not_b32_e32 v22, v2
	s_cselect_b32 s90, -1, 0
	s_and_b32 s91, s8, 0x7f8
	v_cmp_gt_u16_e64 s92, s7, 31
	v_dual_mov_b32 v30, 0 :: v_dual_lshlrev_b32 v27, 3, v0
	v_lshl_or_b32 v28, v23, 3, 0xc00
	v_mov_b32_e32 v31, 0
	v_mov_b32_e32 v29, 0
	s_cmp_lg_u32 s89, 0
	s_mov_b32 s101, 14
	s_cselect_b32 s93, -1, 0
	s_lshl_b32 s94, s35, 1
	s_mov_b32 s95, 0
	s_mov_b32 s97, 0
                                        ; implicit-def: $sgpr96
                                        ; implicit-def: $sgpr100
                                        ; implicit-def: $sgpr99
                                        ; implicit-def: $sgpr102
                                        ; implicit-def: $sgpr98
                                        ; implicit-def: $sgpr103
                                        ; implicit-def: $vcc_hi
                                        ; implicit-def: $sgpr104
                                        ; implicit-def: $sgpr66
                                        ; implicit-def: $sgpr67
	s_branch .LBB174_18
.LBB174_16:                             ;   in Loop: Header=BB174_18 Depth=1
	s_or_b32 exec_lo, exec_lo, s10
	v_dual_mov_b32 v29, v9 :: v_dual_mov_b32 v30, v8
	v_dual_mov_b32 v17, v3 :: v_dual_mov_b32 v16, v2
	v_mov_b32_e32 v31, v18
	s_and_not1_b32 s10, s67, exec_lo
	s_and_b32 s9, s9, exec_lo
	s_and_not1_b32 s66, s66, exec_lo
	s_or_b32 s67, s10, s9
	s_and_not1_b32 s104, s104, exec_lo
	s_and_not1_b32 vcc_hi, vcc_hi, exec_lo
	s_and_not1_b32 s103, s103, exec_lo
	s_or_not1_b32 s8, s8, exec_lo
.LBB174_17:                             ;   in Loop: Header=BB174_18 Depth=1
	s_or_b32 exec_lo, exec_lo, s7
	s_delay_alu instid0(SALU_CYCLE_1) | instskip(NEXT) | instid1(SALU_CYCLE_1)
	s_and_b32 s7, exec_lo, s8
	s_or_b32 s95, s7, s95
	s_and_not1_b32 s7, s98, exec_lo
	s_and_b32 s8, s67, exec_lo
	s_and_not1_b32 s9, s102, exec_lo
	s_or_b32 s98, s7, s8
	s_and_b32 s7, s66, exec_lo
	s_and_not1_b32 s8, s99, exec_lo
	s_and_b32 s10, s104, exec_lo
	s_or_b32 s102, s9, s7
	s_or_b32 s99, s8, s10
	s_and_not1_b32 s7, s100, exec_lo
	s_and_b32 s8, vcc_hi, exec_lo
	s_and_not1_b32 s9, s96, exec_lo
	s_and_b32 s10, s103, exec_lo
	s_or_b32 s100, s7, s8
	s_or_b32 s96, s9, s10
	s_and_not1_b32 exec_lo, exec_lo, s95
	s_cbranch_execz .LBB174_487
.LBB174_18:                             ; =>This Loop Header: Depth=1
                                        ;     Child Loop BB174_23 Depth 2
                                        ;     Child Loop BB174_41 Depth 2
	;; [unrolled: 1-line block ×24, first 2 shown]
	ds_load_b128 v[2:5], v13 offset:5120
	s_waitcnt lgkmcnt(0)
	v_readfirstlane_b32 s75, v3
	v_readfirstlane_b32 s74, v2
	s_delay_alu instid0(VALU_DEP_1)
	s_cmp_lg_u64 s[74:75], 0
	s_cbranch_scc1 .LBB174_48
; %bb.19:                               ;   in Loop: Header=BB174_18 Depth=1
	s_and_b32 vcc_lo, exec_lo, s85
	s_cbranch_vccz .LBB174_31
; %bb.20:                               ;   in Loop: Header=BB174_18 Depth=1
	v_cmp_gt_u64_e32 vcc_lo, 0x601, v[4:5]
	s_mov_b32 s9, 0
	s_mov_b32 s7, 0
	s_cbranch_vccz .LBB174_32
; %bb.21:                               ;   in Loop: Header=BB174_18 Depth=1
	global_load_u16 v2, v13, s[72:73]
	global_load_u16 v5, v[10:11], off
	s_mov_b32 s10, 0
	s_waitcnt vmcnt(1)
	v_dual_mov_b32 v3, v1 :: v_dual_and_b32 v4, 0xffff, v2
	v_mov_b32_e32 v2, v0
	s_branch .LBB174_23
.LBB174_22:                             ;   in Loop: Header=BB174_23 Depth=2
	s_or_b32 exec_lo, exec_lo, s8
	v_mov_b32_e32 v5, v6
	s_and_not1_b32 exec_lo, exec_lo, s10
	s_cbranch_execz .LBB174_33
.LBB174_23:                             ;   Parent Loop BB174_18 Depth=1
                                        ; =>  This Inner Loop Header: Depth=2
	s_delay_alu instid0(VALU_DEP_1) | instskip(NEXT) | instid1(VALU_DEP_3)
	v_add_co_u32 v2, vcc_lo, v2, v4
	v_add_co_ci_u32_e32 v3, vcc_lo, 0, v3, vcc_lo
	s_waitcnt lgkmcnt(0)
	v_dual_mov_b32 v7, 0 :: v_dual_mov_b32 v6, 0
	s_mov_b32 s8, exec_lo
	s_delay_alu instid0(VALU_DEP_2)
	v_cmp_le_u64_e32 vcc_lo, s[36:37], v[2:3]
	v_cmpx_gt_u64_e64 s[36:37], v[2:3]
	s_cbranch_execz .LBB174_25
; %bb.24:                               ;   in Loop: Header=BB174_23 Depth=2
	v_mul_lo_u32 v6, v3, s30
	v_mul_lo_u32 v12, v2, s31
	v_mad_u64_u32 v[8:9], null, v2, s30, 0
	s_delay_alu instid0(VALU_DEP_1) | instskip(NEXT) | instid1(VALU_DEP_1)
	v_add3_u32 v9, v9, v12, v6
	v_lshlrev_b64 v[8:9], 1, v[8:9]
	s_delay_alu instid0(VALU_DEP_1) | instskip(NEXT) | instid1(VALU_DEP_1)
	v_add_co_u32 v8, s7, s29, v8
	v_add_co_ci_u32_e64 v9, s7, s33, v9, s7
	global_load_u16 v6, v[8:9], off
.LBB174_25:                             ;   in Loop: Header=BB174_23 Depth=2
	s_or_b32 exec_lo, exec_lo, s8
	s_waitcnt vmcnt(0)
	v_bfe_i32 v8, v5, 0, 16
	s_delay_alu instid0(VALU_DEP_1) | instskip(NEXT) | instid1(VALU_DEP_1)
	v_add_nc_u32_e32 v8, 0x8000, v8
	v_and_b32_e32 v8, v8, v29
	s_delay_alu instid0(VALU_DEP_1) | instskip(NEXT) | instid1(VALU_DEP_1)
	v_cmp_eq_u32_e64 s7, v8, v30
	s_cmp_lg_u32 s7, 0
	s_cselect_b32 s8, -1, 0
	s_delay_alu instid0(SALU_CYCLE_1) | instskip(NEXT) | instid1(SALU_CYCLE_1)
	s_and_b32 s8, s2, s8
	s_and_saveexec_b32 s11, s8
	s_cbranch_execz .LBB174_29
; %bb.26:                               ;   in Loop: Header=BB174_23 Depth=2
	s_mov_b32 s14, exec_lo
	s_bcnt1_i32_b32 s12, s7
	v_mbcnt_lo_u32_b32 v7, s14, 0
	s_mov_b32 s13, exec_lo
                                        ; implicit-def: $vgpr8
	s_delay_alu instid0(VALU_DEP_1)
	v_cmpx_eq_u32_e32 0, v7
	s_cbranch_execz .LBB174_28
; %bb.27:                               ;   in Loop: Header=BB174_23 Depth=2
	s_bcnt1_i32_b32 s8, s14
	s_delay_alu instid0(SALU_CYCLE_1) | instskip(NEXT) | instid1(SALU_CYCLE_1)
	s_mul_i32 s8, s12, s8
	v_mov_b32_e32 v8, s8
	ds_add_rtn_u32 v8, v13, v8 offset:5144
.LBB174_28:                             ;   in Loop: Header=BB174_23 Depth=2
	s_or_b32 exec_lo, exec_lo, s13
	s_waitcnt lgkmcnt(0)
	v_readfirstlane_b32 s8, v8
	s_delay_alu instid0(VALU_DEP_1)
	v_mad_u32_u24 v7, s12, v7, s8
.LBB174_29:                             ;   in Loop: Header=BB174_23 Depth=2
	s_or_b32 exec_lo, exec_lo, s11
	ds_bpermute_b32 v7, v13, v7
	s_and_b32 s8, exec_lo, vcc_lo
	s_delay_alu instid0(SALU_CYCLE_1)
	s_or_b32 s10, s8, s10
	s_and_saveexec_b32 s8, s7
	s_cbranch_execz .LBB174_22
; %bb.30:                               ;   in Loop: Header=BB174_23 Depth=2
	v_and_b32_e32 v8, s7, v22
	s_delay_alu instid0(VALU_DEP_1) | instskip(NEXT) | instid1(VALU_DEP_1)
	v_bcnt_u32_b32 v8, v8, 0
	v_lshlrev_b32_e32 v8, 1, v8
	s_waitcnt lgkmcnt(0)
	s_delay_alu instid0(VALU_DEP_1)
	v_lshl_add_u32 v7, v7, 1, v8
	ds_store_b16 v7, v5
	s_branch .LBB174_22
.LBB174_31:                             ;   in Loop: Header=BB174_18 Depth=1
	s_mov_b32 s7, 0
                                        ; implicit-def: $sgpr74_sgpr75
	s_cbranch_execnz .LBB174_36
	s_branch .LBB174_46
.LBB174_32:                             ;   in Loop: Header=BB174_18 Depth=1
	s_mov_b64 s[74:75], 0
	s_and_b32 vcc_lo, exec_lo, s9
	s_cbranch_vccnz .LBB174_36
	s_branch .LBB174_46
.LBB174_33:                             ;   in Loop: Header=BB174_18 Depth=1
	s_or_b32 exec_lo, exec_lo, s10
	s_waitcnt lgkmcnt(0)
	s_barrier
	buffer_gl0_inv
	s_and_saveexec_b32 s7, s5
	s_cbranch_execz .LBB174_35
; %bb.34:                               ;   in Loop: Header=BB174_18 Depth=1
	ds_load_b32 v2, v13 offset:5144
	s_waitcnt lgkmcnt(0)
	v_ashrrev_i32_e32 v3, 31, v2
	ds_store_b64 v13, v[2:3] offset:5120
.LBB174_35:                             ;   in Loop: Header=BB174_18 Depth=1
	s_or_b32 exec_lo, exec_lo, s7
	s_waitcnt lgkmcnt(0)
	s_mov_b32 s7, -1
	s_barrier
	s_mov_b64 s[74:75], 0
	s_and_b32 vcc_lo, exec_lo, s9
	s_cbranch_vccz .LBB174_46
.LBB174_36:                             ;   in Loop: Header=BB174_18 Depth=1
	v_mov_b32_e32 v4, 0
	s_and_saveexec_b32 s7, s4
	s_cbranch_execz .LBB174_38
; %bb.37:                               ;   in Loop: Header=BB174_18 Depth=1
	global_load_u16 v4, v[10:11], off
.LBB174_38:                             ;   in Loop: Header=BB174_18 Depth=1
	s_or_b32 exec_lo, exec_lo, s7
	s_and_saveexec_b32 s8, s4
	s_cbranch_execz .LBB174_43
; %bb.39:                               ;   in Loop: Header=BB174_18 Depth=1
	global_load_u16 v2, v13, s[72:73]
	s_mov_b32 s9, 0
	s_waitcnt vmcnt(0)
	v_dual_mov_b32 v6, v25 :: v_dual_and_b32 v5, 0xffff, v2
	v_dual_mov_b32 v3, v1 :: v_dual_mov_b32 v2, v0
	s_delay_alu instid0(VALU_DEP_2)
	v_lshlrev_b32_e32 v7, 1, v5
	s_set_inst_prefetch_distance 0x1
	s_branch .LBB174_41
	.p2align	6
.LBB174_40:                             ;   in Loop: Header=BB174_41 Depth=2
	s_or_b32 exec_lo, exec_lo, s10
	ds_store_b16 v6, v4
	v_add_nc_u32_e32 v6, v6, v7
	s_waitcnt vmcnt(0)
	v_mov_b32_e32 v4, v8
	s_and_b32 s7, exec_lo, vcc_lo
	s_delay_alu instid0(SALU_CYCLE_1) | instskip(NEXT) | instid1(SALU_CYCLE_1)
	s_or_b32 s9, s7, s9
	s_and_not1_b32 exec_lo, exec_lo, s9
	s_cbranch_execz .LBB174_43
.LBB174_41:                             ;   Parent Loop BB174_18 Depth=1
                                        ; =>  This Inner Loop Header: Depth=2
	s_delay_alu instid0(VALU_DEP_2) | instskip(SKIP_3) | instid1(VALU_DEP_2)
	v_add_co_u32 v2, vcc_lo, v2, v5
	v_add_co_ci_u32_e32 v3, vcc_lo, 0, v3, vcc_lo
	v_mov_b32_e32 v8, 0
	s_mov_b32 s10, exec_lo
	v_cmp_le_u64_e32 vcc_lo, s[36:37], v[2:3]
	v_cmpx_gt_u64_e64 s[36:37], v[2:3]
	s_cbranch_execz .LBB174_40
; %bb.42:                               ;   in Loop: Header=BB174_41 Depth=2
	v_mul_lo_u32 v12, v3, s30
	v_mul_lo_u32 v18, v2, s31
	v_mad_u64_u32 v[8:9], null, v2, s30, 0
	s_delay_alu instid0(VALU_DEP_1) | instskip(NEXT) | instid1(VALU_DEP_1)
	v_add3_u32 v9, v9, v18, v12
	v_lshlrev_b64 v[8:9], 1, v[8:9]
	s_delay_alu instid0(VALU_DEP_1) | instskip(NEXT) | instid1(VALU_DEP_1)
	v_add_co_u32 v8, s7, s29, v8
	v_add_co_ci_u32_e64 v9, s7, s33, v9, s7
	global_load_u16 v8, v[8:9], off
	s_branch .LBB174_40
.LBB174_43:                             ;   in Loop: Header=BB174_18 Depth=1
	s_set_inst_prefetch_distance 0x2
	s_or_b32 exec_lo, exec_lo, s8
	s_waitcnt vmcnt(0) lgkmcnt(0)
	s_barrier
	buffer_gl0_inv
	s_and_saveexec_b32 s7, s5
	s_cbranch_execz .LBB174_45
; %bb.44:                               ;   in Loop: Header=BB174_18 Depth=1
	v_dual_mov_b32 v2, s36 :: v_dual_mov_b32 v3, s37
	ds_store_b64 v13, v[2:3] offset:5120
.LBB174_45:                             ;   in Loop: Header=BB174_18 Depth=1
	s_or_b32 exec_lo, exec_lo, s7
	s_mov_b32 s7, -1
	s_waitcnt lgkmcnt(0)
	s_barrier
                                        ; implicit-def: $sgpr74_sgpr75
.LBB174_46:                             ;   in Loop: Header=BB174_18 Depth=1
	s_and_b32 vcc_lo, exec_lo, s7
	s_cbranch_vccz .LBB174_48
; %bb.47:                               ;   in Loop: Header=BB174_18 Depth=1
	buffer_gl0_inv
	ds_load_b64 v[2:3], v13 offset:5120
	s_waitcnt lgkmcnt(0)
	v_readfirstlane_b32 s74, v2
.LBB174_48:                             ;   in Loop: Header=BB174_18 Depth=1
	s_delay_alu instid0(VALU_DEP_1)
	s_cmp_lt_i32 s74, 1
	s_cbranch_scc0 .LBB174_63
; %bb.49:                               ;   in Loop: Header=BB174_18 Depth=1
	global_load_u16 v32, v13, s[72:73]
	s_mov_b32 s8, s71
	s_mov_b32 s9, s37
	s_waitcnt vmcnt(0)
	v_readfirstlane_b32 s7, v32
	s_delay_alu instid0(VALU_DEP_1) | instskip(NEXT) | instid1(SALU_CYCLE_1)
	s_and_b32 s7, 0xffff, s7
	s_lshl_b32 s25, s7, 2
	s_cmp_lg_u64 s[8:9], 0
	s_cbranch_scc0 .LBB174_83
; %bb.50:                               ;   in Loop: Header=BB174_18 Depth=1
	v_cvt_f32_u32_e32 v2, s25
	s_sub_u32 s9, 0, s25
	s_subb_u32 s10, 0, 0
	s_delay_alu instid0(VALU_DEP_1) | instskip(NEXT) | instid1(VALU_DEP_1)
	v_fmac_f32_e64 v2, 0, 0x4f800000
	v_rcp_f32_e32 v2, v2
	s_waitcnt_depctr 0xfff
	v_mul_f32_e32 v2, 0x5f7ffffc, v2
	s_delay_alu instid0(VALU_DEP_1) | instskip(NEXT) | instid1(VALU_DEP_1)
	v_mul_f32_e32 v3, 0x2f800000, v2
	v_trunc_f32_e32 v3, v3
	s_delay_alu instid0(VALU_DEP_1) | instskip(SKIP_1) | instid1(VALU_DEP_2)
	v_fmac_f32_e32 v2, 0xcf800000, v3
	v_cvt_u32_f32_e32 v3, v3
	v_cvt_u32_f32_e32 v2, v2
	s_delay_alu instid0(VALU_DEP_2) | instskip(NEXT) | instid1(VALU_DEP_2)
	v_readfirstlane_b32 s7, v3
	v_readfirstlane_b32 s8, v2
	s_delay_alu instid0(VALU_DEP_2) | instskip(NEXT) | instid1(VALU_DEP_1)
	s_mul_i32 s11, s9, s7
	s_mul_hi_u32 s13, s9, s8
	s_mul_i32 s12, s10, s8
	s_add_i32 s11, s13, s11
	s_mul_i32 s14, s9, s8
	s_add_i32 s11, s11, s12
	s_mul_hi_u32 s13, s8, s14
	s_mul_hi_u32 s15, s7, s14
	s_mul_i32 s12, s7, s14
	s_mul_hi_u32 s14, s8, s11
	s_mul_i32 s8, s8, s11
	s_mul_hi_u32 s16, s7, s11
	s_add_u32 s8, s13, s8
	s_addc_u32 s13, 0, s14
	s_add_u32 s8, s8, s12
	s_mul_i32 s11, s7, s11
	s_addc_u32 s8, s13, s15
	s_addc_u32 s12, s16, 0
	s_add_u32 s8, s8, s11
	s_addc_u32 s11, 0, s12
	v_add_co_u32 v2, s8, v2, s8
	s_delay_alu instid0(VALU_DEP_1) | instskip(SKIP_1) | instid1(VALU_DEP_1)
	s_cmp_lg_u32 s8, 0
	s_addc_u32 s7, s7, s11
	v_readfirstlane_b32 s8, v2
	s_mul_i32 s11, s9, s7
	s_delay_alu instid0(VALU_DEP_1)
	s_mul_hi_u32 s12, s9, s8
	s_mul_i32 s10, s10, s8
	s_add_i32 s11, s12, s11
	s_mul_i32 s9, s9, s8
	s_add_i32 s11, s11, s10
	s_mul_hi_u32 s12, s7, s9
	s_mul_i32 s13, s7, s9
	s_mul_hi_u32 s9, s8, s9
	s_mul_hi_u32 s14, s8, s11
	s_mul_i32 s8, s8, s11
	s_mul_hi_u32 s10, s7, s11
	s_add_u32 s8, s9, s8
	s_addc_u32 s9, 0, s14
	s_add_u32 s8, s8, s13
	s_mul_i32 s11, s7, s11
	s_addc_u32 s8, s9, s12
	s_addc_u32 s9, s10, 0
	s_add_u32 s8, s8, s11
	s_addc_u32 s9, 0, s9
	v_add_co_u32 v2, s8, v2, s8
	s_delay_alu instid0(VALU_DEP_1) | instskip(SKIP_1) | instid1(VALU_DEP_1)
	s_cmp_lg_u32 s8, 0
	s_addc_u32 s7, s7, s9
	v_readfirstlane_b32 s8, v2
	s_mul_i32 s10, s36, s7
	s_mul_hi_u32 s9, s36, s7
	s_mul_hi_u32 s11, s37, s7
	s_mul_i32 s7, s37, s7
	s_mul_hi_u32 s12, s36, s8
	s_mul_hi_u32 s13, s37, s8
	s_mul_i32 s8, s37, s8
	s_add_u32 s10, s12, s10
	s_addc_u32 s9, 0, s9
	s_add_u32 s8, s10, s8
	s_addc_u32 s8, s9, s13
	s_addc_u32 s9, s11, 0
	s_add_u32 s7, s8, s7
	s_addc_u32 s8, 0, s9
	s_mul_hi_u32 s9, s25, s7
	s_mul_i32 s7, s25, s7
	s_mul_i32 s8, s25, s8
	v_sub_co_u32 v2, s7, s36, s7
	s_add_i32 s9, s9, s8
	s_cmp_lg_u32 s7, 0
	s_delay_alu instid0(VALU_DEP_1) | instskip(SKIP_2) | instid1(VALU_DEP_1)
	v_sub_co_u32 v3, s7, v2, s25
	s_subb_u32 s8, s37, s9
	s_cmp_lg_u32 s7, 0
	v_cmp_le_u32_e32 vcc_lo, s25, v3
	v_sub_co_u32 v4, s7, v3, s25
	s_subb_u32 s9, s8, 0
	s_cmp_lg_u32 s7, 0
	v_cndmask_b32_e64 v5, 0, -1, vcc_lo
	s_subb_u32 s7, s9, 0
	s_cmp_eq_u32 s9, 0
	v_mov_b32_e32 v7, s7
	s_cselect_b32 vcc_lo, -1, 0
	s_cmp_eq_u32 s8, 0
	v_cndmask_b32_e32 v5, -1, v5, vcc_lo
	v_cmp_le_u32_e32 vcc_lo, s25, v2
	s_cselect_b32 s7, -1, 0
	v_cndmask_b32_e64 v6, 0, -1, vcc_lo
	s_delay_alu instid0(VALU_DEP_3) | instskip(NEXT) | instid1(VALU_DEP_2)
	v_cmp_ne_u32_e32 vcc_lo, 0, v5
	v_cndmask_b32_e64 v5, -1, v6, s7
	v_cndmask_b32_e32 v6, s9, v7, vcc_lo
	v_cndmask_b32_e32 v4, v3, v4, vcc_lo
	s_delay_alu instid0(VALU_DEP_3) | instskip(NEXT) | instid1(VALU_DEP_3)
	v_cmp_ne_u32_e32 vcc_lo, 0, v5
	v_cndmask_b32_e32 v3, s8, v6, vcc_lo
	s_delay_alu instid0(VALU_DEP_3)
	v_cndmask_b32_e32 v2, v2, v4, vcc_lo
	s_cbranch_execnz .LBB174_52
.LBB174_51:                             ;   in Loop: Header=BB174_18 Depth=1
	v_cvt_f32_u32_e32 v2, s25
	s_sub_i32 s7, 0, s25
	s_delay_alu instid0(VALU_DEP_1) | instskip(SKIP_2) | instid1(VALU_DEP_1)
	v_rcp_iflag_f32_e32 v2, v2
	s_waitcnt_depctr 0xfff
	v_mul_f32_e32 v2, 0x4f7ffffe, v2
	v_cvt_u32_f32_e32 v2, v2
	s_delay_alu instid0(VALU_DEP_1) | instskip(NEXT) | instid1(VALU_DEP_1)
	v_mul_lo_u32 v3, s7, v2
	v_mul_hi_u32 v3, v2, v3
	s_delay_alu instid0(VALU_DEP_1) | instskip(NEXT) | instid1(VALU_DEP_1)
	v_add_nc_u32_e32 v2, v2, v3
	v_mul_hi_u32 v2, s36, v2
	s_delay_alu instid0(VALU_DEP_1) | instskip(NEXT) | instid1(VALU_DEP_1)
	v_mul_lo_u32 v2, v2, s25
	v_sub_nc_u32_e32 v2, s36, v2
	s_delay_alu instid0(VALU_DEP_1) | instskip(SKIP_1) | instid1(VALU_DEP_2)
	v_subrev_nc_u32_e32 v3, s25, v2
	v_cmp_le_u32_e32 vcc_lo, s25, v2
	v_cndmask_b32_e32 v2, v2, v3, vcc_lo
	s_delay_alu instid0(VALU_DEP_1) | instskip(SKIP_1) | instid1(VALU_DEP_2)
	v_subrev_nc_u32_e32 v3, s25, v2
	v_cmp_le_u32_e32 vcc_lo, s25, v2
	v_cndmask_b32_e32 v12, v2, v3, vcc_lo
	s_delay_alu instid0(VALU_DEP_1)
	v_dual_mov_b32 v2, v12 :: v_dual_mov_b32 v3, v13
.LBB174_52:                             ;   in Loop: Header=BB174_18 Depth=1
	s_delay_alu instid0(VALU_DEP_1) | instskip(NEXT) | instid1(VALU_DEP_2)
	v_sub_co_u32 v18, vcc_lo, s36, v2
	v_sub_co_ci_u32_e32 v19, vcc_lo, s37, v3, vcc_lo
	v_mov_b32_e32 v2, 0
	v_mov_b32_e32 v3, 0
	s_mov_b64 s[76:77], 0
	s_mov_b32 s26, exec_lo
	s_delay_alu instid0(VALU_DEP_1)
	v_dual_mov_b32 v5, v3 :: v_dual_mov_b32 v4, v2
	v_dual_mov_b32 v7, v3 :: v_dual_mov_b32 v6, v2
	;; [unrolled: 1-line block ×3, first 2 shown]
	v_cmpx_gt_u64_e64 v[18:19], v[14:15]
	s_cbranch_execz .LBB174_56
; %bb.53:                               ;   in Loop: Header=BB174_18 Depth=1
	v_dual_mov_b32 v21, v15 :: v_dual_mov_b32 v20, v14
	s_and_b32 s59, s101, 0xfe
	s_mov_b32 s58, 0
	s_mov_b64 s[78:79], 0
	s_mov_b64 s[80:81], 0
	;; [unrolled: 1-line block ×3, first 2 shown]
.LBB174_54:                             ;   Parent Loop BB174_18 Depth=1
                                        ; =>  This Inner Loop Header: Depth=2
	v_mul_lo_u32 v4, v21, s30
	v_mul_lo_u32 v5, v20, s31
	v_mad_u64_u32 v[2:3], null, v20, s30, 0
	s_lshl_b64 s[8:9], s[30:31], 1
	s_delay_alu instid0(VALU_DEP_1) | instskip(NEXT) | instid1(VALU_DEP_1)
	v_add3_u32 v3, v3, v5, v4
	v_lshlrev_b64 v[2:3], 1, v[2:3]
	s_delay_alu instid0(VALU_DEP_1) | instskip(NEXT) | instid1(VALU_DEP_2)
	v_add_co_u32 v2, vcc_lo, s29, v2
	v_add_co_ci_u32_e32 v3, vcc_lo, s33, v3, vcc_lo
	s_delay_alu instid0(VALU_DEP_2) | instskip(NEXT) | instid1(VALU_DEP_2)
	v_add_co_u32 v4, vcc_lo, v2, s8
	v_add_co_ci_u32_e32 v5, vcc_lo, s9, v3, vcc_lo
	s_clause 0x1
	global_load_i16 v6, v[2:3], off
	global_load_i16 v7, v[4:5], off
	v_add_co_u32 v2, vcc_lo, v4, s8
	v_add_co_ci_u32_e32 v3, vcc_lo, s9, v5, vcc_lo
	s_delay_alu instid0(VALU_DEP_2)
	v_add_co_u32 v4, vcc_lo, v2, s8
	global_load_i16 v2, v[2:3], off
	v_add_co_ci_u32_e32 v5, vcc_lo, s9, v3, vcc_lo
	v_add_co_u32 v20, vcc_lo, v20, s25
	v_add_co_ci_u32_e32 v21, vcc_lo, 0, v21, vcc_lo
	global_load_i16 v3, v[4:5], off
	v_cmp_ge_u64_e32 vcc_lo, v[20:21], v[18:19]
	s_waitcnt vmcnt(3)
	v_add_nc_u32_e32 v4, 0x8000, v6
	s_waitcnt vmcnt(2)
	v_add_nc_u32_e32 v6, 0x8000, v7
	s_delay_alu instid0(VALU_DEP_2) | instskip(SKIP_1) | instid1(VALU_DEP_2)
	v_and_b32_e32 v5, v4, v29
	v_bfe_u32 v4, v4, s59, 2
	v_cmp_eq_u32_e64 s7, v5, v30
	s_waitcnt vmcnt(1)
	v_add_nc_u32_e32 v2, 0x8000, v2
	v_and_b32_e32 v5, v6, v29
	v_bfe_u32 v6, v6, s59, 2
	v_cmp_eq_u32_e64 s8, 0, v4
	v_cmp_eq_u32_e64 s9, 1, v4
	;; [unrolled: 1-line block ×4, first 2 shown]
	s_waitcnt vmcnt(0)
	v_add_nc_u32_e32 v3, 0x8000, v3
	v_and_b32_e32 v4, v2, v29
	v_cmp_eq_u32_e64 s12, v5, v30
	v_bfe_u32 v2, v2, s59, 2
	v_cmp_eq_u32_e64 s13, 0, v6
	s_and_b32 s16, s7, s8
	v_cmp_eq_u32_e64 s8, 1, v6
	v_cndmask_b32_e64 v5, 0, 1, s16
	v_cmp_eq_u32_e64 s16, v4, v30
	v_and_b32_e32 v4, v3, v29
	v_bfe_u32 v3, v3, s59, 2
	v_cmp_eq_u32_e64 s17, 0, v2
	s_and_b32 s21, s12, s13
	v_cmp_eq_u32_e64 s13, 1, v2
	v_cmp_eq_u32_e64 s18, 2, v2
	;; [unrolled: 1-line block ×3, first 2 shown]
	v_cmp_ne_u32_e64 s20, 0, v5
	v_cndmask_b32_e64 v2, 0, 1, s21
	v_cmp_eq_u32_e64 s21, v4, v30
	v_cmp_eq_u32_e64 s22, 0, v3
	s_and_b32 s64, s16, s17
	s_bcnt1_i32_b32 s65, s20
	v_cmp_ne_u32_e64 s20, 0, v2
	v_cndmask_b32_e64 v2, 0, 1, s64
	s_and_b32 s22, s21, s22
	v_cmp_eq_u32_e64 s17, 1, v3
	v_cmp_eq_u32_e64 s23, 2, v3
	v_cmp_eq_u32_e64 s24, 3, v3
	v_cndmask_b32_e64 v3, 0, 1, s22
	s_bcnt1_i32_b32 s22, s20
	v_cmp_ne_u32_e64 s20, 0, v2
	s_add_i32 s64, s22, s65
	v_cmp_eq_u32_e64 s14, 2, v6
	v_cmp_ne_u32_e64 s22, 0, v3
	v_cmp_eq_u32_e64 s15, 3, v6
	s_bcnt1_i32_b32 s20, s20
	s_delay_alu instid0(SALU_CYCLE_1) | instskip(NEXT) | instid1(VALU_DEP_2)
	s_add_i32 s20, s64, s20
	s_bcnt1_i32_b32 s22, s22
	s_delay_alu instid0(SALU_CYCLE_1) | instskip(NEXT) | instid1(SALU_CYCLE_1)
	s_add_i32 s20, s20, s22
	s_add_u32 s82, s82, s20
	s_addc_u32 s83, s83, 0
	s_and_b32 s9, s7, s9
	s_and_b32 s8, s12, s8
	;; [unrolled: 1-line block ×3, first 2 shown]
	v_cndmask_b32_e64 v2, 0, 1, s9
	v_cndmask_b32_e64 v3, 0, 1, s8
	s_and_b32 s17, s21, s17
	v_cndmask_b32_e64 v4, 0, 1, s13
	v_cndmask_b32_e64 v5, 0, 1, s17
	v_cmp_ne_u32_e64 s8, 0, v2
	v_cmp_ne_u32_e64 s9, 0, v3
	s_delay_alu instid0(VALU_DEP_4) | instskip(NEXT) | instid1(VALU_DEP_4)
	v_cmp_ne_u32_e64 s13, 0, v4
	v_cmp_ne_u32_e64 s17, 0, v5
	s_delay_alu instid0(VALU_DEP_4) | instskip(NEXT) | instid1(VALU_DEP_3)
	s_bcnt1_i32_b32 s8, s8
	s_bcnt1_i32_b32 s9, s9
	s_delay_alu instid0(VALU_DEP_2) | instskip(SKIP_3) | instid1(SALU_CYCLE_1)
	s_bcnt1_i32_b32 s13, s13
	s_add_i32 s8, s9, s8
	s_bcnt1_i32_b32 s17, s17
	s_add_i32 s8, s8, s13
	s_add_i32 s8, s8, s17
	s_delay_alu instid0(SALU_CYCLE_1)
	s_add_u32 s80, s80, s8
	s_addc_u32 s81, s81, 0
	s_and_b32 s8, s7, s10
	s_and_b32 s9, s12, s14
	;; [unrolled: 1-line block ×3, first 2 shown]
	v_cndmask_b32_e64 v2, 0, 1, s8
	v_cndmask_b32_e64 v3, 0, 1, s9
	s_and_b32 s13, s21, s23
	v_cndmask_b32_e64 v4, 0, 1, s10
	v_cndmask_b32_e64 v5, 0, 1, s13
	v_cmp_ne_u32_e64 s8, 0, v2
	v_cmp_ne_u32_e64 s9, 0, v3
	s_delay_alu instid0(VALU_DEP_4) | instskip(NEXT) | instid1(VALU_DEP_4)
	v_cmp_ne_u32_e64 s10, 0, v4
	v_cmp_ne_u32_e64 s13, 0, v5
	s_delay_alu instid0(VALU_DEP_4) | instskip(NEXT) | instid1(VALU_DEP_3)
	s_bcnt1_i32_b32 s8, s8
	s_bcnt1_i32_b32 s9, s9
	s_delay_alu instid0(VALU_DEP_2) | instskip(SKIP_3) | instid1(SALU_CYCLE_1)
	s_bcnt1_i32_b32 s10, s10
	s_add_i32 s8, s9, s8
	s_bcnt1_i32_b32 s13, s13
	s_add_i32 s8, s8, s10
	s_add_i32 s8, s8, s13
	s_delay_alu instid0(SALU_CYCLE_1)
	s_add_u32 s78, s78, s8
	s_addc_u32 s79, s79, 0
	s_and_b32 s7, s7, s11
	s_and_b32 s8, s12, s15
	;; [unrolled: 1-line block ×3, first 2 shown]
	v_cndmask_b32_e64 v2, 0, 1, s7
	v_cndmask_b32_e64 v3, 0, 1, s8
	s_and_b32 s10, s21, s24
	v_cndmask_b32_e64 v4, 0, 1, s9
	v_cndmask_b32_e64 v5, 0, 1, s10
	v_cmp_ne_u32_e64 s7, 0, v2
	v_cmp_ne_u32_e64 s8, 0, v3
	v_mov_b32_e32 v2, s82
	v_cmp_ne_u32_e64 s9, 0, v4
	v_cmp_ne_u32_e64 s10, 0, v5
	s_bcnt1_i32_b32 s7, s7
	s_bcnt1_i32_b32 s8, s8
	v_mov_b32_e32 v4, s80
	s_bcnt1_i32_b32 s9, s9
	s_add_i32 s7, s8, s7
	s_bcnt1_i32_b32 s8, s10
	s_add_i32 s7, s7, s9
	v_mov_b32_e32 v6, s78
	s_add_i32 s7, s7, s8
	v_mov_b32_e32 v3, s83
	s_add_u32 s76, s76, s7
	s_addc_u32 s77, s77, 0
	s_delay_alu instid0(SALU_CYCLE_1) | instskip(SKIP_3) | instid1(SALU_CYCLE_1)
	v_dual_mov_b32 v8, s76 :: v_dual_mov_b32 v9, s77
	v_mov_b32_e32 v5, s81
	v_mov_b32_e32 v7, s79
	s_or_b32 s58, vcc_lo, s58
	s_and_not1_b32 exec_lo, exec_lo, s58
	s_cbranch_execnz .LBB174_54
; %bb.55:                               ;   in Loop: Header=BB174_18 Depth=1
	s_or_b32 exec_lo, exec_lo, s58
.LBB174_56:                             ;   in Loop: Header=BB174_18 Depth=1
	s_delay_alu instid0(SALU_CYCLE_1) | instskip(SKIP_3) | instid1(VALU_DEP_2)
	s_or_b32 exec_lo, exec_lo, s26
	v_add_co_u32 v18, vcc_lo, v18, v0
	v_add_co_ci_u32_e32 v19, vcc_lo, 0, v19, vcc_lo
	v_dual_mov_b32 v21, 0 :: v_dual_and_b32 v12, 0xffff, v32
	v_cmp_gt_u64_e32 vcc_lo, s[36:37], v[18:19]
	s_and_saveexec_b32 s8, vcc_lo
	s_cbranch_execz .LBB174_58
; %bb.57:                               ;   in Loop: Header=BB174_18 Depth=1
	v_mul_lo_u32 v32, v19, s30
	v_mul_lo_u32 v33, v18, s31
	v_mad_u64_u32 v[20:21], null, v18, s30, 0
	s_delay_alu instid0(VALU_DEP_1) | instskip(NEXT) | instid1(VALU_DEP_1)
	v_add3_u32 v21, v21, v33, v32
	v_lshlrev_b64 v[20:21], 1, v[20:21]
	s_delay_alu instid0(VALU_DEP_1) | instskip(NEXT) | instid1(VALU_DEP_1)
	v_add_co_u32 v20, s7, s29, v20
	v_add_co_ci_u32_e64 v21, s7, s33, v21, s7
	global_load_u16 v21, v[20:21], off
.LBB174_58:                             ;   in Loop: Header=BB174_18 Depth=1
	s_or_b32 exec_lo, exec_lo, s8
	s_and_saveexec_b32 s11, vcc_lo
	s_cbranch_execz .LBB174_65
; %bb.59:                               ;   in Loop: Header=BB174_18 Depth=1
	s_and_b32 s13, s101, 0xfe
	s_mov_b32 s12, 0
	s_branch .LBB174_61
.LBB174_60:                             ;   in Loop: Header=BB174_61 Depth=2
	s_or_b32 exec_lo, exec_lo, s8
	s_waitcnt vmcnt(0)
	v_bfe_i32 v21, v21, 0, 16
	s_and_b32 s9, exec_lo, vcc_lo
	s_delay_alu instid0(SALU_CYCLE_1) | instskip(NEXT) | instid1(VALU_DEP_1)
	s_or_b32 s12, s9, s12
	v_add_nc_u32_e32 v21, 0x8000, v21
	s_delay_alu instid0(VALU_DEP_1) | instskip(SKIP_1) | instid1(VALU_DEP_2)
	v_and_b32_e32 v32, v21, v29
	v_bfe_u32 v21, v21, s13, 2
	v_cmp_eq_u32_e64 s7, v32, v30
	s_delay_alu instid0(VALU_DEP_2) | instskip(SKIP_2) | instid1(VALU_DEP_3)
	v_cmp_eq_u32_e64 s8, 0, v21
	v_cmp_eq_u32_e32 vcc_lo, 1, v21
	v_cmp_eq_u32_e64 s9, 2, v21
	s_and_b32 s8, s7, s8
	s_delay_alu instid0(SALU_CYCLE_1) | instskip(SKIP_4) | instid1(SALU_CYCLE_1)
	v_cndmask_b32_e64 v32, 0, 1, s8
	s_and_b32 s8, s7, vcc_lo
	v_cmp_eq_u32_e32 vcc_lo, 3, v21
	v_cndmask_b32_e64 v33, 0, 1, s8
	s_and_b32 s8, s7, s9
	v_cndmask_b32_e64 v34, 0, 1, s8
	v_cmp_ne_u32_e64 s8, 0, v32
	s_delay_alu instid0(VALU_DEP_3) | instskip(SKIP_1) | instid1(SALU_CYCLE_1)
	v_cmp_ne_u32_e64 s9, 0, v33
	s_and_b32 s7, s7, vcc_lo
	v_cndmask_b32_e64 v21, 0, 1, s7
	s_delay_alu instid0(VALU_DEP_3)
	s_bcnt1_i32_b32 s7, s8
	v_cmp_ne_u32_e64 s10, 0, v34
	v_add_co_u32 v2, vcc_lo, v2, s7
	s_bcnt1_i32_b32 s8, s9
	v_add_co_ci_u32_e32 v3, vcc_lo, 0, v3, vcc_lo
	v_add_co_u32 v4, vcc_lo, v4, s8
	v_add_co_ci_u32_e32 v5, vcc_lo, 0, v5, vcc_lo
	s_bcnt1_i32_b32 s9, s10
	v_cmp_ne_u32_e32 vcc_lo, 0, v21
	v_mov_b32_e32 v21, v20
	v_add_co_u32 v6, s7, v6, s9
	s_delay_alu instid0(VALU_DEP_1) | instskip(SKIP_1) | instid1(SALU_CYCLE_1)
	v_add_co_ci_u32_e64 v7, s7, 0, v7, s7
	s_bcnt1_i32_b32 s7, vcc_lo
	v_add_co_u32 v8, vcc_lo, v8, s7
	v_add_co_ci_u32_e32 v9, vcc_lo, 0, v9, vcc_lo
	s_and_not1_b32 exec_lo, exec_lo, s12
	s_cbranch_execz .LBB174_64
.LBB174_61:                             ;   Parent Loop BB174_18 Depth=1
                                        ; =>  This Inner Loop Header: Depth=2
	v_add_co_u32 v18, vcc_lo, v18, v12
	v_add_co_ci_u32_e32 v19, vcc_lo, 0, v19, vcc_lo
	v_mov_b32_e32 v20, 0
	s_mov_b32 s8, exec_lo
	s_delay_alu instid0(VALU_DEP_2)
	v_cmp_le_u64_e32 vcc_lo, s[36:37], v[18:19]
	v_cmpx_gt_u64_e64 s[36:37], v[18:19]
	s_cbranch_execz .LBB174_60
; %bb.62:                               ;   in Loop: Header=BB174_61 Depth=2
	v_mul_lo_u32 v20, v19, s30
	v_mul_lo_u32 v34, v18, s31
	v_mad_u64_u32 v[32:33], null, v18, s30, 0
	s_delay_alu instid0(VALU_DEP_1) | instskip(NEXT) | instid1(VALU_DEP_1)
	v_add3_u32 v33, v33, v34, v20
	v_lshlrev_b64 v[32:33], 1, v[32:33]
	s_delay_alu instid0(VALU_DEP_1) | instskip(NEXT) | instid1(VALU_DEP_1)
	v_add_co_u32 v32, s7, s29, v32
	v_add_co_ci_u32_e64 v33, s7, s33, v33, s7
	global_load_u16 v20, v[32:33], off
	s_branch .LBB174_60
.LBB174_63:                             ;   in Loop: Header=BB174_18 Depth=1
                                        ; implicit-def: $vgpr8_vgpr9
                                        ; implicit-def: $vgpr4_vgpr5
	s_cbranch_execnz .LBB174_66
	s_branch .LBB174_75
.LBB174_64:                             ;   in Loop: Header=BB174_18 Depth=1
	s_or_b32 exec_lo, exec_lo, s12
.LBB174_65:                             ;   in Loop: Header=BB174_18 Depth=1
	s_delay_alu instid0(SALU_CYCLE_1)
	s_or_b32 exec_lo, exec_lo, s11
	s_branch .LBB174_75
.LBB174_66:                             ;   in Loop: Header=BB174_18 Depth=1
	global_load_u16 v8, v13, s[72:73]
	s_mov_b64 s[76:77], 0
	s_mov_b32 s59, exec_lo
	s_waitcnt vmcnt(0)
	v_readfirstlane_b32 s7, v8
	v_and_b32_e32 v20, 0xffff, v8
	s_delay_alu instid0(VALU_DEP_2) | instskip(NEXT) | instid1(SALU_CYCLE_1)
	s_and_b32 s7, 0xffff, s7
	s_lshl_b32 s58, s7, 2
	s_delay_alu instid0(SALU_CYCLE_1) | instskip(SKIP_1) | instid1(VALU_DEP_1)
	v_cvt_f32_u32_e32 v2, s58
	s_sub_i32 s8, 0, s58
	v_rcp_iflag_f32_e32 v2, v2
	s_waitcnt_depctr 0xfff
	v_mul_f32_e32 v2, 0x4f7ffffe, v2
	s_delay_alu instid0(VALU_DEP_1) | instskip(NEXT) | instid1(VALU_DEP_1)
	v_cvt_u32_f32_e32 v2, v2
	v_readfirstlane_b32 s7, v2
	v_mov_b32_e32 v2, 0
	v_mov_b32_e32 v3, 0
	s_delay_alu instid0(VALU_DEP_3) | instskip(NEXT) | instid1(VALU_DEP_1)
	s_mul_i32 s8, s8, s7
	v_dual_mov_b32 v5, v3 :: v_dual_mov_b32 v4, v2
	s_mul_hi_u32 s8, s7, s8
	v_dual_mov_b32 v7, v3 :: v_dual_mov_b32 v6, v2
	s_add_i32 s7, s7, s8
	v_dual_mov_b32 v9, v3 :: v_dual_mov_b32 v8, v2
	s_mul_hi_u32 s7, s74, s7
	s_delay_alu instid0(SALU_CYCLE_1) | instskip(NEXT) | instid1(SALU_CYCLE_1)
	s_mul_i32 s7, s7, s58
	s_sub_i32 s7, s74, s7
	s_delay_alu instid0(SALU_CYCLE_1) | instskip(SKIP_2) | instid1(SALU_CYCLE_1)
	s_sub_i32 s8, s7, s58
	s_cmp_ge_u32 s7, s58
	s_cselect_b32 s7, s8, s7
	s_sub_i32 s8, s7, s58
	s_cmp_ge_u32 s7, s58
	s_cselect_b32 s7, s8, s7
	s_delay_alu instid0(SALU_CYCLE_1) | instskip(NEXT) | instid1(SALU_CYCLE_1)
	s_sub_i32 s70, s74, s7
	v_cmpx_gt_u32_e64 s70, v14
	s_cbranch_execz .LBB174_70
; %bb.67:                               ;   in Loop: Header=BB174_18 Depth=1
	v_dual_mov_b32 v21, v27 :: v_dual_lshlrev_b32 v12, 3, v20
	v_dual_mov_b32 v19, v15 :: v_dual_mov_b32 v18, v14
	s_and_b32 s68, s101, 0xfe
	s_mov_b32 s69, 0
	s_mov_b64 s[78:79], 0
	s_mov_b64 s[80:81], 0
	;; [unrolled: 1-line block ×3, first 2 shown]
.LBB174_68:                             ;   Parent Loop BB174_18 Depth=1
                                        ; =>  This Inner Loop Header: Depth=2
	ds_load_b64 v[2:3], v21
	v_add_co_u32 v18, vcc_lo, v18, s58
	v_add_co_ci_u32_e32 v19, vcc_lo, 0, v19, vcc_lo
	s_delay_alu instid0(VALU_DEP_1)
	v_cmp_le_u64_e32 vcc_lo, s[70:71], v[18:19]
	s_waitcnt lgkmcnt(0)
	v_bfe_i32 v4, v2, 0, 16
	v_ashrrev_i32_e32 v2, 16, v2
	v_bfe_i32 v5, v3, 0, 16
	v_ashrrev_i32_e32 v3, 16, v3
	s_delay_alu instid0(VALU_DEP_4) | instskip(NEXT) | instid1(VALU_DEP_4)
	v_add_nc_u32_e32 v4, 0x8000, v4
	v_add_nc_u32_e32 v2, 0x8000, v2
	s_delay_alu instid0(VALU_DEP_4) | instskip(NEXT) | instid1(VALU_DEP_4)
	v_add_nc_u32_e32 v5, 0x8000, v5
	v_add_nc_u32_e32 v3, 0x8000, v3
	s_delay_alu instid0(VALU_DEP_4) | instskip(NEXT) | instid1(VALU_DEP_4)
	v_and_b32_e32 v6, v4, v29
	v_and_b32_e32 v7, v2, v29
	v_bfe_u32 v4, v4, s68, 2
	v_bfe_u32 v2, v2, s68, 2
	v_and_b32_e32 v8, v5, v29
	v_bfe_u32 v5, v5, s68, 2
	v_cmp_eq_u32_e64 s7, v6, v30
	v_and_b32_e32 v6, v3, v29
	v_bfe_u32 v3, v3, s68, 2
	v_cmp_eq_u32_e64 s8, v7, v30
	v_cmp_eq_u32_e64 s11, 0, v4
	;; [unrolled: 1-line block ×7, first 2 shown]
	s_and_b32 s11, s7, s11
	s_and_b32 s12, s8, s12
	v_cmp_eq_u32_e64 s16, 1, v2
	v_cmp_eq_u32_e64 s18, 1, v3
	;; [unrolled: 1-line block ×6, first 2 shown]
	s_and_b32 s13, s9, s13
	v_cndmask_b32_e64 v2, 0, 1, s11
	v_cndmask_b32_e64 v3, 0, 1, s12
	v_cmp_eq_u32_e64 s15, 1, v4
	v_cmp_eq_u32_e64 s19, 2, v4
	;; [unrolled: 1-line block ×3, first 2 shown]
	s_and_b32 s14, s10, s14
	v_cndmask_b32_e64 v4, 0, 1, s13
	v_cmp_eq_u32_e64 s17, 1, v5
	v_cmp_eq_u32_e64 s21, 2, v5
	;; [unrolled: 1-line block ×3, first 2 shown]
	v_cndmask_b32_e64 v5, 0, 1, s14
	v_cmp_ne_u32_e64 s11, 0, v2
	v_cmp_ne_u32_e64 s12, 0, v3
	;; [unrolled: 1-line block ×3, first 2 shown]
	s_delay_alu instid0(VALU_DEP_4) | instskip(NEXT) | instid1(VALU_DEP_4)
	v_cmp_ne_u32_e64 s14, 0, v5
	s_bcnt1_i32_b32 s11, s11
	s_delay_alu instid0(VALU_DEP_3) | instskip(NEXT) | instid1(VALU_DEP_2)
	s_bcnt1_i32_b32 s12, s12
	s_bcnt1_i32_b32 s13, s13
	s_add_i32 s11, s12, s11
	s_bcnt1_i32_b32 s14, s14
	s_add_i32 s11, s11, s13
	s_delay_alu instid0(SALU_CYCLE_1) | instskip(NEXT) | instid1(SALU_CYCLE_1)
	s_add_i32 s11, s11, s14
	s_add_u32 s82, s82, s11
	s_addc_u32 s83, s83, 0
	s_and_b32 s11, s7, s15
	s_and_b32 s12, s8, s16
	s_and_b32 s13, s9, s17
	v_cndmask_b32_e64 v2, 0, 1, s11
	v_cndmask_b32_e64 v3, 0, 1, s12
	s_and_b32 s14, s10, s18
	v_cndmask_b32_e64 v4, 0, 1, s13
	v_cndmask_b32_e64 v5, 0, 1, s14
	v_cmp_ne_u32_e64 s11, 0, v2
	v_cmp_ne_u32_e64 s12, 0, v3
	v_add_nc_u32_e32 v21, v21, v12
	v_cmp_ne_u32_e64 s13, 0, v4
	v_cmp_ne_u32_e64 s14, 0, v5
	s_bcnt1_i32_b32 s11, s11
	s_bcnt1_i32_b32 s12, s12
	s_delay_alu instid0(VALU_DEP_2) | instskip(SKIP_3) | instid1(SALU_CYCLE_1)
	s_bcnt1_i32_b32 s13, s13
	s_add_i32 s11, s12, s11
	s_bcnt1_i32_b32 s14, s14
	s_add_i32 s11, s11, s13
	s_add_i32 s11, s11, s14
	s_delay_alu instid0(SALU_CYCLE_1)
	s_add_u32 s80, s80, s11
	s_addc_u32 s81, s81, 0
	s_and_b32 s11, s7, s19
	s_and_b32 s12, s8, s20
	;; [unrolled: 1-line block ×3, first 2 shown]
	v_cndmask_b32_e64 v2, 0, 1, s11
	v_cndmask_b32_e64 v3, 0, 1, s12
	s_and_b32 s14, s10, s22
	v_cndmask_b32_e64 v4, 0, 1, s13
	v_cndmask_b32_e64 v5, 0, 1, s14
	v_cmp_ne_u32_e64 s11, 0, v2
	v_cmp_ne_u32_e64 s12, 0, v3
	s_delay_alu instid0(VALU_DEP_4) | instskip(NEXT) | instid1(VALU_DEP_4)
	v_cmp_ne_u32_e64 s13, 0, v4
	v_cmp_ne_u32_e64 s14, 0, v5
	s_delay_alu instid0(VALU_DEP_4) | instskip(NEXT) | instid1(VALU_DEP_3)
	s_bcnt1_i32_b32 s11, s11
	s_bcnt1_i32_b32 s12, s12
	s_delay_alu instid0(VALU_DEP_2) | instskip(SKIP_3) | instid1(SALU_CYCLE_1)
	s_bcnt1_i32_b32 s13, s13
	s_add_i32 s11, s12, s11
	s_bcnt1_i32_b32 s14, s14
	s_add_i32 s11, s11, s13
	s_add_i32 s11, s11, s14
	s_delay_alu instid0(SALU_CYCLE_1)
	s_add_u32 s78, s78, s11
	s_addc_u32 s79, s79, 0
	s_and_b32 s7, s7, s23
	s_and_b32 s8, s8, s24
	s_and_b32 s9, s9, s25
	v_cndmask_b32_e64 v2, 0, 1, s7
	v_cndmask_b32_e64 v3, 0, 1, s8
	s_and_b32 s10, s10, s26
	v_cndmask_b32_e64 v4, 0, 1, s9
	v_cndmask_b32_e64 v5, 0, 1, s10
	v_cmp_ne_u32_e64 s7, 0, v2
	v_cmp_ne_u32_e64 s8, 0, v3
	v_mov_b32_e32 v2, s82
	v_cmp_ne_u32_e64 s9, 0, v4
	v_cmp_ne_u32_e64 s10, 0, v5
	s_bcnt1_i32_b32 s7, s7
	s_bcnt1_i32_b32 s8, s8
	v_mov_b32_e32 v4, s80
	s_bcnt1_i32_b32 s9, s9
	s_add_i32 s7, s8, s7
	s_bcnt1_i32_b32 s8, s10
	s_add_i32 s7, s7, s9
	v_mov_b32_e32 v6, s78
	s_add_i32 s7, s7, s8
	v_mov_b32_e32 v3, s83
	s_add_u32 s76, s76, s7
	s_addc_u32 s77, s77, 0
	v_dual_mov_b32 v8, s76 :: v_dual_mov_b32 v5, s81
	v_mov_b32_e32 v7, s79
	v_mov_b32_e32 v9, s77
	s_or_b32 s69, vcc_lo, s69
	s_delay_alu instid0(SALU_CYCLE_1)
	s_and_not1_b32 exec_lo, exec_lo, s69
	s_cbranch_execnz .LBB174_68
; %bb.69:                               ;   in Loop: Header=BB174_18 Depth=1
	s_or_b32 exec_lo, exec_lo, s69
.LBB174_70:                             ;   in Loop: Header=BB174_18 Depth=1
	s_delay_alu instid0(SALU_CYCLE_1) | instskip(SKIP_2) | instid1(VALU_DEP_1)
	s_or_b32 exec_lo, exec_lo, s59
	v_add_nc_u32_e32 v12, s70, v0
	s_mov_b32 s14, exec_lo
	v_cmpx_gt_u32_e64 s74, v12
	s_cbranch_execz .LBB174_74
; %bb.71:                               ;   in Loop: Header=BB174_18 Depth=1
	v_dual_mov_b32 v19, v13 :: v_dual_lshlrev_b32 v32, 1, v20
	v_dual_mov_b32 v18, v12 :: v_dual_lshlrev_b32 v21, 1, v12
	s_mov_b32 s13, 0
	s_and_b32 s12, s74, 0x7fffffff
	s_and_b32 s16, s101, 0xfe
	s_mov_b32 s15, s13
.LBB174_72:                             ;   Parent Loop BB174_18 Depth=1
                                        ; =>  This Inner Loop Header: Depth=2
	ds_load_i16 v12, v21
	v_add_co_u32 v18, vcc_lo, v18, v20
	v_add_co_ci_u32_e32 v19, vcc_lo, 0, v19, vcc_lo
	v_add_nc_u32_e32 v21, v21, v32
	s_delay_alu instid0(VALU_DEP_2) | instskip(SKIP_2) | instid1(VALU_DEP_1)
	v_cmp_le_u64_e32 vcc_lo, s[12:13], v[18:19]
	s_waitcnt lgkmcnt(0)
	v_add_nc_u32_e32 v12, 0x8000, v12
	v_and_b32_e32 v33, v12, v29
	v_bfe_u32 v12, v12, s16, 2
	s_delay_alu instid0(VALU_DEP_2) | instskip(NEXT) | instid1(VALU_DEP_2)
	v_cmp_eq_u32_e64 s7, v33, v30
	v_cmp_eq_u32_e64 s8, 0, v12
	;; [unrolled: 1-line block ×5, first 2 shown]
	s_delay_alu instid0(VALU_DEP_4) | instskip(NEXT) | instid1(SALU_CYCLE_1)
	s_and_b32 s8, s7, s8
	v_cndmask_b32_e64 v12, 0, 1, s8
	s_and_b32 s8, s7, s9
	s_delay_alu instid0(SALU_CYCLE_1)
	v_cndmask_b32_e64 v33, 0, 1, s8
	s_and_b32 s8, s7, s10
	s_and_b32 s7, s7, s11
	v_cndmask_b32_e64 v34, 0, 1, s8
	v_cndmask_b32_e64 v35, 0, 1, s7
	v_cmp_ne_u32_e64 s7, 0, v12
	v_cmp_ne_u32_e64 s8, 0, v33
	s_delay_alu instid0(VALU_DEP_4) | instskip(NEXT) | instid1(VALU_DEP_4)
	v_cmp_ne_u32_e64 s9, 0, v34
	v_cmp_ne_u32_e64 s10, 0, v35
	s_delay_alu instid0(VALU_DEP_4) | instskip(NEXT) | instid1(VALU_DEP_3)
	s_bcnt1_i32_b32 s7, s7
	s_bcnt1_i32_b32 s8, s8
	v_add_co_u32 v2, s7, v2, s7
	s_delay_alu instid0(VALU_DEP_1)
	v_add_co_ci_u32_e64 v3, s7, 0, v3, s7
	v_add_co_u32 v4, s7, v4, s8
	s_bcnt1_i32_b32 s9, s9
	v_add_co_ci_u32_e64 v5, s7, 0, v5, s7
	v_add_co_u32 v6, s7, v6, s9
	s_bcnt1_i32_b32 s10, s10
	v_add_co_ci_u32_e64 v7, s7, 0, v7, s7
	v_add_co_u32 v8, s7, v8, s10
	s_delay_alu instid0(VALU_DEP_1) | instskip(SKIP_1) | instid1(SALU_CYCLE_1)
	v_add_co_ci_u32_e64 v9, s7, 0, v9, s7
	s_or_b32 s15, vcc_lo, s15
	s_and_not1_b32 exec_lo, exec_lo, s15
	s_cbranch_execnz .LBB174_72
; %bb.73:                               ;   in Loop: Header=BB174_18 Depth=1
	s_or_b32 exec_lo, exec_lo, s15
.LBB174_74:                             ;   in Loop: Header=BB174_18 Depth=1
	s_delay_alu instid0(SALU_CYCLE_1)
	s_or_b32 exec_lo, exec_lo, s14
.LBB174_75:                             ;   in Loop: Header=BB174_18 Depth=1
	s_lshl_b32 s7, s97, 7
	s_and_saveexec_b32 s8, s2
	s_cbranch_execz .LBB174_77
; %bb.76:                               ;   in Loop: Header=BB174_18 Depth=1
	v_or_b32_e32 v12, s7, v24
	s_delay_alu instid0(VALU_DEP_1)
	v_lshlrev_b32_e32 v12, 3, v12
	ds_store_b128 v12, v[2:5] offset:3072
	ds_store_b128 v12, v[6:9] offset:3088
.LBB174_77:                             ;   in Loop: Header=BB174_18 Depth=1
	s_or_b32 exec_lo, exec_lo, s8
	s_waitcnt vmcnt(0) lgkmcnt(0)
	s_barrier
	buffer_gl0_inv
	s_and_saveexec_b32 s8, s84
	s_cbranch_execz .LBB174_88
; %bb.78:                               ;   in Loop: Header=BB174_18 Depth=1
	v_mov_b32_e32 v2, 0
	v_mov_b32_e32 v3, 0
	s_and_not1_b32 vcc_lo, exec_lo, s92
	s_cbranch_vccnz .LBB174_87
; %bb.79:                               ;   in Loop: Header=BB174_18 Depth=1
	v_mov_b32_e32 v2, 0
	v_mov_b32_e32 v3, 0
	s_and_not1_b32 vcc_lo, exec_lo, s90
	s_cbranch_vccnz .LBB174_84
; %bb.80:                               ;   in Loop: Header=BB174_18 Depth=1
	v_lshl_add_u32 v4, s97, 10, v28
	s_mov_b32 s9, 0
	s_set_inst_prefetch_distance 0x1
	.p2align	6
.LBB174_81:                             ;   Parent Loop BB174_18 Depth=1
                                        ; =>  This Inner Loop Header: Depth=2
	ds_load_2addr_b64 v[5:8], v4 offset1:4
	ds_load_2addr_b64 v[18:21], v4 offset0:8 offset1:12
	ds_load_2addr_b64 v[32:35], v4 offset0:16 offset1:20
	s_add_i32 s9, s9, 8
	s_delay_alu instid0(SALU_CYCLE_1) | instskip(SKIP_3) | instid1(VALU_DEP_2)
	s_cmp_eq_u32 s91, s9
	s_waitcnt lgkmcnt(2)
	v_add_co_u32 v2, vcc_lo, v5, v2
	v_add_co_ci_u32_e32 v3, vcc_lo, v6, v3, vcc_lo
	v_add_co_u32 v2, vcc_lo, v7, v2
	s_delay_alu instid0(VALU_DEP_2)
	v_add_co_ci_u32_e32 v3, vcc_lo, v8, v3, vcc_lo
	ds_load_2addr_b64 v[5:8], v4 offset0:24 offset1:28
	s_waitcnt lgkmcnt(2)
	v_add_co_u32 v2, vcc_lo, v18, v2
	v_add_co_ci_u32_e32 v3, vcc_lo, v19, v3, vcc_lo
	v_add_nc_u32_e32 v4, 0x100, v4
	s_delay_alu instid0(VALU_DEP_3) | instskip(NEXT) | instid1(VALU_DEP_3)
	v_add_co_u32 v2, vcc_lo, v20, v2
	v_add_co_ci_u32_e32 v3, vcc_lo, v21, v3, vcc_lo
	s_waitcnt lgkmcnt(1)
	s_delay_alu instid0(VALU_DEP_2) | instskip(NEXT) | instid1(VALU_DEP_2)
	v_add_co_u32 v2, vcc_lo, v32, v2
	v_add_co_ci_u32_e32 v3, vcc_lo, v33, v3, vcc_lo
	s_delay_alu instid0(VALU_DEP_2) | instskip(NEXT) | instid1(VALU_DEP_2)
	v_add_co_u32 v2, vcc_lo, v34, v2
	v_add_co_ci_u32_e32 v3, vcc_lo, v35, v3, vcc_lo
	s_waitcnt lgkmcnt(0)
	s_delay_alu instid0(VALU_DEP_2) | instskip(NEXT) | instid1(VALU_DEP_2)
	v_add_co_u32 v2, vcc_lo, v5, v2
	v_add_co_ci_u32_e32 v3, vcc_lo, v6, v3, vcc_lo
	s_delay_alu instid0(VALU_DEP_2) | instskip(NEXT) | instid1(VALU_DEP_2)
	v_add_co_u32 v2, vcc_lo, v7, v2
	v_add_co_ci_u32_e32 v3, vcc_lo, v8, v3, vcc_lo
	s_cbranch_scc0 .LBB174_81
; %bb.82:                               ;   in Loop: Header=BB174_18 Depth=1
	s_set_inst_prefetch_distance 0x2
	s_mov_b32 s9, s91
	s_and_not1_b32 vcc_lo, exec_lo, s93
	s_cbranch_vccz .LBB174_85
	s_branch .LBB174_87
.LBB174_83:                             ;   in Loop: Header=BB174_18 Depth=1
                                        ; implicit-def: $vgpr2_vgpr3
	s_branch .LBB174_51
.LBB174_84:                             ;   in Loop: Header=BB174_18 Depth=1
	s_mov_b32 s9, 0
	s_and_not1_b32 vcc_lo, exec_lo, s93
	s_cbranch_vccnz .LBB174_87
.LBB174_85:                             ;   in Loop: Header=BB174_18 Depth=1
	s_lshl_b32 s10, s97, 10
	s_lshl_b32 s9, s9, 5
	s_delay_alu instid0(SALU_CYCLE_1)
	v_add3_u32 v4, s10, s9, v28
	s_mov_b32 s9, s89
.LBB174_86:                             ;   Parent Loop BB174_18 Depth=1
                                        ; =>  This Inner Loop Header: Depth=2
	ds_load_b64 v[5:6], v4
	v_add_nc_u32_e32 v4, 32, v4
	s_add_i32 s9, s9, -1
	s_delay_alu instid0(SALU_CYCLE_1)
	s_cmp_lg_u32 s9, 0
	s_waitcnt lgkmcnt(0)
	v_add_co_u32 v2, vcc_lo, v5, v2
	v_add_co_ci_u32_e32 v3, vcc_lo, v6, v3, vcc_lo
	s_cbranch_scc1 .LBB174_86
.LBB174_87:                             ;   in Loop: Header=BB174_18 Depth=1
	v_add_lshl_u32 v4, s7, v23, 3
	ds_store_b64 v4, v[2:3] offset:3072
.LBB174_88:                             ;   in Loop: Header=BB174_18 Depth=1
	s_or_b32 exec_lo, exec_lo, s8
	s_lshl_b32 s7, s7, 3
	s_waitcnt lgkmcnt(0)
	v_mov_b32_e32 v6, s7
	s_barrier
	buffer_gl0_inv
	s_and_b32 s22, s101, 0xfe
	v_cmp_eq_u64_e64 s7, 1, v[16:17]
	ds_load_b128 v[2:5], v6 offset:3072
	ds_load_b128 v[6:9], v6 offset:3088
	s_lshl_b32 s20, 3, s22
	s_and_not1_b32 vcc_lo, exec_lo, s61
	s_not_b32 s21, s20
	s_waitcnt lgkmcnt(1)
	v_readfirstlane_b32 s11, v3
	v_readfirstlane_b32 s10, v2
	;; [unrolled: 1-line block ×4, first 2 shown]
	s_waitcnt lgkmcnt(0)
	v_readfirstlane_b32 s15, v7
	v_readfirstlane_b32 s14, v6
	;; [unrolled: 1-line block ×4, first 2 shown]
	s_cbranch_vccnz .LBB174_104
; %bb.89:                               ;   in Loop: Header=BB174_18 Depth=1
	s_cmp_eq_u64 s[10:11], 1
	v_dual_mov_b32 v8, v30 :: v_dual_mov_b32 v9, v29
	v_mov_b32_e32 v18, v31
	s_cselect_b32 s8, -1, 0
                                        ; implicit-def: $sgpr23
                                        ; implicit-def: $sgpr74
                                        ; implicit-def: $sgpr70
	s_delay_alu instid0(SALU_CYCLE_1)
	s_and_b32 s58, s8, s7
	s_mov_b32 s8, -1
	s_and_saveexec_b32 s24, s58
	s_cbranch_execz .LBB174_123
; %bb.90:                               ;   in Loop: Header=BB174_18 Depth=1
	ds_load_b64 v[2:3], v13 offset:5120
	s_waitcnt lgkmcnt(0)
	s_barrier
	buffer_gl0_inv
	v_readfirstlane_b32 s18, v2
	v_readfirstlane_b32 s19, v3
	s_and_saveexec_b32 s8, s6
	s_cbranch_execz .LBB174_92
; %bb.91:                               ;   in Loop: Header=BB174_18 Depth=1
	ds_store_b16 v26, v13
.LBB174_92:                             ;   in Loop: Header=BB174_18 Depth=1
	s_or_b32 exec_lo, exec_lo, s8
	v_and_b32_e32 v8, s21, v30
	v_or_b32_e32 v9, s20, v29
	s_cmp_eq_u64 s[18:19], 0
	s_waitcnt lgkmcnt(0)
	s_barrier
	buffer_gl0_inv
	s_cbranch_scc1 .LBB174_106
; %bb.93:                               ;   in Loop: Header=BB174_18 Depth=1
	s_add_u32 s23, s86, s18
	s_addc_u32 s9, s87, s19
	s_mov_b32 s8, s71
	s_delay_alu instid0(SALU_CYCLE_1)
	s_cmp_lg_u64 s[8:9], 0
	s_cbranch_scc0 .LBB174_150
; %bb.94:                               ;   in Loop: Header=BB174_18 Depth=1
	v_cvt_f32_u32_e32 v2, s35
	s_sub_u32 s26, 0, s35
	s_subb_u32 s48, 0, 0
	s_delay_alu instid0(VALU_DEP_1) | instskip(NEXT) | instid1(VALU_DEP_1)
	v_fmac_f32_e64 v2, 0, 0x4f800000
	v_rcp_f32_e32 v2, v2
	s_waitcnt_depctr 0xfff
	v_mul_f32_e32 v2, 0x5f7ffffc, v2
	s_delay_alu instid0(VALU_DEP_1) | instskip(NEXT) | instid1(VALU_DEP_1)
	v_mul_f32_e32 v3, 0x2f800000, v2
	v_trunc_f32_e32 v3, v3
	s_delay_alu instid0(VALU_DEP_1) | instskip(SKIP_1) | instid1(VALU_DEP_2)
	v_fmac_f32_e32 v2, 0xcf800000, v3
	v_cvt_u32_f32_e32 v3, v3
	v_cvt_u32_f32_e32 v2, v2
	s_delay_alu instid0(VALU_DEP_2) | instskip(NEXT) | instid1(VALU_DEP_2)
	v_readfirstlane_b32 s8, v3
	v_readfirstlane_b32 s25, v2
	s_delay_alu instid0(VALU_DEP_2) | instskip(NEXT) | instid1(VALU_DEP_1)
	s_mul_i32 s49, s26, s8
	s_mul_hi_u32 s51, s26, s25
	s_mul_i32 s50, s48, s25
	s_add_i32 s49, s51, s49
	s_mul_i32 s52, s26, s25
	s_add_i32 s49, s49, s50
	s_mul_hi_u32 s51, s25, s52
	s_mul_hi_u32 s53, s8, s52
	s_mul_i32 s50, s8, s52
	s_mul_hi_u32 s52, s25, s49
	s_mul_i32 s25, s25, s49
	s_mul_hi_u32 s54, s8, s49
	s_add_u32 s25, s51, s25
	s_addc_u32 s51, 0, s52
	s_add_u32 s25, s25, s50
	s_mul_i32 s49, s8, s49
	s_addc_u32 s25, s51, s53
	s_addc_u32 s50, s54, 0
	s_add_u32 s25, s25, s49
	s_addc_u32 s49, 0, s50
	v_add_co_u32 v2, s25, v2, s25
	s_delay_alu instid0(VALU_DEP_1) | instskip(SKIP_1) | instid1(VALU_DEP_1)
	s_cmp_lg_u32 s25, 0
	s_addc_u32 s8, s8, s49
	v_readfirstlane_b32 s25, v2
	s_mul_i32 s49, s26, s8
	s_delay_alu instid0(VALU_DEP_1)
	s_mul_hi_u32 s50, s26, s25
	s_mul_i32 s48, s48, s25
	s_add_i32 s49, s50, s49
	s_mul_i32 s26, s26, s25
	s_add_i32 s49, s49, s48
	s_mul_hi_u32 s50, s8, s26
	s_mul_i32 s51, s8, s26
	s_mul_hi_u32 s26, s25, s26
	s_mul_hi_u32 s52, s25, s49
	s_mul_i32 s25, s25, s49
	s_mul_hi_u32 s48, s8, s49
	s_add_u32 s25, s26, s25
	s_addc_u32 s26, 0, s52
	s_add_u32 s25, s25, s51
	s_mul_i32 s49, s8, s49
	s_addc_u32 s25, s26, s50
	s_addc_u32 s26, s48, 0
	s_add_u32 s25, s25, s49
	s_addc_u32 s26, 0, s26
	v_add_co_u32 v2, s25, v2, s25
	s_delay_alu instid0(VALU_DEP_1) | instskip(SKIP_1) | instid1(VALU_DEP_1)
	s_cmp_lg_u32 s25, 0
	s_addc_u32 s8, s8, s26
	v_readfirstlane_b32 s25, v2
	s_mul_i32 s48, s23, s8
	s_mul_hi_u32 s26, s23, s8
	s_mul_hi_u32 s49, s9, s8
	s_mul_i32 s8, s9, s8
	s_mul_hi_u32 s50, s23, s25
	s_mul_hi_u32 s51, s9, s25
	s_mul_i32 s25, s9, s25
	s_add_u32 s48, s50, s48
	s_addc_u32 s26, 0, s26
	s_add_u32 s25, s48, s25
	s_addc_u32 s25, s26, s51
	s_addc_u32 s26, s49, 0
	s_add_u32 s8, s25, s8
	s_addc_u32 s25, 0, s26
	s_mul_hi_u32 s26, s35, s8
	s_mul_i32 s8, s35, s8
	s_mul_i32 s25, s35, s25
	v_sub_co_u32 v2, s8, s23, s8
	s_add_i32 s26, s26, s25
	s_cmp_lg_u32 s8, 0
	s_delay_alu instid0(VALU_DEP_1) | instskip(SKIP_2) | instid1(VALU_DEP_1)
	v_sub_co_u32 v3, s8, v2, s35
	s_subb_u32 s25, s9, s26
	s_cmp_lg_u32 s8, 0
	v_cmp_le_u32_e32 vcc_lo, s35, v3
	v_sub_co_u32 v4, s8, v3, s35
	s_subb_u32 s26, s25, 0
	s_cmp_lg_u32 s8, 0
	v_cndmask_b32_e64 v5, 0, -1, vcc_lo
	s_subb_u32 s8, s26, 0
	s_cmp_eq_u32 s26, 0
	v_mov_b32_e32 v7, s8
	s_cselect_b32 vcc_lo, -1, 0
	s_cmp_eq_u32 s25, 0
	v_cndmask_b32_e32 v5, -1, v5, vcc_lo
	v_cmp_le_u32_e32 vcc_lo, s35, v2
	s_cselect_b32 s8, -1, 0
	v_cndmask_b32_e64 v6, 0, -1, vcc_lo
	s_delay_alu instid0(VALU_DEP_3) | instskip(NEXT) | instid1(VALU_DEP_2)
	v_cmp_ne_u32_e32 vcc_lo, 0, v5
	v_cndmask_b32_e64 v5, -1, v6, s8
	v_cndmask_b32_e32 v6, s26, v7, vcc_lo
	v_cndmask_b32_e32 v4, v3, v4, vcc_lo
	s_delay_alu instid0(VALU_DEP_3) | instskip(NEXT) | instid1(VALU_DEP_3)
	v_cmp_ne_u32_e32 vcc_lo, 0, v5
	v_cndmask_b32_e32 v3, s25, v6, vcc_lo
	s_delay_alu instid0(VALU_DEP_3)
	v_cndmask_b32_e32 v2, v2, v4, vcc_lo
	s_cbranch_execnz .LBB174_96
.LBB174_95:                             ;   in Loop: Header=BB174_18 Depth=1
	v_cvt_f32_u32_e32 v2, s35
	s_sub_i32 s8, 0, s35
	s_delay_alu instid0(VALU_DEP_1) | instskip(SKIP_2) | instid1(VALU_DEP_1)
	v_rcp_iflag_f32_e32 v2, v2
	s_waitcnt_depctr 0xfff
	v_mul_f32_e32 v2, 0x4f7ffffe, v2
	v_cvt_u32_f32_e32 v2, v2
	s_delay_alu instid0(VALU_DEP_1) | instskip(NEXT) | instid1(VALU_DEP_1)
	v_mul_lo_u32 v3, s8, v2
	v_mul_hi_u32 v3, v2, v3
	s_delay_alu instid0(VALU_DEP_1) | instskip(NEXT) | instid1(VALU_DEP_1)
	v_add_nc_u32_e32 v2, v2, v3
	v_mul_hi_u32 v2, s23, v2
	s_delay_alu instid0(VALU_DEP_1) | instskip(NEXT) | instid1(VALU_DEP_1)
	v_mul_lo_u32 v2, v2, s35
	v_sub_nc_u32_e32 v2, s23, v2
	s_delay_alu instid0(VALU_DEP_1) | instskip(SKIP_1) | instid1(VALU_DEP_2)
	v_subrev_nc_u32_e32 v3, s35, v2
	v_cmp_le_u32_e32 vcc_lo, s35, v2
	v_cndmask_b32_e32 v2, v2, v3, vcc_lo
	s_delay_alu instid0(VALU_DEP_1) | instskip(SKIP_1) | instid1(VALU_DEP_2)
	v_subrev_nc_u32_e32 v3, s35, v2
	v_cmp_le_u32_e32 vcc_lo, s35, v2
	v_cndmask_b32_e32 v12, v2, v3, vcc_lo
	s_delay_alu instid0(VALU_DEP_1)
	v_dual_mov_b32 v2, v12 :: v_dual_mov_b32 v3, v13
.LBB174_96:                             ;   in Loop: Header=BB174_18 Depth=1
	s_delay_alu instid0(VALU_DEP_1) | instskip(NEXT) | instid1(VALU_DEP_2)
	v_sub_co_u32 v2, vcc_lo, s23, v2
	v_sub_co_ci_u32_e32 v3, vcc_lo, s9, v3, vcc_lo
	s_mov_b32 s8, 0
	s_mov_b32 s9, exec_lo
                                        ; implicit-def: $vgpr18
	s_delay_alu instid0(VALU_DEP_1)
	v_cmpx_gt_u64_e64 v[2:3], v[0:1]
	s_cbranch_execz .LBB174_108
; %bb.97:                               ;   in Loop: Header=BB174_18 Depth=1
	v_mov_b32_e32 v6, v25
	v_dual_mov_b32 v5, v1 :: v_dual_mov_b32 v4, v0
	s_mov_b32 s23, 0
                                        ; implicit-def: $sgpr25
	s_set_inst_prefetch_distance 0x1
	s_branch .LBB174_99
	.p2align	6
.LBB174_98:                             ;   in Loop: Header=BB174_99 Depth=2
	s_or_b32 exec_lo, exec_lo, s8
	s_waitcnt lgkmcnt(0)
	s_barrier
	buffer_gl0_inv
	ds_load_b32 v7, v13 offset:3072
	v_add_co_u32 v4, vcc_lo, v4, s35
	v_add_co_ci_u32_e32 v5, vcc_lo, 0, v5, vcc_lo
	v_add_nc_u32_e32 v6, s94, v6
	s_waitcnt lgkmcnt(0)
	s_barrier
	s_delay_alu instid0(VALU_DEP_2) | instskip(SKIP_2) | instid1(VALU_DEP_1)
	v_cmp_ge_u64_e32 vcc_lo, v[4:5], v[2:3]
	buffer_gl0_inv
	v_cmp_ne_u16_e64 s8, 0, v7
	s_or_b32 s26, vcc_lo, s8
	s_delay_alu instid0(SALU_CYCLE_1) | instskip(NEXT) | instid1(SALU_CYCLE_1)
	s_and_b32 s26, exec_lo, s26
	s_or_b32 s23, s26, s23
	s_and_not1_b32 s25, s25, exec_lo
	s_and_b32 s8, s8, exec_lo
	s_delay_alu instid0(SALU_CYCLE_1)
	s_or_b32 s25, s25, s8
	s_and_not1_b32 exec_lo, exec_lo, s23
	s_cbranch_execz .LBB174_107
.LBB174_99:                             ;   Parent Loop BB174_18 Depth=1
                                        ; =>  This Inner Loop Header: Depth=2
	s_delay_alu instid0(VALU_DEP_1)
	v_cmp_gt_u64_e32 vcc_lo, s[18:19], v[4:5]
	v_mov_b32_e32 v7, 0
	s_and_saveexec_b32 s8, vcc_lo
	s_cbranch_execz .LBB174_101
; %bb.100:                              ;   in Loop: Header=BB174_99 Depth=2
	ds_load_u16 v7, v6
.LBB174_101:                            ;   in Loop: Header=BB174_99 Depth=2
	s_or_b32 exec_lo, exec_lo, s8
	s_and_saveexec_b32 s8, vcc_lo
	s_cbranch_execz .LBB174_98
; %bb.102:                              ;   in Loop: Header=BB174_99 Depth=2
	s_waitcnt lgkmcnt(0)
	v_bfe_i32 v12, v7, 0, 16
	s_delay_alu instid0(VALU_DEP_1) | instskip(NEXT) | instid1(VALU_DEP_1)
	v_add_nc_u32_e32 v12, 0x8000, v12
	v_and_b32_e32 v12, v12, v9
	s_delay_alu instid0(VALU_DEP_1)
	v_cmp_eq_u32_e32 vcc_lo, v12, v8
	s_and_b32 exec_lo, exec_lo, vcc_lo
	s_cbranch_execz .LBB174_98
; %bb.103:                              ;   in Loop: Header=BB174_99 Depth=2
	v_perm_b32 v7, v7, 1, 0x5040100
	ds_store_b32 v13, v7 offset:3072
	s_branch .LBB174_98
.LBB174_104:                            ;   in Loop: Header=BB174_18 Depth=1
	s_mov_b32 s25, 0
	s_mov_b32 s24, 0
                                        ; implicit-def: $sgpr70
                                        ; implicit-def: $sgpr74
                                        ; implicit-def: $sgpr23
                                        ; implicit-def: $vgpr6
                                        ; implicit-def: $vgpr2_vgpr3
                                        ; implicit-def: $vgpr8
                                        ; implicit-def: $vgpr9
                                        ; implicit-def: $vgpr18
	s_cbranch_execnz .LBB174_287
.LBB174_105:                            ;   in Loop: Header=BB174_18 Depth=1
	s_mov_b32 s18, s23
	s_mov_b32 s19, s23
	s_and_saveexec_b32 s7, s25
	s_cbranch_execnz .LBB174_483
	s_branch .LBB174_484
.LBB174_106:                            ;   in Loop: Header=BB174_18 Depth=1
	s_mov_b32 s23, -1
	s_mov_b32 s8, 0
                                        ; implicit-def: $sgpr70
                                        ; implicit-def: $vgpr18
	s_mov_b32 s74, s23
	s_cbranch_execnz .LBB174_109
	s_branch .LBB174_122
.LBB174_107:                            ;   in Loop: Header=BB174_18 Depth=1
	s_set_inst_prefetch_distance 0x2
	s_or_b32 exec_lo, exec_lo, s23
	v_lshrrev_b32_e32 v18, 16, v7
	s_and_b32 s8, s25, exec_lo
.LBB174_108:                            ;   in Loop: Header=BB174_18 Depth=1
	s_or_b32 exec_lo, exec_lo, s9
	s_mov_b32 s70, -1
	s_mov_b32 s23, 0
	s_delay_alu instid0(SALU_CYCLE_1)
	s_mov_b32 s74, s23
	s_branch .LBB174_122
.LBB174_109:                            ;   in Loop: Header=BB174_18 Depth=1
	s_mov_b32 s26, s71
	s_delay_alu instid0(SALU_CYCLE_1)
	s_cmp_lg_u64 s[26:27], 0
	s_cbranch_scc0 .LBB174_151
; %bb.110:                              ;   in Loop: Header=BB174_18 Depth=1
	v_cvt_f32_u32_e32 v2, s35
	s_sub_u32 s18, 0, s35
	s_subb_u32 s19, 0, 0
	s_delay_alu instid0(VALU_DEP_1) | instskip(NEXT) | instid1(VALU_DEP_1)
	v_fmac_f32_e64 v2, 0, 0x4f800000
	v_rcp_f32_e32 v2, v2
	s_waitcnt_depctr 0xfff
	v_mul_f32_e32 v2, 0x5f7ffffc, v2
	s_delay_alu instid0(VALU_DEP_1) | instskip(NEXT) | instid1(VALU_DEP_1)
	v_mul_f32_e32 v3, 0x2f800000, v2
	v_trunc_f32_e32 v3, v3
	s_delay_alu instid0(VALU_DEP_1) | instskip(SKIP_1) | instid1(VALU_DEP_2)
	v_fmac_f32_e32 v2, 0xcf800000, v3
	v_cvt_u32_f32_e32 v3, v3
	v_cvt_u32_f32_e32 v2, v2
	s_delay_alu instid0(VALU_DEP_2) | instskip(NEXT) | instid1(VALU_DEP_2)
	v_readfirstlane_b32 s8, v3
	v_readfirstlane_b32 s9, v2
	s_delay_alu instid0(VALU_DEP_2) | instskip(NEXT) | instid1(VALU_DEP_1)
	s_mul_i32 s23, s18, s8
	s_mul_hi_u32 s26, s18, s9
	s_mul_i32 s25, s19, s9
	s_add_i32 s23, s26, s23
	s_mul_i32 s48, s18, s9
	s_add_i32 s23, s23, s25
	s_mul_hi_u32 s26, s9, s48
	s_mul_hi_u32 s49, s8, s48
	s_mul_i32 s25, s8, s48
	s_mul_hi_u32 s48, s9, s23
	s_mul_i32 s9, s9, s23
	s_mul_hi_u32 s50, s8, s23
	s_add_u32 s9, s26, s9
	s_addc_u32 s26, 0, s48
	s_add_u32 s9, s9, s25
	s_mul_i32 s23, s8, s23
	s_addc_u32 s9, s26, s49
	s_addc_u32 s25, s50, 0
	s_add_u32 s9, s9, s23
	s_addc_u32 s23, 0, s25
	v_add_co_u32 v2, s9, v2, s9
	s_delay_alu instid0(VALU_DEP_1) | instskip(SKIP_1) | instid1(VALU_DEP_1)
	s_cmp_lg_u32 s9, 0
	s_addc_u32 s8, s8, s23
	v_readfirstlane_b32 s9, v2
	s_mul_i32 s23, s18, s8
	s_delay_alu instid0(VALU_DEP_1)
	s_mul_hi_u32 s25, s18, s9
	s_mul_i32 s19, s19, s9
	s_add_i32 s23, s25, s23
	s_mul_i32 s18, s18, s9
	s_add_i32 s23, s23, s19
	s_mul_hi_u32 s25, s8, s18
	s_mul_i32 s26, s8, s18
	s_mul_hi_u32 s18, s9, s18
	s_mul_hi_u32 s48, s9, s23
	s_mul_i32 s9, s9, s23
	s_mul_hi_u32 s19, s8, s23
	s_add_u32 s9, s18, s9
	s_addc_u32 s18, 0, s48
	s_add_u32 s9, s9, s26
	s_mul_i32 s23, s8, s23
	s_addc_u32 s9, s18, s25
	s_addc_u32 s18, s19, 0
	s_add_u32 s9, s9, s23
	s_addc_u32 s18, 0, s18
	v_add_co_u32 v2, s9, v2, s9
	s_delay_alu instid0(VALU_DEP_1) | instskip(SKIP_1) | instid1(VALU_DEP_1)
	s_cmp_lg_u32 s9, 0
	s_addc_u32 s8, s8, s18
	v_readfirstlane_b32 s9, v2
	s_mul_i32 s19, s88, s8
	s_mul_hi_u32 s18, s88, s8
	s_mul_hi_u32 s23, s27, s8
	s_mul_i32 s8, s27, s8
	s_mul_hi_u32 s25, s88, s9
	s_mul_hi_u32 s26, s27, s9
	s_mul_i32 s9, s27, s9
	s_add_u32 s19, s25, s19
	s_addc_u32 s18, 0, s18
	s_add_u32 s9, s19, s9
	s_addc_u32 s9, s18, s26
	s_addc_u32 s18, s23, 0
	s_add_u32 s8, s9, s8
	s_addc_u32 s9, 0, s18
	s_mul_hi_u32 s18, s35, s8
	s_mul_i32 s8, s35, s8
	s_mul_i32 s9, s35, s9
	v_sub_co_u32 v2, s8, s88, s8
	s_add_i32 s18, s18, s9
	s_cmp_lg_u32 s8, 0
	s_delay_alu instid0(VALU_DEP_1) | instskip(SKIP_2) | instid1(VALU_DEP_1)
	v_sub_co_u32 v3, s8, v2, s35
	s_subb_u32 s9, s27, s18
	s_cmp_lg_u32 s8, 0
	v_cmp_le_u32_e32 vcc_lo, s35, v3
	v_sub_co_u32 v4, s8, v3, s35
	s_subb_u32 s18, s9, 0
	s_cmp_lg_u32 s8, 0
	v_cndmask_b32_e64 v5, 0, -1, vcc_lo
	s_subb_u32 s8, s18, 0
	s_cmp_eq_u32 s18, 0
	v_mov_b32_e32 v7, s8
	s_cselect_b32 vcc_lo, -1, 0
	s_cmp_eq_u32 s9, 0
	v_cndmask_b32_e32 v5, -1, v5, vcc_lo
	v_cmp_le_u32_e32 vcc_lo, s35, v2
	s_cselect_b32 s8, -1, 0
	v_cndmask_b32_e64 v6, 0, -1, vcc_lo
	s_delay_alu instid0(VALU_DEP_3) | instskip(NEXT) | instid1(VALU_DEP_2)
	v_cmp_ne_u32_e32 vcc_lo, 0, v5
	v_cndmask_b32_e64 v5, -1, v6, s8
	v_cndmask_b32_e32 v6, s18, v7, vcc_lo
	v_cndmask_b32_e32 v4, v3, v4, vcc_lo
	s_delay_alu instid0(VALU_DEP_3) | instskip(NEXT) | instid1(VALU_DEP_3)
	v_cmp_ne_u32_e32 vcc_lo, 0, v5
	v_cndmask_b32_e32 v3, s9, v6, vcc_lo
	s_delay_alu instid0(VALU_DEP_3)
	v_cndmask_b32_e32 v2, v2, v4, vcc_lo
	s_cbranch_execnz .LBB174_112
.LBB174_111:                            ;   in Loop: Header=BB174_18 Depth=1
	v_cvt_f32_u32_e32 v2, s35
	s_sub_i32 s8, 0, s35
	s_delay_alu instid0(VALU_DEP_1) | instskip(SKIP_2) | instid1(VALU_DEP_1)
	v_rcp_iflag_f32_e32 v2, v2
	s_waitcnt_depctr 0xfff
	v_mul_f32_e32 v2, 0x4f7ffffe, v2
	v_cvt_u32_f32_e32 v2, v2
	s_delay_alu instid0(VALU_DEP_1) | instskip(NEXT) | instid1(VALU_DEP_1)
	v_mul_lo_u32 v3, s8, v2
	v_mul_hi_u32 v3, v2, v3
	s_delay_alu instid0(VALU_DEP_1) | instskip(NEXT) | instid1(VALU_DEP_1)
	v_add_nc_u32_e32 v2, v2, v3
	v_mul_hi_u32 v2, s88, v2
	s_delay_alu instid0(VALU_DEP_1) | instskip(NEXT) | instid1(VALU_DEP_1)
	v_mul_lo_u32 v2, v2, s35
	v_sub_nc_u32_e32 v2, s88, v2
	s_delay_alu instid0(VALU_DEP_1) | instskip(SKIP_1) | instid1(VALU_DEP_2)
	v_subrev_nc_u32_e32 v3, s35, v2
	v_cmp_le_u32_e32 vcc_lo, s35, v2
	v_cndmask_b32_e32 v2, v2, v3, vcc_lo
	s_delay_alu instid0(VALU_DEP_1) | instskip(SKIP_1) | instid1(VALU_DEP_2)
	v_subrev_nc_u32_e32 v3, s35, v2
	v_cmp_le_u32_e32 vcc_lo, s35, v2
	v_cndmask_b32_e32 v12, v2, v3, vcc_lo
	s_delay_alu instid0(VALU_DEP_1)
	v_dual_mov_b32 v2, v12 :: v_dual_mov_b32 v3, v13
.LBB174_112:                            ;   in Loop: Header=BB174_18 Depth=1
	s_delay_alu instid0(VALU_DEP_1) | instskip(NEXT) | instid1(VALU_DEP_2)
	v_sub_co_u32 v2, vcc_lo, s88, v2
	v_sub_co_ci_u32_e32 v3, vcc_lo, s27, v3, vcc_lo
	s_mov_b32 s8, 0
	s_mov_b32 s9, exec_lo
                                        ; implicit-def: $vgpr18
	s_delay_alu instid0(VALU_DEP_1)
	v_cmpx_gt_u64_e64 v[2:3], v[0:1]
	s_cbranch_execz .LBB174_121
; %bb.113:                              ;   in Loop: Header=BB174_18 Depth=1
	v_dual_mov_b32 v5, v1 :: v_dual_mov_b32 v4, v0
	s_mov_b32 s18, 0
                                        ; implicit-def: $sgpr19
	s_branch .LBB174_115
.LBB174_114:                            ;   in Loop: Header=BB174_115 Depth=2
	s_or_b32 exec_lo, exec_lo, s8
	s_waitcnt vmcnt(0) lgkmcnt(0)
	s_barrier
	buffer_gl0_inv
	ds_load_b32 v6, v13 offset:3072
	v_add_co_u32 v4, vcc_lo, v4, s35
	v_add_co_ci_u32_e32 v5, vcc_lo, 0, v5, vcc_lo
	s_waitcnt lgkmcnt(0)
	s_barrier
	buffer_gl0_inv
	v_cmp_ge_u64_e32 vcc_lo, v[4:5], v[2:3]
	v_cmp_ne_u16_e64 s8, 0, v6
	s_delay_alu instid0(VALU_DEP_1) | instskip(NEXT) | instid1(SALU_CYCLE_1)
	s_or_b32 s23, vcc_lo, s8
	s_and_b32 s23, exec_lo, s23
	s_delay_alu instid0(SALU_CYCLE_1) | instskip(SKIP_2) | instid1(SALU_CYCLE_1)
	s_or_b32 s18, s23, s18
	s_and_not1_b32 s19, s19, exec_lo
	s_and_b32 s8, s8, exec_lo
	s_or_b32 s19, s19, s8
	s_and_not1_b32 exec_lo, exec_lo, s18
	s_cbranch_execz .LBB174_120
.LBB174_115:                            ;   Parent Loop BB174_18 Depth=1
                                        ; =>  This Inner Loop Header: Depth=2
	s_delay_alu instid0(VALU_DEP_1)
	v_cmp_gt_u64_e32 vcc_lo, s[36:37], v[4:5]
	v_mov_b32_e32 v6, 0
	s_and_saveexec_b32 s23, vcc_lo
	s_cbranch_execz .LBB174_117
; %bb.116:                              ;   in Loop: Header=BB174_115 Depth=2
	v_mul_lo_u32 v12, v5, s30
	v_mul_lo_u32 v18, v4, s31
	v_mad_u64_u32 v[6:7], null, v4, s30, 0
	s_delay_alu instid0(VALU_DEP_1) | instskip(NEXT) | instid1(VALU_DEP_1)
	v_add3_u32 v7, v7, v18, v12
	v_lshlrev_b64 v[6:7], 1, v[6:7]
	s_delay_alu instid0(VALU_DEP_1) | instskip(NEXT) | instid1(VALU_DEP_1)
	v_add_co_u32 v6, s8, s29, v6
	v_add_co_ci_u32_e64 v7, s8, s33, v7, s8
	global_load_u16 v6, v[6:7], off
.LBB174_117:                            ;   in Loop: Header=BB174_115 Depth=2
	s_or_b32 exec_lo, exec_lo, s23
	s_and_saveexec_b32 s8, vcc_lo
	s_cbranch_execz .LBB174_114
; %bb.118:                              ;   in Loop: Header=BB174_115 Depth=2
	s_waitcnt vmcnt(0)
	v_bfe_i32 v7, v6, 0, 16
	s_delay_alu instid0(VALU_DEP_1) | instskip(NEXT) | instid1(VALU_DEP_1)
	v_add_nc_u32_e32 v7, 0x8000, v7
	v_and_b32_e32 v7, v7, v9
	s_delay_alu instid0(VALU_DEP_1)
	v_cmp_eq_u32_e32 vcc_lo, v7, v8
	s_and_b32 exec_lo, exec_lo, vcc_lo
	s_cbranch_execz .LBB174_114
; %bb.119:                              ;   in Loop: Header=BB174_115 Depth=2
	v_perm_b32 v6, v6, 1, 0x5040100
	ds_store_b32 v13, v6 offset:3072
	s_branch .LBB174_114
.LBB174_120:                            ;   in Loop: Header=BB174_18 Depth=1
	s_or_b32 exec_lo, exec_lo, s18
	v_lshrrev_b32_e32 v18, 16, v6
	s_and_b32 s8, s19, exec_lo
.LBB174_121:                            ;   in Loop: Header=BB174_18 Depth=1
	s_or_b32 exec_lo, exec_lo, s9
	s_mov_b32 s74, -1
	s_mov_b32 s23, 0
	s_mov_b32 s70, 0
.LBB174_122:                            ;   in Loop: Header=BB174_18 Depth=1
	s_or_not1_b32 s8, s8, exec_lo
.LBB174_123:                            ;   in Loop: Header=BB174_18 Depth=1
	s_or_b32 exec_lo, exec_lo, s24
	s_mov_b32 s75, 0
	s_mov_b32 s25, 0
	;; [unrolled: 1-line block ×3, first 2 shown]
                                        ; implicit-def: $vgpr6
                                        ; implicit-def: $vgpr2_vgpr3
	s_and_saveexec_b32 s76, s8
	s_cbranch_execz .LBB174_286
; %bb.124:                              ;   in Loop: Header=BB174_18 Depth=1
	v_mov_b32_e32 v2, 1
	v_dual_mov_b32 v3, 0 :: v_dual_mov_b32 v6, 1
	s_xor_b32 s9, s58, -1
	s_delay_alu instid0(SALU_CYCLE_1)
	s_and_saveexec_b32 s8, s9
	s_cbranch_execz .LBB174_134
; %bb.125:                              ;   in Loop: Header=BB174_18 Depth=1
	s_mov_b32 s18, exec_lo
                                        ; implicit-def: $sgpr19
                                        ; implicit-def: $sgpr9
	v_cmpx_ge_u64_e64 s[10:11], v[16:17]
	s_xor_b32 s18, exec_lo, s18
	s_cbranch_execz .LBB174_131
; %bb.126:                              ;   in Loop: Header=BB174_18 Depth=1
	ds_load_b64 v[2:3], v13 offset:5120
	s_waitcnt lgkmcnt(0)
	v_cmp_ne_u64_e32 vcc_lo, 0, v[2:3]
	s_cbranch_vccnz .LBB174_130
; %bb.127:                              ;   in Loop: Header=BB174_18 Depth=1
	s_and_saveexec_b32 s9, s5
	s_cbranch_execz .LBB174_129
; %bb.128:                              ;   in Loop: Header=BB174_18 Depth=1
	v_dual_mov_b32 v2, s10 :: v_dual_mov_b32 v3, s11
	ds_store_b64 v13, v[2:3] offset:5128
.LBB174_129:                            ;   in Loop: Header=BB174_18 Depth=1
	s_or_b32 exec_lo, exec_lo, s9
	s_waitcnt lgkmcnt(0)
	s_barrier
	buffer_gl0_inv
.LBB174_130:                            ;   in Loop: Header=BB174_18 Depth=1
	v_and_b32_e32 v8, s21, v8
	v_or_b32_e32 v9, s20, v9
	s_mov_b32 s9, 0
	s_mov_b32 s19, 8
.LBB174_131:                            ;   in Loop: Header=BB174_18 Depth=1
	s_or_saveexec_b32 s18, s18
	v_mov_b32_e32 v2, v16
	v_dual_mov_b32 v6, s19 :: v_dual_mov_b32 v3, v17
	s_xor_b32 exec_lo, exec_lo, s18
; %bb.132:                              ;   in Loop: Header=BB174_18 Depth=1
	v_sub_co_u32 v2, vcc_lo, v16, s10
	v_subrev_co_ci_u32_e32 v3, vcc_lo, s11, v17, vcc_lo
	v_mov_b32_e32 v6, 0
	s_or_b32 s9, s9, exec_lo
; %bb.133:                              ;   in Loop: Header=BB174_18 Depth=1
	s_or_b32 exec_lo, exec_lo, s18
	s_delay_alu instid0(SALU_CYCLE_1)
	s_and_b32 s24, s9, exec_lo
.LBB174_134:                            ;   in Loop: Header=BB174_18 Depth=1
	s_or_b32 exec_lo, exec_lo, s8
	s_mov_b32 s25, -1
                                        ; implicit-def: $sgpr9
                                        ; implicit-def: $sgpr18
                                        ; implicit-def: $sgpr19
	s_and_saveexec_b32 s8, s24
	s_delay_alu instid0(SALU_CYCLE_1)
	s_xor_b32 s24, exec_lo, s8
	s_cbranch_execz .LBB174_283
; %bb.135:                              ;   in Loop: Header=BB174_18 Depth=1
	v_cmp_eq_u64_e32 vcc_lo, 1, v[2:3]
	s_cmp_eq_u64 s[12:13], 1
                                        ; implicit-def: $sgpr25
                                        ; implicit-def: $sgpr78
                                        ; implicit-def: $sgpr77
	s_cselect_b32 s8, -1, 0
	s_delay_alu instid0(SALU_CYCLE_1)
	s_and_b32 s68, s8, vcc_lo
	s_mov_b32 s8, -1
	s_and_saveexec_b32 s58, s68
	s_cbranch_execz .LBB174_169
; %bb.136:                              ;   in Loop: Header=BB174_18 Depth=1
	ds_load_b64 v[4:5], v13 offset:5120
	s_waitcnt lgkmcnt(0)
	s_barrier
	buffer_gl0_inv
	v_readfirstlane_b32 s18, v4
	v_readfirstlane_b32 s19, v5
	s_and_saveexec_b32 s8, s6
	s_cbranch_execz .LBB174_138
; %bb.137:                              ;   in Loop: Header=BB174_18 Depth=1
	ds_store_b16 v26, v13
.LBB174_138:                            ;   in Loop: Header=BB174_18 Depth=1
	s_or_b32 exec_lo, exec_lo, s8
	s_lshl_b32 s8, 1, s22
	v_or_b32_e32 v9, s20, v9
	v_and_or_b32 v8, v8, s21, s8
	s_cmp_eq_u64 s[18:19], 0
	s_waitcnt lgkmcnt(0)
	s_barrier
	buffer_gl0_inv
	s_cbranch_scc1 .LBB174_152
; %bb.139:                              ;   in Loop: Header=BB174_18 Depth=1
	s_add_u32 s25, s86, s18
	s_addc_u32 s9, s87, s19
	s_mov_b32 s8, s71
	s_delay_alu instid0(SALU_CYCLE_1)
	s_cmp_lg_u64 s[8:9], 0
	s_cbranch_scc0 .LBB174_196
; %bb.140:                              ;   in Loop: Header=BB174_18 Depth=1
	v_cvt_f32_u32_e32 v4, s35
	s_sub_u32 s59, 0, s35
	s_subb_u32 s64, 0, 0
	s_delay_alu instid0(VALU_DEP_1) | instskip(NEXT) | instid1(VALU_DEP_1)
	v_fmac_f32_e64 v4, 0, 0x4f800000
	v_rcp_f32_e32 v4, v4
	s_waitcnt_depctr 0xfff
	v_mul_f32_e32 v4, 0x5f7ffffc, v4
	s_delay_alu instid0(VALU_DEP_1) | instskip(NEXT) | instid1(VALU_DEP_1)
	v_mul_f32_e32 v5, 0x2f800000, v4
	v_trunc_f32_e32 v5, v5
	s_delay_alu instid0(VALU_DEP_1) | instskip(SKIP_1) | instid1(VALU_DEP_2)
	v_fmac_f32_e32 v4, 0xcf800000, v5
	v_cvt_u32_f32_e32 v5, v5
	v_cvt_u32_f32_e32 v4, v4
	s_delay_alu instid0(VALU_DEP_2) | instskip(NEXT) | instid1(VALU_DEP_2)
	v_readfirstlane_b32 s8, v5
	v_readfirstlane_b32 s26, v4
	s_delay_alu instid0(VALU_DEP_2) | instskip(NEXT) | instid1(VALU_DEP_1)
	s_mul_i32 s65, s59, s8
	s_mul_hi_u32 s77, s59, s26
	s_mul_i32 s69, s64, s26
	s_add_i32 s65, s77, s65
	s_mul_i32 s78, s59, s26
	s_add_i32 s65, s65, s69
	s_mul_hi_u32 s77, s26, s78
	s_mul_hi_u32 s79, s8, s78
	s_mul_i32 s69, s8, s78
	s_mul_hi_u32 s78, s26, s65
	s_mul_i32 s26, s26, s65
	s_mul_hi_u32 s80, s8, s65
	s_add_u32 s26, s77, s26
	s_addc_u32 s77, 0, s78
	s_add_u32 s26, s26, s69
	s_mul_i32 s65, s8, s65
	s_addc_u32 s26, s77, s79
	s_addc_u32 s69, s80, 0
	s_add_u32 s26, s26, s65
	s_addc_u32 s65, 0, s69
	v_add_co_u32 v4, s26, v4, s26
	s_delay_alu instid0(VALU_DEP_1) | instskip(SKIP_1) | instid1(VALU_DEP_1)
	s_cmp_lg_u32 s26, 0
	s_addc_u32 s8, s8, s65
	v_readfirstlane_b32 s26, v4
	s_mul_i32 s65, s59, s8
	s_delay_alu instid0(VALU_DEP_1)
	s_mul_hi_u32 s69, s59, s26
	s_mul_i32 s64, s64, s26
	s_add_i32 s65, s69, s65
	s_mul_i32 s59, s59, s26
	s_add_i32 s65, s65, s64
	s_mul_hi_u32 s69, s8, s59
	s_mul_i32 s77, s8, s59
	s_mul_hi_u32 s59, s26, s59
	s_mul_hi_u32 s78, s26, s65
	s_mul_i32 s26, s26, s65
	s_mul_hi_u32 s64, s8, s65
	s_add_u32 s26, s59, s26
	s_addc_u32 s59, 0, s78
	s_add_u32 s26, s26, s77
	s_mul_i32 s65, s8, s65
	s_addc_u32 s26, s59, s69
	s_addc_u32 s59, s64, 0
	s_add_u32 s26, s26, s65
	s_addc_u32 s59, 0, s59
	v_add_co_u32 v4, s26, v4, s26
	s_delay_alu instid0(VALU_DEP_1) | instskip(SKIP_1) | instid1(VALU_DEP_1)
	s_cmp_lg_u32 s26, 0
	s_addc_u32 s8, s8, s59
	v_readfirstlane_b32 s26, v4
	s_mul_i32 s64, s25, s8
	s_mul_hi_u32 s59, s25, s8
	s_mul_hi_u32 s65, s9, s8
	s_mul_i32 s8, s9, s8
	s_mul_hi_u32 s69, s25, s26
	s_mul_hi_u32 s77, s9, s26
	s_mul_i32 s26, s9, s26
	s_add_u32 s64, s69, s64
	s_addc_u32 s59, 0, s59
	s_add_u32 s26, s64, s26
	s_addc_u32 s26, s59, s77
	s_addc_u32 s59, s65, 0
	s_add_u32 s8, s26, s8
	s_addc_u32 s26, 0, s59
	s_mul_hi_u32 s59, s35, s8
	s_mul_i32 s8, s35, s8
	s_mul_i32 s26, s35, s26
	v_sub_co_u32 v4, s8, s25, s8
	s_add_i32 s59, s59, s26
	s_cmp_lg_u32 s8, 0
	s_delay_alu instid0(VALU_DEP_1) | instskip(SKIP_3) | instid1(VALU_DEP_2)
	v_sub_co_u32 v5, s8, v4, s35
	s_subb_u32 s26, s9, s59
	s_cmp_lg_u32 s8, 0
	v_cmp_le_u32_e32 vcc_lo, s35, v4
	v_cmp_le_u32_e64 s8, s35, v5
	v_sub_co_u32 v6, s59, v5, s35
	s_subb_u32 s64, s26, 0
	s_cmp_lg_u32 s59, 0
	s_delay_alu instid0(VALU_DEP_2)
	v_cndmask_b32_e64 v7, 0, -1, s8
	s_subb_u32 s59, s64, 0
	s_cmp_eq_u32 s64, 0
	v_mov_b32_e32 v18, s59
	v_cndmask_b32_e64 v12, 0, -1, vcc_lo
	s_cselect_b32 vcc_lo, -1, 0
	s_cmp_eq_u32 s26, 0
	v_cndmask_b32_e32 v7, -1, v7, vcc_lo
	s_cselect_b32 vcc_lo, -1, 0
	v_cndmask_b32_e32 v12, -1, v12, vcc_lo
	s_delay_alu instid0(VALU_DEP_2) | instskip(NEXT) | instid1(VALU_DEP_2)
	v_cmp_ne_u32_e32 vcc_lo, 0, v7
	v_cmp_ne_u32_e64 s8, 0, v12
	v_cndmask_b32_e32 v7, s64, v18, vcc_lo
	v_cndmask_b32_e32 v6, v5, v6, vcc_lo
	s_delay_alu instid0(VALU_DEP_2) | instskip(NEXT) | instid1(VALU_DEP_2)
	v_cndmask_b32_e64 v5, s26, v7, s8
	v_cndmask_b32_e64 v4, v4, v6, s8
	s_cbranch_execnz .LBB174_142
.LBB174_141:                            ;   in Loop: Header=BB174_18 Depth=1
	v_cvt_f32_u32_e32 v4, s35
	s_sub_i32 s8, 0, s35
	s_delay_alu instid0(VALU_DEP_1) | instskip(SKIP_2) | instid1(VALU_DEP_1)
	v_rcp_iflag_f32_e32 v4, v4
	s_waitcnt_depctr 0xfff
	v_mul_f32_e32 v4, 0x4f7ffffe, v4
	v_cvt_u32_f32_e32 v4, v4
	s_delay_alu instid0(VALU_DEP_1) | instskip(NEXT) | instid1(VALU_DEP_1)
	v_mul_lo_u32 v5, s8, v4
	v_mul_hi_u32 v5, v4, v5
	s_delay_alu instid0(VALU_DEP_1) | instskip(NEXT) | instid1(VALU_DEP_1)
	v_add_nc_u32_e32 v4, v4, v5
	v_mul_hi_u32 v4, s25, v4
	s_delay_alu instid0(VALU_DEP_1) | instskip(NEXT) | instid1(VALU_DEP_1)
	v_mul_lo_u32 v4, v4, s35
	v_sub_nc_u32_e32 v4, s25, v4
	s_delay_alu instid0(VALU_DEP_1) | instskip(SKIP_1) | instid1(VALU_DEP_2)
	v_subrev_nc_u32_e32 v5, s35, v4
	v_cmp_le_u32_e32 vcc_lo, s35, v4
	v_cndmask_b32_e32 v4, v4, v5, vcc_lo
	s_delay_alu instid0(VALU_DEP_1) | instskip(SKIP_1) | instid1(VALU_DEP_2)
	v_subrev_nc_u32_e32 v5, s35, v4
	v_cmp_le_u32_e32 vcc_lo, s35, v4
	v_cndmask_b32_e32 v12, v4, v5, vcc_lo
	s_delay_alu instid0(VALU_DEP_1)
	v_dual_mov_b32 v4, v12 :: v_dual_mov_b32 v5, v13
.LBB174_142:                            ;   in Loop: Header=BB174_18 Depth=1
	s_delay_alu instid0(VALU_DEP_1) | instskip(NEXT) | instid1(VALU_DEP_2)
	v_sub_co_u32 v4, vcc_lo, s25, v4
	v_sub_co_ci_u32_e32 v5, vcc_lo, s9, v5, vcc_lo
	s_mov_b32 s8, 0
	s_mov_b32 s9, exec_lo
                                        ; implicit-def: $vgpr18
	s_delay_alu instid0(VALU_DEP_1)
	v_cmpx_gt_u64_e64 v[4:5], v[0:1]
	s_cbranch_execz .LBB174_154
; %bb.143:                              ;   in Loop: Header=BB174_18 Depth=1
	v_mov_b32_e32 v12, v25
	v_dual_mov_b32 v7, v1 :: v_dual_mov_b32 v6, v0
	s_mov_b32 s25, 0
                                        ; implicit-def: $sgpr26
	s_set_inst_prefetch_distance 0x1
	s_branch .LBB174_145
	.p2align	6
.LBB174_144:                            ;   in Loop: Header=BB174_145 Depth=2
	s_or_b32 exec_lo, exec_lo, s8
	s_waitcnt lgkmcnt(0)
	s_barrier
	buffer_gl0_inv
	ds_load_b32 v18, v13 offset:3072
	v_add_co_u32 v6, vcc_lo, v6, s35
	v_add_co_ci_u32_e32 v7, vcc_lo, 0, v7, vcc_lo
	v_add_nc_u32_e32 v12, s94, v12
	s_waitcnt lgkmcnt(0)
	s_barrier
	s_delay_alu instid0(VALU_DEP_2) | instskip(SKIP_2) | instid1(VALU_DEP_1)
	v_cmp_ge_u64_e32 vcc_lo, v[6:7], v[4:5]
	buffer_gl0_inv
	v_cmp_ne_u16_e64 s8, 0, v18
	s_or_b32 s59, vcc_lo, s8
	s_delay_alu instid0(SALU_CYCLE_1) | instskip(NEXT) | instid1(SALU_CYCLE_1)
	s_and_b32 s59, exec_lo, s59
	s_or_b32 s25, s59, s25
	s_and_not1_b32 s26, s26, exec_lo
	s_and_b32 s8, s8, exec_lo
	s_delay_alu instid0(SALU_CYCLE_1)
	s_or_b32 s26, s26, s8
	s_and_not1_b32 exec_lo, exec_lo, s25
	s_cbranch_execz .LBB174_153
.LBB174_145:                            ;   Parent Loop BB174_18 Depth=1
                                        ; =>  This Inner Loop Header: Depth=2
	s_delay_alu instid0(VALU_DEP_1)
	v_cmp_gt_u64_e32 vcc_lo, s[18:19], v[6:7]
	v_mov_b32_e32 v18, 0
	s_and_saveexec_b32 s8, vcc_lo
	s_cbranch_execz .LBB174_147
; %bb.146:                              ;   in Loop: Header=BB174_145 Depth=2
	ds_load_u16 v18, v12
.LBB174_147:                            ;   in Loop: Header=BB174_145 Depth=2
	s_or_b32 exec_lo, exec_lo, s8
	s_and_saveexec_b32 s8, vcc_lo
	s_cbranch_execz .LBB174_144
; %bb.148:                              ;   in Loop: Header=BB174_145 Depth=2
	s_waitcnt lgkmcnt(0)
	v_bfe_i32 v19, v18, 0, 16
	s_delay_alu instid0(VALU_DEP_1) | instskip(NEXT) | instid1(VALU_DEP_1)
	v_add_nc_u32_e32 v19, 0x8000, v19
	v_and_b32_e32 v19, v19, v9
	s_delay_alu instid0(VALU_DEP_1)
	v_cmp_eq_u32_e32 vcc_lo, v19, v8
	s_and_b32 exec_lo, exec_lo, vcc_lo
	s_cbranch_execz .LBB174_144
; %bb.149:                              ;   in Loop: Header=BB174_145 Depth=2
	v_perm_b32 v18, v18, 1, 0x5040100
	ds_store_b32 v13, v18 offset:3072
	s_branch .LBB174_144
.LBB174_150:                            ;   in Loop: Header=BB174_18 Depth=1
                                        ; implicit-def: $vgpr2_vgpr3
	s_branch .LBB174_95
.LBB174_151:                            ;   in Loop: Header=BB174_18 Depth=1
                                        ; implicit-def: $vgpr2_vgpr3
	s_branch .LBB174_111
.LBB174_152:                            ;   in Loop: Header=BB174_18 Depth=1
	s_mov_b32 s25, -1
	s_mov_b32 s8, 0
                                        ; implicit-def: $sgpr77
                                        ; implicit-def: $vgpr18
	s_mov_b32 s78, s25
	s_cbranch_execnz .LBB174_155
	s_branch .LBB174_168
.LBB174_153:                            ;   in Loop: Header=BB174_18 Depth=1
	s_set_inst_prefetch_distance 0x2
	s_or_b32 exec_lo, exec_lo, s25
	v_lshrrev_b32_e32 v18, 16, v18
	s_and_b32 s8, s26, exec_lo
.LBB174_154:                            ;   in Loop: Header=BB174_18 Depth=1
	s_or_b32 exec_lo, exec_lo, s9
	s_mov_b32 s77, -1
	s_mov_b32 s25, 0
	s_delay_alu instid0(SALU_CYCLE_1)
	s_mov_b32 s78, s25
	s_branch .LBB174_168
.LBB174_155:                            ;   in Loop: Header=BB174_18 Depth=1
	s_mov_b32 s26, s71
	s_delay_alu instid0(SALU_CYCLE_1)
	s_cmp_lg_u64 s[26:27], 0
	s_cbranch_scc0 .LBB174_197
; %bb.156:                              ;   in Loop: Header=BB174_18 Depth=1
	v_cvt_f32_u32_e32 v4, s35
	s_sub_u32 s18, 0, s35
	s_subb_u32 s19, 0, 0
	s_delay_alu instid0(VALU_DEP_1) | instskip(NEXT) | instid1(VALU_DEP_1)
	v_fmac_f32_e64 v4, 0, 0x4f800000
	v_rcp_f32_e32 v4, v4
	s_waitcnt_depctr 0xfff
	v_mul_f32_e32 v4, 0x5f7ffffc, v4
	s_delay_alu instid0(VALU_DEP_1) | instskip(NEXT) | instid1(VALU_DEP_1)
	v_mul_f32_e32 v5, 0x2f800000, v4
	v_trunc_f32_e32 v5, v5
	s_delay_alu instid0(VALU_DEP_1) | instskip(SKIP_1) | instid1(VALU_DEP_2)
	v_fmac_f32_e32 v4, 0xcf800000, v5
	v_cvt_u32_f32_e32 v5, v5
	v_cvt_u32_f32_e32 v4, v4
	s_delay_alu instid0(VALU_DEP_2) | instskip(NEXT) | instid1(VALU_DEP_2)
	v_readfirstlane_b32 s8, v5
	v_readfirstlane_b32 s9, v4
	s_delay_alu instid0(VALU_DEP_2) | instskip(NEXT) | instid1(VALU_DEP_1)
	s_mul_i32 s25, s18, s8
	s_mul_hi_u32 s59, s18, s9
	s_mul_i32 s26, s19, s9
	s_add_i32 s25, s59, s25
	s_mul_i32 s64, s18, s9
	s_add_i32 s25, s25, s26
	s_mul_hi_u32 s59, s9, s64
	s_mul_hi_u32 s65, s8, s64
	s_mul_i32 s26, s8, s64
	s_mul_hi_u32 s64, s9, s25
	s_mul_i32 s9, s9, s25
	s_mul_hi_u32 s69, s8, s25
	s_add_u32 s9, s59, s9
	s_addc_u32 s59, 0, s64
	s_add_u32 s9, s9, s26
	s_mul_i32 s25, s8, s25
	s_addc_u32 s9, s59, s65
	s_addc_u32 s26, s69, 0
	s_add_u32 s9, s9, s25
	s_addc_u32 s25, 0, s26
	v_add_co_u32 v4, s9, v4, s9
	s_delay_alu instid0(VALU_DEP_1) | instskip(SKIP_1) | instid1(VALU_DEP_1)
	s_cmp_lg_u32 s9, 0
	s_addc_u32 s8, s8, s25
	v_readfirstlane_b32 s9, v4
	s_mul_i32 s25, s18, s8
	s_delay_alu instid0(VALU_DEP_1)
	s_mul_hi_u32 s26, s18, s9
	s_mul_i32 s19, s19, s9
	s_add_i32 s25, s26, s25
	s_mul_i32 s18, s18, s9
	s_add_i32 s25, s25, s19
	s_mul_hi_u32 s26, s8, s18
	s_mul_i32 s59, s8, s18
	s_mul_hi_u32 s18, s9, s18
	s_mul_hi_u32 s64, s9, s25
	s_mul_i32 s9, s9, s25
	s_mul_hi_u32 s19, s8, s25
	s_add_u32 s9, s18, s9
	s_addc_u32 s18, 0, s64
	s_add_u32 s9, s9, s59
	s_mul_i32 s25, s8, s25
	s_addc_u32 s9, s18, s26
	s_addc_u32 s18, s19, 0
	s_add_u32 s9, s9, s25
	s_addc_u32 s18, 0, s18
	v_add_co_u32 v4, s9, v4, s9
	s_delay_alu instid0(VALU_DEP_1) | instskip(SKIP_1) | instid1(VALU_DEP_1)
	s_cmp_lg_u32 s9, 0
	s_addc_u32 s8, s8, s18
	v_readfirstlane_b32 s9, v4
	s_mul_i32 s19, s88, s8
	s_mul_hi_u32 s18, s88, s8
	s_mul_hi_u32 s25, s27, s8
	s_mul_i32 s8, s27, s8
	s_mul_hi_u32 s26, s88, s9
	s_mul_hi_u32 s59, s27, s9
	s_mul_i32 s9, s27, s9
	s_add_u32 s19, s26, s19
	s_addc_u32 s18, 0, s18
	s_add_u32 s9, s19, s9
	s_addc_u32 s9, s18, s59
	s_addc_u32 s18, s25, 0
	s_add_u32 s8, s9, s8
	s_addc_u32 s9, 0, s18
	s_mul_hi_u32 s18, s35, s8
	s_mul_i32 s8, s35, s8
	s_mul_i32 s9, s35, s9
	v_sub_co_u32 v4, s8, s88, s8
	s_add_i32 s18, s18, s9
	s_cmp_lg_u32 s8, 0
	s_delay_alu instid0(VALU_DEP_1) | instskip(SKIP_3) | instid1(VALU_DEP_2)
	v_sub_co_u32 v5, s8, v4, s35
	s_subb_u32 s9, s27, s18
	s_cmp_lg_u32 s8, 0
	v_cmp_le_u32_e32 vcc_lo, s35, v4
	v_cmp_le_u32_e64 s8, s35, v5
	v_sub_co_u32 v6, s18, v5, s35
	s_subb_u32 s19, s9, 0
	s_cmp_lg_u32 s18, 0
	s_delay_alu instid0(VALU_DEP_2)
	v_cndmask_b32_e64 v7, 0, -1, s8
	s_subb_u32 s18, s19, 0
	s_cmp_eq_u32 s19, 0
	v_mov_b32_e32 v18, s18
	v_cndmask_b32_e64 v12, 0, -1, vcc_lo
	s_cselect_b32 vcc_lo, -1, 0
	s_cmp_eq_u32 s9, 0
	v_cndmask_b32_e32 v7, -1, v7, vcc_lo
	s_cselect_b32 vcc_lo, -1, 0
	v_cndmask_b32_e32 v12, -1, v12, vcc_lo
	s_delay_alu instid0(VALU_DEP_2) | instskip(NEXT) | instid1(VALU_DEP_2)
	v_cmp_ne_u32_e32 vcc_lo, 0, v7
	v_cmp_ne_u32_e64 s8, 0, v12
	v_cndmask_b32_e32 v7, s19, v18, vcc_lo
	v_cndmask_b32_e32 v6, v5, v6, vcc_lo
	s_delay_alu instid0(VALU_DEP_2) | instskip(NEXT) | instid1(VALU_DEP_2)
	v_cndmask_b32_e64 v5, s9, v7, s8
	v_cndmask_b32_e64 v4, v4, v6, s8
	s_cbranch_execnz .LBB174_158
.LBB174_157:                            ;   in Loop: Header=BB174_18 Depth=1
	v_cvt_f32_u32_e32 v4, s35
	s_sub_i32 s8, 0, s35
	s_delay_alu instid0(VALU_DEP_1) | instskip(SKIP_2) | instid1(VALU_DEP_1)
	v_rcp_iflag_f32_e32 v4, v4
	s_waitcnt_depctr 0xfff
	v_mul_f32_e32 v4, 0x4f7ffffe, v4
	v_cvt_u32_f32_e32 v4, v4
	s_delay_alu instid0(VALU_DEP_1) | instskip(NEXT) | instid1(VALU_DEP_1)
	v_mul_lo_u32 v5, s8, v4
	v_mul_hi_u32 v5, v4, v5
	s_delay_alu instid0(VALU_DEP_1) | instskip(NEXT) | instid1(VALU_DEP_1)
	v_add_nc_u32_e32 v4, v4, v5
	v_mul_hi_u32 v4, s88, v4
	s_delay_alu instid0(VALU_DEP_1) | instskip(NEXT) | instid1(VALU_DEP_1)
	v_mul_lo_u32 v4, v4, s35
	v_sub_nc_u32_e32 v4, s88, v4
	s_delay_alu instid0(VALU_DEP_1) | instskip(SKIP_1) | instid1(VALU_DEP_2)
	v_subrev_nc_u32_e32 v5, s35, v4
	v_cmp_le_u32_e32 vcc_lo, s35, v4
	v_cndmask_b32_e32 v4, v4, v5, vcc_lo
	s_delay_alu instid0(VALU_DEP_1) | instskip(SKIP_1) | instid1(VALU_DEP_2)
	v_subrev_nc_u32_e32 v5, s35, v4
	v_cmp_le_u32_e32 vcc_lo, s35, v4
	v_cndmask_b32_e32 v12, v4, v5, vcc_lo
	s_delay_alu instid0(VALU_DEP_1)
	v_dual_mov_b32 v4, v12 :: v_dual_mov_b32 v5, v13
.LBB174_158:                            ;   in Loop: Header=BB174_18 Depth=1
	s_delay_alu instid0(VALU_DEP_1) | instskip(NEXT) | instid1(VALU_DEP_2)
	v_sub_co_u32 v4, vcc_lo, s88, v4
	v_sub_co_ci_u32_e32 v5, vcc_lo, s27, v5, vcc_lo
	s_mov_b32 s8, 0
	s_mov_b32 s9, exec_lo
                                        ; implicit-def: $vgpr18
	s_delay_alu instid0(VALU_DEP_1)
	v_cmpx_gt_u64_e64 v[4:5], v[0:1]
	s_cbranch_execz .LBB174_167
; %bb.159:                              ;   in Loop: Header=BB174_18 Depth=1
	v_dual_mov_b32 v7, v1 :: v_dual_mov_b32 v6, v0
	s_mov_b32 s18, 0
                                        ; implicit-def: $sgpr19
	s_branch .LBB174_161
.LBB174_160:                            ;   in Loop: Header=BB174_161 Depth=2
	s_or_b32 exec_lo, exec_lo, s8
	s_waitcnt vmcnt(0) lgkmcnt(0)
	s_barrier
	buffer_gl0_inv
	ds_load_b32 v12, v13 offset:3072
	v_add_co_u32 v6, vcc_lo, v6, s35
	v_add_co_ci_u32_e32 v7, vcc_lo, 0, v7, vcc_lo
	s_waitcnt lgkmcnt(0)
	s_barrier
	buffer_gl0_inv
	v_cmp_ge_u64_e32 vcc_lo, v[6:7], v[4:5]
	v_cmp_ne_u16_e64 s8, 0, v12
	s_delay_alu instid0(VALU_DEP_1) | instskip(NEXT) | instid1(SALU_CYCLE_1)
	s_or_b32 s25, vcc_lo, s8
	s_and_b32 s25, exec_lo, s25
	s_delay_alu instid0(SALU_CYCLE_1) | instskip(SKIP_2) | instid1(SALU_CYCLE_1)
	s_or_b32 s18, s25, s18
	s_and_not1_b32 s19, s19, exec_lo
	s_and_b32 s8, s8, exec_lo
	s_or_b32 s19, s19, s8
	s_and_not1_b32 exec_lo, exec_lo, s18
	s_cbranch_execz .LBB174_166
.LBB174_161:                            ;   Parent Loop BB174_18 Depth=1
                                        ; =>  This Inner Loop Header: Depth=2
	s_delay_alu instid0(VALU_DEP_1)
	v_cmp_gt_u64_e32 vcc_lo, s[36:37], v[6:7]
	v_mov_b32_e32 v12, 0
	s_and_saveexec_b32 s25, vcc_lo
	s_cbranch_execz .LBB174_163
; %bb.162:                              ;   in Loop: Header=BB174_161 Depth=2
	v_mul_lo_u32 v12, v7, s30
	v_mul_lo_u32 v20, v6, s31
	v_mad_u64_u32 v[18:19], null, v6, s30, 0
	s_delay_alu instid0(VALU_DEP_1) | instskip(NEXT) | instid1(VALU_DEP_1)
	v_add3_u32 v19, v19, v20, v12
	v_lshlrev_b64 v[18:19], 1, v[18:19]
	s_delay_alu instid0(VALU_DEP_1) | instskip(NEXT) | instid1(VALU_DEP_1)
	v_add_co_u32 v18, s8, s29, v18
	v_add_co_ci_u32_e64 v19, s8, s33, v19, s8
	global_load_u16 v12, v[18:19], off
.LBB174_163:                            ;   in Loop: Header=BB174_161 Depth=2
	s_or_b32 exec_lo, exec_lo, s25
	s_and_saveexec_b32 s8, vcc_lo
	s_cbranch_execz .LBB174_160
; %bb.164:                              ;   in Loop: Header=BB174_161 Depth=2
	s_waitcnt vmcnt(0)
	v_bfe_i32 v18, v12, 0, 16
	s_delay_alu instid0(VALU_DEP_1) | instskip(NEXT) | instid1(VALU_DEP_1)
	v_add_nc_u32_e32 v18, 0x8000, v18
	v_and_b32_e32 v18, v18, v9
	s_delay_alu instid0(VALU_DEP_1)
	v_cmp_eq_u32_e32 vcc_lo, v18, v8
	s_and_b32 exec_lo, exec_lo, vcc_lo
	s_cbranch_execz .LBB174_160
; %bb.165:                              ;   in Loop: Header=BB174_161 Depth=2
	v_perm_b32 v12, v12, 1, 0x5040100
	ds_store_b32 v13, v12 offset:3072
	s_branch .LBB174_160
.LBB174_166:                            ;   in Loop: Header=BB174_18 Depth=1
	s_or_b32 exec_lo, exec_lo, s18
	v_lshrrev_b32_e32 v18, 16, v12
	s_and_b32 s8, s19, exec_lo
.LBB174_167:                            ;   in Loop: Header=BB174_18 Depth=1
	s_or_b32 exec_lo, exec_lo, s9
	s_mov_b32 s78, -1
	s_mov_b32 s25, 0
	s_mov_b32 s77, 0
.LBB174_168:                            ;   in Loop: Header=BB174_18 Depth=1
	s_or_not1_b32 s8, s8, exec_lo
.LBB174_169:                            ;   in Loop: Header=BB174_18 Depth=1
	s_or_b32 exec_lo, exec_lo, s58
	s_mov_b32 s26, 0
                                        ; implicit-def: $vgpr6
	s_and_saveexec_b32 s79, s8
	s_cbranch_execz .LBB174_282
; %bb.170:                              ;   in Loop: Header=BB174_18 Depth=1
	v_mov_b32_e32 v4, 1
	v_dual_mov_b32 v5, 0 :: v_dual_mov_b32 v6, 1
	s_xor_b32 s9, s68, -1
	s_delay_alu instid0(SALU_CYCLE_1)
	s_and_saveexec_b32 s8, s9
	s_cbranch_execz .LBB174_180
; %bb.171:                              ;   in Loop: Header=BB174_18 Depth=1
	s_mov_b32 s18, exec_lo
                                        ; implicit-def: $sgpr19
                                        ; implicit-def: $sgpr9
	v_cmpx_ge_u64_e64 s[12:13], v[2:3]
	s_xor_b32 s18, exec_lo, s18
	s_cbranch_execz .LBB174_177
; %bb.172:                              ;   in Loop: Header=BB174_18 Depth=1
	ds_load_b64 v[4:5], v13 offset:5120
	s_waitcnt lgkmcnt(0)
	v_cmp_ne_u64_e32 vcc_lo, 0, v[4:5]
	s_cbranch_vccnz .LBB174_176
; %bb.173:                              ;   in Loop: Header=BB174_18 Depth=1
	s_and_saveexec_b32 s9, s5
	s_cbranch_execz .LBB174_175
; %bb.174:                              ;   in Loop: Header=BB174_18 Depth=1
	v_dual_mov_b32 v4, s12 :: v_dual_mov_b32 v5, s13
	ds_store_b64 v13, v[4:5] offset:5128
.LBB174_175:                            ;   in Loop: Header=BB174_18 Depth=1
	s_or_b32 exec_lo, exec_lo, s9
	s_waitcnt lgkmcnt(0)
	s_barrier
	buffer_gl0_inv
.LBB174_176:                            ;   in Loop: Header=BB174_18 Depth=1
	s_lshl_b32 s9, 1, s22
	v_or_b32_e32 v9, s20, v9
	v_and_or_b32 v8, v8, s21, s9
	s_mov_b32 s9, 0
	s_mov_b32 s19, 8
.LBB174_177:                            ;   in Loop: Header=BB174_18 Depth=1
	s_or_saveexec_b32 s18, s18
	v_mov_b32_e32 v6, s19
	s_xor_b32 exec_lo, exec_lo, s18
; %bb.178:                              ;   in Loop: Header=BB174_18 Depth=1
	v_sub_co_u32 v2, vcc_lo, v2, s12
	v_subrev_co_ci_u32_e32 v3, vcc_lo, s13, v3, vcc_lo
	v_mov_b32_e32 v6, 0
	s_or_b32 s9, s9, exec_lo
; %bb.179:                              ;   in Loop: Header=BB174_18 Depth=1
	s_or_b32 exec_lo, exec_lo, s18
	s_delay_alu instid0(VALU_DEP_2)
	v_dual_mov_b32 v5, v3 :: v_dual_mov_b32 v4, v2
	s_and_b32 s26, s9, exec_lo
.LBB174_180:                            ;   in Loop: Header=BB174_18 Depth=1
	s_or_b32 exec_lo, exec_lo, s8
	s_mov_b32 s8, -1
                                        ; implicit-def: $sgpr9
                                        ; implicit-def: $sgpr18
                                        ; implicit-def: $sgpr19
	s_and_saveexec_b32 s80, s26
	s_cbranch_execz .LBB174_281
; %bb.181:                              ;   in Loop: Header=BB174_18 Depth=1
	v_cmp_eq_u64_e32 vcc_lo, 1, v[4:5]
	s_cmp_eq_u64 s[14:15], 1
                                        ; implicit-def: $sgpr81
                                        ; implicit-def: $sgpr83
                                        ; implicit-def: $sgpr82
	s_cselect_b32 s8, -1, 0
	s_delay_alu instid0(SALU_CYCLE_1)
	s_and_b32 s69, s8, vcc_lo
	s_mov_b32 s8, -1
	s_and_saveexec_b32 s58, s69
	s_cbranch_execz .LBB174_215
; %bb.182:                              ;   in Loop: Header=BB174_18 Depth=1
	ds_load_b64 v[2:3], v13 offset:5120
	s_waitcnt lgkmcnt(0)
	s_barrier
	buffer_gl0_inv
	v_readfirstlane_b32 s18, v2
	v_readfirstlane_b32 s19, v3
	s_and_saveexec_b32 s8, s6
	s_cbranch_execz .LBB174_184
; %bb.183:                              ;   in Loop: Header=BB174_18 Depth=1
	ds_store_b16 v26, v13
.LBB174_184:                            ;   in Loop: Header=BB174_18 Depth=1
	s_or_b32 exec_lo, exec_lo, s8
	s_lshl_b32 s8, 2, s22
	v_or_b32_e32 v9, s20, v9
	v_and_or_b32 v8, v8, s21, s8
	s_cmp_eq_u64 s[18:19], 0
	s_waitcnt lgkmcnt(0)
	s_barrier
	buffer_gl0_inv
	s_cbranch_scc1 .LBB174_198
; %bb.185:                              ;   in Loop: Header=BB174_18 Depth=1
	s_add_u32 s26, s86, s18
	s_addc_u32 s9, s87, s19
	s_mov_b32 s8, s71
	s_delay_alu instid0(SALU_CYCLE_1)
	s_cmp_lg_u64 s[8:9], 0
	s_cbranch_scc0 .LBB174_233
; %bb.186:                              ;   in Loop: Header=BB174_18 Depth=1
	v_cvt_f32_u32_e32 v2, s35
	s_sub_u32 s64, 0, s35
	s_subb_u32 s65, 0, 0
	s_delay_alu instid0(VALU_DEP_1) | instskip(NEXT) | instid1(VALU_DEP_1)
	v_fmac_f32_e64 v2, 0, 0x4f800000
	v_rcp_f32_e32 v2, v2
	s_waitcnt_depctr 0xfff
	v_mul_f32_e32 v2, 0x5f7ffffc, v2
	s_delay_alu instid0(VALU_DEP_1) | instskip(NEXT) | instid1(VALU_DEP_1)
	v_mul_f32_e32 v3, 0x2f800000, v2
	v_trunc_f32_e32 v3, v3
	s_delay_alu instid0(VALU_DEP_1) | instskip(SKIP_1) | instid1(VALU_DEP_2)
	v_fmac_f32_e32 v2, 0xcf800000, v3
	v_cvt_u32_f32_e32 v3, v3
	v_cvt_u32_f32_e32 v2, v2
	s_delay_alu instid0(VALU_DEP_2) | instskip(NEXT) | instid1(VALU_DEP_2)
	v_readfirstlane_b32 s8, v3
	v_readfirstlane_b32 s59, v2
	s_delay_alu instid0(VALU_DEP_2) | instskip(NEXT) | instid1(VALU_DEP_1)
	s_mul_i32 s68, s64, s8
	s_mul_hi_u32 s82, s64, s59
	s_mul_i32 s81, s65, s59
	s_add_i32 s68, s82, s68
	s_mul_i32 s83, s64, s59
	s_add_i32 s68, s68, s81
	s_mul_hi_u32 s82, s59, s83
	s_mul_hi_u32 vcc_lo, s8, s83
	s_mul_i32 s81, s8, s83
	s_mul_hi_u32 s83, s59, s68
	s_mul_i32 s59, s59, s68
	s_mul_hi_u32 s48, s8, s68
	s_add_u32 s50, s82, s59
	s_addc_u32 s51, 0, s83
	s_add_u32 s50, s50, s81
	s_mul_i32 s49, s8, s68
	s_addc_u32 s50, s51, vcc_lo
	s_addc_u32 s48, s48, 0
	s_add_u32 s49, s50, s49
	s_addc_u32 s48, 0, s48
	v_add_co_u32 v2, s49, v2, s49
	s_delay_alu instid0(VALU_DEP_1) | instskip(SKIP_1) | instid1(VALU_DEP_1)
	s_cmp_lg_u32 s49, 0
	s_addc_u32 s8, s8, s48
	v_readfirstlane_b32 s49, v2
	s_mul_i32 s48, s64, s8
	s_delay_alu instid0(VALU_DEP_1)
	s_mul_hi_u32 s50, s64, s49
	s_mul_i32 s65, s65, s49
	s_add_i32 s48, s50, s48
	s_mul_i32 s64, s64, s49
	s_add_i32 s48, s48, s65
	s_mul_hi_u32 s59, s49, s64
	s_mul_hi_u32 s65, s49, s48
	s_mul_i32 s49, s49, s48
	s_mul_i32 s51, s8, s64
	s_add_u32 s49, s59, s49
	s_mul_hi_u32 s50, s8, s64
	s_addc_u32 s59, 0, s65
	s_mul_hi_u32 s64, s8, s48
	s_add_u32 s49, s49, s51
	s_mul_i32 s48, s8, s48
	s_addc_u32 s49, s59, s50
	s_addc_u32 s50, s64, 0
	s_add_u32 s48, s49, s48
	s_addc_u32 s49, 0, s50
	v_add_co_u32 v2, s48, v2, s48
	s_delay_alu instid0(VALU_DEP_1) | instskip(SKIP_1) | instid1(VALU_DEP_1)
	s_cmp_lg_u32 s48, 0
	s_addc_u32 s8, s8, s49
	v_readfirstlane_b32 s48, v2
	s_mul_i32 s50, s26, s8
	s_mul_hi_u32 s49, s26, s8
	s_mul_hi_u32 s51, s9, s8
	s_mul_i32 s8, s9, s8
	s_mul_hi_u32 s59, s26, s48
	s_mul_hi_u32 s64, s9, s48
	s_mul_i32 s48, s9, s48
	s_add_u32 s50, s59, s50
	s_addc_u32 s49, 0, s49
	s_add_u32 s48, s50, s48
	s_addc_u32 s48, s49, s64
	s_addc_u32 s49, s51, 0
	s_add_u32 s8, s48, s8
	s_addc_u32 s48, 0, s49
	s_mul_hi_u32 s49, s35, s8
	s_mul_i32 s8, s35, s8
	s_mul_i32 s48, s35, s48
	v_sub_co_u32 v2, s8, s26, s8
	s_add_i32 s49, s49, s48
	s_cmp_lg_u32 s8, 0
	s_delay_alu instid0(VALU_DEP_1) | instskip(SKIP_3) | instid1(VALU_DEP_2)
	v_sub_co_u32 v3, s8, v2, s35
	s_subb_u32 s48, s9, s49
	s_cmp_lg_u32 s8, 0
	v_cmp_le_u32_e32 vcc_lo, s35, v2
	v_cmp_le_u32_e64 s8, s35, v3
	v_sub_co_u32 v6, s49, v3, s35
	s_subb_u32 s50, s48, 0
	s_cmp_lg_u32 s49, 0
	s_delay_alu instid0(VALU_DEP_2)
	v_cndmask_b32_e64 v7, 0, -1, s8
	s_subb_u32 s49, s50, 0
	s_cmp_eq_u32 s50, 0
	v_mov_b32_e32 v18, s49
	v_cndmask_b32_e64 v12, 0, -1, vcc_lo
	s_cselect_b32 vcc_lo, -1, 0
	s_cmp_eq_u32 s48, 0
	v_cndmask_b32_e32 v7, -1, v7, vcc_lo
	s_cselect_b32 vcc_lo, -1, 0
	v_cndmask_b32_e32 v12, -1, v12, vcc_lo
	s_delay_alu instid0(VALU_DEP_2) | instskip(NEXT) | instid1(VALU_DEP_2)
	v_cmp_ne_u32_e32 vcc_lo, 0, v7
	v_cmp_ne_u32_e64 s8, 0, v12
	v_cndmask_b32_e32 v7, s50, v18, vcc_lo
	v_cndmask_b32_e32 v6, v3, v6, vcc_lo
	s_delay_alu instid0(VALU_DEP_2) | instskip(NEXT) | instid1(VALU_DEP_2)
	v_cndmask_b32_e64 v3, s48, v7, s8
	v_cndmask_b32_e64 v2, v2, v6, s8
	s_cbranch_execnz .LBB174_188
.LBB174_187:                            ;   in Loop: Header=BB174_18 Depth=1
	v_cvt_f32_u32_e32 v2, s35
	s_sub_i32 s8, 0, s35
	s_delay_alu instid0(VALU_DEP_1) | instskip(SKIP_2) | instid1(VALU_DEP_1)
	v_rcp_iflag_f32_e32 v2, v2
	s_waitcnt_depctr 0xfff
	v_mul_f32_e32 v2, 0x4f7ffffe, v2
	v_cvt_u32_f32_e32 v2, v2
	s_delay_alu instid0(VALU_DEP_1) | instskip(NEXT) | instid1(VALU_DEP_1)
	v_mul_lo_u32 v3, s8, v2
	v_mul_hi_u32 v3, v2, v3
	s_delay_alu instid0(VALU_DEP_1) | instskip(NEXT) | instid1(VALU_DEP_1)
	v_add_nc_u32_e32 v2, v2, v3
	v_mul_hi_u32 v2, s26, v2
	s_delay_alu instid0(VALU_DEP_1) | instskip(NEXT) | instid1(VALU_DEP_1)
	v_mul_lo_u32 v2, v2, s35
	v_sub_nc_u32_e32 v2, s26, v2
	s_delay_alu instid0(VALU_DEP_1) | instskip(SKIP_1) | instid1(VALU_DEP_2)
	v_subrev_nc_u32_e32 v3, s35, v2
	v_cmp_le_u32_e32 vcc_lo, s35, v2
	v_cndmask_b32_e32 v2, v2, v3, vcc_lo
	s_delay_alu instid0(VALU_DEP_1) | instskip(SKIP_1) | instid1(VALU_DEP_2)
	v_subrev_nc_u32_e32 v3, s35, v2
	v_cmp_le_u32_e32 vcc_lo, s35, v2
	v_cndmask_b32_e32 v12, v2, v3, vcc_lo
	s_delay_alu instid0(VALU_DEP_1)
	v_dual_mov_b32 v2, v12 :: v_dual_mov_b32 v3, v13
.LBB174_188:                            ;   in Loop: Header=BB174_18 Depth=1
	s_delay_alu instid0(VALU_DEP_1) | instskip(NEXT) | instid1(VALU_DEP_2)
	v_sub_co_u32 v2, vcc_lo, s26, v2
	v_sub_co_ci_u32_e32 v3, vcc_lo, s9, v3, vcc_lo
	s_mov_b32 s8, 0
	s_mov_b32 s9, exec_lo
                                        ; implicit-def: $vgpr18
	s_delay_alu instid0(VALU_DEP_1)
	v_cmpx_gt_u64_e64 v[2:3], v[0:1]
	s_cbranch_execz .LBB174_200
; %bb.189:                              ;   in Loop: Header=BB174_18 Depth=1
	v_mov_b32_e32 v12, v25
	v_dual_mov_b32 v7, v1 :: v_dual_mov_b32 v6, v0
	s_mov_b32 s26, 0
                                        ; implicit-def: $sgpr59
	s_set_inst_prefetch_distance 0x1
	s_branch .LBB174_191
	.p2align	6
.LBB174_190:                            ;   in Loop: Header=BB174_191 Depth=2
	s_or_b32 exec_lo, exec_lo, s8
	s_waitcnt lgkmcnt(0)
	s_barrier
	buffer_gl0_inv
	ds_load_b32 v18, v13 offset:3072
	v_add_co_u32 v6, vcc_lo, v6, s35
	v_add_co_ci_u32_e32 v7, vcc_lo, 0, v7, vcc_lo
	v_add_nc_u32_e32 v12, s94, v12
	s_waitcnt lgkmcnt(0)
	s_barrier
	s_delay_alu instid0(VALU_DEP_2) | instskip(SKIP_2) | instid1(VALU_DEP_1)
	v_cmp_ge_u64_e32 vcc_lo, v[6:7], v[2:3]
	buffer_gl0_inv
	v_cmp_ne_u16_e64 s8, 0, v18
	s_or_b32 s48, vcc_lo, s8
	s_delay_alu instid0(SALU_CYCLE_1) | instskip(NEXT) | instid1(SALU_CYCLE_1)
	s_and_b32 s48, exec_lo, s48
	s_or_b32 s26, s48, s26
	s_and_not1_b32 s48, s59, exec_lo
	s_and_b32 s8, s8, exec_lo
	s_delay_alu instid0(SALU_CYCLE_1)
	s_or_b32 s59, s48, s8
	s_and_not1_b32 exec_lo, exec_lo, s26
	s_cbranch_execz .LBB174_199
.LBB174_191:                            ;   Parent Loop BB174_18 Depth=1
                                        ; =>  This Inner Loop Header: Depth=2
	s_delay_alu instid0(VALU_DEP_1)
	v_cmp_gt_u64_e32 vcc_lo, s[18:19], v[6:7]
	v_mov_b32_e32 v18, 0
	s_and_saveexec_b32 s8, vcc_lo
	s_cbranch_execz .LBB174_193
; %bb.192:                              ;   in Loop: Header=BB174_191 Depth=2
	ds_load_u16 v18, v12
.LBB174_193:                            ;   in Loop: Header=BB174_191 Depth=2
	s_or_b32 exec_lo, exec_lo, s8
	s_and_saveexec_b32 s8, vcc_lo
	s_cbranch_execz .LBB174_190
; %bb.194:                              ;   in Loop: Header=BB174_191 Depth=2
	s_waitcnt lgkmcnt(0)
	v_bfe_i32 v19, v18, 0, 16
	s_delay_alu instid0(VALU_DEP_1) | instskip(NEXT) | instid1(VALU_DEP_1)
	v_add_nc_u32_e32 v19, 0x8000, v19
	v_and_b32_e32 v19, v19, v9
	s_delay_alu instid0(VALU_DEP_1)
	v_cmp_eq_u32_e32 vcc_lo, v19, v8
	s_and_b32 exec_lo, exec_lo, vcc_lo
	s_cbranch_execz .LBB174_190
; %bb.195:                              ;   in Loop: Header=BB174_191 Depth=2
	v_perm_b32 v18, v18, 1, 0x5040100
	ds_store_b32 v13, v18 offset:3072
	s_branch .LBB174_190
.LBB174_196:                            ;   in Loop: Header=BB174_18 Depth=1
                                        ; implicit-def: $vgpr4_vgpr5
	s_branch .LBB174_141
.LBB174_197:                            ;   in Loop: Header=BB174_18 Depth=1
                                        ; implicit-def: $vgpr4_vgpr5
	s_branch .LBB174_157
.LBB174_198:                            ;   in Loop: Header=BB174_18 Depth=1
	s_mov_b32 s81, -1
	s_mov_b32 s8, 0
                                        ; implicit-def: $sgpr82
                                        ; implicit-def: $vgpr18
	s_mov_b32 s83, s81
	s_cbranch_execnz .LBB174_201
	s_branch .LBB174_214
.LBB174_199:                            ;   in Loop: Header=BB174_18 Depth=1
	s_set_inst_prefetch_distance 0x2
	s_or_b32 exec_lo, exec_lo, s26
	v_lshrrev_b32_e32 v18, 16, v18
	s_and_b32 s8, s59, exec_lo
.LBB174_200:                            ;   in Loop: Header=BB174_18 Depth=1
	s_or_b32 exec_lo, exec_lo, s9
	s_mov_b32 s82, -1
	s_mov_b32 s81, 0
	s_delay_alu instid0(SALU_CYCLE_1)
	s_mov_b32 s83, s81
	s_branch .LBB174_214
.LBB174_201:                            ;   in Loop: Header=BB174_18 Depth=1
	s_mov_b32 s26, s71
	s_delay_alu instid0(SALU_CYCLE_1)
	s_cmp_lg_u64 s[26:27], 0
	s_cbranch_scc0 .LBB174_234
; %bb.202:                              ;   in Loop: Header=BB174_18 Depth=1
	v_cvt_f32_u32_e32 v2, s35
	s_sub_u32 s18, 0, s35
	s_subb_u32 s19, 0, 0
	s_delay_alu instid0(VALU_DEP_1) | instskip(NEXT) | instid1(VALU_DEP_1)
	v_fmac_f32_e64 v2, 0, 0x4f800000
	v_rcp_f32_e32 v2, v2
	s_waitcnt_depctr 0xfff
	v_mul_f32_e32 v2, 0x5f7ffffc, v2
	s_delay_alu instid0(VALU_DEP_1) | instskip(NEXT) | instid1(VALU_DEP_1)
	v_mul_f32_e32 v3, 0x2f800000, v2
	v_trunc_f32_e32 v3, v3
	s_delay_alu instid0(VALU_DEP_1) | instskip(SKIP_1) | instid1(VALU_DEP_2)
	v_fmac_f32_e32 v2, 0xcf800000, v3
	v_cvt_u32_f32_e32 v3, v3
	v_cvt_u32_f32_e32 v2, v2
	s_delay_alu instid0(VALU_DEP_2) | instskip(NEXT) | instid1(VALU_DEP_2)
	v_readfirstlane_b32 s8, v3
	v_readfirstlane_b32 s9, v2
	s_delay_alu instid0(VALU_DEP_2) | instskip(NEXT) | instid1(VALU_DEP_1)
	s_mul_i32 s26, s18, s8
	s_mul_hi_u32 s49, s18, s9
	s_mul_i32 s48, s19, s9
	s_add_i32 s26, s49, s26
	s_mul_i32 s50, s18, s9
	s_add_i32 s26, s26, s48
	s_mul_hi_u32 s49, s9, s50
	s_mul_hi_u32 s51, s8, s50
	s_mul_i32 s48, s8, s50
	s_mul_hi_u32 s50, s9, s26
	s_mul_i32 s9, s9, s26
	s_mul_hi_u32 s59, s8, s26
	s_add_u32 s9, s49, s9
	s_addc_u32 s49, 0, s50
	s_add_u32 s9, s9, s48
	s_mul_i32 s26, s8, s26
	s_addc_u32 s9, s49, s51
	s_addc_u32 s48, s59, 0
	s_add_u32 s9, s9, s26
	s_addc_u32 s26, 0, s48
	v_add_co_u32 v2, s9, v2, s9
	s_delay_alu instid0(VALU_DEP_1) | instskip(SKIP_1) | instid1(VALU_DEP_1)
	s_cmp_lg_u32 s9, 0
	s_addc_u32 s8, s8, s26
	v_readfirstlane_b32 s9, v2
	s_mul_i32 s26, s18, s8
	s_delay_alu instid0(VALU_DEP_1)
	s_mul_hi_u32 s48, s18, s9
	s_mul_i32 s19, s19, s9
	s_add_i32 s26, s48, s26
	s_mul_i32 s18, s18, s9
	s_add_i32 s26, s26, s19
	s_mul_hi_u32 s48, s8, s18
	s_mul_i32 s49, s8, s18
	s_mul_hi_u32 s18, s9, s18
	s_mul_hi_u32 s50, s9, s26
	s_mul_i32 s9, s9, s26
	s_mul_hi_u32 s19, s8, s26
	s_add_u32 s9, s18, s9
	s_addc_u32 s18, 0, s50
	s_add_u32 s9, s9, s49
	s_mul_i32 s26, s8, s26
	s_addc_u32 s9, s18, s48
	s_addc_u32 s18, s19, 0
	s_add_u32 s9, s9, s26
	s_addc_u32 s18, 0, s18
	v_add_co_u32 v2, s9, v2, s9
	s_delay_alu instid0(VALU_DEP_1) | instskip(SKIP_1) | instid1(VALU_DEP_1)
	s_cmp_lg_u32 s9, 0
	s_addc_u32 s8, s8, s18
	v_readfirstlane_b32 s9, v2
	s_mul_i32 s19, s88, s8
	s_mul_hi_u32 s18, s88, s8
	s_mul_hi_u32 s26, s27, s8
	s_mul_i32 s8, s27, s8
	s_mul_hi_u32 s48, s88, s9
	s_mul_hi_u32 s49, s27, s9
	s_mul_i32 s9, s27, s9
	s_add_u32 s19, s48, s19
	s_addc_u32 s18, 0, s18
	s_add_u32 s9, s19, s9
	s_addc_u32 s9, s18, s49
	s_addc_u32 s18, s26, 0
	s_add_u32 s8, s9, s8
	s_addc_u32 s9, 0, s18
	s_mul_hi_u32 s18, s35, s8
	s_mul_i32 s8, s35, s8
	s_mul_i32 s9, s35, s9
	v_sub_co_u32 v2, s8, s88, s8
	s_add_i32 s18, s18, s9
	s_cmp_lg_u32 s8, 0
	s_delay_alu instid0(VALU_DEP_1) | instskip(SKIP_3) | instid1(VALU_DEP_2)
	v_sub_co_u32 v3, s8, v2, s35
	s_subb_u32 s9, s27, s18
	s_cmp_lg_u32 s8, 0
	v_cmp_le_u32_e32 vcc_lo, s35, v2
	v_cmp_le_u32_e64 s8, s35, v3
	v_sub_co_u32 v6, s18, v3, s35
	s_subb_u32 s19, s9, 0
	s_cmp_lg_u32 s18, 0
	s_delay_alu instid0(VALU_DEP_2)
	v_cndmask_b32_e64 v7, 0, -1, s8
	s_subb_u32 s18, s19, 0
	s_cmp_eq_u32 s19, 0
	v_mov_b32_e32 v18, s18
	v_cndmask_b32_e64 v12, 0, -1, vcc_lo
	s_cselect_b32 vcc_lo, -1, 0
	s_cmp_eq_u32 s9, 0
	v_cndmask_b32_e32 v7, -1, v7, vcc_lo
	s_cselect_b32 vcc_lo, -1, 0
	v_cndmask_b32_e32 v12, -1, v12, vcc_lo
	s_delay_alu instid0(VALU_DEP_2) | instskip(NEXT) | instid1(VALU_DEP_2)
	v_cmp_ne_u32_e32 vcc_lo, 0, v7
	v_cmp_ne_u32_e64 s8, 0, v12
	v_cndmask_b32_e32 v7, s19, v18, vcc_lo
	v_cndmask_b32_e32 v6, v3, v6, vcc_lo
	s_delay_alu instid0(VALU_DEP_2) | instskip(NEXT) | instid1(VALU_DEP_2)
	v_cndmask_b32_e64 v3, s9, v7, s8
	v_cndmask_b32_e64 v2, v2, v6, s8
	s_cbranch_execnz .LBB174_204
.LBB174_203:                            ;   in Loop: Header=BB174_18 Depth=1
	v_cvt_f32_u32_e32 v2, s35
	s_sub_i32 s8, 0, s35
	s_delay_alu instid0(VALU_DEP_1) | instskip(SKIP_2) | instid1(VALU_DEP_1)
	v_rcp_iflag_f32_e32 v2, v2
	s_waitcnt_depctr 0xfff
	v_mul_f32_e32 v2, 0x4f7ffffe, v2
	v_cvt_u32_f32_e32 v2, v2
	s_delay_alu instid0(VALU_DEP_1) | instskip(NEXT) | instid1(VALU_DEP_1)
	v_mul_lo_u32 v3, s8, v2
	v_mul_hi_u32 v3, v2, v3
	s_delay_alu instid0(VALU_DEP_1) | instskip(NEXT) | instid1(VALU_DEP_1)
	v_add_nc_u32_e32 v2, v2, v3
	v_mul_hi_u32 v2, s88, v2
	s_delay_alu instid0(VALU_DEP_1) | instskip(NEXT) | instid1(VALU_DEP_1)
	v_mul_lo_u32 v2, v2, s35
	v_sub_nc_u32_e32 v2, s88, v2
	s_delay_alu instid0(VALU_DEP_1) | instskip(SKIP_1) | instid1(VALU_DEP_2)
	v_subrev_nc_u32_e32 v3, s35, v2
	v_cmp_le_u32_e32 vcc_lo, s35, v2
	v_cndmask_b32_e32 v2, v2, v3, vcc_lo
	s_delay_alu instid0(VALU_DEP_1) | instskip(SKIP_1) | instid1(VALU_DEP_2)
	v_subrev_nc_u32_e32 v3, s35, v2
	v_cmp_le_u32_e32 vcc_lo, s35, v2
	v_cndmask_b32_e32 v12, v2, v3, vcc_lo
	s_delay_alu instid0(VALU_DEP_1)
	v_dual_mov_b32 v2, v12 :: v_dual_mov_b32 v3, v13
.LBB174_204:                            ;   in Loop: Header=BB174_18 Depth=1
	s_delay_alu instid0(VALU_DEP_1) | instskip(NEXT) | instid1(VALU_DEP_2)
	v_sub_co_u32 v2, vcc_lo, s88, v2
	v_sub_co_ci_u32_e32 v3, vcc_lo, s27, v3, vcc_lo
	s_mov_b32 s8, 0
	s_mov_b32 s9, exec_lo
                                        ; implicit-def: $vgpr18
	s_delay_alu instid0(VALU_DEP_1)
	v_cmpx_gt_u64_e64 v[2:3], v[0:1]
	s_cbranch_execz .LBB174_213
; %bb.205:                              ;   in Loop: Header=BB174_18 Depth=1
	v_dual_mov_b32 v7, v1 :: v_dual_mov_b32 v6, v0
	s_mov_b32 s18, 0
                                        ; implicit-def: $sgpr19
	s_branch .LBB174_207
.LBB174_206:                            ;   in Loop: Header=BB174_207 Depth=2
	s_or_b32 exec_lo, exec_lo, s8
	s_waitcnt vmcnt(0) lgkmcnt(0)
	s_barrier
	buffer_gl0_inv
	ds_load_b32 v12, v13 offset:3072
	v_add_co_u32 v6, vcc_lo, v6, s35
	v_add_co_ci_u32_e32 v7, vcc_lo, 0, v7, vcc_lo
	s_waitcnt lgkmcnt(0)
	s_barrier
	buffer_gl0_inv
	v_cmp_ge_u64_e32 vcc_lo, v[6:7], v[2:3]
	v_cmp_ne_u16_e64 s8, 0, v12
	s_delay_alu instid0(VALU_DEP_1) | instskip(NEXT) | instid1(SALU_CYCLE_1)
	s_or_b32 s26, vcc_lo, s8
	s_and_b32 s26, exec_lo, s26
	s_delay_alu instid0(SALU_CYCLE_1) | instskip(SKIP_2) | instid1(SALU_CYCLE_1)
	s_or_b32 s18, s26, s18
	s_and_not1_b32 s19, s19, exec_lo
	s_and_b32 s8, s8, exec_lo
	s_or_b32 s19, s19, s8
	s_and_not1_b32 exec_lo, exec_lo, s18
	s_cbranch_execz .LBB174_212
.LBB174_207:                            ;   Parent Loop BB174_18 Depth=1
                                        ; =>  This Inner Loop Header: Depth=2
	s_delay_alu instid0(VALU_DEP_1)
	v_cmp_gt_u64_e32 vcc_lo, s[36:37], v[6:7]
	v_mov_b32_e32 v12, 0
	s_and_saveexec_b32 s26, vcc_lo
	s_cbranch_execz .LBB174_209
; %bb.208:                              ;   in Loop: Header=BB174_207 Depth=2
	v_mul_lo_u32 v12, v7, s30
	v_mul_lo_u32 v20, v6, s31
	v_mad_u64_u32 v[18:19], null, v6, s30, 0
	s_delay_alu instid0(VALU_DEP_1) | instskip(NEXT) | instid1(VALU_DEP_1)
	v_add3_u32 v19, v19, v20, v12
	v_lshlrev_b64 v[18:19], 1, v[18:19]
	s_delay_alu instid0(VALU_DEP_1) | instskip(NEXT) | instid1(VALU_DEP_1)
	v_add_co_u32 v18, s8, s29, v18
	v_add_co_ci_u32_e64 v19, s8, s33, v19, s8
	global_load_u16 v12, v[18:19], off
.LBB174_209:                            ;   in Loop: Header=BB174_207 Depth=2
	s_or_b32 exec_lo, exec_lo, s26
	s_and_saveexec_b32 s8, vcc_lo
	s_cbranch_execz .LBB174_206
; %bb.210:                              ;   in Loop: Header=BB174_207 Depth=2
	s_waitcnt vmcnt(0)
	v_bfe_i32 v18, v12, 0, 16
	s_delay_alu instid0(VALU_DEP_1) | instskip(NEXT) | instid1(VALU_DEP_1)
	v_add_nc_u32_e32 v18, 0x8000, v18
	v_and_b32_e32 v18, v18, v9
	s_delay_alu instid0(VALU_DEP_1)
	v_cmp_eq_u32_e32 vcc_lo, v18, v8
	s_and_b32 exec_lo, exec_lo, vcc_lo
	s_cbranch_execz .LBB174_206
; %bb.211:                              ;   in Loop: Header=BB174_207 Depth=2
	v_perm_b32 v12, v12, 1, 0x5040100
	ds_store_b32 v13, v12 offset:3072
	s_branch .LBB174_206
.LBB174_212:                            ;   in Loop: Header=BB174_18 Depth=1
	s_or_b32 exec_lo, exec_lo, s18
	v_lshrrev_b32_e32 v18, 16, v12
	s_and_b32 s8, s19, exec_lo
.LBB174_213:                            ;   in Loop: Header=BB174_18 Depth=1
	s_or_b32 exec_lo, exec_lo, s9
	s_mov_b32 s83, -1
	s_mov_b32 s81, 0
	s_mov_b32 s82, 0
.LBB174_214:                            ;   in Loop: Header=BB174_18 Depth=1
	s_or_not1_b32 s8, s8, exec_lo
.LBB174_215:                            ;   in Loop: Header=BB174_18 Depth=1
	s_or_b32 exec_lo, exec_lo, s58
	s_mov_b32 s26, 0
                                        ; implicit-def: $vgpr6
	s_and_saveexec_b32 s68, s8
	s_cbranch_execz .LBB174_280
; %bb.216:                              ;   in Loop: Header=BB174_18 Depth=1
	v_mov_b32_e32 v2, 1
	v_dual_mov_b32 v3, 0 :: v_dual_mov_b32 v6, 1
	s_xor_b32 s9, s69, -1
	s_delay_alu instid0(SALU_CYCLE_1)
	s_and_saveexec_b32 s8, s9
	s_cbranch_execz .LBB174_226
; %bb.217:                              ;   in Loop: Header=BB174_18 Depth=1
	s_mov_b32 s18, exec_lo
                                        ; implicit-def: $sgpr19
                                        ; implicit-def: $sgpr9
	v_cmpx_ge_u64_e64 s[14:15], v[4:5]
	s_xor_b32 s18, exec_lo, s18
	s_cbranch_execz .LBB174_223
; %bb.218:                              ;   in Loop: Header=BB174_18 Depth=1
	ds_load_b64 v[2:3], v13 offset:5120
	s_waitcnt lgkmcnt(0)
	v_cmp_ne_u64_e32 vcc_lo, 0, v[2:3]
	s_cbranch_vccnz .LBB174_222
; %bb.219:                              ;   in Loop: Header=BB174_18 Depth=1
	s_and_saveexec_b32 s9, s5
	s_cbranch_execz .LBB174_221
; %bb.220:                              ;   in Loop: Header=BB174_18 Depth=1
	v_dual_mov_b32 v2, s14 :: v_dual_mov_b32 v3, s15
	ds_store_b64 v13, v[2:3] offset:5128
.LBB174_221:                            ;   in Loop: Header=BB174_18 Depth=1
	s_or_b32 exec_lo, exec_lo, s9
	s_waitcnt lgkmcnt(0)
	s_barrier
	buffer_gl0_inv
.LBB174_222:                            ;   in Loop: Header=BB174_18 Depth=1
	s_lshl_b32 s9, 2, s22
	v_or_b32_e32 v9, s20, v9
	v_and_or_b32 v8, v8, s21, s9
	s_mov_b32 s9, 0
	s_mov_b32 s19, 8
.LBB174_223:                            ;   in Loop: Header=BB174_18 Depth=1
	s_or_saveexec_b32 s18, s18
	v_mov_b32_e32 v6, s19
	s_xor_b32 exec_lo, exec_lo, s18
; %bb.224:                              ;   in Loop: Header=BB174_18 Depth=1
	v_sub_co_u32 v4, vcc_lo, v4, s14
	v_subrev_co_ci_u32_e32 v5, vcc_lo, s15, v5, vcc_lo
	v_mov_b32_e32 v6, 0
	s_or_b32 s9, s9, exec_lo
; %bb.225:                              ;   in Loop: Header=BB174_18 Depth=1
	s_or_b32 exec_lo, exec_lo, s18
	s_delay_alu instid0(VALU_DEP_2)
	v_dual_mov_b32 v2, v4 :: v_dual_mov_b32 v3, v5
	s_and_b32 s26, s9, exec_lo
.LBB174_226:                            ;   in Loop: Header=BB174_18 Depth=1
	s_or_b32 exec_lo, exec_lo, s8
	s_mov_b32 s19, -1
                                        ; implicit-def: $sgpr8
                                        ; implicit-def: $sgpr18
                                        ; implicit-def: $sgpr9
	s_and_saveexec_b32 s69, s26
	s_cbranch_execz .LBB174_279
; %bb.227:                              ;   in Loop: Header=BB174_18 Depth=1
	v_cmp_eq_u64_e32 vcc_lo, 1, v[2:3]
	s_cmp_eq_u64 s[16:17], 1
	s_mov_b32 s26, -1
	s_cselect_b32 s8, -1, 0
                                        ; implicit-def: $sgpr18
                                        ; implicit-def: $sgpr9
	s_delay_alu instid0(SALU_CYCLE_1) | instskip(NEXT) | instid1(SALU_CYCLE_1)
	s_and_b32 s58, s8, vcc_lo
                                        ; implicit-def: $sgpr8
	s_and_saveexec_b32 s59, s58
	s_cbranch_execz .LBB174_266
; %bb.228:                              ;   in Loop: Header=BB174_18 Depth=1
	ds_load_b64 v[4:5], v13 offset:5120
	s_waitcnt lgkmcnt(0)
	s_barrier
	buffer_gl0_inv
	v_readfirstlane_b32 s18, v4
	v_readfirstlane_b32 s19, v5
	s_and_saveexec_b32 s8, s6
	s_cbranch_execz .LBB174_230
; %bb.229:                              ;   in Loop: Header=BB174_18 Depth=1
	ds_store_b16 v26, v13
.LBB174_230:                            ;   in Loop: Header=BB174_18 Depth=1
	s_or_b32 exec_lo, exec_lo, s8
	v_or_b32_e32 v8, s20, v8
	v_or_b32_e32 v9, s20, v9
	s_cmp_eq_u64 s[18:19], 0
	s_waitcnt lgkmcnt(0)
	s_barrier
	buffer_gl0_inv
	s_cbranch_scc1 .LBB174_235
; %bb.231:                              ;   in Loop: Header=BB174_18 Depth=1
	s_add_u32 s26, s86, s18
	s_addc_u32 s9, s87, s19
	s_mov_b32 s8, s71
	s_delay_alu instid0(SALU_CYCLE_1)
	s_cmp_lg_u64 s[8:9], 0
	s_cbranch_scc0 .LBB174_236
; %bb.232:                              ;   in Loop: Header=BB174_18 Depth=1
	v_cvt_f32_u32_e32 v4, s35
	s_sub_u32 s49, 0, s35
	s_subb_u32 s50, 0, 0
	s_delay_alu instid0(VALU_DEP_1) | instskip(NEXT) | instid1(VALU_DEP_1)
	v_fmac_f32_e64 v4, 0, 0x4f800000
	v_rcp_f32_e32 v4, v4
	s_waitcnt_depctr 0xfff
	v_mul_f32_e32 v4, 0x5f7ffffc, v4
	s_delay_alu instid0(VALU_DEP_1) | instskip(NEXT) | instid1(VALU_DEP_1)
	v_mul_f32_e32 v5, 0x2f800000, v4
	v_trunc_f32_e32 v5, v5
	s_delay_alu instid0(VALU_DEP_1) | instskip(SKIP_1) | instid1(VALU_DEP_2)
	v_fmac_f32_e32 v4, 0xcf800000, v5
	v_cvt_u32_f32_e32 v5, v5
	v_cvt_u32_f32_e32 v4, v4
	s_delay_alu instid0(VALU_DEP_2) | instskip(NEXT) | instid1(VALU_DEP_2)
	v_readfirstlane_b32 s8, v5
	v_readfirstlane_b32 s48, v4
	s_delay_alu instid0(VALU_DEP_2) | instskip(NEXT) | instid1(VALU_DEP_1)
	s_mul_i32 s51, s49, s8
	s_mul_hi_u32 s65, s49, s48
	s_mul_i32 s64, s50, s48
	s_add_i32 s51, s65, s51
	s_mul_i32 vcc_lo, s49, s48
	s_add_i32 s51, s51, s64
	s_mul_hi_u32 s65, s48, vcc_lo
	s_mul_hi_u32 s54, s48, s51
	s_mul_i32 s48, s48, s51
	s_mul_i32 s53, s8, vcc_lo
	s_add_u32 s48, s65, s48
	s_mul_hi_u32 s52, s8, vcc_lo
	s_addc_u32 s54, 0, s54
	s_mul_hi_u32 s55, s8, s51
	s_add_u32 s48, s48, s53
	s_mul_i32 s51, s8, s51
	s_addc_u32 s48, s54, s52
	s_addc_u32 s52, s55, 0
	s_add_u32 s48, s48, s51
	s_addc_u32 s51, 0, s52
	v_add_co_u32 v4, s48, v4, s48
	s_delay_alu instid0(VALU_DEP_1) | instskip(SKIP_1) | instid1(VALU_DEP_1)
	s_cmp_lg_u32 s48, 0
	s_addc_u32 s8, s8, s51
	v_readfirstlane_b32 s48, v4
	s_mul_i32 s51, s49, s8
	s_delay_alu instid0(VALU_DEP_1)
	s_mul_hi_u32 s52, s49, s48
	s_mul_i32 s50, s50, s48
	s_add_i32 s51, s52, s51
	s_mul_i32 s49, s49, s48
	s_add_i32 s51, s51, s50
	s_mul_hi_u32 s52, s8, s49
	s_mul_i32 s53, s8, s49
	s_mul_hi_u32 s49, s48, s49
	s_mul_hi_u32 s54, s48, s51
	s_mul_i32 s48, s48, s51
	s_mul_hi_u32 s50, s8, s51
	s_add_u32 s48, s49, s48
	s_addc_u32 s49, 0, s54
	s_add_u32 s48, s48, s53
	s_mul_i32 s51, s8, s51
	s_addc_u32 s48, s49, s52
	s_addc_u32 s49, s50, 0
	s_add_u32 s48, s48, s51
	s_addc_u32 s49, 0, s49
	v_add_co_u32 v4, s48, v4, s48
	s_delay_alu instid0(VALU_DEP_1) | instskip(SKIP_1) | instid1(VALU_DEP_1)
	s_cmp_lg_u32 s48, 0
	s_addc_u32 s8, s8, s49
	v_readfirstlane_b32 s48, v4
	s_mul_i32 s50, s26, s8
	s_mul_hi_u32 s49, s26, s8
	s_mul_hi_u32 s51, s9, s8
	s_mul_i32 s8, s9, s8
	s_mul_hi_u32 s52, s26, s48
	s_mul_hi_u32 s53, s9, s48
	s_mul_i32 s48, s9, s48
	s_add_u32 s50, s52, s50
	s_addc_u32 s49, 0, s49
	s_add_u32 s48, s50, s48
	s_addc_u32 s48, s49, s53
	s_addc_u32 s49, s51, 0
	s_add_u32 s8, s48, s8
	s_addc_u32 s48, 0, s49
	s_mul_hi_u32 s49, s35, s8
	s_mul_i32 s8, s35, s8
	s_mul_i32 s48, s35, s48
	v_sub_co_u32 v4, s8, s26, s8
	s_add_i32 s49, s49, s48
	s_cmp_lg_u32 s8, 0
	s_delay_alu instid0(VALU_DEP_1) | instskip(SKIP_3) | instid1(VALU_DEP_2)
	v_sub_co_u32 v5, s8, v4, s35
	s_subb_u32 s48, s9, s49
	s_cmp_lg_u32 s8, 0
	v_cmp_le_u32_e32 vcc_lo, s35, v4
	v_cmp_le_u32_e64 s8, s35, v5
	v_sub_co_u32 v6, s49, v5, s35
	s_subb_u32 s50, s48, 0
	s_cmp_lg_u32 s49, 0
	s_delay_alu instid0(VALU_DEP_2)
	v_cndmask_b32_e64 v7, 0, -1, s8
	s_subb_u32 s49, s50, 0
	s_cmp_eq_u32 s50, 0
	v_mov_b32_e32 v18, s49
	v_cndmask_b32_e64 v12, 0, -1, vcc_lo
	s_cselect_b32 vcc_lo, -1, 0
	s_cmp_eq_u32 s48, 0
	v_cndmask_b32_e32 v7, -1, v7, vcc_lo
	s_cselect_b32 vcc_lo, -1, 0
	v_cndmask_b32_e32 v12, -1, v12, vcc_lo
	s_delay_alu instid0(VALU_DEP_2) | instskip(NEXT) | instid1(VALU_DEP_2)
	v_cmp_ne_u32_e32 vcc_lo, 0, v7
	v_cmp_ne_u32_e64 s8, 0, v12
	v_cndmask_b32_e32 v7, s50, v18, vcc_lo
	v_cndmask_b32_e32 v6, v5, v6, vcc_lo
	s_delay_alu instid0(VALU_DEP_2) | instskip(NEXT) | instid1(VALU_DEP_2)
	v_cndmask_b32_e64 v5, s48, v7, s8
	v_cndmask_b32_e64 v4, v4, v6, s8
	s_mov_b32 s8, 0
	s_branch .LBB174_237
.LBB174_233:                            ;   in Loop: Header=BB174_18 Depth=1
                                        ; implicit-def: $vgpr2_vgpr3
	s_branch .LBB174_187
.LBB174_234:                            ;   in Loop: Header=BB174_18 Depth=1
                                        ; implicit-def: $vgpr2_vgpr3
	s_branch .LBB174_203
.LBB174_235:                            ;   in Loop: Header=BB174_18 Depth=1
	s_mov_b32 s8, -1
	s_mov_b32 s26, 0
                                        ; implicit-def: $sgpr9
                                        ; implicit-def: $vgpr18
	s_branch .LBB174_249
.LBB174_236:                            ;   in Loop: Header=BB174_18 Depth=1
	s_mov_b32 s8, -1
                                        ; implicit-def: $vgpr4_vgpr5
.LBB174_237:                            ;   in Loop: Header=BB174_18 Depth=1
	s_delay_alu instid0(SALU_CYCLE_1)
	s_and_not1_b32 vcc_lo, exec_lo, s8
	s_cbranch_vccnz .LBB174_239
; %bb.238:                              ;   in Loop: Header=BB174_18 Depth=1
	v_cvt_f32_u32_e32 v4, s35
	s_sub_i32 s8, 0, s35
	s_delay_alu instid0(VALU_DEP_1) | instskip(SKIP_2) | instid1(VALU_DEP_1)
	v_rcp_iflag_f32_e32 v4, v4
	s_waitcnt_depctr 0xfff
	v_mul_f32_e32 v4, 0x4f7ffffe, v4
	v_cvt_u32_f32_e32 v4, v4
	s_delay_alu instid0(VALU_DEP_1) | instskip(NEXT) | instid1(VALU_DEP_1)
	v_mul_lo_u32 v5, s8, v4
	v_mul_hi_u32 v5, v4, v5
	s_delay_alu instid0(VALU_DEP_1) | instskip(NEXT) | instid1(VALU_DEP_1)
	v_add_nc_u32_e32 v4, v4, v5
	v_mul_hi_u32 v4, s26, v4
	s_delay_alu instid0(VALU_DEP_1) | instskip(NEXT) | instid1(VALU_DEP_1)
	v_mul_lo_u32 v4, v4, s35
	v_sub_nc_u32_e32 v4, s26, v4
	s_delay_alu instid0(VALU_DEP_1) | instskip(SKIP_1) | instid1(VALU_DEP_2)
	v_subrev_nc_u32_e32 v5, s35, v4
	v_cmp_le_u32_e32 vcc_lo, s35, v4
	v_cndmask_b32_e32 v4, v4, v5, vcc_lo
	s_delay_alu instid0(VALU_DEP_1) | instskip(SKIP_1) | instid1(VALU_DEP_2)
	v_subrev_nc_u32_e32 v5, s35, v4
	v_cmp_le_u32_e32 vcc_lo, s35, v4
	v_cndmask_b32_e32 v12, v4, v5, vcc_lo
	s_delay_alu instid0(VALU_DEP_1)
	v_dual_mov_b32 v4, v12 :: v_dual_mov_b32 v5, v13
.LBB174_239:                            ;   in Loop: Header=BB174_18 Depth=1
	s_delay_alu instid0(VALU_DEP_1) | instskip(NEXT) | instid1(VALU_DEP_2)
	v_sub_co_u32 v4, vcc_lo, s26, v4
	v_sub_co_ci_u32_e32 v5, vcc_lo, s9, v5, vcc_lo
	s_mov_b32 s26, 0
	s_mov_b32 s9, exec_lo
                                        ; implicit-def: $vgpr18
	s_delay_alu instid0(VALU_DEP_1)
	v_cmpx_gt_u64_e64 v[4:5], v[0:1]
	s_cbranch_execz .LBB174_248
; %bb.240:                              ;   in Loop: Header=BB174_18 Depth=1
	v_mov_b32_e32 v12, v25
	v_dual_mov_b32 v7, v1 :: v_dual_mov_b32 v6, v0
                                        ; implicit-def: $sgpr64
	s_set_inst_prefetch_distance 0x1
	s_branch .LBB174_242
	.p2align	6
.LBB174_241:                            ;   in Loop: Header=BB174_242 Depth=2
	s_or_b32 exec_lo, exec_lo, s8
	s_waitcnt lgkmcnt(0)
	s_barrier
	buffer_gl0_inv
	ds_load_b32 v18, v13 offset:3072
	v_add_co_u32 v6, vcc_lo, v6, s35
	v_add_co_ci_u32_e32 v7, vcc_lo, 0, v7, vcc_lo
	v_add_nc_u32_e32 v12, s94, v12
	s_waitcnt lgkmcnt(0)
	s_barrier
	s_delay_alu instid0(VALU_DEP_2) | instskip(SKIP_2) | instid1(VALU_DEP_1)
	v_cmp_ge_u64_e32 vcc_lo, v[6:7], v[4:5]
	buffer_gl0_inv
	v_cmp_ne_u16_e64 s8, 0, v18
	s_or_b32 s48, vcc_lo, s8
	s_delay_alu instid0(SALU_CYCLE_1) | instskip(NEXT) | instid1(SALU_CYCLE_1)
	s_and_b32 s48, exec_lo, s48
	s_or_b32 s26, s48, s26
	s_and_not1_b32 s48, s64, exec_lo
	s_and_b32 s8, s8, exec_lo
	s_delay_alu instid0(SALU_CYCLE_1)
	s_or_b32 s64, s48, s8
	s_and_not1_b32 exec_lo, exec_lo, s26
	s_cbranch_execz .LBB174_247
.LBB174_242:                            ;   Parent Loop BB174_18 Depth=1
                                        ; =>  This Inner Loop Header: Depth=2
	s_delay_alu instid0(VALU_DEP_1)
	v_cmp_gt_u64_e32 vcc_lo, s[18:19], v[6:7]
	v_mov_b32_e32 v18, 0
	s_and_saveexec_b32 s8, vcc_lo
	s_cbranch_execz .LBB174_244
; %bb.243:                              ;   in Loop: Header=BB174_242 Depth=2
	ds_load_u16 v18, v12
.LBB174_244:                            ;   in Loop: Header=BB174_242 Depth=2
	s_or_b32 exec_lo, exec_lo, s8
	s_and_saveexec_b32 s8, vcc_lo
	s_cbranch_execz .LBB174_241
; %bb.245:                              ;   in Loop: Header=BB174_242 Depth=2
	s_waitcnt lgkmcnt(0)
	v_bfe_i32 v19, v18, 0, 16
	s_delay_alu instid0(VALU_DEP_1) | instskip(NEXT) | instid1(VALU_DEP_1)
	v_add_nc_u32_e32 v19, 0x8000, v19
	v_and_b32_e32 v19, v19, v9
	s_delay_alu instid0(VALU_DEP_1)
	v_cmp_eq_u32_e32 vcc_lo, v19, v8
	s_and_b32 exec_lo, exec_lo, vcc_lo
	s_cbranch_execz .LBB174_241
; %bb.246:                              ;   in Loop: Header=BB174_242 Depth=2
	v_perm_b32 v18, v18, 1, 0x5040100
	ds_store_b32 v13, v18 offset:3072
	s_branch .LBB174_241
.LBB174_247:                            ;   in Loop: Header=BB174_18 Depth=1
	s_set_inst_prefetch_distance 0x2
	s_or_b32 exec_lo, exec_lo, s26
	v_lshrrev_b32_e32 v18, 16, v18
	s_and_b32 s26, s64, exec_lo
.LBB174_248:                            ;   in Loop: Header=BB174_18 Depth=1
	s_or_b32 exec_lo, exec_lo, s9
	s_mov_b32 s9, -1
	s_mov_b32 s8, 0
.LBB174_249:                            ;   in Loop: Header=BB174_18 Depth=1
	s_delay_alu instid0(SALU_CYCLE_1)
	s_and_b32 vcc_lo, exec_lo, s8
	s_mov_b32 s18, s8
	s_cbranch_vccz .LBB174_265
; %bb.250:                              ;   in Loop: Header=BB174_18 Depth=1
	s_mov_b32 s26, s71
	s_delay_alu instid0(SALU_CYCLE_1)
	s_cmp_lg_u64 s[26:27], 0
	s_cbranch_scc0 .LBB174_252
; %bb.251:                              ;   in Loop: Header=BB174_18 Depth=1
	v_cvt_f32_u32_e32 v4, s35
	s_sub_u32 s18, 0, s35
	s_subb_u32 s19, 0, 0
	s_delay_alu instid0(VALU_DEP_1) | instskip(NEXT) | instid1(VALU_DEP_1)
	v_fmac_f32_e64 v4, 0, 0x4f800000
	v_rcp_f32_e32 v4, v4
	s_waitcnt_depctr 0xfff
	v_mul_f32_e32 v4, 0x5f7ffffc, v4
	s_delay_alu instid0(VALU_DEP_1) | instskip(NEXT) | instid1(VALU_DEP_1)
	v_mul_f32_e32 v5, 0x2f800000, v4
	v_trunc_f32_e32 v5, v5
	s_delay_alu instid0(VALU_DEP_1) | instskip(SKIP_1) | instid1(VALU_DEP_2)
	v_fmac_f32_e32 v4, 0xcf800000, v5
	v_cvt_u32_f32_e32 v5, v5
	v_cvt_u32_f32_e32 v4, v4
	s_delay_alu instid0(VALU_DEP_2) | instskip(NEXT) | instid1(VALU_DEP_2)
	v_readfirstlane_b32 s8, v5
	v_readfirstlane_b32 s9, v4
	s_delay_alu instid0(VALU_DEP_2) | instskip(NEXT) | instid1(VALU_DEP_1)
	s_mul_i32 s26, s18, s8
	s_mul_hi_u32 s49, s18, s9
	s_mul_i32 s48, s19, s9
	s_add_i32 s26, s49, s26
	s_mul_i32 s50, s18, s9
	s_add_i32 s26, s26, s48
	s_mul_hi_u32 s49, s9, s50
	s_mul_hi_u32 s51, s8, s50
	s_mul_i32 s48, s8, s50
	s_mul_hi_u32 s50, s9, s26
	s_mul_i32 s9, s9, s26
	s_mul_hi_u32 s52, s8, s26
	s_add_u32 s9, s49, s9
	s_addc_u32 s49, 0, s50
	s_add_u32 s9, s9, s48
	s_mul_i32 s26, s8, s26
	s_addc_u32 s9, s49, s51
	s_addc_u32 s48, s52, 0
	s_add_u32 s9, s9, s26
	s_addc_u32 s26, 0, s48
	v_add_co_u32 v4, s9, v4, s9
	s_delay_alu instid0(VALU_DEP_1) | instskip(SKIP_1) | instid1(VALU_DEP_1)
	s_cmp_lg_u32 s9, 0
	s_addc_u32 s8, s8, s26
	v_readfirstlane_b32 s9, v4
	s_mul_i32 s26, s18, s8
	s_delay_alu instid0(VALU_DEP_1)
	s_mul_hi_u32 s48, s18, s9
	s_mul_i32 s19, s19, s9
	s_add_i32 s26, s48, s26
	s_mul_i32 s18, s18, s9
	s_add_i32 s26, s26, s19
	s_mul_hi_u32 s48, s8, s18
	s_mul_i32 s49, s8, s18
	s_mul_hi_u32 s18, s9, s18
	s_mul_hi_u32 s50, s9, s26
	s_mul_i32 s9, s9, s26
	s_mul_hi_u32 s19, s8, s26
	s_add_u32 s9, s18, s9
	s_addc_u32 s18, 0, s50
	s_add_u32 s9, s9, s49
	s_mul_i32 s26, s8, s26
	s_addc_u32 s9, s18, s48
	s_addc_u32 s18, s19, 0
	s_add_u32 s9, s9, s26
	s_addc_u32 s18, 0, s18
	v_add_co_u32 v4, s9, v4, s9
	s_delay_alu instid0(VALU_DEP_1) | instskip(SKIP_1) | instid1(VALU_DEP_1)
	s_cmp_lg_u32 s9, 0
	s_addc_u32 s8, s8, s18
	v_readfirstlane_b32 s9, v4
	s_mul_i32 s19, s88, s8
	s_mul_hi_u32 s18, s88, s8
	s_mul_hi_u32 s26, s27, s8
	s_mul_i32 s8, s27, s8
	s_mul_hi_u32 s48, s88, s9
	s_mul_hi_u32 s49, s27, s9
	s_mul_i32 s9, s27, s9
	s_add_u32 s19, s48, s19
	s_addc_u32 s18, 0, s18
	s_add_u32 s9, s19, s9
	s_addc_u32 s9, s18, s49
	s_addc_u32 s18, s26, 0
	s_add_u32 s8, s9, s8
	s_addc_u32 s9, 0, s18
	s_mul_hi_u32 s18, s35, s8
	s_mul_i32 s8, s35, s8
	s_mul_i32 s9, s35, s9
	v_sub_co_u32 v4, s8, s88, s8
	s_add_i32 s18, s18, s9
	s_cmp_lg_u32 s8, 0
	s_delay_alu instid0(VALU_DEP_1) | instskip(SKIP_3) | instid1(VALU_DEP_2)
	v_sub_co_u32 v5, s8, v4, s35
	s_subb_u32 s9, s27, s18
	s_cmp_lg_u32 s8, 0
	v_cmp_le_u32_e32 vcc_lo, s35, v4
	v_cmp_le_u32_e64 s8, s35, v5
	v_sub_co_u32 v6, s18, v5, s35
	s_subb_u32 s19, s9, 0
	s_cmp_lg_u32 s18, 0
	s_delay_alu instid0(VALU_DEP_2)
	v_cndmask_b32_e64 v7, 0, -1, s8
	s_subb_u32 s18, s19, 0
	s_cmp_eq_u32 s19, 0
	v_mov_b32_e32 v18, s18
	v_cndmask_b32_e64 v12, 0, -1, vcc_lo
	s_cselect_b32 vcc_lo, -1, 0
	s_cmp_eq_u32 s9, 0
	v_cndmask_b32_e32 v7, -1, v7, vcc_lo
	s_cselect_b32 vcc_lo, -1, 0
	v_cndmask_b32_e32 v12, -1, v12, vcc_lo
	s_delay_alu instid0(VALU_DEP_2) | instskip(NEXT) | instid1(VALU_DEP_2)
	v_cmp_ne_u32_e32 vcc_lo, 0, v7
	v_cmp_ne_u32_e64 s8, 0, v12
	v_cndmask_b32_e32 v7, s19, v18, vcc_lo
	v_cndmask_b32_e32 v6, v5, v6, vcc_lo
	s_delay_alu instid0(VALU_DEP_2) | instskip(NEXT) | instid1(VALU_DEP_2)
	v_cndmask_b32_e64 v5, s9, v7, s8
	v_cndmask_b32_e64 v4, v4, v6, s8
	s_mov_b32 s8, 0
	s_branch .LBB174_253
.LBB174_252:                            ;   in Loop: Header=BB174_18 Depth=1
	s_mov_b32 s8, -1
                                        ; implicit-def: $vgpr4_vgpr5
.LBB174_253:                            ;   in Loop: Header=BB174_18 Depth=1
	s_delay_alu instid0(SALU_CYCLE_1)
	s_and_not1_b32 vcc_lo, exec_lo, s8
	s_cbranch_vccnz .LBB174_255
; %bb.254:                              ;   in Loop: Header=BB174_18 Depth=1
	v_cvt_f32_u32_e32 v4, s35
	s_sub_i32 s8, 0, s35
	s_delay_alu instid0(VALU_DEP_1) | instskip(SKIP_2) | instid1(VALU_DEP_1)
	v_rcp_iflag_f32_e32 v4, v4
	s_waitcnt_depctr 0xfff
	v_mul_f32_e32 v4, 0x4f7ffffe, v4
	v_cvt_u32_f32_e32 v4, v4
	s_delay_alu instid0(VALU_DEP_1) | instskip(NEXT) | instid1(VALU_DEP_1)
	v_mul_lo_u32 v5, s8, v4
	v_mul_hi_u32 v5, v4, v5
	s_delay_alu instid0(VALU_DEP_1) | instskip(NEXT) | instid1(VALU_DEP_1)
	v_add_nc_u32_e32 v4, v4, v5
	v_mul_hi_u32 v4, s88, v4
	s_delay_alu instid0(VALU_DEP_1) | instskip(NEXT) | instid1(VALU_DEP_1)
	v_mul_lo_u32 v4, v4, s35
	v_sub_nc_u32_e32 v4, s88, v4
	s_delay_alu instid0(VALU_DEP_1) | instskip(SKIP_1) | instid1(VALU_DEP_2)
	v_subrev_nc_u32_e32 v5, s35, v4
	v_cmp_le_u32_e32 vcc_lo, s35, v4
	v_cndmask_b32_e32 v4, v4, v5, vcc_lo
	s_delay_alu instid0(VALU_DEP_1) | instskip(SKIP_1) | instid1(VALU_DEP_2)
	v_subrev_nc_u32_e32 v5, s35, v4
	v_cmp_le_u32_e32 vcc_lo, s35, v4
	v_cndmask_b32_e32 v12, v4, v5, vcc_lo
	s_delay_alu instid0(VALU_DEP_1)
	v_dual_mov_b32 v4, v12 :: v_dual_mov_b32 v5, v13
.LBB174_255:                            ;   in Loop: Header=BB174_18 Depth=1
	s_delay_alu instid0(VALU_DEP_1) | instskip(NEXT) | instid1(VALU_DEP_2)
	v_sub_co_u32 v4, vcc_lo, s88, v4
	v_sub_co_ci_u32_e32 v5, vcc_lo, s27, v5, vcc_lo
	s_mov_b32 s26, 0
	s_mov_b32 s9, exec_lo
                                        ; implicit-def: $vgpr18
	s_delay_alu instid0(VALU_DEP_1)
	v_cmpx_gt_u64_e64 v[4:5], v[0:1]
	s_cbranch_execz .LBB174_264
; %bb.256:                              ;   in Loop: Header=BB174_18 Depth=1
	v_dual_mov_b32 v7, v1 :: v_dual_mov_b32 v6, v0
	s_mov_b32 s18, 0
                                        ; implicit-def: $sgpr19
	s_branch .LBB174_258
.LBB174_257:                            ;   in Loop: Header=BB174_258 Depth=2
	s_or_b32 exec_lo, exec_lo, s8
	s_waitcnt vmcnt(0) lgkmcnt(0)
	s_barrier
	buffer_gl0_inv
	ds_load_b32 v12, v13 offset:3072
	v_add_co_u32 v6, vcc_lo, v6, s35
	v_add_co_ci_u32_e32 v7, vcc_lo, 0, v7, vcc_lo
	s_waitcnt lgkmcnt(0)
	s_barrier
	buffer_gl0_inv
	v_cmp_ge_u64_e32 vcc_lo, v[6:7], v[4:5]
	v_cmp_ne_u16_e64 s8, 0, v12
	s_delay_alu instid0(VALU_DEP_1) | instskip(NEXT) | instid1(SALU_CYCLE_1)
	s_or_b32 s26, vcc_lo, s8
	s_and_b32 s26, exec_lo, s26
	s_delay_alu instid0(SALU_CYCLE_1) | instskip(SKIP_2) | instid1(SALU_CYCLE_1)
	s_or_b32 s18, s26, s18
	s_and_not1_b32 s19, s19, exec_lo
	s_and_b32 s8, s8, exec_lo
	s_or_b32 s19, s19, s8
	s_and_not1_b32 exec_lo, exec_lo, s18
	s_cbranch_execz .LBB174_263
.LBB174_258:                            ;   Parent Loop BB174_18 Depth=1
                                        ; =>  This Inner Loop Header: Depth=2
	s_delay_alu instid0(VALU_DEP_1)
	v_cmp_gt_u64_e32 vcc_lo, s[36:37], v[6:7]
	v_mov_b32_e32 v12, 0
	s_and_saveexec_b32 s26, vcc_lo
	s_cbranch_execz .LBB174_260
; %bb.259:                              ;   in Loop: Header=BB174_258 Depth=2
	v_mul_lo_u32 v12, v7, s30
	v_mul_lo_u32 v20, v6, s31
	v_mad_u64_u32 v[18:19], null, v6, s30, 0
	s_delay_alu instid0(VALU_DEP_1) | instskip(NEXT) | instid1(VALU_DEP_1)
	v_add3_u32 v19, v19, v20, v12
	v_lshlrev_b64 v[18:19], 1, v[18:19]
	s_delay_alu instid0(VALU_DEP_1) | instskip(NEXT) | instid1(VALU_DEP_1)
	v_add_co_u32 v18, s8, s29, v18
	v_add_co_ci_u32_e64 v19, s8, s33, v19, s8
	global_load_u16 v12, v[18:19], off
.LBB174_260:                            ;   in Loop: Header=BB174_258 Depth=2
	s_or_b32 exec_lo, exec_lo, s26
	s_and_saveexec_b32 s8, vcc_lo
	s_cbranch_execz .LBB174_257
; %bb.261:                              ;   in Loop: Header=BB174_258 Depth=2
	s_waitcnt vmcnt(0)
	v_bfe_i32 v18, v12, 0, 16
	s_delay_alu instid0(VALU_DEP_1) | instskip(NEXT) | instid1(VALU_DEP_1)
	v_add_nc_u32_e32 v18, 0x8000, v18
	v_and_b32_e32 v18, v18, v9
	s_delay_alu instid0(VALU_DEP_1)
	v_cmp_eq_u32_e32 vcc_lo, v18, v8
	s_and_b32 exec_lo, exec_lo, vcc_lo
	s_cbranch_execz .LBB174_257
; %bb.262:                              ;   in Loop: Header=BB174_258 Depth=2
	v_perm_b32 v12, v12, 1, 0x5040100
	ds_store_b32 v13, v12 offset:3072
	s_branch .LBB174_257
.LBB174_263:                            ;   in Loop: Header=BB174_18 Depth=1
	s_or_b32 exec_lo, exec_lo, s18
	v_lshrrev_b32_e32 v18, 16, v12
	s_and_b32 s26, s19, exec_lo
.LBB174_264:                            ;   in Loop: Header=BB174_18 Depth=1
	s_or_b32 exec_lo, exec_lo, s9
	s_mov_b32 s18, -1
	s_mov_b32 s8, 0
	s_mov_b32 s9, 0
.LBB174_265:                            ;   in Loop: Header=BB174_18 Depth=1
	s_or_not1_b32 s26, s26, exec_lo
.LBB174_266:                            ;   in Loop: Header=BB174_18 Depth=1
	s_or_b32 exec_lo, exec_lo, s59
	s_mov_b32 s59, 0
                                        ; implicit-def: $vgpr6
                                        ; implicit-def: $vgpr4_vgpr5
	s_and_saveexec_b32 s19, s26
	s_cbranch_execz .LBB174_278
; %bb.267:                              ;   in Loop: Header=BB174_18 Depth=1
	v_mov_b32_e32 v4, 1
	v_dual_mov_b32 v5, 0 :: v_dual_mov_b32 v6, 1
	s_xor_b32 s48, s58, -1
	s_delay_alu instid0(SALU_CYCLE_1)
	s_and_saveexec_b32 s26, s48
	s_cbranch_execz .LBB174_277
; %bb.268:                              ;   in Loop: Header=BB174_18 Depth=1
                                        ; implicit-def: $sgpr59
	s_mov_b32 s48, exec_lo
	v_cmpx_ge_u64_e64 s[16:17], v[2:3]
	s_xor_b32 s58, exec_lo, s48
	s_cbranch_execz .LBB174_274
; %bb.269:                              ;   in Loop: Header=BB174_18 Depth=1
	ds_load_b64 v[4:5], v13 offset:5120
	s_waitcnt lgkmcnt(0)
	v_cmp_ne_u64_e32 vcc_lo, 0, v[4:5]
	s_cbranch_vccnz .LBB174_273
; %bb.270:                              ;   in Loop: Header=BB174_18 Depth=1
	s_and_saveexec_b32 s59, s5
	s_cbranch_execz .LBB174_272
; %bb.271:                              ;   in Loop: Header=BB174_18 Depth=1
	v_dual_mov_b32 v4, s16 :: v_dual_mov_b32 v5, s17
	ds_store_b64 v13, v[4:5] offset:5128
.LBB174_272:                            ;   in Loop: Header=BB174_18 Depth=1
	s_or_b32 exec_lo, exec_lo, s59
	s_waitcnt lgkmcnt(0)
	s_barrier
	buffer_gl0_inv
.LBB174_273:                            ;   in Loop: Header=BB174_18 Depth=1
	v_or_b32_e32 v8, s20, v8
	v_or_b32_e32 v9, s20, v9
	s_mov_b32 s59, 8
.LBB174_274:                            ;   in Loop: Header=BB174_18 Depth=1
	s_or_saveexec_b32 s58, s58
	v_mov_b32_e32 v6, s59
	s_xor_b32 exec_lo, exec_lo, s58
; %bb.275:                              ;   in Loop: Header=BB174_18 Depth=1
	v_sub_co_u32 v2, vcc_lo, v2, s16
	v_subrev_co_ci_u32_e32 v3, vcc_lo, s17, v3, vcc_lo
	v_mov_b32_e32 v6, 8
; %bb.276:                              ;   in Loop: Header=BB174_18 Depth=1
	s_or_b32 exec_lo, exec_lo, s58
	s_delay_alu instid0(VALU_DEP_2)
	v_dual_mov_b32 v5, v3 :: v_dual_mov_b32 v4, v2
.LBB174_277:                            ;   in Loop: Header=BB174_18 Depth=1
	s_or_b32 exec_lo, exec_lo, s26
	s_delay_alu instid0(SALU_CYCLE_1)
	s_mov_b32 s59, exec_lo
.LBB174_278:                            ;   in Loop: Header=BB174_18 Depth=1
	s_or_b32 exec_lo, exec_lo, s19
	s_delay_alu instid0(VALU_DEP_1)
	v_dual_mov_b32 v2, v4 :: v_dual_mov_b32 v3, v5
	s_or_not1_b32 s19, s59, exec_lo
.LBB174_279:                            ;   in Loop: Header=BB174_18 Depth=1
	s_or_b32 exec_lo, exec_lo, s69
	s_delay_alu instid0(SALU_CYCLE_1)
	s_and_not1_b32 s26, s81, exec_lo
	s_and_b32 s8, s8, exec_lo
	v_dual_mov_b32 v5, v3 :: v_dual_mov_b32 v4, v2
	s_or_b32 s81, s26, s8
	s_and_not1_b32 s8, s83, exec_lo
	s_and_b32 s18, s18, exec_lo
	s_and_not1_b32 s26, s82, exec_lo
	s_and_b32 s9, s9, exec_lo
	s_or_b32 s83, s8, s18
	s_or_b32 s82, s26, s9
	s_and_b32 s26, s19, exec_lo
.LBB174_280:                            ;   in Loop: Header=BB174_18 Depth=1
	s_or_b32 exec_lo, exec_lo, s68
	s_delay_alu instid0(SALU_CYCLE_1)
	s_and_b32 s19, s81, exec_lo
	s_and_b32 s18, s83, exec_lo
	;; [unrolled: 1-line block ×3, first 2 shown]
	s_or_not1_b32 s8, s26, exec_lo
.LBB174_281:                            ;   in Loop: Header=BB174_18 Depth=1
	s_or_b32 exec_lo, exec_lo, s80
	s_delay_alu instid0(SALU_CYCLE_1)
	s_and_not1_b32 s25, s25, exec_lo
	s_and_b32 s19, s19, exec_lo
	v_dual_mov_b32 v2, v4 :: v_dual_mov_b32 v3, v5
	s_or_b32 s25, s25, s19
	s_and_not1_b32 s19, s78, exec_lo
	s_and_b32 s18, s18, exec_lo
	s_and_not1_b32 s26, s77, exec_lo
	s_and_b32 s9, s9, exec_lo
	s_or_b32 s78, s19, s18
	s_or_b32 s77, s26, s9
	s_and_b32 s26, s8, exec_lo
.LBB174_282:                            ;   in Loop: Header=BB174_18 Depth=1
	s_or_b32 exec_lo, exec_lo, s79
	s_delay_alu instid0(SALU_CYCLE_1)
	s_and_b32 s19, s25, exec_lo
	s_and_b32 s18, s78, exec_lo
	;; [unrolled: 1-line block ×3, first 2 shown]
	s_or_not1_b32 s25, s26, exec_lo
.LBB174_283:                            ;   in Loop: Header=BB174_18 Depth=1
	s_or_b32 exec_lo, exec_lo, s24
	s_mov_b32 s8, 0
	s_mov_b32 s24, 0
	s_and_saveexec_b32 s26, s25
	s_delay_alu instid0(SALU_CYCLE_1)
	s_xor_b32 s25, exec_lo, s26
; %bb.284:                              ;   in Loop: Header=BB174_18 Depth=1
	v_cmp_ne_u32_e32 vcc_lo, 8, v6
	v_cmp_eq_u32_e64 s8, 8, v6
	s_and_not1_b32 s19, s19, exec_lo
	s_and_not1_b32 s18, s18, exec_lo
	s_and_not1_b32 s9, s9, exec_lo
	s_and_b32 s24, vcc_lo, exec_lo
	s_and_b32 s8, s8, exec_lo
; %bb.285:                              ;   in Loop: Header=BB174_18 Depth=1
	s_or_b32 exec_lo, exec_lo, s25
	s_delay_alu instid0(SALU_CYCLE_1)
	s_and_not1_b32 s23, s23, exec_lo
	s_and_b32 s19, s19, exec_lo
	s_and_b32 s18, s18, exec_lo
	s_or_b32 s23, s23, s19
	s_and_not1_b32 s19, s74, exec_lo
	s_and_not1_b32 s25, s70, exec_lo
	s_and_b32 s9, s9, exec_lo
	s_or_b32 s74, s19, s18
	s_or_b32 s70, s25, s9
	s_and_b32 s24, s24, exec_lo
	s_and_b32 s25, s8, exec_lo
.LBB174_286:                            ;   in Loop: Header=BB174_18 Depth=1
	s_or_b32 exec_lo, exec_lo, s76
	s_delay_alu instid0(SALU_CYCLE_1)
	s_and_b32 vcc_lo, exec_lo, s75
	s_cbranch_vccz .LBB174_105
.LBB174_287:                            ;   in Loop: Header=BB174_18 Depth=1
	s_cmp_eq_u64 s[16:17], 1
                                        ; implicit-def: $sgpr18
                                        ; implicit-def: $sgpr19
                                        ; implicit-def: $sgpr23
	s_cselect_b32 s8, -1, 0
	s_delay_alu instid0(SALU_CYCLE_1)
	s_and_b32 s58, s8, s7
	s_mov_b32 s7, -1
	s_and_saveexec_b32 s59, s58
	s_cbranch_execz .LBB174_319
; %bb.288:                              ;   in Loop: Header=BB174_18 Depth=1
	ds_load_b64 v[2:3], v13 offset:5120
	s_waitcnt lgkmcnt(0)
	s_barrier
	buffer_gl0_inv
	v_readfirstlane_b32 s8, v2
	v_readfirstlane_b32 s9, v3
	s_and_saveexec_b32 s7, s6
	s_cbranch_execz .LBB174_290
; %bb.289:                              ;   in Loop: Header=BB174_18 Depth=1
	ds_store_b16 v26, v13
.LBB174_290:                            ;   in Loop: Header=BB174_18 Depth=1
	s_or_b32 exec_lo, exec_lo, s7
	v_or_b32_e32 v30, s20, v30
	v_or_b32_e32 v29, s20, v29
	s_cmp_eq_u64 s[8:9], 0
	s_waitcnt lgkmcnt(0)
	s_barrier
	buffer_gl0_inv
	s_cbranch_scc1 .LBB174_302
; %bb.291:                              ;   in Loop: Header=BB174_18 Depth=1
	s_add_u32 s23, s86, s8
	s_addc_u32 s19, s87, s9
	s_mov_b32 s18, s71
	s_delay_alu instid0(SALU_CYCLE_1)
	s_cmp_lg_u64 s[18:19], 0
	s_cbranch_scc0 .LBB174_346
; %bb.292:                              ;   in Loop: Header=BB174_18 Depth=1
	v_cvt_f32_u32_e32 v2, s35
	s_sub_u32 s26, 0, s35
	s_subb_u32 s64, 0, 0
	s_delay_alu instid0(VALU_DEP_1) | instskip(NEXT) | instid1(VALU_DEP_1)
	v_fmac_f32_e64 v2, 0, 0x4f800000
	v_rcp_f32_e32 v2, v2
	s_waitcnt_depctr 0xfff
	v_mul_f32_e32 v2, 0x5f7ffffc, v2
	s_delay_alu instid0(VALU_DEP_1) | instskip(NEXT) | instid1(VALU_DEP_1)
	v_mul_f32_e32 v3, 0x2f800000, v2
	v_trunc_f32_e32 v3, v3
	s_delay_alu instid0(VALU_DEP_1) | instskip(SKIP_1) | instid1(VALU_DEP_2)
	v_fmac_f32_e32 v2, 0xcf800000, v3
	v_cvt_u32_f32_e32 v3, v3
	v_cvt_u32_f32_e32 v2, v2
	s_delay_alu instid0(VALU_DEP_2) | instskip(NEXT) | instid1(VALU_DEP_2)
	v_readfirstlane_b32 s7, v3
	v_readfirstlane_b32 s18, v2
	s_delay_alu instid0(VALU_DEP_2) | instskip(NEXT) | instid1(VALU_DEP_1)
	s_mul_i32 s65, s26, s7
	s_mul_hi_u32 s69, s26, s18
	s_mul_i32 s68, s64, s18
	s_add_i32 s65, s69, s65
	s_mul_i32 s70, s26, s18
	s_add_i32 s65, s65, s68
	s_mul_hi_u32 s69, s18, s70
	s_mul_hi_u32 s74, s7, s70
	s_mul_i32 s68, s7, s70
	s_mul_hi_u32 s70, s18, s65
	s_mul_i32 s18, s18, s65
	s_mul_hi_u32 s75, s7, s65
	s_add_u32 s18, s69, s18
	s_addc_u32 s69, 0, s70
	s_add_u32 s18, s18, s68
	s_mul_i32 s65, s7, s65
	s_addc_u32 s18, s69, s74
	s_addc_u32 s68, s75, 0
	s_add_u32 s18, s18, s65
	s_addc_u32 s65, 0, s68
	v_add_co_u32 v2, s18, v2, s18
	s_delay_alu instid0(VALU_DEP_1) | instskip(SKIP_1) | instid1(VALU_DEP_1)
	s_cmp_lg_u32 s18, 0
	s_addc_u32 s7, s7, s65
	v_readfirstlane_b32 s18, v2
	s_mul_i32 s65, s26, s7
	s_delay_alu instid0(VALU_DEP_1)
	s_mul_hi_u32 s68, s26, s18
	s_mul_i32 s64, s64, s18
	s_add_i32 s65, s68, s65
	s_mul_i32 s26, s26, s18
	s_add_i32 s65, s65, s64
	s_mul_hi_u32 s68, s7, s26
	s_mul_i32 s69, s7, s26
	s_mul_hi_u32 s26, s18, s26
	s_mul_hi_u32 s70, s18, s65
	s_mul_i32 s18, s18, s65
	s_mul_hi_u32 s64, s7, s65
	s_add_u32 s18, s26, s18
	s_addc_u32 s26, 0, s70
	s_add_u32 s18, s18, s69
	s_mul_i32 s65, s7, s65
	s_addc_u32 s18, s26, s68
	s_addc_u32 s26, s64, 0
	s_add_u32 s18, s18, s65
	s_addc_u32 s26, 0, s26
	v_add_co_u32 v2, s18, v2, s18
	s_delay_alu instid0(VALU_DEP_1) | instskip(SKIP_1) | instid1(VALU_DEP_1)
	s_cmp_lg_u32 s18, 0
	s_addc_u32 s7, s7, s26
	v_readfirstlane_b32 s18, v2
	s_mul_i32 s64, s23, s7
	s_mul_hi_u32 s26, s23, s7
	s_mul_hi_u32 s65, s19, s7
	s_mul_i32 s7, s19, s7
	s_mul_hi_u32 s68, s23, s18
	s_mul_hi_u32 s69, s19, s18
	s_mul_i32 s18, s19, s18
	s_add_u32 s64, s68, s64
	s_addc_u32 s26, 0, s26
	s_add_u32 s18, s64, s18
	s_addc_u32 s18, s26, s69
	s_addc_u32 s26, s65, 0
	s_add_u32 s7, s18, s7
	s_addc_u32 s18, 0, s26
	s_mul_hi_u32 s26, s35, s7
	s_mul_i32 s7, s35, s7
	s_mul_i32 s18, s35, s18
	v_sub_co_u32 v2, s7, s23, s7
	s_add_i32 s26, s26, s18
	s_cmp_lg_u32 s7, 0
	s_delay_alu instid0(VALU_DEP_1) | instskip(SKIP_2) | instid1(VALU_DEP_1)
	v_sub_co_u32 v3, s7, v2, s35
	s_subb_u32 s18, s19, s26
	s_cmp_lg_u32 s7, 0
	v_cmp_le_u32_e32 vcc_lo, s35, v3
	v_sub_co_u32 v4, s7, v3, s35
	s_subb_u32 s26, s18, 0
	s_cmp_lg_u32 s7, 0
	v_cndmask_b32_e64 v5, 0, -1, vcc_lo
	s_subb_u32 s7, s26, 0
	s_cmp_eq_u32 s26, 0
	v_mov_b32_e32 v7, s7
	s_cselect_b32 vcc_lo, -1, 0
	s_cmp_eq_u32 s18, 0
	v_cndmask_b32_e32 v5, -1, v5, vcc_lo
	v_cmp_le_u32_e32 vcc_lo, s35, v2
	s_cselect_b32 s7, -1, 0
	v_cndmask_b32_e64 v6, 0, -1, vcc_lo
	s_delay_alu instid0(VALU_DEP_3) | instskip(NEXT) | instid1(VALU_DEP_2)
	v_cmp_ne_u32_e32 vcc_lo, 0, v5
	v_cndmask_b32_e64 v5, -1, v6, s7
	v_cndmask_b32_e32 v6, s26, v7, vcc_lo
	v_cndmask_b32_e32 v4, v3, v4, vcc_lo
	s_delay_alu instid0(VALU_DEP_3) | instskip(NEXT) | instid1(VALU_DEP_3)
	v_cmp_ne_u32_e32 vcc_lo, 0, v5
	v_cndmask_b32_e32 v3, s18, v6, vcc_lo
	s_delay_alu instid0(VALU_DEP_3)
	v_cndmask_b32_e32 v2, v2, v4, vcc_lo
	s_cbranch_execnz .LBB174_294
.LBB174_293:                            ;   in Loop: Header=BB174_18 Depth=1
	v_cvt_f32_u32_e32 v2, s35
	s_sub_i32 s7, 0, s35
	s_delay_alu instid0(VALU_DEP_1) | instskip(SKIP_2) | instid1(VALU_DEP_1)
	v_rcp_iflag_f32_e32 v2, v2
	s_waitcnt_depctr 0xfff
	v_mul_f32_e32 v2, 0x4f7ffffe, v2
	v_cvt_u32_f32_e32 v2, v2
	s_delay_alu instid0(VALU_DEP_1) | instskip(NEXT) | instid1(VALU_DEP_1)
	v_mul_lo_u32 v3, s7, v2
	v_mul_hi_u32 v3, v2, v3
	s_delay_alu instid0(VALU_DEP_1) | instskip(NEXT) | instid1(VALU_DEP_1)
	v_add_nc_u32_e32 v2, v2, v3
	v_mul_hi_u32 v2, s23, v2
	s_delay_alu instid0(VALU_DEP_1) | instskip(NEXT) | instid1(VALU_DEP_1)
	v_mul_lo_u32 v2, v2, s35
	v_sub_nc_u32_e32 v2, s23, v2
	s_delay_alu instid0(VALU_DEP_1) | instskip(SKIP_1) | instid1(VALU_DEP_2)
	v_subrev_nc_u32_e32 v3, s35, v2
	v_cmp_le_u32_e32 vcc_lo, s35, v2
	v_cndmask_b32_e32 v2, v2, v3, vcc_lo
	s_delay_alu instid0(VALU_DEP_1) | instskip(SKIP_1) | instid1(VALU_DEP_2)
	v_subrev_nc_u32_e32 v3, s35, v2
	v_cmp_le_u32_e32 vcc_lo, s35, v2
	v_cndmask_b32_e32 v12, v2, v3, vcc_lo
	s_delay_alu instid0(VALU_DEP_1)
	v_dual_mov_b32 v2, v12 :: v_dual_mov_b32 v3, v13
.LBB174_294:                            ;   in Loop: Header=BB174_18 Depth=1
	s_delay_alu instid0(VALU_DEP_1) | instskip(NEXT) | instid1(VALU_DEP_2)
	v_sub_co_u32 v2, vcc_lo, s23, v2
	v_sub_co_ci_u32_e32 v3, vcc_lo, s19, v3, vcc_lo
	s_mov_b32 s7, 0
	s_mov_b32 s18, exec_lo
                                        ; implicit-def: $vgpr31
	s_delay_alu instid0(VALU_DEP_1)
	v_cmpx_gt_u64_e64 v[2:3], v[0:1]
	s_cbranch_execz .LBB174_304
; %bb.295:                              ;   in Loop: Header=BB174_18 Depth=1
	v_mov_b32_e32 v6, v25
	v_dual_mov_b32 v5, v1 :: v_dual_mov_b32 v4, v0
	s_mov_b32 s19, 0
                                        ; implicit-def: $sgpr23
	s_set_inst_prefetch_distance 0x1
	s_branch .LBB174_297
	.p2align	6
.LBB174_296:                            ;   in Loop: Header=BB174_297 Depth=2
	s_or_b32 exec_lo, exec_lo, s7
	s_waitcnt lgkmcnt(0)
	s_barrier
	buffer_gl0_inv
	ds_load_b32 v7, v13 offset:3072
	v_add_co_u32 v4, vcc_lo, v4, s35
	v_add_co_ci_u32_e32 v5, vcc_lo, 0, v5, vcc_lo
	v_add_nc_u32_e32 v6, s94, v6
	s_waitcnt lgkmcnt(0)
	s_barrier
	s_delay_alu instid0(VALU_DEP_2) | instskip(SKIP_2) | instid1(VALU_DEP_1)
	v_cmp_ge_u64_e32 vcc_lo, v[4:5], v[2:3]
	buffer_gl0_inv
	v_cmp_ne_u16_e64 s7, 0, v7
	s_or_b32 s26, vcc_lo, s7
	s_delay_alu instid0(SALU_CYCLE_1) | instskip(NEXT) | instid1(SALU_CYCLE_1)
	s_and_b32 s26, exec_lo, s26
	s_or_b32 s19, s26, s19
	s_and_not1_b32 s23, s23, exec_lo
	s_and_b32 s7, s7, exec_lo
	s_delay_alu instid0(SALU_CYCLE_1)
	s_or_b32 s23, s23, s7
	s_and_not1_b32 exec_lo, exec_lo, s19
	s_cbranch_execz .LBB174_303
.LBB174_297:                            ;   Parent Loop BB174_18 Depth=1
                                        ; =>  This Inner Loop Header: Depth=2
	s_delay_alu instid0(VALU_DEP_1)
	v_cmp_gt_u64_e32 vcc_lo, s[8:9], v[4:5]
	v_mov_b32_e32 v7, 0
	s_and_saveexec_b32 s7, vcc_lo
	s_cbranch_execz .LBB174_299
; %bb.298:                              ;   in Loop: Header=BB174_297 Depth=2
	ds_load_u16 v7, v6
.LBB174_299:                            ;   in Loop: Header=BB174_297 Depth=2
	s_or_b32 exec_lo, exec_lo, s7
	s_and_saveexec_b32 s7, vcc_lo
	s_cbranch_execz .LBB174_296
; %bb.300:                              ;   in Loop: Header=BB174_297 Depth=2
	s_waitcnt lgkmcnt(0)
	v_bfe_i32 v8, v7, 0, 16
	s_delay_alu instid0(VALU_DEP_1) | instskip(NEXT) | instid1(VALU_DEP_1)
	v_add_nc_u32_e32 v8, 0x8000, v8
	v_and_b32_e32 v8, v8, v29
	s_delay_alu instid0(VALU_DEP_1)
	v_cmp_eq_u32_e32 vcc_lo, v8, v30
	s_and_b32 exec_lo, exec_lo, vcc_lo
	s_cbranch_execz .LBB174_296
; %bb.301:                              ;   in Loop: Header=BB174_297 Depth=2
	v_perm_b32 v7, v7, 1, 0x5040100
	ds_store_b32 v13, v7 offset:3072
	s_branch .LBB174_296
.LBB174_302:                            ;   in Loop: Header=BB174_18 Depth=1
	s_mov_b32 s18, -1
	s_mov_b32 s7, 0
                                        ; implicit-def: $sgpr19
                                        ; implicit-def: $vgpr31
	s_mov_b32 s23, s18
	s_cbranch_execnz .LBB174_305
	s_branch .LBB174_318
.LBB174_303:                            ;   in Loop: Header=BB174_18 Depth=1
	s_set_inst_prefetch_distance 0x2
	s_or_b32 exec_lo, exec_lo, s19
	v_lshrrev_b32_e32 v31, 16, v7
	s_and_b32 s7, s23, exec_lo
.LBB174_304:                            ;   in Loop: Header=BB174_18 Depth=1
	s_or_b32 exec_lo, exec_lo, s18
	s_mov_b32 s18, 0
	s_mov_b32 s19, -1
	s_mov_b32 s23, s18
	s_branch .LBB174_318
.LBB174_305:                            ;   in Loop: Header=BB174_18 Depth=1
	s_mov_b32 s26, s71
	s_delay_alu instid0(SALU_CYCLE_1)
	s_cmp_lg_u64 s[26:27], 0
	s_cbranch_scc0 .LBB174_347
; %bb.306:                              ;   in Loop: Header=BB174_18 Depth=1
	v_cvt_f32_u32_e32 v2, s35
	s_sub_u32 s9, 0, s35
	s_subb_u32 s18, 0, 0
	s_delay_alu instid0(VALU_DEP_1) | instskip(NEXT) | instid1(VALU_DEP_1)
	v_fmac_f32_e64 v2, 0, 0x4f800000
	v_rcp_f32_e32 v2, v2
	s_waitcnt_depctr 0xfff
	v_mul_f32_e32 v2, 0x5f7ffffc, v2
	s_delay_alu instid0(VALU_DEP_1) | instskip(NEXT) | instid1(VALU_DEP_1)
	v_mul_f32_e32 v3, 0x2f800000, v2
	v_trunc_f32_e32 v3, v3
	s_delay_alu instid0(VALU_DEP_1) | instskip(SKIP_1) | instid1(VALU_DEP_2)
	v_fmac_f32_e32 v2, 0xcf800000, v3
	v_cvt_u32_f32_e32 v3, v3
	v_cvt_u32_f32_e32 v2, v2
	s_delay_alu instid0(VALU_DEP_2) | instskip(NEXT) | instid1(VALU_DEP_2)
	v_readfirstlane_b32 s7, v3
	v_readfirstlane_b32 s8, v2
	s_delay_alu instid0(VALU_DEP_2) | instskip(NEXT) | instid1(VALU_DEP_1)
	s_mul_i32 s19, s9, s7
	s_mul_hi_u32 s26, s9, s8
	s_mul_i32 s23, s18, s8
	s_add_i32 s19, s26, s19
	s_mul_i32 s64, s9, s8
	s_add_i32 s19, s19, s23
	s_mul_hi_u32 s26, s8, s64
	s_mul_hi_u32 s65, s7, s64
	s_mul_i32 s23, s7, s64
	s_mul_hi_u32 s64, s8, s19
	s_mul_i32 s8, s8, s19
	s_mul_hi_u32 s68, s7, s19
	s_add_u32 s8, s26, s8
	s_addc_u32 s26, 0, s64
	s_add_u32 s8, s8, s23
	s_mul_i32 s19, s7, s19
	s_addc_u32 s8, s26, s65
	s_addc_u32 s23, s68, 0
	s_add_u32 s8, s8, s19
	s_addc_u32 s19, 0, s23
	v_add_co_u32 v2, s8, v2, s8
	s_delay_alu instid0(VALU_DEP_1) | instskip(SKIP_1) | instid1(VALU_DEP_1)
	s_cmp_lg_u32 s8, 0
	s_addc_u32 s7, s7, s19
	v_readfirstlane_b32 s8, v2
	s_mul_i32 s19, s9, s7
	s_delay_alu instid0(VALU_DEP_1)
	s_mul_hi_u32 s23, s9, s8
	s_mul_i32 s18, s18, s8
	s_add_i32 s19, s23, s19
	s_mul_i32 s9, s9, s8
	s_add_i32 s19, s19, s18
	s_mul_hi_u32 s23, s7, s9
	s_mul_i32 s26, s7, s9
	s_mul_hi_u32 s9, s8, s9
	s_mul_hi_u32 s64, s8, s19
	s_mul_i32 s8, s8, s19
	s_mul_hi_u32 s18, s7, s19
	s_add_u32 s8, s9, s8
	s_addc_u32 s9, 0, s64
	s_add_u32 s8, s8, s26
	s_mul_i32 s19, s7, s19
	s_addc_u32 s8, s9, s23
	s_addc_u32 s9, s18, 0
	s_add_u32 s8, s8, s19
	s_addc_u32 s9, 0, s9
	v_add_co_u32 v2, s8, v2, s8
	s_delay_alu instid0(VALU_DEP_1) | instskip(SKIP_1) | instid1(VALU_DEP_1)
	s_cmp_lg_u32 s8, 0
	s_addc_u32 s7, s7, s9
	v_readfirstlane_b32 s8, v2
	s_mul_i32 s18, s88, s7
	s_mul_hi_u32 s9, s88, s7
	s_mul_hi_u32 s19, s27, s7
	s_mul_i32 s7, s27, s7
	s_mul_hi_u32 s23, s88, s8
	s_mul_hi_u32 s26, s27, s8
	s_mul_i32 s8, s27, s8
	s_add_u32 s18, s23, s18
	s_addc_u32 s9, 0, s9
	s_add_u32 s8, s18, s8
	s_addc_u32 s8, s9, s26
	s_addc_u32 s9, s19, 0
	s_add_u32 s7, s8, s7
	s_addc_u32 s8, 0, s9
	s_mul_hi_u32 s9, s35, s7
	s_mul_i32 s7, s35, s7
	s_mul_i32 s8, s35, s8
	v_sub_co_u32 v2, s7, s88, s7
	s_add_i32 s9, s9, s8
	s_cmp_lg_u32 s7, 0
	s_delay_alu instid0(VALU_DEP_1) | instskip(SKIP_2) | instid1(VALU_DEP_1)
	v_sub_co_u32 v3, s7, v2, s35
	s_subb_u32 s8, s27, s9
	s_cmp_lg_u32 s7, 0
	v_cmp_le_u32_e32 vcc_lo, s35, v3
	v_sub_co_u32 v4, s7, v3, s35
	s_subb_u32 s9, s8, 0
	s_cmp_lg_u32 s7, 0
	v_cndmask_b32_e64 v5, 0, -1, vcc_lo
	s_subb_u32 s7, s9, 0
	s_cmp_eq_u32 s9, 0
	v_mov_b32_e32 v7, s7
	s_cselect_b32 vcc_lo, -1, 0
	s_cmp_eq_u32 s8, 0
	v_cndmask_b32_e32 v5, -1, v5, vcc_lo
	v_cmp_le_u32_e32 vcc_lo, s35, v2
	s_cselect_b32 s7, -1, 0
	v_cndmask_b32_e64 v6, 0, -1, vcc_lo
	s_delay_alu instid0(VALU_DEP_3) | instskip(NEXT) | instid1(VALU_DEP_2)
	v_cmp_ne_u32_e32 vcc_lo, 0, v5
	v_cndmask_b32_e64 v5, -1, v6, s7
	v_cndmask_b32_e32 v6, s9, v7, vcc_lo
	v_cndmask_b32_e32 v4, v3, v4, vcc_lo
	s_delay_alu instid0(VALU_DEP_3) | instskip(NEXT) | instid1(VALU_DEP_3)
	v_cmp_ne_u32_e32 vcc_lo, 0, v5
	v_cndmask_b32_e32 v3, s8, v6, vcc_lo
	s_delay_alu instid0(VALU_DEP_3)
	v_cndmask_b32_e32 v2, v2, v4, vcc_lo
	s_cbranch_execnz .LBB174_308
.LBB174_307:                            ;   in Loop: Header=BB174_18 Depth=1
	v_cvt_f32_u32_e32 v2, s35
	s_sub_i32 s7, 0, s35
	s_delay_alu instid0(VALU_DEP_1) | instskip(SKIP_2) | instid1(VALU_DEP_1)
	v_rcp_iflag_f32_e32 v2, v2
	s_waitcnt_depctr 0xfff
	v_mul_f32_e32 v2, 0x4f7ffffe, v2
	v_cvt_u32_f32_e32 v2, v2
	s_delay_alu instid0(VALU_DEP_1) | instskip(NEXT) | instid1(VALU_DEP_1)
	v_mul_lo_u32 v3, s7, v2
	v_mul_hi_u32 v3, v2, v3
	s_delay_alu instid0(VALU_DEP_1) | instskip(NEXT) | instid1(VALU_DEP_1)
	v_add_nc_u32_e32 v2, v2, v3
	v_mul_hi_u32 v2, s88, v2
	s_delay_alu instid0(VALU_DEP_1) | instskip(NEXT) | instid1(VALU_DEP_1)
	v_mul_lo_u32 v2, v2, s35
	v_sub_nc_u32_e32 v2, s88, v2
	s_delay_alu instid0(VALU_DEP_1) | instskip(SKIP_1) | instid1(VALU_DEP_2)
	v_subrev_nc_u32_e32 v3, s35, v2
	v_cmp_le_u32_e32 vcc_lo, s35, v2
	v_cndmask_b32_e32 v2, v2, v3, vcc_lo
	s_delay_alu instid0(VALU_DEP_1) | instskip(SKIP_1) | instid1(VALU_DEP_2)
	v_subrev_nc_u32_e32 v3, s35, v2
	v_cmp_le_u32_e32 vcc_lo, s35, v2
	v_cndmask_b32_e32 v12, v2, v3, vcc_lo
	s_delay_alu instid0(VALU_DEP_1)
	v_dual_mov_b32 v2, v12 :: v_dual_mov_b32 v3, v13
.LBB174_308:                            ;   in Loop: Header=BB174_18 Depth=1
	s_delay_alu instid0(VALU_DEP_1) | instskip(NEXT) | instid1(VALU_DEP_2)
	v_sub_co_u32 v2, vcc_lo, s88, v2
	v_sub_co_ci_u32_e32 v3, vcc_lo, s27, v3, vcc_lo
	s_mov_b32 s7, 0
	s_mov_b32 s8, exec_lo
                                        ; implicit-def: $vgpr31
	s_delay_alu instid0(VALU_DEP_1)
	v_cmpx_gt_u64_e64 v[2:3], v[0:1]
	s_cbranch_execz .LBB174_317
; %bb.309:                              ;   in Loop: Header=BB174_18 Depth=1
	v_dual_mov_b32 v5, v1 :: v_dual_mov_b32 v4, v0
	s_mov_b32 s9, 0
                                        ; implicit-def: $sgpr18
	s_branch .LBB174_311
.LBB174_310:                            ;   in Loop: Header=BB174_311 Depth=2
	s_or_b32 exec_lo, exec_lo, s7
	s_waitcnt vmcnt(0) lgkmcnt(0)
	s_barrier
	buffer_gl0_inv
	ds_load_b32 v6, v13 offset:3072
	v_add_co_u32 v4, vcc_lo, v4, s35
	v_add_co_ci_u32_e32 v5, vcc_lo, 0, v5, vcc_lo
	s_waitcnt lgkmcnt(0)
	s_barrier
	buffer_gl0_inv
	v_cmp_ge_u64_e32 vcc_lo, v[4:5], v[2:3]
	v_cmp_ne_u16_e64 s7, 0, v6
	s_delay_alu instid0(VALU_DEP_1) | instskip(NEXT) | instid1(SALU_CYCLE_1)
	s_or_b32 s19, vcc_lo, s7
	s_and_b32 s19, exec_lo, s19
	s_delay_alu instid0(SALU_CYCLE_1) | instskip(SKIP_2) | instid1(SALU_CYCLE_1)
	s_or_b32 s9, s19, s9
	s_and_not1_b32 s18, s18, exec_lo
	s_and_b32 s7, s7, exec_lo
	s_or_b32 s18, s18, s7
	s_and_not1_b32 exec_lo, exec_lo, s9
	s_cbranch_execz .LBB174_316
.LBB174_311:                            ;   Parent Loop BB174_18 Depth=1
                                        ; =>  This Inner Loop Header: Depth=2
	s_delay_alu instid0(VALU_DEP_1)
	v_cmp_gt_u64_e32 vcc_lo, s[36:37], v[4:5]
	v_mov_b32_e32 v6, 0
	s_and_saveexec_b32 s19, vcc_lo
	s_cbranch_execz .LBB174_313
; %bb.312:                              ;   in Loop: Header=BB174_311 Depth=2
	v_mul_lo_u32 v8, v5, s30
	v_mul_lo_u32 v9, v4, s31
	v_mad_u64_u32 v[6:7], null, v4, s30, 0
	s_delay_alu instid0(VALU_DEP_1) | instskip(NEXT) | instid1(VALU_DEP_1)
	v_add3_u32 v7, v7, v9, v8
	v_lshlrev_b64 v[6:7], 1, v[6:7]
	s_delay_alu instid0(VALU_DEP_1) | instskip(NEXT) | instid1(VALU_DEP_1)
	v_add_co_u32 v6, s7, s29, v6
	v_add_co_ci_u32_e64 v7, s7, s33, v7, s7
	global_load_u16 v6, v[6:7], off
.LBB174_313:                            ;   in Loop: Header=BB174_311 Depth=2
	s_or_b32 exec_lo, exec_lo, s19
	s_and_saveexec_b32 s7, vcc_lo
	s_cbranch_execz .LBB174_310
; %bb.314:                              ;   in Loop: Header=BB174_311 Depth=2
	s_waitcnt vmcnt(0)
	v_bfe_i32 v7, v6, 0, 16
	s_delay_alu instid0(VALU_DEP_1) | instskip(NEXT) | instid1(VALU_DEP_1)
	v_add_nc_u32_e32 v7, 0x8000, v7
	v_and_b32_e32 v7, v7, v29
	s_delay_alu instid0(VALU_DEP_1)
	v_cmp_eq_u32_e32 vcc_lo, v7, v30
	s_and_b32 exec_lo, exec_lo, vcc_lo
	s_cbranch_execz .LBB174_310
; %bb.315:                              ;   in Loop: Header=BB174_311 Depth=2
	v_perm_b32 v6, v6, 1, 0x5040100
	ds_store_b32 v13, v6 offset:3072
	s_branch .LBB174_310
.LBB174_316:                            ;   in Loop: Header=BB174_18 Depth=1
	s_or_b32 exec_lo, exec_lo, s9
	v_lshrrev_b32_e32 v31, 16, v6
	s_and_b32 s7, s18, exec_lo
.LBB174_317:                            ;   in Loop: Header=BB174_18 Depth=1
	s_or_b32 exec_lo, exec_lo, s8
	s_mov_b32 s19, 0
	s_mov_b32 s18, -1
	s_mov_b32 s23, 0
.LBB174_318:                            ;   in Loop: Header=BB174_18 Depth=1
	s_or_not1_b32 s7, s7, exec_lo
.LBB174_319:                            ;   in Loop: Header=BB174_18 Depth=1
	s_or_b32 exec_lo, exec_lo, s59
                                        ; implicit-def: $vgpr6
                                        ; implicit-def: $vgpr2_vgpr3
                                        ; implicit-def: $vgpr8
                                        ; implicit-def: $vgpr9
                                        ; implicit-def: $vgpr18
	s_and_saveexec_b32 s70, s7
	s_cbranch_execz .LBB174_482
; %bb.320:                              ;   in Loop: Header=BB174_18 Depth=1
	v_mov_b32_e32 v2, 1
	v_dual_mov_b32 v3, 0 :: v_dual_mov_b32 v6, 1
	s_xor_b32 s8, s58, -1
	s_mov_b32 s26, 0
	s_and_saveexec_b32 s7, s8
	s_cbranch_execz .LBB174_330
; %bb.321:                              ;   in Loop: Header=BB174_18 Depth=1
	s_mov_b32 s9, exec_lo
                                        ; implicit-def: $sgpr26
                                        ; implicit-def: $sgpr8
	v_cmpx_ge_u64_e64 s[16:17], v[16:17]
	s_xor_b32 s9, exec_lo, s9
	s_cbranch_execz .LBB174_327
; %bb.322:                              ;   in Loop: Header=BB174_18 Depth=1
	ds_load_b64 v[2:3], v13 offset:5120
	s_waitcnt lgkmcnt(0)
	v_cmp_ne_u64_e32 vcc_lo, 0, v[2:3]
	s_cbranch_vccnz .LBB174_326
; %bb.323:                              ;   in Loop: Header=BB174_18 Depth=1
	s_and_saveexec_b32 s8, s5
	s_cbranch_execz .LBB174_325
; %bb.324:                              ;   in Loop: Header=BB174_18 Depth=1
	v_dual_mov_b32 v2, s16 :: v_dual_mov_b32 v3, s17
	ds_store_b64 v13, v[2:3] offset:5128
.LBB174_325:                            ;   in Loop: Header=BB174_18 Depth=1
	s_or_b32 exec_lo, exec_lo, s8
	s_waitcnt lgkmcnt(0)
	s_barrier
	buffer_gl0_inv
.LBB174_326:                            ;   in Loop: Header=BB174_18 Depth=1
	v_or_b32_e32 v30, s20, v30
	v_or_b32_e32 v29, s20, v29
	s_mov_b32 s8, 0
	s_mov_b32 s26, 5
.LBB174_327:                            ;   in Loop: Header=BB174_18 Depth=1
	s_or_saveexec_b32 s9, s9
	v_mov_b32_e32 v6, s26
	s_xor_b32 exec_lo, exec_lo, s9
; %bb.328:                              ;   in Loop: Header=BB174_18 Depth=1
	v_sub_co_u32 v16, vcc_lo, v16, s16
	v_subrev_co_ci_u32_e32 v17, vcc_lo, s17, v17, vcc_lo
	v_mov_b32_e32 v6, 0
	s_or_b32 s8, s8, exec_lo
; %bb.329:                              ;   in Loop: Header=BB174_18 Depth=1
	s_or_b32 exec_lo, exec_lo, s9
	s_delay_alu instid0(VALU_DEP_2)
	v_dual_mov_b32 v2, v16 :: v_dual_mov_b32 v3, v17
	s_and_b32 s26, s8, exec_lo
.LBB174_330:                            ;   in Loop: Header=BB174_18 Depth=1
	s_or_b32 exec_lo, exec_lo, s7
	s_mov_b32 s17, -1
                                        ; implicit-def: $sgpr8
                                        ; implicit-def: $sgpr9
                                        ; implicit-def: $sgpr16
	s_and_saveexec_b32 s7, s26
	s_delay_alu instid0(SALU_CYCLE_1)
	s_xor_b32 s74, exec_lo, s7
	s_cbranch_execz .LBB174_479
; %bb.331:                              ;   in Loop: Header=BB174_18 Depth=1
	v_cmp_eq_u64_e32 vcc_lo, 1, v[2:3]
	s_cmp_eq_u64 s[14:15], 1
                                        ; implicit-def: $sgpr16
                                        ; implicit-def: $sgpr17
                                        ; implicit-def: $sgpr75
	s_cselect_b32 s7, -1, 0
	s_delay_alu instid0(SALU_CYCLE_1)
	s_and_b32 s58, s7, vcc_lo
	s_mov_b32 s7, -1
	s_and_saveexec_b32 s59, s58
	s_cbranch_execz .LBB174_365
; %bb.332:                              ;   in Loop: Header=BB174_18 Depth=1
	ds_load_b64 v[4:5], v13 offset:5120
	s_waitcnt lgkmcnt(0)
	s_barrier
	buffer_gl0_inv
	v_readfirstlane_b32 s8, v4
	v_readfirstlane_b32 s9, v5
	s_and_saveexec_b32 s7, s6
	s_cbranch_execz .LBB174_334
; %bb.333:                              ;   in Loop: Header=BB174_18 Depth=1
	ds_store_b16 v26, v13
.LBB174_334:                            ;   in Loop: Header=BB174_18 Depth=1
	s_or_b32 exec_lo, exec_lo, s7
	s_lshl_b32 s7, 2, s22
	v_or_b32_e32 v29, s20, v29
	v_and_or_b32 v30, v30, s21, s7
	s_cmp_eq_u64 s[8:9], 0
	s_waitcnt lgkmcnt(0)
	s_barrier
	buffer_gl0_inv
	s_cbranch_scc1 .LBB174_348
; %bb.335:                              ;   in Loop: Header=BB174_18 Depth=1
	s_add_u32 s26, s86, s8
	s_addc_u32 s17, s87, s9
	s_mov_b32 s16, s71
	s_delay_alu instid0(SALU_CYCLE_1)
	s_cmp_lg_u64 s[16:17], 0
	s_cbranch_scc0 .LBB174_392
; %bb.336:                              ;   in Loop: Header=BB174_18 Depth=1
	v_cvt_f32_u32_e32 v4, s35
	s_sub_u32 s64, 0, s35
	s_subb_u32 s65, 0, 0
	s_delay_alu instid0(VALU_DEP_1) | instskip(NEXT) | instid1(VALU_DEP_1)
	v_fmac_f32_e64 v4, 0, 0x4f800000
	v_rcp_f32_e32 v4, v4
	s_waitcnt_depctr 0xfff
	v_mul_f32_e32 v4, 0x5f7ffffc, v4
	s_delay_alu instid0(VALU_DEP_1) | instskip(NEXT) | instid1(VALU_DEP_1)
	v_mul_f32_e32 v5, 0x2f800000, v4
	v_trunc_f32_e32 v5, v5
	s_delay_alu instid0(VALU_DEP_1) | instskip(SKIP_1) | instid1(VALU_DEP_2)
	v_fmac_f32_e32 v4, 0xcf800000, v5
	v_cvt_u32_f32_e32 v5, v5
	v_cvt_u32_f32_e32 v4, v4
	s_delay_alu instid0(VALU_DEP_2) | instskip(NEXT) | instid1(VALU_DEP_2)
	v_readfirstlane_b32 s7, v5
	v_readfirstlane_b32 s16, v4
	s_delay_alu instid0(VALU_DEP_2) | instskip(NEXT) | instid1(VALU_DEP_1)
	s_mul_i32 s68, s64, s7
	s_mul_hi_u32 s75, s64, s16
	s_mul_i32 s69, s65, s16
	s_add_i32 s68, s75, s68
	s_mul_i32 s76, s64, s16
	s_add_i32 s68, s68, s69
	s_mul_hi_u32 s75, s16, s76
	s_mul_hi_u32 s77, s7, s76
	s_mul_i32 s69, s7, s76
	s_mul_hi_u32 s76, s16, s68
	s_mul_i32 s16, s16, s68
	s_mul_hi_u32 s78, s7, s68
	s_add_u32 s16, s75, s16
	s_addc_u32 s75, 0, s76
	s_add_u32 s16, s16, s69
	s_mul_i32 s68, s7, s68
	s_addc_u32 s16, s75, s77
	s_addc_u32 s69, s78, 0
	s_add_u32 s16, s16, s68
	s_addc_u32 s68, 0, s69
	v_add_co_u32 v4, s16, v4, s16
	s_delay_alu instid0(VALU_DEP_1) | instskip(SKIP_1) | instid1(VALU_DEP_1)
	s_cmp_lg_u32 s16, 0
	s_addc_u32 s7, s7, s68
	v_readfirstlane_b32 s16, v4
	s_mul_i32 s68, s64, s7
	s_delay_alu instid0(VALU_DEP_1)
	s_mul_hi_u32 s69, s64, s16
	s_mul_i32 s65, s65, s16
	s_add_i32 s68, s69, s68
	s_mul_i32 s64, s64, s16
	s_add_i32 s68, s68, s65
	s_mul_hi_u32 s69, s7, s64
	s_mul_i32 s75, s7, s64
	s_mul_hi_u32 s64, s16, s64
	s_mul_hi_u32 s76, s16, s68
	s_mul_i32 s16, s16, s68
	s_mul_hi_u32 s65, s7, s68
	s_add_u32 s16, s64, s16
	s_addc_u32 s64, 0, s76
	s_add_u32 s16, s16, s75
	s_mul_i32 s68, s7, s68
	s_addc_u32 s16, s64, s69
	s_addc_u32 s64, s65, 0
	s_add_u32 s16, s16, s68
	s_addc_u32 s64, 0, s64
	v_add_co_u32 v4, s16, v4, s16
	s_delay_alu instid0(VALU_DEP_1) | instskip(SKIP_1) | instid1(VALU_DEP_1)
	s_cmp_lg_u32 s16, 0
	s_addc_u32 s7, s7, s64
	v_readfirstlane_b32 s16, v4
	s_mul_i32 s65, s26, s7
	s_mul_hi_u32 s64, s26, s7
	s_mul_hi_u32 s68, s17, s7
	s_mul_i32 s7, s17, s7
	s_mul_hi_u32 s69, s26, s16
	s_mul_hi_u32 s75, s17, s16
	s_mul_i32 s16, s17, s16
	s_add_u32 s65, s69, s65
	s_addc_u32 s64, 0, s64
	s_add_u32 s16, s65, s16
	s_addc_u32 s16, s64, s75
	s_addc_u32 s64, s68, 0
	s_add_u32 s7, s16, s7
	s_addc_u32 s16, 0, s64
	s_mul_hi_u32 s64, s35, s7
	s_mul_i32 s7, s35, s7
	s_mul_i32 s16, s35, s16
	v_sub_co_u32 v4, s7, s26, s7
	s_add_i32 s64, s64, s16
	s_cmp_lg_u32 s7, 0
	s_delay_alu instid0(VALU_DEP_1) | instskip(SKIP_3) | instid1(VALU_DEP_2)
	v_sub_co_u32 v5, s7, v4, s35
	s_subb_u32 s16, s17, s64
	s_cmp_lg_u32 s7, 0
	v_cmp_le_u32_e32 vcc_lo, s35, v4
	v_cmp_le_u32_e64 s7, s35, v5
	v_sub_co_u32 v6, s64, v5, s35
	s_subb_u32 s65, s16, 0
	s_cmp_lg_u32 s64, 0
	s_delay_alu instid0(VALU_DEP_2)
	v_cndmask_b32_e64 v7, 0, -1, s7
	s_subb_u32 s64, s65, 0
	s_cmp_eq_u32 s65, 0
	v_mov_b32_e32 v9, s64
	v_cndmask_b32_e64 v8, 0, -1, vcc_lo
	s_cselect_b32 vcc_lo, -1, 0
	s_cmp_eq_u32 s16, 0
	v_cndmask_b32_e32 v7, -1, v7, vcc_lo
	s_cselect_b32 vcc_lo, -1, 0
	v_cndmask_b32_e32 v8, -1, v8, vcc_lo
	s_delay_alu instid0(VALU_DEP_2) | instskip(NEXT) | instid1(VALU_DEP_2)
	v_cmp_ne_u32_e32 vcc_lo, 0, v7
	v_cmp_ne_u32_e64 s7, 0, v8
	v_cndmask_b32_e32 v7, s65, v9, vcc_lo
	v_cndmask_b32_e32 v6, v5, v6, vcc_lo
	s_delay_alu instid0(VALU_DEP_2) | instskip(NEXT) | instid1(VALU_DEP_2)
	v_cndmask_b32_e64 v5, s16, v7, s7
	v_cndmask_b32_e64 v4, v4, v6, s7
	s_cbranch_execnz .LBB174_338
.LBB174_337:                            ;   in Loop: Header=BB174_18 Depth=1
	v_cvt_f32_u32_e32 v4, s35
	s_sub_i32 s7, 0, s35
	s_delay_alu instid0(VALU_DEP_1) | instskip(SKIP_2) | instid1(VALU_DEP_1)
	v_rcp_iflag_f32_e32 v4, v4
	s_waitcnt_depctr 0xfff
	v_mul_f32_e32 v4, 0x4f7ffffe, v4
	v_cvt_u32_f32_e32 v4, v4
	s_delay_alu instid0(VALU_DEP_1) | instskip(NEXT) | instid1(VALU_DEP_1)
	v_mul_lo_u32 v5, s7, v4
	v_mul_hi_u32 v5, v4, v5
	s_delay_alu instid0(VALU_DEP_1) | instskip(NEXT) | instid1(VALU_DEP_1)
	v_add_nc_u32_e32 v4, v4, v5
	v_mul_hi_u32 v4, s26, v4
	s_delay_alu instid0(VALU_DEP_1) | instskip(NEXT) | instid1(VALU_DEP_1)
	v_mul_lo_u32 v4, v4, s35
	v_sub_nc_u32_e32 v4, s26, v4
	s_delay_alu instid0(VALU_DEP_1) | instskip(SKIP_1) | instid1(VALU_DEP_2)
	v_subrev_nc_u32_e32 v5, s35, v4
	v_cmp_le_u32_e32 vcc_lo, s35, v4
	v_cndmask_b32_e32 v4, v4, v5, vcc_lo
	s_delay_alu instid0(VALU_DEP_1) | instskip(SKIP_1) | instid1(VALU_DEP_2)
	v_subrev_nc_u32_e32 v5, s35, v4
	v_cmp_le_u32_e32 vcc_lo, s35, v4
	v_cndmask_b32_e32 v12, v4, v5, vcc_lo
	s_delay_alu instid0(VALU_DEP_1)
	v_dual_mov_b32 v4, v12 :: v_dual_mov_b32 v5, v13
.LBB174_338:                            ;   in Loop: Header=BB174_18 Depth=1
	s_delay_alu instid0(VALU_DEP_1) | instskip(NEXT) | instid1(VALU_DEP_2)
	v_sub_co_u32 v4, vcc_lo, s26, v4
	v_sub_co_ci_u32_e32 v5, vcc_lo, s17, v5, vcc_lo
	s_mov_b32 s7, 0
	s_mov_b32 s16, exec_lo
                                        ; implicit-def: $vgpr31
	s_delay_alu instid0(VALU_DEP_1)
	v_cmpx_gt_u64_e64 v[4:5], v[0:1]
	s_cbranch_execz .LBB174_350
; %bb.339:                              ;   in Loop: Header=BB174_18 Depth=1
	v_mov_b32_e32 v8, v25
	v_dual_mov_b32 v7, v1 :: v_dual_mov_b32 v6, v0
	s_mov_b32 s17, 0
                                        ; implicit-def: $sgpr26
	s_set_inst_prefetch_distance 0x1
	s_branch .LBB174_341
	.p2align	6
.LBB174_340:                            ;   in Loop: Header=BB174_341 Depth=2
	s_or_b32 exec_lo, exec_lo, s7
	s_waitcnt lgkmcnt(0)
	s_barrier
	buffer_gl0_inv
	ds_load_b32 v9, v13 offset:3072
	v_add_co_u32 v6, vcc_lo, v6, s35
	v_add_co_ci_u32_e32 v7, vcc_lo, 0, v7, vcc_lo
	v_add_nc_u32_e32 v8, s94, v8
	s_waitcnt lgkmcnt(0)
	s_barrier
	s_delay_alu instid0(VALU_DEP_2) | instskip(SKIP_2) | instid1(VALU_DEP_1)
	v_cmp_ge_u64_e32 vcc_lo, v[6:7], v[4:5]
	buffer_gl0_inv
	v_cmp_ne_u16_e64 s7, 0, v9
	s_or_b32 s64, vcc_lo, s7
	s_delay_alu instid0(SALU_CYCLE_1) | instskip(NEXT) | instid1(SALU_CYCLE_1)
	s_and_b32 s64, exec_lo, s64
	s_or_b32 s17, s64, s17
	s_and_not1_b32 s26, s26, exec_lo
	s_and_b32 s7, s7, exec_lo
	s_delay_alu instid0(SALU_CYCLE_1)
	s_or_b32 s26, s26, s7
	s_and_not1_b32 exec_lo, exec_lo, s17
	s_cbranch_execz .LBB174_349
.LBB174_341:                            ;   Parent Loop BB174_18 Depth=1
                                        ; =>  This Inner Loop Header: Depth=2
	s_delay_alu instid0(VALU_DEP_1)
	v_cmp_gt_u64_e32 vcc_lo, s[8:9], v[6:7]
	v_mov_b32_e32 v9, 0
	s_and_saveexec_b32 s7, vcc_lo
	s_cbranch_execz .LBB174_343
; %bb.342:                              ;   in Loop: Header=BB174_341 Depth=2
	ds_load_u16 v9, v8
.LBB174_343:                            ;   in Loop: Header=BB174_341 Depth=2
	s_or_b32 exec_lo, exec_lo, s7
	s_and_saveexec_b32 s7, vcc_lo
	s_cbranch_execz .LBB174_340
; %bb.344:                              ;   in Loop: Header=BB174_341 Depth=2
	s_waitcnt lgkmcnt(0)
	v_bfe_i32 v12, v9, 0, 16
	s_delay_alu instid0(VALU_DEP_1) | instskip(NEXT) | instid1(VALU_DEP_1)
	v_add_nc_u32_e32 v12, 0x8000, v12
	v_and_b32_e32 v12, v12, v29
	s_delay_alu instid0(VALU_DEP_1)
	v_cmp_eq_u32_e32 vcc_lo, v12, v30
	s_and_b32 exec_lo, exec_lo, vcc_lo
	s_cbranch_execz .LBB174_340
; %bb.345:                              ;   in Loop: Header=BB174_341 Depth=2
	v_perm_b32 v9, v9, 1, 0x5040100
	ds_store_b32 v13, v9 offset:3072
	s_branch .LBB174_340
.LBB174_346:                            ;   in Loop: Header=BB174_18 Depth=1
                                        ; implicit-def: $vgpr2_vgpr3
	s_branch .LBB174_293
.LBB174_347:                            ;   in Loop: Header=BB174_18 Depth=1
                                        ; implicit-def: $vgpr2_vgpr3
	s_branch .LBB174_307
.LBB174_348:                            ;   in Loop: Header=BB174_18 Depth=1
	s_mov_b32 s16, -1
	s_mov_b32 s7, 0
                                        ; implicit-def: $sgpr17
                                        ; implicit-def: $vgpr31
	s_mov_b32 s75, s16
	s_cbranch_execnz .LBB174_351
	s_branch .LBB174_364
.LBB174_349:                            ;   in Loop: Header=BB174_18 Depth=1
	s_set_inst_prefetch_distance 0x2
	s_or_b32 exec_lo, exec_lo, s17
	v_lshrrev_b32_e32 v31, 16, v9
	s_and_b32 s7, s26, exec_lo
.LBB174_350:                            ;   in Loop: Header=BB174_18 Depth=1
	s_or_b32 exec_lo, exec_lo, s16
	s_mov_b32 s16, 0
	s_mov_b32 s17, -1
	s_mov_b32 s75, s16
	s_branch .LBB174_364
.LBB174_351:                            ;   in Loop: Header=BB174_18 Depth=1
	s_mov_b32 s26, s71
	s_delay_alu instid0(SALU_CYCLE_1)
	s_cmp_lg_u64 s[26:27], 0
	s_cbranch_scc0 .LBB174_393
; %bb.352:                              ;   in Loop: Header=BB174_18 Depth=1
	v_cvt_f32_u32_e32 v4, s35
	s_sub_u32 s9, 0, s35
	s_subb_u32 s16, 0, 0
	s_delay_alu instid0(VALU_DEP_1) | instskip(NEXT) | instid1(VALU_DEP_1)
	v_fmac_f32_e64 v4, 0, 0x4f800000
	v_rcp_f32_e32 v4, v4
	s_waitcnt_depctr 0xfff
	v_mul_f32_e32 v4, 0x5f7ffffc, v4
	s_delay_alu instid0(VALU_DEP_1) | instskip(NEXT) | instid1(VALU_DEP_1)
	v_mul_f32_e32 v5, 0x2f800000, v4
	v_trunc_f32_e32 v5, v5
	s_delay_alu instid0(VALU_DEP_1) | instskip(SKIP_1) | instid1(VALU_DEP_2)
	v_fmac_f32_e32 v4, 0xcf800000, v5
	v_cvt_u32_f32_e32 v5, v5
	v_cvt_u32_f32_e32 v4, v4
	s_delay_alu instid0(VALU_DEP_2) | instskip(NEXT) | instid1(VALU_DEP_2)
	v_readfirstlane_b32 s7, v5
	v_readfirstlane_b32 s8, v4
	s_delay_alu instid0(VALU_DEP_2) | instskip(NEXT) | instid1(VALU_DEP_1)
	s_mul_i32 s17, s9, s7
	s_mul_hi_u32 s64, s9, s8
	s_mul_i32 s26, s16, s8
	s_add_i32 s17, s64, s17
	s_mul_i32 s65, s9, s8
	s_add_i32 s17, s17, s26
	s_mul_hi_u32 s64, s8, s65
	s_mul_hi_u32 s68, s7, s65
	s_mul_i32 s26, s7, s65
	s_mul_hi_u32 s65, s8, s17
	s_mul_i32 s8, s8, s17
	s_mul_hi_u32 s69, s7, s17
	s_add_u32 s8, s64, s8
	s_addc_u32 s64, 0, s65
	s_add_u32 s8, s8, s26
	s_mul_i32 s17, s7, s17
	s_addc_u32 s8, s64, s68
	s_addc_u32 s26, s69, 0
	s_add_u32 s8, s8, s17
	s_addc_u32 s17, 0, s26
	v_add_co_u32 v4, s8, v4, s8
	s_delay_alu instid0(VALU_DEP_1) | instskip(SKIP_1) | instid1(VALU_DEP_1)
	s_cmp_lg_u32 s8, 0
	s_addc_u32 s7, s7, s17
	v_readfirstlane_b32 s8, v4
	s_mul_i32 s17, s9, s7
	s_delay_alu instid0(VALU_DEP_1)
	s_mul_hi_u32 s26, s9, s8
	s_mul_i32 s16, s16, s8
	s_add_i32 s17, s26, s17
	s_mul_i32 s9, s9, s8
	s_add_i32 s17, s17, s16
	s_mul_hi_u32 s26, s7, s9
	s_mul_i32 s64, s7, s9
	s_mul_hi_u32 s9, s8, s9
	s_mul_hi_u32 s65, s8, s17
	s_mul_i32 s8, s8, s17
	s_mul_hi_u32 s16, s7, s17
	s_add_u32 s8, s9, s8
	s_addc_u32 s9, 0, s65
	s_add_u32 s8, s8, s64
	s_mul_i32 s17, s7, s17
	s_addc_u32 s8, s9, s26
	s_addc_u32 s9, s16, 0
	s_add_u32 s8, s8, s17
	s_addc_u32 s9, 0, s9
	v_add_co_u32 v4, s8, v4, s8
	s_delay_alu instid0(VALU_DEP_1) | instskip(SKIP_1) | instid1(VALU_DEP_1)
	s_cmp_lg_u32 s8, 0
	s_addc_u32 s7, s7, s9
	v_readfirstlane_b32 s8, v4
	s_mul_i32 s16, s88, s7
	s_mul_hi_u32 s9, s88, s7
	s_mul_hi_u32 s17, s27, s7
	s_mul_i32 s7, s27, s7
	s_mul_hi_u32 s26, s88, s8
	s_mul_hi_u32 s64, s27, s8
	s_mul_i32 s8, s27, s8
	s_add_u32 s16, s26, s16
	s_addc_u32 s9, 0, s9
	s_add_u32 s8, s16, s8
	s_addc_u32 s8, s9, s64
	s_addc_u32 s9, s17, 0
	s_add_u32 s7, s8, s7
	s_addc_u32 s8, 0, s9
	s_mul_hi_u32 s9, s35, s7
	s_mul_i32 s7, s35, s7
	s_mul_i32 s8, s35, s8
	v_sub_co_u32 v4, s7, s88, s7
	s_add_i32 s9, s9, s8
	s_cmp_lg_u32 s7, 0
	s_delay_alu instid0(VALU_DEP_1) | instskip(SKIP_2) | instid1(VALU_DEP_1)
	v_sub_co_u32 v5, s7, v4, s35
	s_subb_u32 s8, s27, s9
	s_cmp_lg_u32 s7, 0
	v_cmp_le_u32_e32 vcc_lo, s35, v5
	v_sub_co_u32 v6, s7, v5, s35
	s_subb_u32 s9, s8, 0
	s_cmp_lg_u32 s7, 0
	v_cndmask_b32_e64 v7, 0, -1, vcc_lo
	s_subb_u32 s7, s9, 0
	s_cmp_eq_u32 s9, 0
	v_mov_b32_e32 v9, s7
	s_cselect_b32 vcc_lo, -1, 0
	s_cmp_eq_u32 s8, 0
	v_cndmask_b32_e32 v7, -1, v7, vcc_lo
	v_cmp_le_u32_e32 vcc_lo, s35, v4
	s_cselect_b32 s7, -1, 0
	v_cndmask_b32_e64 v8, 0, -1, vcc_lo
	s_delay_alu instid0(VALU_DEP_3) | instskip(NEXT) | instid1(VALU_DEP_2)
	v_cmp_ne_u32_e32 vcc_lo, 0, v7
	v_cndmask_b32_e64 v7, -1, v8, s7
	v_cndmask_b32_e32 v8, s9, v9, vcc_lo
	v_cndmask_b32_e32 v6, v5, v6, vcc_lo
	s_delay_alu instid0(VALU_DEP_3) | instskip(NEXT) | instid1(VALU_DEP_3)
	v_cmp_ne_u32_e32 vcc_lo, 0, v7
	v_cndmask_b32_e32 v5, s8, v8, vcc_lo
	s_delay_alu instid0(VALU_DEP_3)
	v_cndmask_b32_e32 v4, v4, v6, vcc_lo
	s_cbranch_execnz .LBB174_354
.LBB174_353:                            ;   in Loop: Header=BB174_18 Depth=1
	v_cvt_f32_u32_e32 v4, s35
	s_sub_i32 s7, 0, s35
	s_delay_alu instid0(VALU_DEP_1) | instskip(SKIP_2) | instid1(VALU_DEP_1)
	v_rcp_iflag_f32_e32 v4, v4
	s_waitcnt_depctr 0xfff
	v_mul_f32_e32 v4, 0x4f7ffffe, v4
	v_cvt_u32_f32_e32 v4, v4
	s_delay_alu instid0(VALU_DEP_1) | instskip(NEXT) | instid1(VALU_DEP_1)
	v_mul_lo_u32 v5, s7, v4
	v_mul_hi_u32 v5, v4, v5
	s_delay_alu instid0(VALU_DEP_1) | instskip(NEXT) | instid1(VALU_DEP_1)
	v_add_nc_u32_e32 v4, v4, v5
	v_mul_hi_u32 v4, s88, v4
	s_delay_alu instid0(VALU_DEP_1) | instskip(NEXT) | instid1(VALU_DEP_1)
	v_mul_lo_u32 v4, v4, s35
	v_sub_nc_u32_e32 v4, s88, v4
	s_delay_alu instid0(VALU_DEP_1) | instskip(SKIP_1) | instid1(VALU_DEP_2)
	v_subrev_nc_u32_e32 v5, s35, v4
	v_cmp_le_u32_e32 vcc_lo, s35, v4
	v_cndmask_b32_e32 v4, v4, v5, vcc_lo
	s_delay_alu instid0(VALU_DEP_1) | instskip(SKIP_1) | instid1(VALU_DEP_2)
	v_subrev_nc_u32_e32 v5, s35, v4
	v_cmp_le_u32_e32 vcc_lo, s35, v4
	v_cndmask_b32_e32 v12, v4, v5, vcc_lo
	s_delay_alu instid0(VALU_DEP_1)
	v_dual_mov_b32 v4, v12 :: v_dual_mov_b32 v5, v13
.LBB174_354:                            ;   in Loop: Header=BB174_18 Depth=1
	s_delay_alu instid0(VALU_DEP_1) | instskip(NEXT) | instid1(VALU_DEP_2)
	v_sub_co_u32 v4, vcc_lo, s88, v4
	v_sub_co_ci_u32_e32 v5, vcc_lo, s27, v5, vcc_lo
	s_mov_b32 s7, 0
	s_mov_b32 s8, exec_lo
                                        ; implicit-def: $vgpr31
	s_delay_alu instid0(VALU_DEP_1)
	v_cmpx_gt_u64_e64 v[4:5], v[0:1]
	s_cbranch_execz .LBB174_363
; %bb.355:                              ;   in Loop: Header=BB174_18 Depth=1
	v_dual_mov_b32 v7, v1 :: v_dual_mov_b32 v6, v0
	s_mov_b32 s9, 0
                                        ; implicit-def: $sgpr16
	s_branch .LBB174_357
.LBB174_356:                            ;   in Loop: Header=BB174_357 Depth=2
	s_or_b32 exec_lo, exec_lo, s7
	s_waitcnt vmcnt(0) lgkmcnt(0)
	s_barrier
	buffer_gl0_inv
	ds_load_b32 v8, v13 offset:3072
	v_add_co_u32 v6, vcc_lo, v6, s35
	v_add_co_ci_u32_e32 v7, vcc_lo, 0, v7, vcc_lo
	s_waitcnt lgkmcnt(0)
	s_barrier
	buffer_gl0_inv
	v_cmp_ge_u64_e32 vcc_lo, v[6:7], v[4:5]
	v_cmp_ne_u16_e64 s7, 0, v8
	s_delay_alu instid0(VALU_DEP_1) | instskip(NEXT) | instid1(SALU_CYCLE_1)
	s_or_b32 s17, vcc_lo, s7
	s_and_b32 s17, exec_lo, s17
	s_delay_alu instid0(SALU_CYCLE_1) | instskip(SKIP_2) | instid1(SALU_CYCLE_1)
	s_or_b32 s9, s17, s9
	s_and_not1_b32 s16, s16, exec_lo
	s_and_b32 s7, s7, exec_lo
	s_or_b32 s16, s16, s7
	s_and_not1_b32 exec_lo, exec_lo, s9
	s_cbranch_execz .LBB174_362
.LBB174_357:                            ;   Parent Loop BB174_18 Depth=1
                                        ; =>  This Inner Loop Header: Depth=2
	s_delay_alu instid0(VALU_DEP_1)
	v_cmp_gt_u64_e32 vcc_lo, s[36:37], v[6:7]
	v_mov_b32_e32 v8, 0
	s_and_saveexec_b32 s17, vcc_lo
	s_cbranch_execz .LBB174_359
; %bb.358:                              ;   in Loop: Header=BB174_357 Depth=2
	v_mul_lo_u32 v12, v7, s30
	v_mul_lo_u32 v16, v6, s31
	v_mad_u64_u32 v[8:9], null, v6, s30, 0
	s_delay_alu instid0(VALU_DEP_1) | instskip(NEXT) | instid1(VALU_DEP_1)
	v_add3_u32 v9, v9, v16, v12
	v_lshlrev_b64 v[8:9], 1, v[8:9]
	s_delay_alu instid0(VALU_DEP_1) | instskip(NEXT) | instid1(VALU_DEP_1)
	v_add_co_u32 v8, s7, s29, v8
	v_add_co_ci_u32_e64 v9, s7, s33, v9, s7
	global_load_u16 v8, v[8:9], off
.LBB174_359:                            ;   in Loop: Header=BB174_357 Depth=2
	s_or_b32 exec_lo, exec_lo, s17
	s_and_saveexec_b32 s7, vcc_lo
	s_cbranch_execz .LBB174_356
; %bb.360:                              ;   in Loop: Header=BB174_357 Depth=2
	s_waitcnt vmcnt(0)
	v_bfe_i32 v9, v8, 0, 16
	s_delay_alu instid0(VALU_DEP_1) | instskip(NEXT) | instid1(VALU_DEP_1)
	v_add_nc_u32_e32 v9, 0x8000, v9
	v_and_b32_e32 v9, v9, v29
	s_delay_alu instid0(VALU_DEP_1)
	v_cmp_eq_u32_e32 vcc_lo, v9, v30
	s_and_b32 exec_lo, exec_lo, vcc_lo
	s_cbranch_execz .LBB174_356
; %bb.361:                              ;   in Loop: Header=BB174_357 Depth=2
	v_perm_b32 v8, v8, 1, 0x5040100
	ds_store_b32 v13, v8 offset:3072
	s_branch .LBB174_356
.LBB174_362:                            ;   in Loop: Header=BB174_18 Depth=1
	s_or_b32 exec_lo, exec_lo, s9
	v_lshrrev_b32_e32 v31, 16, v8
	s_and_b32 s7, s16, exec_lo
.LBB174_363:                            ;   in Loop: Header=BB174_18 Depth=1
	s_or_b32 exec_lo, exec_lo, s8
	s_mov_b32 s17, 0
	s_mov_b32 s16, -1
	s_mov_b32 s75, 0
.LBB174_364:                            ;   in Loop: Header=BB174_18 Depth=1
	s_or_not1_b32 s7, s7, exec_lo
.LBB174_365:                            ;   in Loop: Header=BB174_18 Depth=1
	s_or_b32 exec_lo, exec_lo, s59
	s_mov_b32 s26, 0
                                        ; implicit-def: $vgpr6
	s_and_saveexec_b32 s76, s7
	s_cbranch_execz .LBB174_478
; %bb.366:                              ;   in Loop: Header=BB174_18 Depth=1
	v_mov_b32_e32 v4, 1
	v_dual_mov_b32 v5, 0 :: v_dual_mov_b32 v6, 1
	s_xor_b32 s8, s58, -1
	s_delay_alu instid0(SALU_CYCLE_1)
	s_and_saveexec_b32 s7, s8
	s_cbranch_execz .LBB174_376
; %bb.367:                              ;   in Loop: Header=BB174_18 Depth=1
	s_mov_b32 s9, exec_lo
                                        ; implicit-def: $sgpr26
                                        ; implicit-def: $sgpr8
	v_cmpx_ge_u64_e64 s[14:15], v[2:3]
	s_xor_b32 s9, exec_lo, s9
	s_cbranch_execz .LBB174_373
; %bb.368:                              ;   in Loop: Header=BB174_18 Depth=1
	ds_load_b64 v[4:5], v13 offset:5120
	s_waitcnt lgkmcnt(0)
	v_cmp_ne_u64_e32 vcc_lo, 0, v[4:5]
	s_cbranch_vccnz .LBB174_372
; %bb.369:                              ;   in Loop: Header=BB174_18 Depth=1
	s_and_saveexec_b32 s8, s5
	s_cbranch_execz .LBB174_371
; %bb.370:                              ;   in Loop: Header=BB174_18 Depth=1
	v_dual_mov_b32 v4, s14 :: v_dual_mov_b32 v5, s15
	ds_store_b64 v13, v[4:5] offset:5128
.LBB174_371:                            ;   in Loop: Header=BB174_18 Depth=1
	s_or_b32 exec_lo, exec_lo, s8
	s_waitcnt lgkmcnt(0)
	s_barrier
	buffer_gl0_inv
.LBB174_372:                            ;   in Loop: Header=BB174_18 Depth=1
	s_lshl_b32 s8, 2, s22
	v_or_b32_e32 v29, s20, v29
	v_and_or_b32 v30, v30, s21, s8
	s_mov_b32 s8, 0
	s_mov_b32 s26, 5
.LBB174_373:                            ;   in Loop: Header=BB174_18 Depth=1
	s_or_saveexec_b32 s9, s9
	v_mov_b32_e32 v6, s26
	s_xor_b32 exec_lo, exec_lo, s9
; %bb.374:                              ;   in Loop: Header=BB174_18 Depth=1
	v_sub_co_u32 v2, vcc_lo, v2, s14
	v_subrev_co_ci_u32_e32 v3, vcc_lo, s15, v3, vcc_lo
	v_mov_b32_e32 v6, 0
	s_or_b32 s8, s8, exec_lo
; %bb.375:                              ;   in Loop: Header=BB174_18 Depth=1
	s_or_b32 exec_lo, exec_lo, s9
	s_delay_alu instid0(VALU_DEP_2)
	v_dual_mov_b32 v5, v3 :: v_dual_mov_b32 v4, v2
	s_and_b32 s26, s8, exec_lo
.LBB174_376:                            ;   in Loop: Header=BB174_18 Depth=1
	s_or_b32 exec_lo, exec_lo, s7
	s_mov_b32 s7, -1
                                        ; implicit-def: $sgpr8
                                        ; implicit-def: $sgpr9
                                        ; implicit-def: $sgpr14
	s_and_saveexec_b32 s77, s26
	s_cbranch_execz .LBB174_477
; %bb.377:                              ;   in Loop: Header=BB174_18 Depth=1
	v_cmp_eq_u64_e32 vcc_lo, 1, v[4:5]
	s_cmp_eq_u64 s[12:13], 1
                                        ; implicit-def: $sgpr14
                                        ; implicit-def: $sgpr15
                                        ; implicit-def: $sgpr78
	s_cselect_b32 s7, -1, 0
	s_delay_alu instid0(SALU_CYCLE_1)
	s_and_b32 s68, s7, vcc_lo
	s_mov_b32 s7, -1
	s_and_saveexec_b32 s58, s68
	s_cbranch_execz .LBB174_411
; %bb.378:                              ;   in Loop: Header=BB174_18 Depth=1
	ds_load_b64 v[2:3], v13 offset:5120
	s_waitcnt lgkmcnt(0)
	s_barrier
	buffer_gl0_inv
	v_readfirstlane_b32 s8, v2
	v_readfirstlane_b32 s9, v3
	s_and_saveexec_b32 s7, s6
	s_cbranch_execz .LBB174_380
; %bb.379:                              ;   in Loop: Header=BB174_18 Depth=1
	ds_store_b16 v26, v13
.LBB174_380:                            ;   in Loop: Header=BB174_18 Depth=1
	s_or_b32 exec_lo, exec_lo, s7
	s_lshl_b32 s7, 1, s22
	v_or_b32_e32 v29, s20, v29
	v_and_or_b32 v30, v30, s21, s7
	s_cmp_eq_u64 s[8:9], 0
	s_waitcnt lgkmcnt(0)
	s_barrier
	buffer_gl0_inv
	s_cbranch_scc1 .LBB174_394
; %bb.381:                              ;   in Loop: Header=BB174_18 Depth=1
	s_add_u32 s26, s86, s8
	s_addc_u32 s15, s87, s9
	s_mov_b32 s14, s71
	s_delay_alu instid0(SALU_CYCLE_1)
	s_cmp_lg_u64 s[14:15], 0
	s_cbranch_scc0 .LBB174_429
; %bb.382:                              ;   in Loop: Header=BB174_18 Depth=1
	v_cvt_f32_u32_e32 v2, s35
	s_sub_u32 s59, 0, s35
	s_subb_u32 s64, 0, 0
	s_delay_alu instid0(VALU_DEP_1) | instskip(NEXT) | instid1(VALU_DEP_1)
	v_fmac_f32_e64 v2, 0, 0x4f800000
	v_rcp_f32_e32 v2, v2
	s_waitcnt_depctr 0xfff
	v_mul_f32_e32 v2, 0x5f7ffffc, v2
	s_delay_alu instid0(VALU_DEP_1) | instskip(NEXT) | instid1(VALU_DEP_1)
	v_mul_f32_e32 v3, 0x2f800000, v2
	v_trunc_f32_e32 v3, v3
	s_delay_alu instid0(VALU_DEP_1) | instskip(SKIP_1) | instid1(VALU_DEP_2)
	v_fmac_f32_e32 v2, 0xcf800000, v3
	v_cvt_u32_f32_e32 v3, v3
	v_cvt_u32_f32_e32 v2, v2
	s_delay_alu instid0(VALU_DEP_2) | instskip(NEXT) | instid1(VALU_DEP_2)
	v_readfirstlane_b32 s7, v3
	v_readfirstlane_b32 s14, v2
	s_delay_alu instid0(VALU_DEP_2) | instskip(NEXT) | instid1(VALU_DEP_1)
	s_mul_i32 s65, s59, s7
	s_mul_hi_u32 s78, s59, s14
	s_mul_i32 s69, s64, s14
	s_add_i32 s65, s78, s65
	s_mul_i32 s79, s59, s14
	s_add_i32 s65, s65, s69
	s_mul_hi_u32 s78, s14, s79
	s_mul_hi_u32 s80, s7, s79
	s_mul_i32 s69, s7, s79
	s_mul_hi_u32 s79, s14, s65
	s_mul_i32 s14, s14, s65
	s_mul_hi_u32 s81, s7, s65
	s_add_u32 s14, s78, s14
	s_addc_u32 s78, 0, s79
	s_add_u32 s14, s14, s69
	s_mul_i32 s65, s7, s65
	s_addc_u32 s14, s78, s80
	s_addc_u32 s69, s81, 0
	s_add_u32 s14, s14, s65
	s_addc_u32 s65, 0, s69
	v_add_co_u32 v2, s14, v2, s14
	s_delay_alu instid0(VALU_DEP_1) | instskip(SKIP_1) | instid1(VALU_DEP_1)
	s_cmp_lg_u32 s14, 0
	s_addc_u32 s7, s7, s65
	v_readfirstlane_b32 s14, v2
	s_mul_i32 s65, s59, s7
	s_delay_alu instid0(VALU_DEP_1)
	s_mul_hi_u32 s69, s59, s14
	s_mul_i32 s64, s64, s14
	s_add_i32 s65, s69, s65
	s_mul_i32 s59, s59, s14
	s_add_i32 s65, s65, s64
	s_mul_hi_u32 s69, s7, s59
	s_mul_i32 s78, s7, s59
	s_mul_hi_u32 s59, s14, s59
	s_mul_hi_u32 s79, s14, s65
	s_mul_i32 s14, s14, s65
	s_mul_hi_u32 s64, s7, s65
	s_add_u32 s14, s59, s14
	s_addc_u32 s59, 0, s79
	s_add_u32 s14, s14, s78
	s_mul_i32 s65, s7, s65
	s_addc_u32 s14, s59, s69
	s_addc_u32 s59, s64, 0
	s_add_u32 s14, s14, s65
	s_addc_u32 s59, 0, s59
	v_add_co_u32 v2, s14, v2, s14
	s_delay_alu instid0(VALU_DEP_1) | instskip(SKIP_1) | instid1(VALU_DEP_1)
	s_cmp_lg_u32 s14, 0
	s_addc_u32 s7, s7, s59
	v_readfirstlane_b32 s14, v2
	s_mul_i32 s64, s26, s7
	s_mul_hi_u32 s59, s26, s7
	s_mul_hi_u32 s65, s15, s7
	s_mul_i32 s7, s15, s7
	s_mul_hi_u32 s69, s26, s14
	s_mul_hi_u32 s78, s15, s14
	s_mul_i32 s14, s15, s14
	s_add_u32 s64, s69, s64
	s_addc_u32 s59, 0, s59
	s_add_u32 s14, s64, s14
	s_addc_u32 s14, s59, s78
	s_addc_u32 s59, s65, 0
	s_add_u32 s7, s14, s7
	s_addc_u32 s14, 0, s59
	s_mul_hi_u32 s59, s35, s7
	s_mul_i32 s7, s35, s7
	s_mul_i32 s14, s35, s14
	v_sub_co_u32 v2, s7, s26, s7
	s_add_i32 s59, s59, s14
	s_cmp_lg_u32 s7, 0
	s_delay_alu instid0(VALU_DEP_1) | instskip(SKIP_3) | instid1(VALU_DEP_2)
	v_sub_co_u32 v3, s7, v2, s35
	s_subb_u32 s14, s15, s59
	s_cmp_lg_u32 s7, 0
	v_cmp_le_u32_e32 vcc_lo, s35, v2
	v_cmp_le_u32_e64 s7, s35, v3
	v_sub_co_u32 v6, s59, v3, s35
	s_subb_u32 s64, s14, 0
	s_cmp_lg_u32 s59, 0
	s_delay_alu instid0(VALU_DEP_2)
	v_cndmask_b32_e64 v7, 0, -1, s7
	s_subb_u32 s59, s64, 0
	s_cmp_eq_u32 s64, 0
	v_mov_b32_e32 v9, s59
	v_cndmask_b32_e64 v8, 0, -1, vcc_lo
	s_cselect_b32 vcc_lo, -1, 0
	s_cmp_eq_u32 s14, 0
	v_cndmask_b32_e32 v7, -1, v7, vcc_lo
	s_cselect_b32 vcc_lo, -1, 0
	v_cndmask_b32_e32 v8, -1, v8, vcc_lo
	s_delay_alu instid0(VALU_DEP_2) | instskip(NEXT) | instid1(VALU_DEP_2)
	v_cmp_ne_u32_e32 vcc_lo, 0, v7
	v_cmp_ne_u32_e64 s7, 0, v8
	v_cndmask_b32_e32 v7, s64, v9, vcc_lo
	v_cndmask_b32_e32 v6, v3, v6, vcc_lo
	s_delay_alu instid0(VALU_DEP_2) | instskip(NEXT) | instid1(VALU_DEP_2)
	v_cndmask_b32_e64 v3, s14, v7, s7
	v_cndmask_b32_e64 v2, v2, v6, s7
	s_cbranch_execnz .LBB174_384
.LBB174_383:                            ;   in Loop: Header=BB174_18 Depth=1
	v_cvt_f32_u32_e32 v2, s35
	s_sub_i32 s7, 0, s35
	s_delay_alu instid0(VALU_DEP_1) | instskip(SKIP_2) | instid1(VALU_DEP_1)
	v_rcp_iflag_f32_e32 v2, v2
	s_waitcnt_depctr 0xfff
	v_mul_f32_e32 v2, 0x4f7ffffe, v2
	v_cvt_u32_f32_e32 v2, v2
	s_delay_alu instid0(VALU_DEP_1) | instskip(NEXT) | instid1(VALU_DEP_1)
	v_mul_lo_u32 v3, s7, v2
	v_mul_hi_u32 v3, v2, v3
	s_delay_alu instid0(VALU_DEP_1) | instskip(NEXT) | instid1(VALU_DEP_1)
	v_add_nc_u32_e32 v2, v2, v3
	v_mul_hi_u32 v2, s26, v2
	s_delay_alu instid0(VALU_DEP_1) | instskip(NEXT) | instid1(VALU_DEP_1)
	v_mul_lo_u32 v2, v2, s35
	v_sub_nc_u32_e32 v2, s26, v2
	s_delay_alu instid0(VALU_DEP_1) | instskip(SKIP_1) | instid1(VALU_DEP_2)
	v_subrev_nc_u32_e32 v3, s35, v2
	v_cmp_le_u32_e32 vcc_lo, s35, v2
	v_cndmask_b32_e32 v2, v2, v3, vcc_lo
	s_delay_alu instid0(VALU_DEP_1) | instskip(SKIP_1) | instid1(VALU_DEP_2)
	v_subrev_nc_u32_e32 v3, s35, v2
	v_cmp_le_u32_e32 vcc_lo, s35, v2
	v_cndmask_b32_e32 v12, v2, v3, vcc_lo
	s_delay_alu instid0(VALU_DEP_1)
	v_dual_mov_b32 v2, v12 :: v_dual_mov_b32 v3, v13
.LBB174_384:                            ;   in Loop: Header=BB174_18 Depth=1
	s_delay_alu instid0(VALU_DEP_1) | instskip(NEXT) | instid1(VALU_DEP_2)
	v_sub_co_u32 v2, vcc_lo, s26, v2
	v_sub_co_ci_u32_e32 v3, vcc_lo, s15, v3, vcc_lo
	s_mov_b32 s7, 0
	s_mov_b32 s14, exec_lo
                                        ; implicit-def: $vgpr31
	s_delay_alu instid0(VALU_DEP_1)
	v_cmpx_gt_u64_e64 v[2:3], v[0:1]
	s_cbranch_execz .LBB174_396
; %bb.385:                              ;   in Loop: Header=BB174_18 Depth=1
	v_mov_b32_e32 v8, v25
	v_dual_mov_b32 v7, v1 :: v_dual_mov_b32 v6, v0
	s_mov_b32 s15, 0
                                        ; implicit-def: $sgpr26
	s_set_inst_prefetch_distance 0x1
	s_branch .LBB174_387
	.p2align	6
.LBB174_386:                            ;   in Loop: Header=BB174_387 Depth=2
	s_or_b32 exec_lo, exec_lo, s7
	s_waitcnt lgkmcnt(0)
	s_barrier
	buffer_gl0_inv
	ds_load_b32 v9, v13 offset:3072
	v_add_co_u32 v6, vcc_lo, v6, s35
	v_add_co_ci_u32_e32 v7, vcc_lo, 0, v7, vcc_lo
	v_add_nc_u32_e32 v8, s94, v8
	s_waitcnt lgkmcnt(0)
	s_barrier
	s_delay_alu instid0(VALU_DEP_2) | instskip(SKIP_2) | instid1(VALU_DEP_1)
	v_cmp_ge_u64_e32 vcc_lo, v[6:7], v[2:3]
	buffer_gl0_inv
	v_cmp_ne_u16_e64 s7, 0, v9
	s_or_b32 s59, vcc_lo, s7
	s_delay_alu instid0(SALU_CYCLE_1) | instskip(NEXT) | instid1(SALU_CYCLE_1)
	s_and_b32 s59, exec_lo, s59
	s_or_b32 s15, s59, s15
	s_and_not1_b32 s26, s26, exec_lo
	s_and_b32 s7, s7, exec_lo
	s_delay_alu instid0(SALU_CYCLE_1)
	s_or_b32 s26, s26, s7
	s_and_not1_b32 exec_lo, exec_lo, s15
	s_cbranch_execz .LBB174_395
.LBB174_387:                            ;   Parent Loop BB174_18 Depth=1
                                        ; =>  This Inner Loop Header: Depth=2
	s_delay_alu instid0(VALU_DEP_1)
	v_cmp_gt_u64_e32 vcc_lo, s[8:9], v[6:7]
	v_mov_b32_e32 v9, 0
	s_and_saveexec_b32 s7, vcc_lo
	s_cbranch_execz .LBB174_389
; %bb.388:                              ;   in Loop: Header=BB174_387 Depth=2
	ds_load_u16 v9, v8
.LBB174_389:                            ;   in Loop: Header=BB174_387 Depth=2
	s_or_b32 exec_lo, exec_lo, s7
	s_and_saveexec_b32 s7, vcc_lo
	s_cbranch_execz .LBB174_386
; %bb.390:                              ;   in Loop: Header=BB174_387 Depth=2
	s_waitcnt lgkmcnt(0)
	v_bfe_i32 v12, v9, 0, 16
	s_delay_alu instid0(VALU_DEP_1) | instskip(NEXT) | instid1(VALU_DEP_1)
	v_add_nc_u32_e32 v12, 0x8000, v12
	v_and_b32_e32 v12, v12, v29
	s_delay_alu instid0(VALU_DEP_1)
	v_cmp_eq_u32_e32 vcc_lo, v12, v30
	s_and_b32 exec_lo, exec_lo, vcc_lo
	s_cbranch_execz .LBB174_386
; %bb.391:                              ;   in Loop: Header=BB174_387 Depth=2
	v_perm_b32 v9, v9, 1, 0x5040100
	ds_store_b32 v13, v9 offset:3072
	s_branch .LBB174_386
.LBB174_392:                            ;   in Loop: Header=BB174_18 Depth=1
                                        ; implicit-def: $vgpr4_vgpr5
	s_branch .LBB174_337
.LBB174_393:                            ;   in Loop: Header=BB174_18 Depth=1
                                        ; implicit-def: $vgpr4_vgpr5
	s_branch .LBB174_353
.LBB174_394:                            ;   in Loop: Header=BB174_18 Depth=1
	s_mov_b32 s14, -1
	s_mov_b32 s7, 0
                                        ; implicit-def: $sgpr15
                                        ; implicit-def: $vgpr31
	s_mov_b32 s78, s14
	s_cbranch_execnz .LBB174_397
	s_branch .LBB174_410
.LBB174_395:                            ;   in Loop: Header=BB174_18 Depth=1
	s_set_inst_prefetch_distance 0x2
	s_or_b32 exec_lo, exec_lo, s15
	v_lshrrev_b32_e32 v31, 16, v9
	s_and_b32 s7, s26, exec_lo
.LBB174_396:                            ;   in Loop: Header=BB174_18 Depth=1
	s_or_b32 exec_lo, exec_lo, s14
	s_mov_b32 s14, 0
	s_mov_b32 s15, -1
	s_mov_b32 s78, s14
	s_branch .LBB174_410
.LBB174_397:                            ;   in Loop: Header=BB174_18 Depth=1
	s_mov_b32 s26, s71
	s_delay_alu instid0(SALU_CYCLE_1)
	s_cmp_lg_u64 s[26:27], 0
	s_cbranch_scc0 .LBB174_430
; %bb.398:                              ;   in Loop: Header=BB174_18 Depth=1
	v_cvt_f32_u32_e32 v2, s35
	s_sub_u32 s9, 0, s35
	s_subb_u32 s14, 0, 0
	s_delay_alu instid0(VALU_DEP_1) | instskip(NEXT) | instid1(VALU_DEP_1)
	v_fmac_f32_e64 v2, 0, 0x4f800000
	v_rcp_f32_e32 v2, v2
	s_waitcnt_depctr 0xfff
	v_mul_f32_e32 v2, 0x5f7ffffc, v2
	s_delay_alu instid0(VALU_DEP_1) | instskip(NEXT) | instid1(VALU_DEP_1)
	v_mul_f32_e32 v3, 0x2f800000, v2
	v_trunc_f32_e32 v3, v3
	s_delay_alu instid0(VALU_DEP_1) | instskip(SKIP_1) | instid1(VALU_DEP_2)
	v_fmac_f32_e32 v2, 0xcf800000, v3
	v_cvt_u32_f32_e32 v3, v3
	v_cvt_u32_f32_e32 v2, v2
	s_delay_alu instid0(VALU_DEP_2) | instskip(NEXT) | instid1(VALU_DEP_2)
	v_readfirstlane_b32 s7, v3
	v_readfirstlane_b32 s8, v2
	s_delay_alu instid0(VALU_DEP_2) | instskip(NEXT) | instid1(VALU_DEP_1)
	s_mul_i32 s15, s9, s7
	s_mul_hi_u32 s59, s9, s8
	s_mul_i32 s26, s14, s8
	s_add_i32 s15, s59, s15
	s_mul_i32 s64, s9, s8
	s_add_i32 s15, s15, s26
	s_mul_hi_u32 s59, s8, s64
	s_mul_hi_u32 s65, s7, s64
	s_mul_i32 s26, s7, s64
	s_mul_hi_u32 s64, s8, s15
	s_mul_i32 s8, s8, s15
	s_mul_hi_u32 s69, s7, s15
	s_add_u32 s8, s59, s8
	s_addc_u32 s59, 0, s64
	s_add_u32 s8, s8, s26
	s_mul_i32 s15, s7, s15
	s_addc_u32 s8, s59, s65
	s_addc_u32 s26, s69, 0
	s_add_u32 s8, s8, s15
	s_addc_u32 s15, 0, s26
	v_add_co_u32 v2, s8, v2, s8
	s_delay_alu instid0(VALU_DEP_1) | instskip(SKIP_1) | instid1(VALU_DEP_1)
	s_cmp_lg_u32 s8, 0
	s_addc_u32 s7, s7, s15
	v_readfirstlane_b32 s8, v2
	s_mul_i32 s15, s9, s7
	s_delay_alu instid0(VALU_DEP_1)
	s_mul_hi_u32 s26, s9, s8
	s_mul_i32 s14, s14, s8
	s_add_i32 s15, s26, s15
	s_mul_i32 s9, s9, s8
	s_add_i32 s15, s15, s14
	s_mul_hi_u32 s26, s7, s9
	s_mul_i32 s59, s7, s9
	s_mul_hi_u32 s9, s8, s9
	s_mul_hi_u32 s64, s8, s15
	s_mul_i32 s8, s8, s15
	s_mul_hi_u32 s14, s7, s15
	s_add_u32 s8, s9, s8
	s_addc_u32 s9, 0, s64
	s_add_u32 s8, s8, s59
	s_mul_i32 s15, s7, s15
	s_addc_u32 s8, s9, s26
	s_addc_u32 s9, s14, 0
	s_add_u32 s8, s8, s15
	s_addc_u32 s9, 0, s9
	v_add_co_u32 v2, s8, v2, s8
	s_delay_alu instid0(VALU_DEP_1) | instskip(SKIP_1) | instid1(VALU_DEP_1)
	s_cmp_lg_u32 s8, 0
	s_addc_u32 s7, s7, s9
	v_readfirstlane_b32 s8, v2
	s_mul_i32 s14, s88, s7
	s_mul_hi_u32 s9, s88, s7
	s_mul_hi_u32 s15, s27, s7
	s_mul_i32 s7, s27, s7
	s_mul_hi_u32 s26, s88, s8
	s_mul_hi_u32 s59, s27, s8
	s_mul_i32 s8, s27, s8
	s_add_u32 s14, s26, s14
	s_addc_u32 s9, 0, s9
	s_add_u32 s8, s14, s8
	s_addc_u32 s8, s9, s59
	s_addc_u32 s9, s15, 0
	s_add_u32 s7, s8, s7
	s_addc_u32 s8, 0, s9
	s_mul_hi_u32 s9, s35, s7
	s_mul_i32 s7, s35, s7
	s_mul_i32 s8, s35, s8
	v_sub_co_u32 v2, s7, s88, s7
	s_add_i32 s9, s9, s8
	s_cmp_lg_u32 s7, 0
	s_delay_alu instid0(VALU_DEP_1) | instskip(SKIP_3) | instid1(VALU_DEP_2)
	v_sub_co_u32 v3, s7, v2, s35
	s_subb_u32 s8, s27, s9
	s_cmp_lg_u32 s7, 0
	v_cmp_le_u32_e32 vcc_lo, s35, v2
	v_cmp_le_u32_e64 s7, s35, v3
	v_sub_co_u32 v6, s9, v3, s35
	s_subb_u32 s14, s8, 0
	s_cmp_lg_u32 s9, 0
	s_delay_alu instid0(VALU_DEP_2)
	v_cndmask_b32_e64 v7, 0, -1, s7
	s_subb_u32 s9, s14, 0
	s_cmp_eq_u32 s14, 0
	v_mov_b32_e32 v9, s9
	v_cndmask_b32_e64 v8, 0, -1, vcc_lo
	s_cselect_b32 vcc_lo, -1, 0
	s_cmp_eq_u32 s8, 0
	v_cndmask_b32_e32 v7, -1, v7, vcc_lo
	s_cselect_b32 vcc_lo, -1, 0
	v_cndmask_b32_e32 v8, -1, v8, vcc_lo
	s_delay_alu instid0(VALU_DEP_2) | instskip(NEXT) | instid1(VALU_DEP_2)
	v_cmp_ne_u32_e32 vcc_lo, 0, v7
	v_cmp_ne_u32_e64 s7, 0, v8
	v_cndmask_b32_e32 v7, s14, v9, vcc_lo
	v_cndmask_b32_e32 v6, v3, v6, vcc_lo
	s_delay_alu instid0(VALU_DEP_2) | instskip(NEXT) | instid1(VALU_DEP_2)
	v_cndmask_b32_e64 v3, s8, v7, s7
	v_cndmask_b32_e64 v2, v2, v6, s7
	s_cbranch_execnz .LBB174_400
.LBB174_399:                            ;   in Loop: Header=BB174_18 Depth=1
	v_cvt_f32_u32_e32 v2, s35
	s_sub_i32 s7, 0, s35
	s_delay_alu instid0(VALU_DEP_1) | instskip(SKIP_2) | instid1(VALU_DEP_1)
	v_rcp_iflag_f32_e32 v2, v2
	s_waitcnt_depctr 0xfff
	v_mul_f32_e32 v2, 0x4f7ffffe, v2
	v_cvt_u32_f32_e32 v2, v2
	s_delay_alu instid0(VALU_DEP_1) | instskip(NEXT) | instid1(VALU_DEP_1)
	v_mul_lo_u32 v3, s7, v2
	v_mul_hi_u32 v3, v2, v3
	s_delay_alu instid0(VALU_DEP_1) | instskip(NEXT) | instid1(VALU_DEP_1)
	v_add_nc_u32_e32 v2, v2, v3
	v_mul_hi_u32 v2, s88, v2
	s_delay_alu instid0(VALU_DEP_1) | instskip(NEXT) | instid1(VALU_DEP_1)
	v_mul_lo_u32 v2, v2, s35
	v_sub_nc_u32_e32 v2, s88, v2
	s_delay_alu instid0(VALU_DEP_1) | instskip(SKIP_1) | instid1(VALU_DEP_2)
	v_subrev_nc_u32_e32 v3, s35, v2
	v_cmp_le_u32_e32 vcc_lo, s35, v2
	v_cndmask_b32_e32 v2, v2, v3, vcc_lo
	s_delay_alu instid0(VALU_DEP_1) | instskip(SKIP_1) | instid1(VALU_DEP_2)
	v_subrev_nc_u32_e32 v3, s35, v2
	v_cmp_le_u32_e32 vcc_lo, s35, v2
	v_cndmask_b32_e32 v12, v2, v3, vcc_lo
	s_delay_alu instid0(VALU_DEP_1)
	v_dual_mov_b32 v2, v12 :: v_dual_mov_b32 v3, v13
.LBB174_400:                            ;   in Loop: Header=BB174_18 Depth=1
	s_delay_alu instid0(VALU_DEP_1) | instskip(NEXT) | instid1(VALU_DEP_2)
	v_sub_co_u32 v2, vcc_lo, s88, v2
	v_sub_co_ci_u32_e32 v3, vcc_lo, s27, v3, vcc_lo
	s_mov_b32 s7, 0
	s_mov_b32 s8, exec_lo
                                        ; implicit-def: $vgpr31
	s_delay_alu instid0(VALU_DEP_1)
	v_cmpx_gt_u64_e64 v[2:3], v[0:1]
	s_cbranch_execz .LBB174_409
; %bb.401:                              ;   in Loop: Header=BB174_18 Depth=1
	v_dual_mov_b32 v7, v1 :: v_dual_mov_b32 v6, v0
	s_mov_b32 s9, 0
                                        ; implicit-def: $sgpr14
	s_branch .LBB174_403
.LBB174_402:                            ;   in Loop: Header=BB174_403 Depth=2
	s_or_b32 exec_lo, exec_lo, s7
	s_waitcnt vmcnt(0) lgkmcnt(0)
	s_barrier
	buffer_gl0_inv
	ds_load_b32 v8, v13 offset:3072
	v_add_co_u32 v6, vcc_lo, v6, s35
	v_add_co_ci_u32_e32 v7, vcc_lo, 0, v7, vcc_lo
	s_waitcnt lgkmcnt(0)
	s_barrier
	buffer_gl0_inv
	v_cmp_ge_u64_e32 vcc_lo, v[6:7], v[2:3]
	v_cmp_ne_u16_e64 s7, 0, v8
	s_delay_alu instid0(VALU_DEP_1) | instskip(NEXT) | instid1(SALU_CYCLE_1)
	s_or_b32 s15, vcc_lo, s7
	s_and_b32 s15, exec_lo, s15
	s_delay_alu instid0(SALU_CYCLE_1) | instskip(SKIP_2) | instid1(SALU_CYCLE_1)
	s_or_b32 s9, s15, s9
	s_and_not1_b32 s14, s14, exec_lo
	s_and_b32 s7, s7, exec_lo
	s_or_b32 s14, s14, s7
	s_and_not1_b32 exec_lo, exec_lo, s9
	s_cbranch_execz .LBB174_408
.LBB174_403:                            ;   Parent Loop BB174_18 Depth=1
                                        ; =>  This Inner Loop Header: Depth=2
	s_delay_alu instid0(VALU_DEP_1)
	v_cmp_gt_u64_e32 vcc_lo, s[36:37], v[6:7]
	v_mov_b32_e32 v8, 0
	s_and_saveexec_b32 s15, vcc_lo
	s_cbranch_execz .LBB174_405
; %bb.404:                              ;   in Loop: Header=BB174_403 Depth=2
	v_mul_lo_u32 v12, v7, s30
	v_mul_lo_u32 v16, v6, s31
	v_mad_u64_u32 v[8:9], null, v6, s30, 0
	s_delay_alu instid0(VALU_DEP_1) | instskip(NEXT) | instid1(VALU_DEP_1)
	v_add3_u32 v9, v9, v16, v12
	v_lshlrev_b64 v[8:9], 1, v[8:9]
	s_delay_alu instid0(VALU_DEP_1) | instskip(NEXT) | instid1(VALU_DEP_1)
	v_add_co_u32 v8, s7, s29, v8
	v_add_co_ci_u32_e64 v9, s7, s33, v9, s7
	global_load_u16 v8, v[8:9], off
.LBB174_405:                            ;   in Loop: Header=BB174_403 Depth=2
	s_or_b32 exec_lo, exec_lo, s15
	s_and_saveexec_b32 s7, vcc_lo
	s_cbranch_execz .LBB174_402
; %bb.406:                              ;   in Loop: Header=BB174_403 Depth=2
	s_waitcnt vmcnt(0)
	v_bfe_i32 v9, v8, 0, 16
	s_delay_alu instid0(VALU_DEP_1) | instskip(NEXT) | instid1(VALU_DEP_1)
	v_add_nc_u32_e32 v9, 0x8000, v9
	v_and_b32_e32 v9, v9, v29
	s_delay_alu instid0(VALU_DEP_1)
	v_cmp_eq_u32_e32 vcc_lo, v9, v30
	s_and_b32 exec_lo, exec_lo, vcc_lo
	s_cbranch_execz .LBB174_402
; %bb.407:                              ;   in Loop: Header=BB174_403 Depth=2
	v_perm_b32 v8, v8, 1, 0x5040100
	ds_store_b32 v13, v8 offset:3072
	s_branch .LBB174_402
.LBB174_408:                            ;   in Loop: Header=BB174_18 Depth=1
	s_or_b32 exec_lo, exec_lo, s9
	v_lshrrev_b32_e32 v31, 16, v8
	s_and_b32 s7, s14, exec_lo
.LBB174_409:                            ;   in Loop: Header=BB174_18 Depth=1
	s_or_b32 exec_lo, exec_lo, s8
	s_mov_b32 s15, 0
	s_mov_b32 s14, -1
	s_mov_b32 s78, 0
.LBB174_410:                            ;   in Loop: Header=BB174_18 Depth=1
	s_or_not1_b32 s7, s7, exec_lo
.LBB174_411:                            ;   in Loop: Header=BB174_18 Depth=1
	s_or_b32 exec_lo, exec_lo, s58
	s_mov_b32 s26, 0
                                        ; implicit-def: $vgpr6
	s_and_saveexec_b32 s79, s7
	s_cbranch_execz .LBB174_476
; %bb.412:                              ;   in Loop: Header=BB174_18 Depth=1
	v_mov_b32_e32 v2, 1
	v_dual_mov_b32 v3, 0 :: v_dual_mov_b32 v6, 1
	s_xor_b32 s8, s68, -1
	s_delay_alu instid0(SALU_CYCLE_1)
	s_and_saveexec_b32 s7, s8
	s_cbranch_execz .LBB174_422
; %bb.413:                              ;   in Loop: Header=BB174_18 Depth=1
	s_mov_b32 s9, exec_lo
                                        ; implicit-def: $sgpr26
                                        ; implicit-def: $sgpr8
	v_cmpx_ge_u64_e64 s[12:13], v[4:5]
	s_xor_b32 s9, exec_lo, s9
	s_cbranch_execz .LBB174_419
; %bb.414:                              ;   in Loop: Header=BB174_18 Depth=1
	ds_load_b64 v[2:3], v13 offset:5120
	s_waitcnt lgkmcnt(0)
	v_cmp_ne_u64_e32 vcc_lo, 0, v[2:3]
	s_cbranch_vccnz .LBB174_418
; %bb.415:                              ;   in Loop: Header=BB174_18 Depth=1
	s_and_saveexec_b32 s8, s5
	s_cbranch_execz .LBB174_417
; %bb.416:                              ;   in Loop: Header=BB174_18 Depth=1
	v_dual_mov_b32 v2, s12 :: v_dual_mov_b32 v3, s13
	ds_store_b64 v13, v[2:3] offset:5128
.LBB174_417:                            ;   in Loop: Header=BB174_18 Depth=1
	s_or_b32 exec_lo, exec_lo, s8
	s_waitcnt lgkmcnt(0)
	s_barrier
	buffer_gl0_inv
.LBB174_418:                            ;   in Loop: Header=BB174_18 Depth=1
	s_lshl_b32 s8, 1, s22
	v_or_b32_e32 v29, s20, v29
	v_and_or_b32 v30, v30, s21, s8
	s_mov_b32 s8, 0
	s_mov_b32 s26, 5
.LBB174_419:                            ;   in Loop: Header=BB174_18 Depth=1
	s_or_saveexec_b32 s9, s9
	v_mov_b32_e32 v6, s26
	s_xor_b32 exec_lo, exec_lo, s9
; %bb.420:                              ;   in Loop: Header=BB174_18 Depth=1
	v_sub_co_u32 v4, vcc_lo, v4, s12
	v_subrev_co_ci_u32_e32 v5, vcc_lo, s13, v5, vcc_lo
	v_mov_b32_e32 v6, 0
	s_or_b32 s8, s8, exec_lo
; %bb.421:                              ;   in Loop: Header=BB174_18 Depth=1
	s_or_b32 exec_lo, exec_lo, s9
	s_delay_alu instid0(VALU_DEP_2)
	v_dual_mov_b32 v2, v4 :: v_dual_mov_b32 v3, v5
	s_and_b32 s26, s8, exec_lo
.LBB174_422:                            ;   in Loop: Header=BB174_18 Depth=1
	s_or_b32 exec_lo, exec_lo, s7
	s_mov_b32 s12, -1
                                        ; implicit-def: $sgpr7
                                        ; implicit-def: $sgpr8
                                        ; implicit-def: $sgpr9
	s_and_saveexec_b32 s22, s26
	s_cbranch_execz .LBB174_475
; %bb.423:                              ;   in Loop: Header=BB174_18 Depth=1
	v_cmp_eq_u64_e32 vcc_lo, 1, v[2:3]
	s_cmp_eq_u64 s[10:11], 1
	s_mov_b32 s13, -1
	s_cselect_b32 s7, -1, 0
                                        ; implicit-def: $sgpr8
                                        ; implicit-def: $sgpr9
	s_delay_alu instid0(SALU_CYCLE_1) | instskip(NEXT) | instid1(SALU_CYCLE_1)
	s_and_b32 s58, s7, vcc_lo
                                        ; implicit-def: $sgpr7
	s_and_saveexec_b32 s59, s58
	s_cbranch_execz .LBB174_462
; %bb.424:                              ;   in Loop: Header=BB174_18 Depth=1
	ds_load_b64 v[4:5], v13 offset:5120
	s_waitcnt lgkmcnt(0)
	s_barrier
	buffer_gl0_inv
	v_readfirstlane_b32 s8, v4
	v_readfirstlane_b32 s9, v5
	s_and_saveexec_b32 s7, s6
	s_cbranch_execz .LBB174_426
; %bb.425:                              ;   in Loop: Header=BB174_18 Depth=1
	ds_store_b16 v26, v13
.LBB174_426:                            ;   in Loop: Header=BB174_18 Depth=1
	s_or_b32 exec_lo, exec_lo, s7
	v_and_b32_e32 v30, s21, v30
	v_or_b32_e32 v29, s20, v29
	s_cmp_eq_u64 s[8:9], 0
	s_waitcnt lgkmcnt(0)
	s_barrier
	buffer_gl0_inv
	s_cbranch_scc1 .LBB174_431
; %bb.427:                              ;   in Loop: Header=BB174_18 Depth=1
	s_add_u32 s26, s86, s8
	s_addc_u32 s13, s87, s9
	s_mov_b32 s12, s71
	s_delay_alu instid0(SALU_CYCLE_1)
	s_cmp_lg_u64 s[12:13], 0
	s_cbranch_scc0 .LBB174_432
; %bb.428:                              ;   in Loop: Header=BB174_18 Depth=1
	v_cvt_f32_u32_e32 v4, s35
	s_sub_u32 s64, 0, s35
	s_subb_u32 s65, 0, 0
	s_delay_alu instid0(VALU_DEP_1) | instskip(NEXT) | instid1(VALU_DEP_1)
	v_fmac_f32_e64 v4, 0, 0x4f800000
	v_rcp_f32_e32 v4, v4
	s_waitcnt_depctr 0xfff
	v_mul_f32_e32 v4, 0x5f7ffffc, v4
	s_delay_alu instid0(VALU_DEP_1) | instskip(NEXT) | instid1(VALU_DEP_1)
	v_mul_f32_e32 v5, 0x2f800000, v4
	v_trunc_f32_e32 v5, v5
	s_delay_alu instid0(VALU_DEP_1) | instskip(SKIP_1) | instid1(VALU_DEP_2)
	v_fmac_f32_e32 v4, 0xcf800000, v5
	v_cvt_u32_f32_e32 v5, v5
	v_cvt_u32_f32_e32 v4, v4
	s_delay_alu instid0(VALU_DEP_2) | instskip(NEXT) | instid1(VALU_DEP_2)
	v_readfirstlane_b32 s7, v5
	v_readfirstlane_b32 s12, v4
	s_delay_alu instid0(VALU_DEP_2) | instskip(NEXT) | instid1(VALU_DEP_1)
	s_mul_i32 s68, s64, s7
	s_mul_hi_u32 s80, s64, s12
	s_mul_i32 s69, s65, s12
	s_add_i32 s68, s80, s68
	s_mul_i32 s81, s64, s12
	s_add_i32 s68, s68, s69
	s_mul_hi_u32 s80, s12, s81
	s_mul_hi_u32 s82, s7, s81
	s_mul_i32 s69, s7, s81
	s_mul_hi_u32 s81, s12, s68
	s_mul_i32 s12, s12, s68
	s_mul_hi_u32 s83, s7, s68
	s_add_u32 s12, s80, s12
	s_addc_u32 s80, 0, s81
	s_add_u32 s12, s12, s69
	s_mul_i32 s68, s7, s68
	s_addc_u32 s12, s80, s82
	s_addc_u32 s69, s83, 0
	s_add_u32 s12, s12, s68
	s_addc_u32 s68, 0, s69
	v_add_co_u32 v4, s12, v4, s12
	s_delay_alu instid0(VALU_DEP_1) | instskip(SKIP_1) | instid1(VALU_DEP_1)
	s_cmp_lg_u32 s12, 0
	s_addc_u32 s7, s7, s68
	v_readfirstlane_b32 s12, v4
	s_mul_i32 s68, s64, s7
	s_delay_alu instid0(VALU_DEP_1)
	s_mul_hi_u32 s69, s64, s12
	s_mul_i32 s65, s65, s12
	s_add_i32 s68, s69, s68
	s_mul_i32 s64, s64, s12
	s_add_i32 s68, s68, s65
	s_mul_hi_u32 s69, s7, s64
	s_mul_i32 s80, s7, s64
	s_mul_hi_u32 s64, s12, s64
	s_mul_hi_u32 s81, s12, s68
	s_mul_i32 s12, s12, s68
	s_mul_hi_u32 s65, s7, s68
	s_add_u32 s12, s64, s12
	s_addc_u32 s64, 0, s81
	s_add_u32 s12, s12, s80
	s_mul_i32 s68, s7, s68
	s_addc_u32 s12, s64, s69
	s_addc_u32 s64, s65, 0
	s_add_u32 s12, s12, s68
	s_addc_u32 s64, 0, s64
	v_add_co_u32 v4, s12, v4, s12
	s_delay_alu instid0(VALU_DEP_1) | instskip(SKIP_1) | instid1(VALU_DEP_1)
	s_cmp_lg_u32 s12, 0
	s_addc_u32 s7, s7, s64
	v_readfirstlane_b32 s12, v4
	s_mul_i32 s65, s26, s7
	s_mul_hi_u32 s64, s26, s7
	s_mul_hi_u32 s68, s13, s7
	s_mul_i32 s7, s13, s7
	s_mul_hi_u32 s69, s26, s12
	s_mul_hi_u32 s80, s13, s12
	s_mul_i32 s12, s13, s12
	s_add_u32 s65, s69, s65
	s_addc_u32 s64, 0, s64
	s_add_u32 s12, s65, s12
	s_addc_u32 s12, s64, s80
	s_addc_u32 s64, s68, 0
	s_add_u32 s7, s12, s7
	s_addc_u32 s12, 0, s64
	s_mul_hi_u32 s64, s35, s7
	s_mul_i32 s7, s35, s7
	s_mul_i32 s12, s35, s12
	v_sub_co_u32 v4, s7, s26, s7
	s_add_i32 s64, s64, s12
	s_cmp_lg_u32 s7, 0
	s_delay_alu instid0(VALU_DEP_1) | instskip(SKIP_3) | instid1(VALU_DEP_2)
	v_sub_co_u32 v5, s7, v4, s35
	s_subb_u32 s12, s13, s64
	s_cmp_lg_u32 s7, 0
	v_cmp_le_u32_e32 vcc_lo, s35, v4
	v_cmp_le_u32_e64 s7, s35, v5
	v_sub_co_u32 v6, s64, v5, s35
	s_subb_u32 s65, s12, 0
	s_cmp_lg_u32 s64, 0
	s_delay_alu instid0(VALU_DEP_2)
	v_cndmask_b32_e64 v7, 0, -1, s7
	s_subb_u32 s64, s65, 0
	s_cmp_eq_u32 s65, 0
	v_mov_b32_e32 v9, s64
	v_cndmask_b32_e64 v8, 0, -1, vcc_lo
	s_cselect_b32 vcc_lo, -1, 0
	s_cmp_eq_u32 s12, 0
	v_cndmask_b32_e32 v7, -1, v7, vcc_lo
	s_cselect_b32 vcc_lo, -1, 0
	v_cndmask_b32_e32 v8, -1, v8, vcc_lo
	s_delay_alu instid0(VALU_DEP_2) | instskip(NEXT) | instid1(VALU_DEP_2)
	v_cmp_ne_u32_e32 vcc_lo, 0, v7
	v_cmp_ne_u32_e64 s7, 0, v8
	v_cndmask_b32_e32 v7, s65, v9, vcc_lo
	v_cndmask_b32_e32 v6, v5, v6, vcc_lo
	s_delay_alu instid0(VALU_DEP_2) | instskip(NEXT) | instid1(VALU_DEP_2)
	v_cndmask_b32_e64 v5, s12, v7, s7
	v_cndmask_b32_e64 v4, v4, v6, s7
	s_mov_b32 s7, 0
	s_branch .LBB174_433
.LBB174_429:                            ;   in Loop: Header=BB174_18 Depth=1
                                        ; implicit-def: $vgpr2_vgpr3
	s_branch .LBB174_383
.LBB174_430:                            ;   in Loop: Header=BB174_18 Depth=1
                                        ; implicit-def: $vgpr2_vgpr3
	s_branch .LBB174_399
.LBB174_431:                            ;   in Loop: Header=BB174_18 Depth=1
	s_mov_b32 s7, -1
	s_mov_b32 s12, 0
                                        ; implicit-def: $sgpr8
                                        ; implicit-def: $vgpr31
	s_branch .LBB174_445
.LBB174_432:                            ;   in Loop: Header=BB174_18 Depth=1
	s_mov_b32 s7, -1
                                        ; implicit-def: $vgpr4_vgpr5
.LBB174_433:                            ;   in Loop: Header=BB174_18 Depth=1
	s_delay_alu instid0(SALU_CYCLE_1)
	s_and_not1_b32 vcc_lo, exec_lo, s7
	s_cbranch_vccnz .LBB174_435
; %bb.434:                              ;   in Loop: Header=BB174_18 Depth=1
	v_cvt_f32_u32_e32 v4, s35
	s_sub_i32 s7, 0, s35
	s_delay_alu instid0(VALU_DEP_1) | instskip(SKIP_2) | instid1(VALU_DEP_1)
	v_rcp_iflag_f32_e32 v4, v4
	s_waitcnt_depctr 0xfff
	v_mul_f32_e32 v4, 0x4f7ffffe, v4
	v_cvt_u32_f32_e32 v4, v4
	s_delay_alu instid0(VALU_DEP_1) | instskip(NEXT) | instid1(VALU_DEP_1)
	v_mul_lo_u32 v5, s7, v4
	v_mul_hi_u32 v5, v4, v5
	s_delay_alu instid0(VALU_DEP_1) | instskip(NEXT) | instid1(VALU_DEP_1)
	v_add_nc_u32_e32 v4, v4, v5
	v_mul_hi_u32 v4, s26, v4
	s_delay_alu instid0(VALU_DEP_1) | instskip(NEXT) | instid1(VALU_DEP_1)
	v_mul_lo_u32 v4, v4, s35
	v_sub_nc_u32_e32 v4, s26, v4
	s_delay_alu instid0(VALU_DEP_1) | instskip(SKIP_1) | instid1(VALU_DEP_2)
	v_subrev_nc_u32_e32 v5, s35, v4
	v_cmp_le_u32_e32 vcc_lo, s35, v4
	v_cndmask_b32_e32 v4, v4, v5, vcc_lo
	s_delay_alu instid0(VALU_DEP_1) | instskip(SKIP_1) | instid1(VALU_DEP_2)
	v_subrev_nc_u32_e32 v5, s35, v4
	v_cmp_le_u32_e32 vcc_lo, s35, v4
	v_cndmask_b32_e32 v12, v4, v5, vcc_lo
	s_delay_alu instid0(VALU_DEP_1)
	v_dual_mov_b32 v4, v12 :: v_dual_mov_b32 v5, v13
.LBB174_435:                            ;   in Loop: Header=BB174_18 Depth=1
	s_delay_alu instid0(VALU_DEP_1) | instskip(NEXT) | instid1(VALU_DEP_2)
	v_sub_co_u32 v4, vcc_lo, s26, v4
	v_sub_co_ci_u32_e32 v5, vcc_lo, s13, v5, vcc_lo
	s_mov_b32 s12, 0
	s_mov_b32 s13, exec_lo
                                        ; implicit-def: $vgpr31
	s_delay_alu instid0(VALU_DEP_1)
	v_cmpx_gt_u64_e64 v[4:5], v[0:1]
	s_cbranch_execz .LBB174_444
; %bb.436:                              ;   in Loop: Header=BB174_18 Depth=1
	v_mov_b32_e32 v8, v25
	v_dual_mov_b32 v7, v1 :: v_dual_mov_b32 v6, v0
                                        ; implicit-def: $sgpr26
	s_set_inst_prefetch_distance 0x1
	s_branch .LBB174_438
	.p2align	6
.LBB174_437:                            ;   in Loop: Header=BB174_438 Depth=2
	s_or_b32 exec_lo, exec_lo, s7
	s_waitcnt lgkmcnt(0)
	s_barrier
	buffer_gl0_inv
	ds_load_b32 v9, v13 offset:3072
	v_add_co_u32 v6, vcc_lo, v6, s35
	v_add_co_ci_u32_e32 v7, vcc_lo, 0, v7, vcc_lo
	v_add_nc_u32_e32 v8, s94, v8
	s_waitcnt lgkmcnt(0)
	s_barrier
	s_delay_alu instid0(VALU_DEP_2) | instskip(SKIP_2) | instid1(VALU_DEP_1)
	v_cmp_ge_u64_e32 vcc_lo, v[6:7], v[4:5]
	buffer_gl0_inv
	v_cmp_ne_u16_e64 s7, 0, v9
	s_or_b32 s64, vcc_lo, s7
	s_delay_alu instid0(SALU_CYCLE_1) | instskip(NEXT) | instid1(SALU_CYCLE_1)
	s_and_b32 s64, exec_lo, s64
	s_or_b32 s12, s64, s12
	s_and_not1_b32 s26, s26, exec_lo
	s_and_b32 s7, s7, exec_lo
	s_delay_alu instid0(SALU_CYCLE_1)
	s_or_b32 s26, s26, s7
	s_and_not1_b32 exec_lo, exec_lo, s12
	s_cbranch_execz .LBB174_443
.LBB174_438:                            ;   Parent Loop BB174_18 Depth=1
                                        ; =>  This Inner Loop Header: Depth=2
	s_delay_alu instid0(VALU_DEP_1)
	v_cmp_gt_u64_e32 vcc_lo, s[8:9], v[6:7]
	v_mov_b32_e32 v9, 0
	s_and_saveexec_b32 s7, vcc_lo
	s_cbranch_execz .LBB174_440
; %bb.439:                              ;   in Loop: Header=BB174_438 Depth=2
	ds_load_u16 v9, v8
.LBB174_440:                            ;   in Loop: Header=BB174_438 Depth=2
	s_or_b32 exec_lo, exec_lo, s7
	s_and_saveexec_b32 s7, vcc_lo
	s_cbranch_execz .LBB174_437
; %bb.441:                              ;   in Loop: Header=BB174_438 Depth=2
	s_waitcnt lgkmcnt(0)
	v_bfe_i32 v12, v9, 0, 16
	s_delay_alu instid0(VALU_DEP_1) | instskip(NEXT) | instid1(VALU_DEP_1)
	v_add_nc_u32_e32 v12, 0x8000, v12
	v_and_b32_e32 v12, v12, v29
	s_delay_alu instid0(VALU_DEP_1)
	v_cmp_eq_u32_e32 vcc_lo, v12, v30
	s_and_b32 exec_lo, exec_lo, vcc_lo
	s_cbranch_execz .LBB174_437
; %bb.442:                              ;   in Loop: Header=BB174_438 Depth=2
	v_perm_b32 v9, v9, 1, 0x5040100
	ds_store_b32 v13, v9 offset:3072
	s_branch .LBB174_437
.LBB174_443:                            ;   in Loop: Header=BB174_18 Depth=1
	s_set_inst_prefetch_distance 0x2
	s_or_b32 exec_lo, exec_lo, s12
	v_lshrrev_b32_e32 v31, 16, v9
	s_and_b32 s12, s26, exec_lo
.LBB174_444:                            ;   in Loop: Header=BB174_18 Depth=1
	s_or_b32 exec_lo, exec_lo, s13
	s_mov_b32 s7, 0
	s_mov_b32 s8, -1
.LBB174_445:                            ;   in Loop: Header=BB174_18 Depth=1
	s_and_b32 vcc_lo, exec_lo, s7
	s_mov_b32 s9, s7
	s_cbranch_vccz .LBB174_461
; %bb.446:                              ;   in Loop: Header=BB174_18 Depth=1
	s_mov_b32 s26, s71
	s_delay_alu instid0(SALU_CYCLE_1)
	s_cmp_lg_u64 s[26:27], 0
	s_cbranch_scc0 .LBB174_448
; %bb.447:                              ;   in Loop: Header=BB174_18 Depth=1
	v_cvt_f32_u32_e32 v4, s35
	s_sub_u32 s9, 0, s35
	s_subb_u32 s12, 0, 0
	s_delay_alu instid0(VALU_DEP_1) | instskip(NEXT) | instid1(VALU_DEP_1)
	v_fmac_f32_e64 v4, 0, 0x4f800000
	v_rcp_f32_e32 v4, v4
	s_waitcnt_depctr 0xfff
	v_mul_f32_e32 v4, 0x5f7ffffc, v4
	s_delay_alu instid0(VALU_DEP_1) | instskip(NEXT) | instid1(VALU_DEP_1)
	v_mul_f32_e32 v5, 0x2f800000, v4
	v_trunc_f32_e32 v5, v5
	s_delay_alu instid0(VALU_DEP_1) | instskip(SKIP_1) | instid1(VALU_DEP_2)
	v_fmac_f32_e32 v4, 0xcf800000, v5
	v_cvt_u32_f32_e32 v5, v5
	v_cvt_u32_f32_e32 v4, v4
	s_delay_alu instid0(VALU_DEP_2) | instskip(NEXT) | instid1(VALU_DEP_2)
	v_readfirstlane_b32 s7, v5
	v_readfirstlane_b32 s8, v4
	s_delay_alu instid0(VALU_DEP_2) | instskip(NEXT) | instid1(VALU_DEP_1)
	s_mul_i32 s13, s9, s7
	s_mul_hi_u32 s64, s9, s8
	s_mul_i32 s26, s12, s8
	s_add_i32 s13, s64, s13
	s_mul_i32 s65, s9, s8
	s_add_i32 s13, s13, s26
	s_mul_hi_u32 s64, s8, s65
	s_mul_hi_u32 s68, s7, s65
	s_mul_i32 s26, s7, s65
	s_mul_hi_u32 s65, s8, s13
	s_mul_i32 s8, s8, s13
	s_mul_hi_u32 s69, s7, s13
	s_add_u32 s8, s64, s8
	s_addc_u32 s64, 0, s65
	s_add_u32 s8, s8, s26
	s_mul_i32 s13, s7, s13
	s_addc_u32 s8, s64, s68
	s_addc_u32 s26, s69, 0
	s_add_u32 s8, s8, s13
	s_addc_u32 s13, 0, s26
	v_add_co_u32 v4, s8, v4, s8
	s_delay_alu instid0(VALU_DEP_1) | instskip(SKIP_1) | instid1(VALU_DEP_1)
	s_cmp_lg_u32 s8, 0
	s_addc_u32 s7, s7, s13
	v_readfirstlane_b32 s8, v4
	s_mul_i32 s13, s9, s7
	s_delay_alu instid0(VALU_DEP_1)
	s_mul_hi_u32 s26, s9, s8
	s_mul_i32 s12, s12, s8
	s_add_i32 s13, s26, s13
	s_mul_i32 s9, s9, s8
	s_add_i32 s13, s13, s12
	s_mul_hi_u32 s26, s7, s9
	s_mul_i32 s64, s7, s9
	s_mul_hi_u32 s9, s8, s9
	s_mul_hi_u32 s65, s8, s13
	s_mul_i32 s8, s8, s13
	s_mul_hi_u32 s12, s7, s13
	s_add_u32 s8, s9, s8
	s_addc_u32 s9, 0, s65
	s_add_u32 s8, s8, s64
	s_mul_i32 s13, s7, s13
	s_addc_u32 s8, s9, s26
	s_addc_u32 s9, s12, 0
	s_add_u32 s8, s8, s13
	s_addc_u32 s9, 0, s9
	v_add_co_u32 v4, s8, v4, s8
	s_delay_alu instid0(VALU_DEP_1) | instskip(SKIP_1) | instid1(VALU_DEP_1)
	s_cmp_lg_u32 s8, 0
	s_addc_u32 s7, s7, s9
	v_readfirstlane_b32 s8, v4
	s_mul_i32 s12, s88, s7
	s_mul_hi_u32 s9, s88, s7
	s_mul_hi_u32 s13, s27, s7
	s_mul_i32 s7, s27, s7
	s_mul_hi_u32 s26, s88, s8
	s_mul_hi_u32 s64, s27, s8
	s_mul_i32 s8, s27, s8
	s_add_u32 s12, s26, s12
	s_addc_u32 s9, 0, s9
	s_add_u32 s8, s12, s8
	s_addc_u32 s8, s9, s64
	s_addc_u32 s9, s13, 0
	s_add_u32 s7, s8, s7
	s_addc_u32 s8, 0, s9
	s_mul_hi_u32 s9, s35, s7
	s_mul_i32 s7, s35, s7
	s_mul_i32 s8, s35, s8
	v_sub_co_u32 v4, s7, s88, s7
	s_add_i32 s9, s9, s8
	s_cmp_lg_u32 s7, 0
	s_delay_alu instid0(VALU_DEP_1) | instskip(SKIP_3) | instid1(VALU_DEP_2)
	v_sub_co_u32 v5, s7, v4, s35
	s_subb_u32 s8, s27, s9
	s_cmp_lg_u32 s7, 0
	v_cmp_le_u32_e32 vcc_lo, s35, v4
	v_cmp_le_u32_e64 s7, s35, v5
	v_sub_co_u32 v6, s9, v5, s35
	s_subb_u32 s12, s8, 0
	s_cmp_lg_u32 s9, 0
	s_delay_alu instid0(VALU_DEP_2)
	v_cndmask_b32_e64 v7, 0, -1, s7
	s_subb_u32 s9, s12, 0
	s_cmp_eq_u32 s12, 0
	v_mov_b32_e32 v9, s9
	v_cndmask_b32_e64 v8, 0, -1, vcc_lo
	s_cselect_b32 vcc_lo, -1, 0
	s_cmp_eq_u32 s8, 0
	v_cndmask_b32_e32 v7, -1, v7, vcc_lo
	s_cselect_b32 vcc_lo, -1, 0
	v_cndmask_b32_e32 v8, -1, v8, vcc_lo
	s_delay_alu instid0(VALU_DEP_2) | instskip(NEXT) | instid1(VALU_DEP_2)
	v_cmp_ne_u32_e32 vcc_lo, 0, v7
	v_cmp_ne_u32_e64 s7, 0, v8
	v_cndmask_b32_e32 v7, s12, v9, vcc_lo
	v_cndmask_b32_e32 v6, v5, v6, vcc_lo
	s_delay_alu instid0(VALU_DEP_2) | instskip(NEXT) | instid1(VALU_DEP_2)
	v_cndmask_b32_e64 v5, s8, v7, s7
	v_cndmask_b32_e64 v4, v4, v6, s7
	s_mov_b32 s7, 0
	s_branch .LBB174_449
.LBB174_448:                            ;   in Loop: Header=BB174_18 Depth=1
	s_mov_b32 s7, -1
                                        ; implicit-def: $vgpr4_vgpr5
.LBB174_449:                            ;   in Loop: Header=BB174_18 Depth=1
	s_delay_alu instid0(SALU_CYCLE_1)
	s_and_not1_b32 vcc_lo, exec_lo, s7
	s_cbranch_vccnz .LBB174_451
; %bb.450:                              ;   in Loop: Header=BB174_18 Depth=1
	v_cvt_f32_u32_e32 v4, s35
	s_sub_i32 s7, 0, s35
	s_delay_alu instid0(VALU_DEP_1) | instskip(SKIP_2) | instid1(VALU_DEP_1)
	v_rcp_iflag_f32_e32 v4, v4
	s_waitcnt_depctr 0xfff
	v_mul_f32_e32 v4, 0x4f7ffffe, v4
	v_cvt_u32_f32_e32 v4, v4
	s_delay_alu instid0(VALU_DEP_1) | instskip(NEXT) | instid1(VALU_DEP_1)
	v_mul_lo_u32 v5, s7, v4
	v_mul_hi_u32 v5, v4, v5
	s_delay_alu instid0(VALU_DEP_1) | instskip(NEXT) | instid1(VALU_DEP_1)
	v_add_nc_u32_e32 v4, v4, v5
	v_mul_hi_u32 v4, s88, v4
	s_delay_alu instid0(VALU_DEP_1) | instskip(NEXT) | instid1(VALU_DEP_1)
	v_mul_lo_u32 v4, v4, s35
	v_sub_nc_u32_e32 v4, s88, v4
	s_delay_alu instid0(VALU_DEP_1) | instskip(SKIP_1) | instid1(VALU_DEP_2)
	v_subrev_nc_u32_e32 v5, s35, v4
	v_cmp_le_u32_e32 vcc_lo, s35, v4
	v_cndmask_b32_e32 v4, v4, v5, vcc_lo
	s_delay_alu instid0(VALU_DEP_1) | instskip(SKIP_1) | instid1(VALU_DEP_2)
	v_subrev_nc_u32_e32 v5, s35, v4
	v_cmp_le_u32_e32 vcc_lo, s35, v4
	v_cndmask_b32_e32 v12, v4, v5, vcc_lo
	s_delay_alu instid0(VALU_DEP_1)
	v_dual_mov_b32 v4, v12 :: v_dual_mov_b32 v5, v13
.LBB174_451:                            ;   in Loop: Header=BB174_18 Depth=1
	s_delay_alu instid0(VALU_DEP_1) | instskip(NEXT) | instid1(VALU_DEP_2)
	v_sub_co_u32 v4, vcc_lo, s88, v4
	v_sub_co_ci_u32_e32 v5, vcc_lo, s27, v5, vcc_lo
	s_mov_b32 s12, 0
	s_mov_b32 s8, exec_lo
                                        ; implicit-def: $vgpr31
	s_delay_alu instid0(VALU_DEP_1)
	v_cmpx_gt_u64_e64 v[4:5], v[0:1]
	s_cbranch_execz .LBB174_460
; %bb.452:                              ;   in Loop: Header=BB174_18 Depth=1
	v_dual_mov_b32 v7, v1 :: v_dual_mov_b32 v6, v0
	s_mov_b32 s9, 0
                                        ; implicit-def: $sgpr12
	s_branch .LBB174_454
.LBB174_453:                            ;   in Loop: Header=BB174_454 Depth=2
	s_or_b32 exec_lo, exec_lo, s7
	s_waitcnt vmcnt(0) lgkmcnt(0)
	s_barrier
	buffer_gl0_inv
	ds_load_b32 v8, v13 offset:3072
	v_add_co_u32 v6, vcc_lo, v6, s35
	v_add_co_ci_u32_e32 v7, vcc_lo, 0, v7, vcc_lo
	s_waitcnt lgkmcnt(0)
	s_barrier
	buffer_gl0_inv
	v_cmp_ge_u64_e32 vcc_lo, v[6:7], v[4:5]
	v_cmp_ne_u16_e64 s7, 0, v8
	s_delay_alu instid0(VALU_DEP_1) | instskip(NEXT) | instid1(SALU_CYCLE_1)
	s_or_b32 s13, vcc_lo, s7
	s_and_b32 s13, exec_lo, s13
	s_delay_alu instid0(SALU_CYCLE_1) | instskip(SKIP_2) | instid1(SALU_CYCLE_1)
	s_or_b32 s9, s13, s9
	s_and_not1_b32 s12, s12, exec_lo
	s_and_b32 s7, s7, exec_lo
	s_or_b32 s12, s12, s7
	s_and_not1_b32 exec_lo, exec_lo, s9
	s_cbranch_execz .LBB174_459
.LBB174_454:                            ;   Parent Loop BB174_18 Depth=1
                                        ; =>  This Inner Loop Header: Depth=2
	s_delay_alu instid0(VALU_DEP_1)
	v_cmp_gt_u64_e32 vcc_lo, s[36:37], v[6:7]
	v_mov_b32_e32 v8, 0
	s_and_saveexec_b32 s13, vcc_lo
	s_cbranch_execz .LBB174_456
; %bb.455:                              ;   in Loop: Header=BB174_454 Depth=2
	v_mul_lo_u32 v12, v7, s30
	v_mul_lo_u32 v16, v6, s31
	v_mad_u64_u32 v[8:9], null, v6, s30, 0
	s_delay_alu instid0(VALU_DEP_1) | instskip(NEXT) | instid1(VALU_DEP_1)
	v_add3_u32 v9, v9, v16, v12
	v_lshlrev_b64 v[8:9], 1, v[8:9]
	s_delay_alu instid0(VALU_DEP_1) | instskip(NEXT) | instid1(VALU_DEP_1)
	v_add_co_u32 v8, s7, s29, v8
	v_add_co_ci_u32_e64 v9, s7, s33, v9, s7
	global_load_u16 v8, v[8:9], off
.LBB174_456:                            ;   in Loop: Header=BB174_454 Depth=2
	s_or_b32 exec_lo, exec_lo, s13
	s_and_saveexec_b32 s7, vcc_lo
	s_cbranch_execz .LBB174_453
; %bb.457:                              ;   in Loop: Header=BB174_454 Depth=2
	s_waitcnt vmcnt(0)
	v_bfe_i32 v9, v8, 0, 16
	s_delay_alu instid0(VALU_DEP_1) | instskip(NEXT) | instid1(VALU_DEP_1)
	v_add_nc_u32_e32 v9, 0x8000, v9
	v_and_b32_e32 v9, v9, v29
	s_delay_alu instid0(VALU_DEP_1)
	v_cmp_eq_u32_e32 vcc_lo, v9, v30
	s_and_b32 exec_lo, exec_lo, vcc_lo
	s_cbranch_execz .LBB174_453
; %bb.458:                              ;   in Loop: Header=BB174_454 Depth=2
	v_perm_b32 v8, v8, 1, 0x5040100
	ds_store_b32 v13, v8 offset:3072
	s_branch .LBB174_453
.LBB174_459:                            ;   in Loop: Header=BB174_18 Depth=1
	s_or_b32 exec_lo, exec_lo, s9
	v_lshrrev_b32_e32 v31, 16, v8
	s_and_b32 s12, s12, exec_lo
.LBB174_460:                            ;   in Loop: Header=BB174_18 Depth=1
	s_or_b32 exec_lo, exec_lo, s8
	s_mov_b32 s8, 0
	s_mov_b32 s7, -1
	s_mov_b32 s9, 0
.LBB174_461:                            ;   in Loop: Header=BB174_18 Depth=1
	s_or_not1_b32 s13, s12, exec_lo
.LBB174_462:                            ;   in Loop: Header=BB174_18 Depth=1
	s_or_b32 exec_lo, exec_lo, s59
	s_mov_b32 s26, 0
                                        ; implicit-def: $vgpr6
                                        ; implicit-def: $vgpr4_vgpr5
	s_and_saveexec_b32 s12, s13
	s_cbranch_execz .LBB174_474
; %bb.463:                              ;   in Loop: Header=BB174_18 Depth=1
	v_mov_b32_e32 v4, 1
	v_dual_mov_b32 v5, 0 :: v_dual_mov_b32 v6, 1
	s_xor_b32 s26, s58, -1
	s_delay_alu instid0(SALU_CYCLE_1)
	s_and_saveexec_b32 s13, s26
	s_cbranch_execz .LBB174_473
; %bb.464:                              ;   in Loop: Header=BB174_18 Depth=1
	s_mov_b32 s26, exec_lo
                                        ; implicit-def: $sgpr58
	v_cmpx_ge_u64_e64 s[10:11], v[2:3]
	s_xor_b32 s26, exec_lo, s26
	s_cbranch_execz .LBB174_470
; %bb.465:                              ;   in Loop: Header=BB174_18 Depth=1
	ds_load_b64 v[4:5], v13 offset:5120
	s_waitcnt lgkmcnt(0)
	v_cmp_ne_u64_e32 vcc_lo, 0, v[4:5]
	s_cbranch_vccnz .LBB174_469
; %bb.466:                              ;   in Loop: Header=BB174_18 Depth=1
	s_and_saveexec_b32 s58, s5
	s_cbranch_execz .LBB174_468
; %bb.467:                              ;   in Loop: Header=BB174_18 Depth=1
	v_dual_mov_b32 v4, s10 :: v_dual_mov_b32 v5, s11
	ds_store_b64 v13, v[4:5] offset:5128
.LBB174_468:                            ;   in Loop: Header=BB174_18 Depth=1
	s_or_b32 exec_lo, exec_lo, s58
	s_waitcnt lgkmcnt(0)
	s_barrier
	buffer_gl0_inv
.LBB174_469:                            ;   in Loop: Header=BB174_18 Depth=1
	v_and_b32_e32 v30, s21, v30
	v_or_b32_e32 v29, s20, v29
	s_mov_b32 s58, 5
.LBB174_470:                            ;   in Loop: Header=BB174_18 Depth=1
	s_or_saveexec_b32 s20, s26
	v_mov_b32_e32 v6, s58
	s_xor_b32 exec_lo, exec_lo, s20
; %bb.471:                              ;   in Loop: Header=BB174_18 Depth=1
	v_sub_co_u32 v2, vcc_lo, v2, s10
	v_subrev_co_ci_u32_e32 v3, vcc_lo, s11, v3, vcc_lo
	v_mov_b32_e32 v6, 5
; %bb.472:                              ;   in Loop: Header=BB174_18 Depth=1
	s_or_b32 exec_lo, exec_lo, s20
	s_delay_alu instid0(VALU_DEP_2)
	v_dual_mov_b32 v5, v3 :: v_dual_mov_b32 v4, v2
.LBB174_473:                            ;   in Loop: Header=BB174_18 Depth=1
	s_or_b32 exec_lo, exec_lo, s13
	s_delay_alu instid0(SALU_CYCLE_1)
	s_mov_b32 s26, exec_lo
.LBB174_474:                            ;   in Loop: Header=BB174_18 Depth=1
	s_or_b32 exec_lo, exec_lo, s12
	s_delay_alu instid0(VALU_DEP_1)
	v_dual_mov_b32 v2, v4 :: v_dual_mov_b32 v3, v5
	s_or_not1_b32 s12, s26, exec_lo
.LBB174_475:                            ;   in Loop: Header=BB174_18 Depth=1
	s_or_b32 exec_lo, exec_lo, s22
	s_delay_alu instid0(SALU_CYCLE_1)
	s_and_not1_b32 s10, s14, exec_lo
	s_and_b32 s7, s7, exec_lo
	s_and_b32 s8, s8, exec_lo
	s_or_b32 s14, s10, s7
	s_and_not1_b32 s7, s15, exec_lo
	s_and_not1_b32 s10, s78, exec_lo
	s_and_b32 s9, s9, exec_lo
	v_dual_mov_b32 v5, v3 :: v_dual_mov_b32 v4, v2
	s_or_b32 s15, s7, s8
	s_or_b32 s78, s10, s9
	s_and_b32 s26, s12, exec_lo
.LBB174_476:                            ;   in Loop: Header=BB174_18 Depth=1
	s_or_b32 exec_lo, exec_lo, s79
	s_delay_alu instid0(SALU_CYCLE_1)
	s_and_b32 s14, s14, exec_lo
	s_and_b32 s9, s15, exec_lo
	;; [unrolled: 1-line block ×3, first 2 shown]
	s_or_not1_b32 s7, s26, exec_lo
.LBB174_477:                            ;   in Loop: Header=BB174_18 Depth=1
	s_or_b32 exec_lo, exec_lo, s77
	s_delay_alu instid0(SALU_CYCLE_1)
	s_and_not1_b32 s10, s16, exec_lo
	s_and_b32 s11, s14, exec_lo
	s_and_b32 s9, s9, exec_lo
	s_or_b32 s16, s10, s11
	s_and_not1_b32 s10, s17, exec_lo
	s_and_not1_b32 s11, s75, exec_lo
	s_and_b32 s8, s8, exec_lo
	v_dual_mov_b32 v2, v4 :: v_dual_mov_b32 v3, v5
	s_or_b32 s17, s10, s9
	s_or_b32 s75, s11, s8
	s_and_b32 s26, s7, exec_lo
.LBB174_478:                            ;   in Loop: Header=BB174_18 Depth=1
	s_or_b32 exec_lo, exec_lo, s76
	s_delay_alu instid0(SALU_CYCLE_1)
	s_and_b32 s16, s16, exec_lo
	s_and_b32 s9, s17, exec_lo
	;; [unrolled: 1-line block ×3, first 2 shown]
	s_or_not1_b32 s17, s26, exec_lo
.LBB174_479:                            ;   in Loop: Header=BB174_18 Depth=1
	s_or_b32 exec_lo, exec_lo, s74
	s_mov_b32 s7, s25
	s_mov_b32 s10, s24
	s_and_saveexec_b32 s11, s17
; %bb.480:                              ;   in Loop: Header=BB174_18 Depth=1
	v_cmp_eq_u32_e32 vcc_lo, 5, v6
	v_cmp_ne_u32_e64 s7, 5, v6
	s_and_not1_b32 s10, s24, exec_lo
	s_and_not1_b32 s12, s25, exec_lo
	;; [unrolled: 1-line block ×3, first 2 shown]
	s_and_b32 s13, vcc_lo, exec_lo
	s_and_b32 s7, s7, exec_lo
	s_and_not1_b32 s9, s9, exec_lo
	s_and_not1_b32 s8, s8, exec_lo
	s_or_b32 s10, s10, s7
	s_or_b32 s7, s12, s13
; %bb.481:                              ;   in Loop: Header=BB174_18 Depth=1
	s_or_b32 exec_lo, exec_lo, s11
	s_delay_alu instid0(SALU_CYCLE_1)
	s_and_not1_b32 s11, s18, exec_lo
	s_and_b32 s12, s16, exec_lo
	s_and_b32 s9, s9, exec_lo
	s_or_b32 s18, s11, s12
	s_and_not1_b32 s11, s19, exec_lo
	s_and_not1_b32 s12, s23, exec_lo
	s_and_b32 s8, s8, exec_lo
	v_dual_mov_b32 v8, v30 :: v_dual_mov_b32 v9, v29
	v_mov_b32_e32 v18, v31
	s_or_b32 s19, s11, s9
	s_or_b32 s23, s12, s8
	s_and_not1_b32 s8, s24, exec_lo
	s_and_b32 s9, s10, exec_lo
	s_and_not1_b32 s10, s25, exec_lo
	s_and_b32 s7, s7, exec_lo
	s_or_b32 s24, s8, s9
	s_or_b32 s25, s10, s7
.LBB174_482:                            ;   in Loop: Header=BB174_18 Depth=1
	s_or_b32 exec_lo, exec_lo, s70
	s_mov_b32 s74, s23
	s_mov_b32 s70, s23
	s_and_saveexec_b32 s7, s25
.LBB174_483:                            ;   in Loop: Header=BB174_18 Depth=1
	v_mov_b32_e32 v6, 0
	s_and_not1_b32 s23, s23, exec_lo
	s_and_not1_b32 s18, s18, exec_lo
	;; [unrolled: 1-line block ×5, first 2 shown]
	s_or_b32 s24, s24, exec_lo
.LBB174_484:                            ;   in Loop: Header=BB174_18 Depth=1
	s_or_b32 exec_lo, exec_lo, s7
	s_delay_alu instid0(SALU_CYCLE_1)
	s_and_not1_b32 s7, s67, exec_lo
	s_and_b32 s9, s23, exec_lo
	s_and_not1_b32 s10, s104, exec_lo
	s_or_b32 s67, s7, s9
	s_and_not1_b32 s7, s66, exec_lo
	s_and_b32 s9, s18, exec_lo
	s_and_b32 s11, s19, exec_lo
	s_or_b32 s66, s7, s9
	s_or_b32 s104, s10, s11
	s_and_not1_b32 s7, vcc_hi, exec_lo
	s_and_b32 s9, s74, exec_lo
	s_and_not1_b32 s10, s103, exec_lo
	s_and_b32 s11, s70, exec_lo
	s_mov_b32 s8, -1
	s_or_b32 vcc_hi, s7, s9
	s_or_b32 s103, s10, s11
                                        ; implicit-def: $vgpr29
                                        ; implicit-def: $vgpr30
                                        ; implicit-def: $vgpr16_vgpr17
                                        ; implicit-def: $vgpr31
	s_and_saveexec_b32 s7, s24
	s_delay_alu instid0(SALU_CYCLE_1)
	s_xor_b32 s7, exec_lo, s7
	s_cbranch_execz .LBB174_17
; %bb.485:                              ;   in Loop: Header=BB174_18 Depth=1
	s_mov_b32 s9, -1
	s_mov_b32 s10, exec_lo
	v_cmpx_eq_u32_e32 0, v6
	s_cbranch_execz .LBB174_16
; %bb.486:                              ;   in Loop: Header=BB174_18 Depth=1
	s_xor_b32 s97, s97, 1
	s_add_i32 s11, s101, -2
	s_cmp_eq_u32 s101, 0
	s_mov_b32 s101, s11
	s_cselect_b32 s8, -1, 0
	s_xor_b32 s9, exec_lo, -1
	s_or_not1_b32 s8, s8, exec_lo
	s_branch .LBB174_16
.LBB174_487:
	s_or_b32 exec_lo, exec_lo, s95
	s_xor_b32 s7, s102, -1
	s_xor_b32 s9, s99, -1
	;; [unrolled: 1-line block ×5, first 2 shown]
	s_mov_b32 s8, 0
	s_and_saveexec_b32 s12, s11
	s_delay_alu instid0(SALU_CYCLE_1)
	s_xor_b32 s12, exec_lo, s12
	s_cbranch_execz .LBB174_544
; %bb.488:
	s_and_saveexec_b32 s11, s10
	s_delay_alu instid0(SALU_CYCLE_1)
	s_xor_b32 s13, exec_lo, s11
	s_cbranch_execz .LBB174_542
; %bb.489:
	;; [unrolled: 5-line block ×4, first 2 shown]
	s_and_saveexec_b32 s7, s6
	s_delay_alu instid0(SALU_CYCLE_1)
	s_xor_b32 s6, exec_lo, s7
; %bb.492:
	v_xor_b32_e32 v18, 0xffff8000, v8
; %bb.493:
	s_or_b32 exec_lo, exec_lo, s6
	s_and_saveexec_b32 s6, s5
	s_cbranch_execz .LBB174_495
; %bb.494:
	v_mov_b32_e32 v2, 0
	s_delay_alu instid0(VALU_DEP_1)
	v_mov_b32_e32 v3, v2
	ds_store_b64 v2, v[2:3] offset:5136
.LBB174_495:
	s_or_b32 exec_lo, exec_lo, s6
	v_mov_b32_e32 v14, 0
	s_waitcnt lgkmcnt(0)
	s_barrier
	buffer_gl0_inv
	s_and_saveexec_b32 s5, s4
	s_cbranch_execz .LBB174_497
; %bb.496:
	global_load_u16 v14, v[10:11], off
.LBB174_497:
	s_or_b32 exec_lo, exec_lo, s5
	s_clause 0x2
	s_load_b64 s[26:27], s[0:1], 0x450
	s_load_b128 s[48:51], s[0:1], 0x298
	s_load_b64 s[24:25], s[0:1], 0x2a8
	s_add_u32 s5, s36, 31
	s_addc_u32 s7, s37, 0
	s_and_b32 s6, s5, 0xffffffe0
	s_mul_i32 s5, s62, s47
	s_mul_hi_u32 s8, s62, s46
	s_mul_i32 s9, s62, s46
	s_add_i32 s8, s8, s5
	s_sub_u32 s16, s34, s9
	s_subb_u32 s8, 0, s8
	s_mul_i32 s18, s56, s42
	s_mul_i32 s20, s60, s44
	s_waitcnt lgkmcnt(0)
	s_mul_i32 s5, s16, s27
	s_mul_hi_u32 s9, s16, s26
	s_mul_i32 s8, s8, s26
	s_add_i32 s5, s9, s5
	s_mul_i32 s9, s28, s40
	s_add_i32 s17, s5, s8
	s_mul_i32 s5, s28, s41
	s_mul_hi_u32 s8, s28, s40
	s_mul_hi_u32 s11, s28, s48
	s_add_i32 s8, s8, s5
	s_sub_u32 s5, s56, s9
	s_subb_u32 s8, s57, s8
	s_mul_i32 s9, s5, s51
	s_mul_hi_u32 s10, s5, s50
	s_mul_i32 s8, s8, s50
	s_add_i32 s9, s10, s9
	s_mul_i32 s10, s28, s49
	s_add_i32 s9, s9, s8
	s_add_i32 s11, s11, s10
	s_mul_i32 s8, s56, s43
	s_mul_hi_u32 s10, s56, s42
	s_load_b128 s[40:43], s[0:1], 0x440
	s_add_i32 s10, s10, s8
	s_sub_u32 s18, s34, s18
	s_subb_u32 s10, 0, s10
	s_mul_i32 s8, s18, s25
	s_mul_hi_u32 s19, s18, s24
	s_mul_i32 s10, s10, s24
	s_mul_i32 s18, s18, s24
	s_load_b64 s[24:25], s[0:1], 0x1c8
	s_add_i32 s19, s19, s8
	s_mul_i32 s8, s5, s50
	s_add_i32 s19, s19, s10
	s_mul_i32 s5, s60, s45
	s_mul_hi_u32 s10, s60, s44
	s_mul_i32 s16, s16, s26
	s_add_i32 s5, s10, s5
	s_sub_u32 s20, s62, s20
	s_subb_u32 s5, s63, s5
	s_mul_i32 s10, s28, s48
	s_waitcnt lgkmcnt(0)
	s_mul_i32 s21, s20, s43
	s_mul_hi_u32 s22, s20, s42
	s_mul_i32 s5, s5, s42
	s_add_i32 s21, s22, s21
	s_mul_hi_u32 s22, s60, s40
	s_add_i32 s21, s21, s5
	s_mul_i32 s5, s60, s41
	s_lshl_b64 s[10:11], s[10:11], 1
	s_add_i32 s23, s22, s5
	s_add_u32 s5, s24, s10
	s_addc_u32 s10, s25, s11
	s_lshl_b64 s[8:9], s[8:9], 1
	s_mul_i32 s22, s60, s40
	s_add_u32 s5, s5, s8
	s_addc_u32 s24, s10, s9
	s_clause 0x1
	s_load_b64 s[8:9], s[0:1], 0x368
	s_load_b64 s[10:11], s[0:1], 0x510
	s_lshl_b64 s[18:19], s[18:19], 1
	s_mul_i32 s20, s20, s42
	s_add_u32 s1, s5, s18
	s_addc_u32 s5, s24, s19
	s_lshl_b64 s[18:19], s[22:23], 3
	v_readlane_b32 s22, v36, 0
	v_readlane_b32 s23, v36, 1
	s_delay_alu instid0(VALU_DEP_2) | instskip(NEXT) | instid1(VALU_DEP_1)
	s_add_u32 s0, s22, s18
	s_addc_u32 s22, s23, s19
	s_lshl_b64 s[18:19], s[20:21], 3
	s_mov_b32 s20, exec_lo
	s_add_u32 s0, s0, s18
	s_addc_u32 s18, s22, s19
	s_lshl_b64 s[16:17], s[16:17], 3
	s_mov_b32 s19, 0
	s_add_u32 s16, s0, s16
	s_addc_u32 s17, s18, s17
	s_mov_b32 s0, -1
	s_mov_b32 s18, 0
	v_cmpx_gt_u64_e64 s[6:7], v[0:1]
	s_cbranch_execz .LBB174_513
; %bb.498:
	v_bfe_i32 v2, v18, 0, 16
	v_mov_b32_e32 v9, v1
	v_dual_mov_b32 v3, 0 :: v_dual_mov_b32 v8, v0
                                        ; implicit-def: $sgpr21
                                        ; implicit-def: $vgpr6_vgpr7
	s_delay_alu instid0(VALU_DEP_3)
	v_add_nc_u32_e32 v15, 0x8000, v2
	s_branch .LBB174_500
.LBB174_499:                            ;   in Loop: Header=BB174_500 Depth=1
	s_or_b32 exec_lo, exec_lo, s22
	s_xor_b32 s22, s24, -1
	s_and_b32 s0, exec_lo, s0
	v_dual_mov_b32 v14, v16 :: v_dual_mov_b32 v9, v5
	s_or_b32 s18, s0, s18
	v_mov_b32_e32 v8, v4
	s_and_not1_b32 s0, s21, exec_lo
	s_and_b32 s21, s22, exec_lo
	s_delay_alu instid0(SALU_CYCLE_1)
	s_or_b32 s21, s0, s21
	s_and_not1_b32 exec_lo, exec_lo, s18
	s_cbranch_execz .LBB174_512
.LBB174_500:                            ; =>This Inner Loop Header: Depth=1
	s_delay_alu instid0(VALU_DEP_2) | instskip(SKIP_3) | instid1(VALU_DEP_2)
	v_add_co_u32 v4, vcc_lo, v8, s35
	v_add_co_ci_u32_e32 v5, vcc_lo, 0, v9, vcc_lo
	v_mov_b32_e32 v16, 0
	s_mov_b32 s0, exec_lo
	v_cmpx_gt_u64_e64 s[36:37], v[4:5]
	s_cbranch_execz .LBB174_502
; %bb.501:                              ;   in Loop: Header=BB174_500 Depth=1
	v_mul_lo_u32 v2, v5, s30
	v_mul_lo_u32 v16, v4, s31
	v_mad_u64_u32 v[12:13], null, v4, s30, 0
	s_delay_alu instid0(VALU_DEP_1) | instskip(NEXT) | instid1(VALU_DEP_1)
	v_add3_u32 v13, v13, v16, v2
	v_lshlrev_b64 v[12:13], 1, v[12:13]
	s_delay_alu instid0(VALU_DEP_1) | instskip(NEXT) | instid1(VALU_DEP_2)
	v_add_co_u32 v12, vcc_lo, s29, v12
	v_add_co_ci_u32_e32 v13, vcc_lo, s33, v13, vcc_lo
	global_load_u16 v16, v[12:13], off
.LBB174_502:                            ;   in Loop: Header=BB174_500 Depth=1
	s_or_b32 exec_lo, exec_lo, s0
	s_waitcnt vmcnt(0)
	v_bfe_i32 v2, v14, 0, 16
	s_delay_alu instid0(VALU_DEP_1) | instskip(NEXT) | instid1(VALU_DEP_1)
	v_add_nc_u32_e32 v2, 0x8000, v2
	v_cmp_gt_u32_e32 vcc_lo, v2, v15
	v_cndmask_b32_e64 v12, 0, 1, vcc_lo
	v_cmp_lt_u32_e32 vcc_lo, v2, v15
	v_cndmask_b32_e64 v2, 0, 1, vcc_lo
	v_cmp_gt_u64_e32 vcc_lo, s[36:37], v[8:9]
	s_delay_alu instid0(VALU_DEP_2) | instskip(NEXT) | instid1(VALU_DEP_1)
	v_cndmask_b32_e64 v2, v2, v12, s3
	v_and_b32_e32 v2, 1, v2
	s_delay_alu instid0(VALU_DEP_1) | instskip(NEXT) | instid1(VALU_DEP_1)
	v_cmp_eq_u32_e64 s0, 1, v2
	s_and_b32 s23, vcc_lo, s0
	s_delay_alu instid0(SALU_CYCLE_1) | instskip(NEXT) | instid1(VALU_DEP_1)
	v_cndmask_b32_e64 v2, 0, 1, s23
	v_cmp_ne_u32_e32 vcc_lo, 0, v2
	s_cmp_lg_u32 vcc_lo, 0
	s_cselect_b32 s0, -1, 0
	s_delay_alu instid0(SALU_CYCLE_1) | instskip(NEXT) | instid1(SALU_CYCLE_1)
	s_and_b32 s0, s2, s0
	s_and_saveexec_b32 s22, s0
	s_cbranch_execz .LBB174_506
; %bb.503:                              ;   in Loop: Header=BB174_500 Depth=1
	s_mov_b32 s26, exec_lo
	s_bcnt1_i32_b32 s24, vcc_lo
	v_mbcnt_lo_u32_b32 v12, s26, 0
	s_mov_b32 s25, exec_lo
                                        ; implicit-def: $vgpr6_vgpr7
	s_delay_alu instid0(VALU_DEP_1)
	v_cmpx_eq_u32_e32 0, v12
	s_cbranch_execz .LBB174_505
; %bb.504:                              ;   in Loop: Header=BB174_500 Depth=1
	s_bcnt1_i32_b32 s0, s26
	s_delay_alu instid0(SALU_CYCLE_1) | instskip(NEXT) | instid1(SALU_CYCLE_1)
	s_mul_i32 s0, s24, s0
	v_mov_b32_e32 v2, s0
	s_waitcnt lgkmcnt(0)
	ds_add_rtn_u64 v[6:7], v3, v[2:3] offset:5136
.LBB174_505:                            ;   in Loop: Header=BB174_500 Depth=1
	s_or_b32 exec_lo, exec_lo, s25
	s_waitcnt lgkmcnt(0)
	v_readfirstlane_b32 s27, v7
	v_readfirstlane_b32 s26, v6
	s_delay_alu instid0(VALU_DEP_1)
	v_mad_u64_u32 v[6:7], null, s24, v12, s[26:27]
.LBB174_506:                            ;   in Loop: Header=BB174_500 Depth=1
	s_or_b32 exec_lo, exec_lo, s22
	s_waitcnt lgkmcnt(0)
	ds_bpermute_b32 v6, v3, v6
	ds_bpermute_b32 v7, v3, v7
	s_mov_b32 s0, -1
	s_mov_b32 s25, -1
                                        ; implicit-def: $sgpr24
	s_and_saveexec_b32 s22, s23
	s_cbranch_execz .LBB174_510
; %bb.507:                              ;   in Loop: Header=BB174_500 Depth=1
	v_and_b32_e32 v2, vcc_lo, v22
	s_mov_b32 s23, 0
	s_mov_b32 s24, exec_lo
	s_delay_alu instid0(VALU_DEP_1) | instskip(SKIP_1) | instid1(VALU_DEP_1)
	v_bcnt_u32_b32 v2, v2, 0
	s_waitcnt lgkmcnt(0)
	v_add_co_u32 v12, vcc_lo, v6, v2
	v_add_co_ci_u32_e32 v13, vcc_lo, 0, v7, vcc_lo
	s_delay_alu instid0(VALU_DEP_1)
	v_cmpx_gt_u64_e64 s[38:39], v[12:13]
	s_cbranch_execz .LBB174_509
; %bb.508:                              ;   in Loop: Header=BB174_500 Depth=1
	v_mul_lo_u32 v2, v13, s8
	v_mul_lo_u32 v17, v12, s9
	v_mad_u64_u32 v[19:20], null, v12, s8, 0
	v_mul_lo_u32 v13, v13, s10
	v_mul_lo_u32 v21, v12, s11
	v_mad_u64_u32 v[23:24], null, v12, s10, 0
	s_mov_b32 s23, exec_lo
	s_delay_alu instid0(VALU_DEP_4) | instskip(NEXT) | instid1(VALU_DEP_2)
	v_add3_u32 v20, v20, v17, v2
	v_add3_u32 v24, v24, v21, v13
	s_delay_alu instid0(VALU_DEP_2) | instskip(NEXT) | instid1(VALU_DEP_2)
	v_lshlrev_b64 v[12:13], 1, v[19:20]
	v_lshlrev_b64 v[19:20], 3, v[23:24]
	s_delay_alu instid0(VALU_DEP_2) | instskip(NEXT) | instid1(VALU_DEP_3)
	v_add_co_u32 v12, vcc_lo, s1, v12
	v_add_co_ci_u32_e32 v13, vcc_lo, s5, v13, vcc_lo
	s_delay_alu instid0(VALU_DEP_3) | instskip(NEXT) | instid1(VALU_DEP_4)
	v_add_co_u32 v19, vcc_lo, s16, v19
	v_add_co_ci_u32_e32 v20, vcc_lo, s17, v20, vcc_lo
	global_store_b16 v[12:13], v14, off
	global_store_b64 v[19:20], v[8:9], off
.LBB174_509:                            ;   in Loop: Header=BB174_500 Depth=1
	s_or_b32 exec_lo, exec_lo, s24
	s_mov_b32 s24, -1
	s_or_not1_b32 s25, s23, exec_lo
.LBB174_510:                            ;   in Loop: Header=BB174_500 Depth=1
	s_or_b32 exec_lo, exec_lo, s22
	s_and_saveexec_b32 s22, s25
	s_cbranch_execz .LBB174_499
; %bb.511:                              ;   in Loop: Header=BB174_500 Depth=1
	v_cmp_le_u64_e32 vcc_lo, s[6:7], v[4:5]
	s_and_not1_b32 s24, s24, exec_lo
	s_or_not1_b32 s0, vcc_lo, exec_lo
	s_branch .LBB174_499
.LBB174_512:
	s_or_b32 exec_lo, exec_lo, s18
	s_delay_alu instid0(SALU_CYCLE_1)
	s_mov_b32 s18, exec_lo
	s_or_not1_b32 s0, s21, exec_lo
.LBB174_513:
	s_or_b32 exec_lo, exec_lo, s20
	s_and_saveexec_b32 s3, s0
	s_cbranch_execz .LBB174_536
; %bb.514:
	v_dual_mov_b32 v3, 0 :: v_dual_mov_b32 v8, 0
	s_waitcnt vmcnt(0) lgkmcnt(0)
	s_waitcnt_vscnt null, 0x0
	s_barrier
	buffer_gl0_inv
	s_and_saveexec_b32 s0, s4
	s_cbranch_execz .LBB174_516
; %bb.515:
	global_load_u16 v8, v[10:11], off
.LBB174_516:
	s_or_b32 exec_lo, exec_lo, s0
	s_mov_b32 s19, 0
                                        ; implicit-def: $sgpr4
                                        ; implicit-def: $sgpr20
                                        ; implicit-def: $sgpr21
                                        ; implicit-def: $vgpr4_vgpr5
	s_branch .LBB174_519
.LBB174_517:                            ;   in Loop: Header=BB174_519 Depth=1
	s_or_b32 exec_lo, exec_lo, s24
	v_dual_mov_b32 v0, v6 :: v_dual_mov_b32 v1, v7
	s_and_not1_b32 s0, s21, exec_lo
	s_and_b32 s21, s26, exec_lo
	s_and_not1_b32 s20, s20, exec_lo
	s_and_b32 s23, s23, exec_lo
	s_or_b32 s21, s0, s21
	s_or_b32 s20, s20, s23
.LBB174_518:                            ;   in Loop: Header=BB174_519 Depth=1
	s_or_b32 exec_lo, exec_lo, s22
	s_xor_b32 s0, s21, -1
	s_and_b32 s22, exec_lo, s20
	s_delay_alu instid0(SALU_CYCLE_1) | instskip(SKIP_2) | instid1(SALU_CYCLE_1)
	s_or_b32 s19, s22, s19
	s_and_not1_b32 s4, s4, exec_lo
	s_and_b32 s0, s0, exec_lo
	s_or_b32 s4, s4, s0
	s_and_not1_b32 exec_lo, exec_lo, s19
	s_cbranch_execz .LBB174_534
.LBB174_519:                            ; =>This Inner Loop Header: Depth=1
	s_or_b32 s21, s21, exec_lo
	s_or_b32 s20, s20, exec_lo
	s_mov_b32 s22, exec_lo
	v_cmpx_gt_u64_e64 s[6:7], v[0:1]
	s_cbranch_execz .LBB174_518
; %bb.520:                              ;   in Loop: Header=BB174_519 Depth=1
	v_add_co_u32 v6, vcc_lo, v0, s35
	v_add_co_ci_u32_e32 v7, vcc_lo, 0, v1, vcc_lo
	v_mov_b32_e32 v10, 0
	s_mov_b32 s0, exec_lo
	s_delay_alu instid0(VALU_DEP_2)
	v_cmpx_gt_u64_e64 s[36:37], v[6:7]
	s_cbranch_execz .LBB174_522
; %bb.521:                              ;   in Loop: Header=BB174_519 Depth=1
	v_mul_lo_u32 v2, v7, s30
	v_mul_lo_u32 v11, v6, s31
	v_mad_u64_u32 v[9:10], null, v6, s30, 0
	s_delay_alu instid0(VALU_DEP_1) | instskip(NEXT) | instid1(VALU_DEP_1)
	v_add3_u32 v10, v10, v11, v2
	v_lshlrev_b64 v[9:10], 1, v[9:10]
	s_delay_alu instid0(VALU_DEP_1) | instskip(NEXT) | instid1(VALU_DEP_2)
	v_add_co_u32 v9, vcc_lo, s29, v9
	v_add_co_ci_u32_e32 v10, vcc_lo, s33, v10, vcc_lo
	global_load_u16 v10, v[9:10], off
.LBB174_522:                            ;   in Loop: Header=BB174_519 Depth=1
	s_or_b32 exec_lo, exec_lo, s0
	v_cmp_gt_u64_e32 vcc_lo, s[36:37], v[0:1]
	s_waitcnt vmcnt(0)
	v_cmp_eq_u16_e64 s0, v8, v18
	s_delay_alu instid0(VALU_DEP_1) | instskip(NEXT) | instid1(SALU_CYCLE_1)
	s_and_b32 s24, vcc_lo, s0
	v_cndmask_b32_e64 v2, 0, 1, s24
	s_delay_alu instid0(VALU_DEP_1) | instskip(SKIP_2) | instid1(SALU_CYCLE_1)
	v_cmp_ne_u32_e32 vcc_lo, 0, v2
	s_cmp_lg_u32 vcc_lo, 0
	s_cselect_b32 s0, -1, 0
	s_and_b32 s0, s2, s0
	s_delay_alu instid0(SALU_CYCLE_1)
	s_and_saveexec_b32 s23, s0
	s_cbranch_execz .LBB174_526
; %bb.523:                              ;   in Loop: Header=BB174_519 Depth=1
	s_mov_b32 s27, exec_lo
	s_bcnt1_i32_b32 s25, vcc_lo
	v_mbcnt_lo_u32_b32 v9, s27, 0
	s_mov_b32 s26, exec_lo
                                        ; implicit-def: $vgpr4_vgpr5
	s_delay_alu instid0(VALU_DEP_1)
	v_cmpx_eq_u32_e32 0, v9
	s_cbranch_execz .LBB174_525
; %bb.524:                              ;   in Loop: Header=BB174_519 Depth=1
	s_bcnt1_i32_b32 s0, s27
	s_delay_alu instid0(SALU_CYCLE_1) | instskip(NEXT) | instid1(SALU_CYCLE_1)
	s_mul_i32 s0, s25, s0
	v_mov_b32_e32 v2, s0
	ds_add_rtn_u64 v[4:5], v3, v[2:3] offset:5136
.LBB174_525:                            ;   in Loop: Header=BB174_519 Depth=1
	s_or_b32 exec_lo, exec_lo, s26
	s_waitcnt lgkmcnt(0)
	v_readfirstlane_b32 s27, v5
	v_readfirstlane_b32 s26, v4
	s_delay_alu instid0(VALU_DEP_1)
	v_mad_u64_u32 v[4:5], null, s25, v9, s[26:27]
.LBB174_526:                            ;   in Loop: Header=BB174_519 Depth=1
	s_or_b32 exec_lo, exec_lo, s23
	ds_bpermute_b32 v4, v3, v4
	ds_bpermute_b32 v5, v3, v5
	s_cmp_eq_u32 vcc_lo, 0
	s_mov_b32 s23, -1
	s_cselect_b32 s25, -1, 0
	s_mov_b32 s26, -1
	s_waitcnt lgkmcnt(0)
	v_cmp_gt_u64_e64 s0, s[38:39], v[4:5]
	s_delay_alu instid0(VALU_DEP_1) | instskip(SKIP_3) | instid1(SALU_CYCLE_1)
	s_or_b32 s0, s25, s0
	s_mov_b32 s25, -1
	v_cndmask_b32_e64 v8, v8, v10, s0
	s_and_b32 s27, s24, s0
	s_and_saveexec_b32 s24, s27
	s_cbranch_execz .LBB174_532
; %bb.527:                              ;   in Loop: Header=BB174_519 Depth=1
	v_and_b32_e32 v2, vcc_lo, v22
	v_sub_co_u32 v8, vcc_lo, s38, v4
	v_sub_co_ci_u32_e32 v9, vcc_lo, s39, v5, vcc_lo
	s_delay_alu instid0(VALU_DEP_3) | instskip(SKIP_2) | instid1(VALU_DEP_1)
	v_bcnt_u32_b32 v2, v2, 0
	s_mov_b32 s27, -1
	s_mov_b32 s26, exec_lo
	v_cmp_le_u64_e64 s25, v[8:9], v[2:3]
	v_cmpx_gt_u64_e64 v[8:9], v[2:3]
	s_cbranch_execz .LBB174_531
; %bb.528:                              ;   in Loop: Header=BB174_519 Depth=1
	v_add_co_u32 v8, vcc_lo, v4, v2
	v_add_co_ci_u32_e32 v9, vcc_lo, 0, v5, vcc_lo
	s_delay_alu instid0(VALU_DEP_4) | instskip(SKIP_1) | instid1(VALU_DEP_1)
	s_mov_b32 s28, s25
	s_mov_b32 s27, exec_lo
	v_cmpx_gt_u64_e64 s[38:39], v[8:9]
	s_cbranch_execz .LBB174_530
; %bb.529:                              ;   in Loop: Header=BB174_519 Depth=1
	v_mul_lo_u32 v2, v9, s8
	v_mul_lo_u32 v15, v8, s9
	v_mad_u64_u32 v[11:12], null, v8, s8, 0
	v_mul_lo_u32 v9, v9, s10
	v_mul_lo_u32 v16, v8, s11
	v_mad_u64_u32 v[13:14], null, v8, s10, 0
	s_or_b32 s28, s25, exec_lo
	s_delay_alu instid0(VALU_DEP_4) | instskip(NEXT) | instid1(VALU_DEP_2)
	v_add3_u32 v12, v12, v15, v2
	v_add3_u32 v14, v14, v16, v9
	s_delay_alu instid0(VALU_DEP_2) | instskip(NEXT) | instid1(VALU_DEP_2)
	v_lshlrev_b64 v[8:9], 1, v[11:12]
	v_lshlrev_b64 v[11:12], 3, v[13:14]
	s_delay_alu instid0(VALU_DEP_2) | instskip(NEXT) | instid1(VALU_DEP_3)
	v_add_co_u32 v8, vcc_lo, s1, v8
	v_add_co_ci_u32_e32 v9, vcc_lo, s5, v9, vcc_lo
	s_delay_alu instid0(VALU_DEP_3) | instskip(NEXT) | instid1(VALU_DEP_4)
	v_add_co_u32 v11, vcc_lo, s16, v11
	v_add_co_ci_u32_e32 v12, vcc_lo, s17, v12, vcc_lo
	global_store_b16 v[8:9], v18, off
	global_store_b64 v[11:12], v[0:1], off
.LBB174_530:                            ;   in Loop: Header=BB174_519 Depth=1
	s_or_b32 exec_lo, exec_lo, s27
	s_delay_alu instid0(SALU_CYCLE_1)
	s_and_not1_b32 s25, s25, exec_lo
	s_and_b32 s28, s28, exec_lo
	s_xor_b32 s27, exec_lo, -1
	s_or_b32 s25, s25, s28
.LBB174_531:                            ;   in Loop: Header=BB174_519 Depth=1
	s_or_b32 exec_lo, exec_lo, s26
	v_mov_b32_e32 v8, v10
	s_or_not1_b32 s26, s27, exec_lo
	s_or_b32 s0, s0, exec_lo
	s_or_not1_b32 s25, s25, exec_lo
.LBB174_532:                            ;   in Loop: Header=BB174_519 Depth=1
	s_or_b32 exec_lo, exec_lo, s24
	s_and_saveexec_b32 s24, s25
	s_cbranch_execz .LBB174_517
; %bb.533:                              ;   in Loop: Header=BB174_519 Depth=1
	s_xor_b32 s0, s0, -1
	s_or_b32 s26, s26, exec_lo
	s_or_not1_b32 s23, s0, exec_lo
	s_branch .LBB174_517
.LBB174_534:
	s_or_b32 exec_lo, exec_lo, s19
	s_mov_b32 s0, 0
	s_and_saveexec_b32 s1, s4
	s_delay_alu instid0(SALU_CYCLE_1)
	s_xor_b32 s1, exec_lo, s1
	s_cbranch_execnz .LBB174_566
.LBB174_535:
	s_or_b32 exec_lo, exec_lo, s1
	s_delay_alu instid0(SALU_CYCLE_1)
	s_and_b32 s19, s0, exec_lo
	s_and_not1_b32 s18, s18, exec_lo
.LBB174_536:
	s_or_b32 exec_lo, exec_lo, s3
	s_and_saveexec_b32 s0, s18
	s_delay_alu instid0(SALU_CYCLE_1)
	s_xor_b32 s0, exec_lo, s0
	s_cbranch_execnz .LBB174_562
.LBB174_537:
	s_or_b32 exec_lo, exec_lo, s0
	s_waitcnt lgkmcnt(0)
	s_and_b32 s8, s19, exec_lo
.LBB174_538:
	s_and_not1_saveexec_b32 s0, s15
	s_cbranch_execnz .LBB174_558
.LBB174_539:
	s_or_b32 exec_lo, exec_lo, s0
	s_delay_alu instid0(SALU_CYCLE_1)
	s_and_b32 s8, s8, exec_lo
.LBB174_540:
	s_and_not1_saveexec_b32 s0, s14
	s_cbranch_execnz .LBB174_554
.LBB174_541:
	s_or_b32 exec_lo, exec_lo, s0
	s_delay_alu instid0(SALU_CYCLE_1)
	s_and_b32 s8, s8, exec_lo
.LBB174_542:
	s_and_not1_saveexec_b32 s0, s13
	s_cbranch_execnz .LBB174_550
.LBB174_543:
	s_or_b32 exec_lo, exec_lo, s0
	s_delay_alu instid0(SALU_CYCLE_1)
	s_and_b32 s8, s8, exec_lo
.LBB174_544:
	s_and_not1_saveexec_b32 s0, s12
	s_cbranch_execnz .LBB174_548
; %bb.545:
	s_or_b32 exec_lo, exec_lo, s0
	s_and_saveexec_b32 s0, s8
.LBB174_546:
	; divergent unreachable
.LBB174_547:
	s_nop 0
	s_sendmsg sendmsg(MSG_DEALLOC_VGPRS)
	s_endpgm
.LBB174_548:
	s_cbranch_execnz .LBB174_552
; %bb.549:
	s_or_b32 s8, s8, exec_lo
	s_or_b32 exec_lo, exec_lo, s0
	s_and_saveexec_b32 s0, s8
	s_cbranch_execnz .LBB174_546
	s_branch .LBB174_547
.LBB174_550:
	s_cbranch_execnz .LBB174_556
; %bb.551:
	s_or_b32 s8, s8, exec_lo
	s_branch .LBB174_543
.LBB174_552:
	s_trap 2
	s_sendmsg_rtn_b32 s0, sendmsg(MSG_RTN_GET_DOORBELL)
	s_mov_b32 ttmp2, m0
	s_waitcnt lgkmcnt(0)
	s_and_b32 s0, s0, 0x3ff
	s_delay_alu instid0(SALU_CYCLE_1) | instskip(NEXT) | instid1(SALU_CYCLE_1)
	s_bitset1_b32 s0, 10
	s_mov_b32 m0, s0
	s_sendmsg sendmsg(MSG_INTERRUPT)
	s_mov_b32 m0, ttmp2
.LBB174_553:                            ; =>This Inner Loop Header: Depth=1
	s_sethalt 5
	s_branch .LBB174_553
.LBB174_554:
	s_cbranch_execnz .LBB174_560
; %bb.555:
	s_or_b32 s8, s8, exec_lo
	s_branch .LBB174_541
.LBB174_556:
	s_trap 2
	s_sendmsg_rtn_b32 s0, sendmsg(MSG_RTN_GET_DOORBELL)
	s_mov_b32 ttmp2, m0
	s_waitcnt lgkmcnt(0)
	s_and_b32 s0, s0, 0x3ff
	s_delay_alu instid0(SALU_CYCLE_1) | instskip(NEXT) | instid1(SALU_CYCLE_1)
	s_bitset1_b32 s0, 10
	s_mov_b32 m0, s0
	s_sendmsg sendmsg(MSG_INTERRUPT)
	s_mov_b32 m0, ttmp2
.LBB174_557:                            ; =>This Inner Loop Header: Depth=1
	s_sethalt 5
	s_branch .LBB174_557
.LBB174_558:
	s_cbranch_execnz .LBB174_564
; %bb.559:
	s_or_b32 s8, s8, exec_lo
	s_branch .LBB174_539
.LBB174_560:
	s_trap 2
	s_sendmsg_rtn_b32 s0, sendmsg(MSG_RTN_GET_DOORBELL)
	s_mov_b32 ttmp2, m0
	s_waitcnt lgkmcnt(0)
	s_and_b32 s0, s0, 0x3ff
	s_delay_alu instid0(SALU_CYCLE_1) | instskip(NEXT) | instid1(SALU_CYCLE_1)
	s_bitset1_b32 s0, 10
	s_mov_b32 m0, s0
	s_sendmsg sendmsg(MSG_INTERRUPT)
	s_mov_b32 m0, ttmp2
.LBB174_561:                            ; =>This Inner Loop Header: Depth=1
	s_sethalt 5
	s_branch .LBB174_561
.LBB174_562:
	s_cbranch_execnz .LBB174_568
; %bb.563:
	s_or_b32 s19, s19, exec_lo
	s_branch .LBB174_537
.LBB174_564:
	s_trap 2
	s_sendmsg_rtn_b32 s0, sendmsg(MSG_RTN_GET_DOORBELL)
	s_mov_b32 ttmp2, m0
	s_waitcnt lgkmcnt(0)
	s_and_b32 s0, s0, 0x3ff
	s_delay_alu instid0(SALU_CYCLE_1) | instskip(NEXT) | instid1(SALU_CYCLE_1)
	s_bitset1_b32 s0, 10
	s_mov_b32 m0, s0
	s_sendmsg sendmsg(MSG_INTERRUPT)
	s_mov_b32 m0, ttmp2
.LBB174_565:                            ; =>This Inner Loop Header: Depth=1
	s_sethalt 5
	s_branch .LBB174_565
.LBB174_566:
	s_cbranch_execnz .LBB174_570
; %bb.567:
	s_mov_b32 s0, exec_lo
	s_branch .LBB174_535
.LBB174_568:
	s_trap 2
	s_sendmsg_rtn_b32 s0, sendmsg(MSG_RTN_GET_DOORBELL)
	s_mov_b32 ttmp2, m0
	s_waitcnt lgkmcnt(0)
	s_and_b32 s0, s0, 0x3ff
	s_delay_alu instid0(SALU_CYCLE_1) | instskip(NEXT) | instid1(SALU_CYCLE_1)
	s_bitset1_b32 s0, 10
	s_mov_b32 m0, s0
	s_sendmsg sendmsg(MSG_INTERRUPT)
	s_mov_b32 m0, ttmp2
.LBB174_569:                            ; =>This Inner Loop Header: Depth=1
	s_sethalt 5
	s_branch .LBB174_569
.LBB174_570:
	s_trap 2
	s_sendmsg_rtn_b32 s0, sendmsg(MSG_RTN_GET_DOORBELL)
	s_mov_b32 ttmp2, m0
	s_waitcnt lgkmcnt(0)
	s_and_b32 s0, s0, 0x3ff
	s_delay_alu instid0(SALU_CYCLE_1) | instskip(NEXT) | instid1(SALU_CYCLE_1)
	s_bitset1_b32 s0, 10
	s_mov_b32 m0, s0
	s_sendmsg sendmsg(MSG_INTERRUPT)
	s_mov_b32 m0, ttmp2
.LBB174_571:                            ; =>This Inner Loop Header: Depth=1
	s_sethalt 5
	s_branch .LBB174_571
	.section	.rodata,"a",@progbits
	.p2align	6, 0x0
	.amdhsa_kernel _ZN2at6native6sbtopk10gatherTopKIsmLi3ELb0EEEvNS_4cuda6detail10TensorInfoIKT_T0_EES8_S8_bS8_S8_NS5_IS6_S8_EES8_NS5_IlS8_EES8_PS6_
		.amdhsa_group_segment_fixed_size 5152
		.amdhsa_private_segment_fixed_size 0
		.amdhsa_kernarg_size 1568
		.amdhsa_user_sgpr_count 13
		.amdhsa_user_sgpr_dispatch_ptr 0
		.amdhsa_user_sgpr_queue_ptr 0
		.amdhsa_user_sgpr_kernarg_segment_ptr 1
		.amdhsa_user_sgpr_dispatch_id 0
		.amdhsa_user_sgpr_private_segment_size 0
		.amdhsa_wavefront_size32 1
		.amdhsa_uses_dynamic_stack 0
		.amdhsa_enable_private_segment 0
		.amdhsa_system_sgpr_workgroup_id_x 1
		.amdhsa_system_sgpr_workgroup_id_y 1
		.amdhsa_system_sgpr_workgroup_id_z 1
		.amdhsa_system_sgpr_workgroup_info 0
		.amdhsa_system_vgpr_workitem_id 0
		.amdhsa_next_free_vgpr 37
		.amdhsa_next_free_sgpr 105
		.amdhsa_reserve_vcc 1
		.amdhsa_float_round_mode_32 0
		.amdhsa_float_round_mode_16_64 0
		.amdhsa_float_denorm_mode_32 3
		.amdhsa_float_denorm_mode_16_64 3
		.amdhsa_dx10_clamp 1
		.amdhsa_ieee_mode 1
		.amdhsa_fp16_overflow 0
		.amdhsa_workgroup_processor_mode 1
		.amdhsa_memory_ordered 1
		.amdhsa_forward_progress 0
		.amdhsa_shared_vgpr_count 0
		.amdhsa_exception_fp_ieee_invalid_op 0
		.amdhsa_exception_fp_denorm_src 0
		.amdhsa_exception_fp_ieee_div_zero 0
		.amdhsa_exception_fp_ieee_overflow 0
		.amdhsa_exception_fp_ieee_underflow 0
		.amdhsa_exception_fp_ieee_inexact 0
		.amdhsa_exception_int_div_zero 0
	.end_amdhsa_kernel
	.section	.text._ZN2at6native6sbtopk10gatherTopKIsmLi3ELb0EEEvNS_4cuda6detail10TensorInfoIKT_T0_EES8_S8_bS8_S8_NS5_IS6_S8_EES8_NS5_IlS8_EES8_PS6_,"axG",@progbits,_ZN2at6native6sbtopk10gatherTopKIsmLi3ELb0EEEvNS_4cuda6detail10TensorInfoIKT_T0_EES8_S8_bS8_S8_NS5_IS6_S8_EES8_NS5_IlS8_EES8_PS6_,comdat
.Lfunc_end174:
	.size	_ZN2at6native6sbtopk10gatherTopKIsmLi3ELb0EEEvNS_4cuda6detail10TensorInfoIKT_T0_EES8_S8_bS8_S8_NS5_IS6_S8_EES8_NS5_IlS8_EES8_PS6_, .Lfunc_end174-_ZN2at6native6sbtopk10gatherTopKIsmLi3ELb0EEEvNS_4cuda6detail10TensorInfoIKT_T0_EES8_S8_bS8_S8_NS5_IS6_S8_EES8_NS5_IlS8_EES8_PS6_
                                        ; -- End function
	.section	.AMDGPU.csdata,"",@progbits
; Kernel info:
; codeLenInByte = 29952
; NumSgprs: 107
; NumVgprs: 37
; ScratchSize: 0
; MemoryBound: 0
; FloatMode: 240
; IeeeMode: 1
; LDSByteSize: 5152 bytes/workgroup (compile time only)
; SGPRBlocks: 13
; VGPRBlocks: 4
; NumSGPRsForWavesPerEU: 107
; NumVGPRsForWavesPerEU: 37
; Occupancy: 16
; WaveLimiterHint : 1
; COMPUTE_PGM_RSRC2:SCRATCH_EN: 0
; COMPUTE_PGM_RSRC2:USER_SGPR: 13
; COMPUTE_PGM_RSRC2:TRAP_HANDLER: 0
; COMPUTE_PGM_RSRC2:TGID_X_EN: 1
; COMPUTE_PGM_RSRC2:TGID_Y_EN: 1
; COMPUTE_PGM_RSRC2:TGID_Z_EN: 1
; COMPUTE_PGM_RSRC2:TIDIG_COMP_CNT: 0
	.section	.text._ZN2at6native6mbtopk23computeBlockDigitCountsIsmjLin1EEEvNS_4cuda6detail10TensorInfoIKT_T0_EEjPjjS8_iijT1_PSB_Ps,"axG",@progbits,_ZN2at6native6mbtopk23computeBlockDigitCountsIsmjLin1EEEvNS_4cuda6detail10TensorInfoIKT_T0_EEjPjjS8_iijT1_PSB_Ps,comdat
	.protected	_ZN2at6native6mbtopk23computeBlockDigitCountsIsmjLin1EEEvNS_4cuda6detail10TensorInfoIKT_T0_EEjPjjS8_iijT1_PSB_Ps ; -- Begin function _ZN2at6native6mbtopk23computeBlockDigitCountsIsmjLin1EEEvNS_4cuda6detail10TensorInfoIKT_T0_EEjPjjS8_iijT1_PSB_Ps
	.globl	_ZN2at6native6mbtopk23computeBlockDigitCountsIsmjLin1EEEvNS_4cuda6detail10TensorInfoIKT_T0_EEjPjjS8_iijT1_PSB_Ps
	.p2align	8
	.type	_ZN2at6native6mbtopk23computeBlockDigitCountsIsmjLin1EEEvNS_4cuda6detail10TensorInfoIKT_T0_EEjPjjS8_iijT1_PSB_Ps,@function
_ZN2at6native6mbtopk23computeBlockDigitCountsIsmjLin1EEEvNS_4cuda6detail10TensorInfoIKT_T0_EEjPjjS8_iijT1_PSB_Ps: ; @_ZN2at6native6mbtopk23computeBlockDigitCountsIsmjLin1EEEvNS_4cuda6detail10TensorInfoIKT_T0_EEjPjjS8_iijT1_PSB_Ps
; %bb.0:
	s_clause 0x2
	s_load_b128 s[8:11], s[0:1], 0x1c0
	s_load_b32 s5, s[0:1], 0x1b0
	s_load_b64 s[2:3], s[0:1], 0x1e0
	s_waitcnt lgkmcnt(0)
	v_cvt_f32_u32_e32 v1, s10
	s_sub_i32 s6, 0, s10
	s_mul_i32 s3, s3, s15
	s_delay_alu instid0(SALU_CYCLE_1) | instskip(NEXT) | instid1(VALU_DEP_1)
	s_add_i32 s3, s3, s14
	v_rcp_iflag_f32_e32 v1, v1
	s_mul_i32 s24, s3, s2
	s_delay_alu instid0(SALU_CYCLE_1) | instskip(SKIP_3) | instid1(VALU_DEP_1)
	s_add_i32 s24, s24, s13
	s_mov_b32 s13, 0
	s_waitcnt_depctr 0xfff
	v_mul_f32_e32 v1, 0x4f7ffffe, v1
	v_cvt_u32_f32_e32 v1, v1
	s_delay_alu instid0(VALU_DEP_1) | instskip(NEXT) | instid1(VALU_DEP_1)
	v_readfirstlane_b32 s4, v1
	s_mul_i32 s6, s6, s4
	s_delay_alu instid0(SALU_CYCLE_1) | instskip(NEXT) | instid1(SALU_CYCLE_1)
	s_mul_hi_u32 s2, s4, s6
	s_add_i32 s4, s4, s2
	s_delay_alu instid0(SALU_CYCLE_1) | instskip(NEXT) | instid1(SALU_CYCLE_1)
	s_mul_hi_u32 s2, s24, s4
	s_mul_i32 s3, s2, s10
	s_add_i32 s4, s2, 1
	s_sub_i32 s3, s24, s3
	s_delay_alu instid0(SALU_CYCLE_1)
	s_sub_i32 s6, s3, s10
	s_cmp_ge_u32 s3, s10
	s_cselect_b32 s2, s4, s2
	s_cselect_b32 s3, s6, s3
	s_add_i32 s4, s2, 1
	s_cmp_ge_u32 s3, s10
	s_cselect_b32 s12, s4, s2
	s_delay_alu instid0(SALU_CYCLE_1)
	s_cmp_ge_u32 s12, s5
	s_cbranch_scc1 .LBB175_32
; %bb.1:
	s_clause 0x1
	s_load_b128 s[4:7], s[0:1], 0x1d0
	s_load_b32 s15, s[0:1], 0x198
	s_lshl_b64 s[2:3], s[12:13], 2
	s_mov_b64 s[18:19], s[12:13]
	s_waitcnt lgkmcnt(0)
	s_add_u32 s4, s4, s2
	s_addc_u32 s5, s5, s3
	s_cmp_lt_i32 s15, 2
	s_mov_b64 s[2:3], 0
	s_cbranch_scc1 .LBB175_9
; %bb.2:
	s_mov_b32 s14, 0
	s_add_i32 s2, s15, -1
	s_mov_b32 s3, s14
	s_add_i32 s13, s15, 1
	s_lshl_b64 s[2:3], s[2:3], 3
	s_delay_alu instid0(SALU_CYCLE_1)
	s_add_u32 s2, s2, s0
	s_addc_u32 s3, s3, s1
	s_add_u32 s16, s2, 8
	s_addc_u32 s17, s3, 0
	s_mov_b64 s[2:3], 0
.LBB175_3:                              ; =>This Inner Loop Header: Depth=1
	s_load_b64 s[20:21], s[16:17], 0x0
	s_waitcnt lgkmcnt(0)
	s_or_b64 s[22:23], s[18:19], s[20:21]
	s_delay_alu instid0(SALU_CYCLE_1) | instskip(NEXT) | instid1(SALU_CYCLE_1)
	s_mov_b32 s15, s23
                                        ; implicit-def: $sgpr22_sgpr23
	s_cmp_lg_u64 s[14:15], 0
	s_mov_b32 s15, -1
	s_cbranch_scc0 .LBB175_5
; %bb.4:                                ;   in Loop: Header=BB175_3 Depth=1
	v_cvt_f32_u32_e32 v1, s20
	v_cvt_f32_u32_e32 v2, s21
	s_sub_u32 s23, 0, s20
	s_subb_u32 s25, 0, s21
	s_waitcnt_depctr 0xfff
	v_fmac_f32_e32 v1, 0x4f800000, v2
	s_delay_alu instid0(VALU_DEP_1) | instskip(SKIP_2) | instid1(VALU_DEP_1)
	v_rcp_f32_e32 v1, v1
	s_waitcnt_depctr 0xfff
	v_mul_f32_e32 v1, 0x5f7ffffc, v1
	v_mul_f32_e32 v2, 0x2f800000, v1
	s_delay_alu instid0(VALU_DEP_1) | instskip(NEXT) | instid1(VALU_DEP_1)
	v_trunc_f32_e32 v2, v2
	v_fmac_f32_e32 v1, 0xcf800000, v2
	v_cvt_u32_f32_e32 v2, v2
	s_delay_alu instid0(VALU_DEP_2) | instskip(NEXT) | instid1(VALU_DEP_2)
	v_cvt_u32_f32_e32 v1, v1
	v_readfirstlane_b32 s15, v2
	s_delay_alu instid0(VALU_DEP_2) | instskip(NEXT) | instid1(VALU_DEP_2)
	v_readfirstlane_b32 s22, v1
	s_mul_i32 s26, s23, s15
	s_delay_alu instid0(VALU_DEP_1)
	s_mul_hi_u32 s28, s23, s22
	s_mul_i32 s27, s25, s22
	s_add_i32 s26, s28, s26
	s_mul_i32 s29, s23, s22
	s_add_i32 s26, s26, s27
	s_mul_hi_u32 s28, s22, s29
	s_mul_hi_u32 s30, s15, s29
	s_mul_i32 s27, s15, s29
	s_mul_hi_u32 s29, s22, s26
	s_mul_i32 s22, s22, s26
	s_mul_hi_u32 s31, s15, s26
	s_add_u32 s22, s28, s22
	s_addc_u32 s28, 0, s29
	s_add_u32 s22, s22, s27
	s_mul_i32 s26, s15, s26
	s_addc_u32 s22, s28, s30
	s_addc_u32 s27, s31, 0
	s_add_u32 s22, s22, s26
	s_addc_u32 s26, 0, s27
	v_add_co_u32 v1, s22, v1, s22
	s_delay_alu instid0(VALU_DEP_1) | instskip(SKIP_1) | instid1(VALU_DEP_1)
	s_cmp_lg_u32 s22, 0
	s_addc_u32 s15, s15, s26
	v_readfirstlane_b32 s22, v1
	s_mul_i32 s26, s23, s15
	s_delay_alu instid0(VALU_DEP_1)
	s_mul_hi_u32 s27, s23, s22
	s_mul_i32 s25, s25, s22
	s_add_i32 s26, s27, s26
	s_mul_i32 s23, s23, s22
	s_add_i32 s26, s26, s25
	s_mul_hi_u32 s27, s15, s23
	s_mul_i32 s28, s15, s23
	s_mul_hi_u32 s23, s22, s23
	s_mul_hi_u32 s29, s22, s26
	s_mul_i32 s22, s22, s26
	s_mul_hi_u32 s25, s15, s26
	s_add_u32 s22, s23, s22
	s_addc_u32 s23, 0, s29
	s_add_u32 s22, s22, s28
	s_mul_i32 s26, s15, s26
	s_addc_u32 s22, s23, s27
	s_addc_u32 s23, s25, 0
	s_add_u32 s22, s22, s26
	s_addc_u32 s23, 0, s23
	v_add_co_u32 v1, s22, v1, s22
	s_delay_alu instid0(VALU_DEP_1) | instskip(SKIP_1) | instid1(VALU_DEP_1)
	s_cmp_lg_u32 s22, 0
	s_addc_u32 s15, s15, s23
	v_readfirstlane_b32 s22, v1
	s_mul_i32 s25, s18, s15
	s_mul_hi_u32 s23, s18, s15
	s_mul_hi_u32 s26, s19, s15
	s_mul_i32 s15, s19, s15
	s_mul_hi_u32 s27, s18, s22
	s_mul_hi_u32 s28, s19, s22
	s_mul_i32 s22, s19, s22
	s_add_u32 s25, s27, s25
	s_addc_u32 s23, 0, s23
	s_add_u32 s22, s25, s22
	s_addc_u32 s22, s23, s28
	s_addc_u32 s23, s26, 0
	s_add_u32 s22, s22, s15
	s_addc_u32 s23, 0, s23
	s_mul_hi_u32 s15, s20, s22
	s_mul_i32 s26, s20, s23
	s_mul_i32 s27, s20, s22
	s_add_i32 s15, s15, s26
	v_sub_co_u32 v1, s26, s18, s27
	s_mul_i32 s25, s21, s22
	s_delay_alu instid0(SALU_CYCLE_1) | instskip(NEXT) | instid1(VALU_DEP_1)
	s_add_i32 s15, s15, s25
	v_sub_co_u32 v2, s27, v1, s20
	s_sub_i32 s25, s19, s15
	s_cmp_lg_u32 s26, 0
	s_subb_u32 s25, s25, s21
	s_cmp_lg_u32 s27, 0
	v_readfirstlane_b32 s27, v2
	s_subb_u32 s25, s25, 0
	s_delay_alu instid0(SALU_CYCLE_1) | instskip(SKIP_1) | instid1(VALU_DEP_1)
	s_cmp_ge_u32 s25, s21
	s_cselect_b32 s28, -1, 0
	s_cmp_ge_u32 s27, s20
	s_cselect_b32 s27, -1, 0
	s_cmp_eq_u32 s25, s21
	s_cselect_b32 s25, s27, s28
	s_add_u32 s27, s22, 1
	s_addc_u32 s28, s23, 0
	s_add_u32 s29, s22, 2
	s_addc_u32 s30, s23, 0
	s_cmp_lg_u32 s25, 0
	s_cselect_b32 s25, s29, s27
	s_cselect_b32 s27, s30, s28
	s_cmp_lg_u32 s26, 0
	v_readfirstlane_b32 s26, v1
	s_subb_u32 s15, s19, s15
	s_delay_alu instid0(SALU_CYCLE_1) | instskip(SKIP_1) | instid1(VALU_DEP_1)
	s_cmp_ge_u32 s15, s21
	s_cselect_b32 s28, -1, 0
	s_cmp_ge_u32 s26, s20
	s_cselect_b32 s26, -1, 0
	s_cmp_eq_u32 s15, s21
	s_cselect_b32 s15, s26, s28
	s_delay_alu instid0(SALU_CYCLE_1)
	s_cmp_lg_u32 s15, 0
	s_mov_b32 s15, 0
	s_cselect_b32 s23, s27, s23
	s_cselect_b32 s22, s25, s22
.LBB175_5:                              ;   in Loop: Header=BB175_3 Depth=1
	s_and_not1_b32 vcc_lo, exec_lo, s15
	s_cbranch_vccnz .LBB175_7
; %bb.6:                                ;   in Loop: Header=BB175_3 Depth=1
	v_cvt_f32_u32_e32 v1, s20
	s_sub_i32 s22, 0, s20
	s_waitcnt_depctr 0xfff
	v_rcp_iflag_f32_e32 v1, v1
	s_waitcnt_depctr 0xfff
	v_mul_f32_e32 v1, 0x4f7ffffe, v1
	s_delay_alu instid0(VALU_DEP_1) | instskip(NEXT) | instid1(VALU_DEP_1)
	v_cvt_u32_f32_e32 v1, v1
	v_readfirstlane_b32 s15, v1
	s_delay_alu instid0(VALU_DEP_1) | instskip(NEXT) | instid1(SALU_CYCLE_1)
	s_mul_i32 s22, s22, s15
	s_mul_hi_u32 s22, s15, s22
	s_delay_alu instid0(SALU_CYCLE_1) | instskip(NEXT) | instid1(SALU_CYCLE_1)
	s_add_i32 s15, s15, s22
	s_mul_hi_u32 s15, s18, s15
	s_delay_alu instid0(SALU_CYCLE_1) | instskip(SKIP_2) | instid1(SALU_CYCLE_1)
	s_mul_i32 s22, s15, s20
	s_add_i32 s23, s15, 1
	s_sub_i32 s22, s18, s22
	s_sub_i32 s25, s22, s20
	s_cmp_ge_u32 s22, s20
	s_cselect_b32 s15, s23, s15
	s_cselect_b32 s22, s25, s22
	s_add_i32 s23, s15, 1
	s_cmp_ge_u32 s22, s20
	s_cselect_b32 s22, s23, s15
	s_mov_b32 s23, s14
.LBB175_7:                              ;   in Loop: Header=BB175_3 Depth=1
	s_load_b64 s[26:27], s[16:17], 0xc8
	s_mul_i32 s15, s22, s21
	s_mul_hi_u32 s21, s22, s20
	s_mul_i32 s25, s23, s20
	s_add_i32 s15, s21, s15
	s_mul_i32 s20, s22, s20
	s_add_i32 s15, s15, s25
	s_sub_u32 s18, s18, s20
	s_subb_u32 s15, s19, s15
	s_waitcnt lgkmcnt(0)
	s_mul_i32 s15, s26, s15
	s_mul_hi_u32 s19, s26, s18
	s_mul_i32 s20, s27, s18
	s_add_i32 s15, s19, s15
	s_mul_i32 s18, s26, s18
	s_add_i32 s15, s15, s20
	s_add_u32 s2, s18, s2
	s_addc_u32 s3, s15, s3
	s_add_i32 s13, s13, -1
	s_add_u32 s16, s16, -8
	s_addc_u32 s17, s17, -1
	s_cmp_gt_u32 s13, 2
	s_cbranch_scc0 .LBB175_10
; %bb.8:                                ;   in Loop: Header=BB175_3 Depth=1
	s_mov_b64 s[18:19], s[22:23]
	s_branch .LBB175_3
.LBB175_9:
	s_mov_b64 s[22:23], s[18:19]
.LBB175_10:
	s_load_b32 s13, s[4:5], 0x0
	v_cmp_gt_u32_e32 vcc_lo, 0x100, v0
	v_lshlrev_b32_e32 v1, 2, v0
	s_and_saveexec_b32 s4, vcc_lo
	s_cbranch_execz .LBB175_12
; %bb.11:
	v_mov_b32_e32 v2, 0
	ds_store_b32 v1, v2
.LBB175_12:
	s_or_b32 exec_lo, exec_lo, s4
	s_load_b32 s14, s[0:1], 0x1a0
	s_mul_i32 s4, s12, s10
	s_waitcnt lgkmcnt(0)
	s_sub_i32 s4, s24, s4
	s_barrier
	s_mul_i32 s5, s9, s4
	s_add_i32 s4, s4, 1
	s_lshl_b32 s12, s5, 8
	buffer_gl0_inv
	s_sub_i32 s5, s14, s12
	s_delay_alu instid0(SALU_CYCLE_1) | instskip(SKIP_4) | instid1(VALU_DEP_1)
	s_add_u32 s5, s5, 0xff
	s_addc_u32 s15, 0, 0
	s_cmp_lt_u32 s4, s10
	v_alignbit_b32 v2, s15, s5, 8
	s_mov_b32 s10, 0
	v_readfirstlane_b32 s5, v2
	s_delay_alu instid0(VALU_DEP_1) | instskip(NEXT) | instid1(SALU_CYCLE_1)
	s_cselect_b32 s9, s9, s5
	s_cmp_lt_i32 s9, 1
	s_cbranch_scc1 .LBB175_28
; %bb.13:
	s_clause 0x2
	s_load_b64 s[16:17], s[0:1], 0xd0
	s_load_b64 s[4:5], s[0:1], 0x1b8
	;; [unrolled: 1-line block ×3, first 2 shown]
	v_add_nc_u32_e32 v2, s12, v0
	s_waitcnt lgkmcnt(0)
	s_mul_i32 s15, s16, s23
	s_mul_hi_u32 s18, s16, s22
	s_mul_i32 s17, s17, s22
	s_add_i32 s15, s18, s15
	s_mul_i32 s16, s16, s22
	s_add_i32 s17, s15, s17
	s_delay_alu instid0(SALU_CYCLE_1) | instskip(NEXT) | instid1(SALU_CYCLE_1)
	s_lshl_b64 s[16:17], s[16:17], 1
	s_add_u32 s15, s0, s16
	s_addc_u32 s16, s1, s17
	s_lshl_b64 s[0:1], s[2:3], 1
	s_delay_alu instid0(SALU_CYCLE_1)
	s_add_u32 s2, s15, s0
	s_addc_u32 s3, s16, s1
	s_and_b32 s1, s8, 0xff
	s_cmp_eq_u32 s9, 1
	s_cbranch_scc1 .LBB175_23
; %bb.14:
	v_dual_mov_b32 v3, 1 :: v_dual_mov_b32 v4, v2
	s_and_b32 s8, s9, 0x7ffffffe
	s_branch .LBB175_16
.LBB175_15:                             ;   in Loop: Header=BB175_16 Depth=1
	s_or_b32 exec_lo, exec_lo, s12
	v_add_nc_u32_e32 v4, 0x200, v4
	s_add_i32 s10, s10, 2
	s_delay_alu instid0(SALU_CYCLE_1)
	s_cmp_eq_u32 s8, s10
	s_cbranch_scc1 .LBB175_22
.LBB175_16:                             ; =>This Inner Loop Header: Depth=1
	s_mov_b32 s12, exec_lo
	s_delay_alu instid0(VALU_DEP_1)
	v_cmpx_gt_u32_e64 s14, v4
	s_cbranch_execz .LBB175_19
; %bb.17:                               ;   in Loop: Header=BB175_16 Depth=1
	v_mad_u64_u32 v[5:6], null, v4, s4, 0
	s_delay_alu instid0(VALU_DEP_1) | instskip(NEXT) | instid1(VALU_DEP_1)
	v_mad_u64_u32 v[7:8], null, v4, s5, v[6:7]
	v_mov_b32_e32 v6, v7
	s_delay_alu instid0(VALU_DEP_1) | instskip(NEXT) | instid1(VALU_DEP_1)
	v_lshlrev_b64 v[5:6], 1, v[5:6]
	v_add_co_u32 v5, s0, s2, v5
	s_delay_alu instid0(VALU_DEP_1) | instskip(SKIP_3) | instid1(VALU_DEP_1)
	v_add_co_ci_u32_e64 v6, s0, s3, v6, s0
	global_load_i16 v5, v[5:6], off
	s_waitcnt vmcnt(0)
	v_add_nc_u32_e32 v5, 0x8000, v5
	v_xor_b32_e32 v6, s13, v5
	s_delay_alu instid0(VALU_DEP_1) | instskip(NEXT) | instid1(VALU_DEP_1)
	v_and_b32_e32 v6, s11, v6
	v_cmp_eq_u32_e64 s0, 0, v6
	s_delay_alu instid0(VALU_DEP_1)
	s_and_b32 exec_lo, exec_lo, s0
	s_cbranch_execz .LBB175_19
; %bb.18:                               ;   in Loop: Header=BB175_16 Depth=1
	v_bfe_u32 v5, v5, s1, 8
	s_delay_alu instid0(VALU_DEP_1)
	v_lshlrev_b32_e32 v5, 2, v5
	ds_add_u32 v5, v3
.LBB175_19:                             ;   in Loop: Header=BB175_16 Depth=1
	s_or_b32 exec_lo, exec_lo, s12
	v_add_nc_u32_e32 v5, 0x100, v4
	s_mov_b32 s12, exec_lo
	s_delay_alu instid0(VALU_DEP_1)
	v_cmpx_gt_u32_e64 s14, v5
	s_cbranch_execz .LBB175_15
; %bb.20:                               ;   in Loop: Header=BB175_16 Depth=1
	v_mad_u64_u32 v[6:7], null, v5, s4, 0
	s_delay_alu instid0(VALU_DEP_1) | instskip(NEXT) | instid1(VALU_DEP_1)
	v_mad_u64_u32 v[8:9], null, v5, s5, v[7:8]
	v_mov_b32_e32 v7, v8
	s_delay_alu instid0(VALU_DEP_1) | instskip(NEXT) | instid1(VALU_DEP_1)
	v_lshlrev_b64 v[5:6], 1, v[6:7]
	v_add_co_u32 v5, s0, s2, v5
	s_delay_alu instid0(VALU_DEP_1) | instskip(SKIP_3) | instid1(VALU_DEP_1)
	v_add_co_ci_u32_e64 v6, s0, s3, v6, s0
	global_load_i16 v5, v[5:6], off
	s_waitcnt vmcnt(0)
	v_add_nc_u32_e32 v5, 0x8000, v5
	v_xor_b32_e32 v6, s13, v5
	s_delay_alu instid0(VALU_DEP_1) | instskip(NEXT) | instid1(VALU_DEP_1)
	v_and_b32_e32 v6, s11, v6
	v_cmp_eq_u32_e64 s0, 0, v6
	s_delay_alu instid0(VALU_DEP_1)
	s_and_b32 exec_lo, exec_lo, s0
	s_cbranch_execz .LBB175_15
; %bb.21:                               ;   in Loop: Header=BB175_16 Depth=1
	v_bfe_u32 v5, v5, s1, 8
	s_delay_alu instid0(VALU_DEP_1)
	v_lshlrev_b32_e32 v5, 2, v5
	ds_add_u32 v5, v3
	s_branch .LBB175_15
.LBB175_22:
	s_lshl_b32 s10, s8, 8
.LBB175_23:
	s_bitcmp0_b32 s9, 0
	s_cbranch_scc1 .LBB175_28
; %bb.24:
	v_add_nc_u32_e32 v2, s10, v2
	s_mov_b32 s8, exec_lo
	s_delay_alu instid0(VALU_DEP_1)
	v_cmpx_gt_u32_e64 s14, v2
	s_cbranch_execz .LBB175_27
; %bb.25:
	v_mad_u64_u32 v[3:4], null, v2, s4, 0
	s_delay_alu instid0(VALU_DEP_1) | instskip(NEXT) | instid1(VALU_DEP_1)
	v_mad_u64_u32 v[5:6], null, v2, s5, v[4:5]
	v_mov_b32_e32 v4, v5
	s_delay_alu instid0(VALU_DEP_1) | instskip(NEXT) | instid1(VALU_DEP_1)
	v_lshlrev_b64 v[2:3], 1, v[3:4]
	v_add_co_u32 v2, s0, s2, v2
	s_delay_alu instid0(VALU_DEP_1) | instskip(SKIP_3) | instid1(VALU_DEP_1)
	v_add_co_ci_u32_e64 v3, s0, s3, v3, s0
	global_load_i16 v2, v[2:3], off
	s_waitcnt vmcnt(0)
	v_add_nc_u32_e32 v2, 0x8000, v2
	v_xor_b32_e32 v3, s13, v2
	s_delay_alu instid0(VALU_DEP_1) | instskip(NEXT) | instid1(VALU_DEP_1)
	v_and_b32_e32 v3, s11, v3
	v_cmp_eq_u32_e64 s0, 0, v3
	s_delay_alu instid0(VALU_DEP_1)
	s_and_b32 exec_lo, exec_lo, s0
	s_cbranch_execz .LBB175_27
; %bb.26:
	v_bfe_u32 v2, v2, s1, 8
	s_delay_alu instid0(VALU_DEP_1)
	v_dual_mov_b32 v3, 1 :: v_dual_lshlrev_b32 v2, 2, v2
	ds_add_u32 v2, v3
.LBB175_27:
	s_or_b32 exec_lo, exec_lo, s8
.LBB175_28:
	v_mov_b32_e32 v2, 0
	s_waitcnt lgkmcnt(0)
	s_barrier
	buffer_gl0_inv
	s_and_saveexec_b32 s0, vcc_lo
	s_cbranch_execz .LBB175_30
; %bb.29:
	ds_load_b32 v2, v1
.LBB175_30:
	s_or_b32 exec_lo, exec_lo, s0
	s_and_saveexec_b32 s0, vcc_lo
	s_cbranch_execz .LBB175_32
; %bb.31:
	v_lshl_or_b32 v0, s24, 8, v0
	v_mov_b32_e32 v1, 0
	s_delay_alu instid0(VALU_DEP_1) | instskip(NEXT) | instid1(VALU_DEP_1)
	v_lshlrev_b64 v[0:1], 1, v[0:1]
	v_add_co_u32 v0, vcc_lo, s6, v0
	s_delay_alu instid0(VALU_DEP_2)
	v_add_co_ci_u32_e32 v1, vcc_lo, s7, v1, vcc_lo
	s_waitcnt lgkmcnt(0)
	global_store_b16 v[0:1], v2, off
.LBB175_32:
	s_nop 0
	s_sendmsg sendmsg(MSG_DEALLOC_VGPRS)
	s_endpgm
	.section	.rodata,"a",@progbits
	.p2align	6, 0x0
	.amdhsa_kernel _ZN2at6native6mbtopk23computeBlockDigitCountsIsmjLin1EEEvNS_4cuda6detail10TensorInfoIKT_T0_EEjPjjS8_iijT1_PSB_Ps
		.amdhsa_group_segment_fixed_size 1024
		.amdhsa_private_segment_fixed_size 0
		.amdhsa_kernarg_size 736
		.amdhsa_user_sgpr_count 13
		.amdhsa_user_sgpr_dispatch_ptr 0
		.amdhsa_user_sgpr_queue_ptr 0
		.amdhsa_user_sgpr_kernarg_segment_ptr 1
		.amdhsa_user_sgpr_dispatch_id 0
		.amdhsa_user_sgpr_private_segment_size 0
		.amdhsa_wavefront_size32 1
		.amdhsa_uses_dynamic_stack 0
		.amdhsa_enable_private_segment 0
		.amdhsa_system_sgpr_workgroup_id_x 1
		.amdhsa_system_sgpr_workgroup_id_y 1
		.amdhsa_system_sgpr_workgroup_id_z 1
		.amdhsa_system_sgpr_workgroup_info 0
		.amdhsa_system_vgpr_workitem_id 0
		.amdhsa_next_free_vgpr 10
		.amdhsa_next_free_sgpr 32
		.amdhsa_reserve_vcc 1
		.amdhsa_float_round_mode_32 0
		.amdhsa_float_round_mode_16_64 0
		.amdhsa_float_denorm_mode_32 3
		.amdhsa_float_denorm_mode_16_64 3
		.amdhsa_dx10_clamp 1
		.amdhsa_ieee_mode 1
		.amdhsa_fp16_overflow 0
		.amdhsa_workgroup_processor_mode 1
		.amdhsa_memory_ordered 1
		.amdhsa_forward_progress 0
		.amdhsa_shared_vgpr_count 0
		.amdhsa_exception_fp_ieee_invalid_op 0
		.amdhsa_exception_fp_denorm_src 0
		.amdhsa_exception_fp_ieee_div_zero 0
		.amdhsa_exception_fp_ieee_overflow 0
		.amdhsa_exception_fp_ieee_underflow 0
		.amdhsa_exception_fp_ieee_inexact 0
		.amdhsa_exception_int_div_zero 0
	.end_amdhsa_kernel
	.section	.text._ZN2at6native6mbtopk23computeBlockDigitCountsIsmjLin1EEEvNS_4cuda6detail10TensorInfoIKT_T0_EEjPjjS8_iijT1_PSB_Ps,"axG",@progbits,_ZN2at6native6mbtopk23computeBlockDigitCountsIsmjLin1EEEvNS_4cuda6detail10TensorInfoIKT_T0_EEjPjjS8_iijT1_PSB_Ps,comdat
.Lfunc_end175:
	.size	_ZN2at6native6mbtopk23computeBlockDigitCountsIsmjLin1EEEvNS_4cuda6detail10TensorInfoIKT_T0_EEjPjjS8_iijT1_PSB_Ps, .Lfunc_end175-_ZN2at6native6mbtopk23computeBlockDigitCountsIsmjLin1EEEvNS_4cuda6detail10TensorInfoIKT_T0_EEjPjjS8_iijT1_PSB_Ps
                                        ; -- End function
	.section	.AMDGPU.csdata,"",@progbits
; Kernel info:
; codeLenInByte = 1996
; NumSgprs: 34
; NumVgprs: 10
; ScratchSize: 0
; MemoryBound: 0
; FloatMode: 240
; IeeeMode: 1
; LDSByteSize: 1024 bytes/workgroup (compile time only)
; SGPRBlocks: 4
; VGPRBlocks: 1
; NumSGPRsForWavesPerEU: 34
; NumVGPRsForWavesPerEU: 10
; Occupancy: 16
; WaveLimiterHint : 0
; COMPUTE_PGM_RSRC2:SCRATCH_EN: 0
; COMPUTE_PGM_RSRC2:USER_SGPR: 13
; COMPUTE_PGM_RSRC2:TRAP_HANDLER: 0
; COMPUTE_PGM_RSRC2:TGID_X_EN: 1
; COMPUTE_PGM_RSRC2:TGID_Y_EN: 1
; COMPUTE_PGM_RSRC2:TGID_Z_EN: 1
; COMPUTE_PGM_RSRC2:TIDIG_COMP_CNT: 0
	.section	.text._ZN2at6native6mbtopk10gatherTopKIsmLin1EEEvNS_4cuda6detail10TensorInfoIKT_T0_EES8_S8_bjS8_NS5_IS6_S8_EES8_NS5_IlS8_EES8_jjPS6_PjSD_j,"axG",@progbits,_ZN2at6native6mbtopk10gatherTopKIsmLin1EEEvNS_4cuda6detail10TensorInfoIKT_T0_EES8_S8_bjS8_NS5_IS6_S8_EES8_NS5_IlS8_EES8_jjPS6_PjSD_j,comdat
	.protected	_ZN2at6native6mbtopk10gatherTopKIsmLin1EEEvNS_4cuda6detail10TensorInfoIKT_T0_EES8_S8_bjS8_NS5_IS6_S8_EES8_NS5_IlS8_EES8_jjPS6_PjSD_j ; -- Begin function _ZN2at6native6mbtopk10gatherTopKIsmLin1EEEvNS_4cuda6detail10TensorInfoIKT_T0_EES8_S8_bjS8_NS5_IS6_S8_EES8_NS5_IlS8_EES8_jjPS6_PjSD_j
	.globl	_ZN2at6native6mbtopk10gatherTopKIsmLin1EEEvNS_4cuda6detail10TensorInfoIKT_T0_EES8_S8_bjS8_NS5_IS6_S8_EES8_NS5_IlS8_EES8_jjPS6_PjSD_j
	.p2align	8
	.type	_ZN2at6native6mbtopk10gatherTopKIsmLin1EEEvNS_4cuda6detail10TensorInfoIKT_T0_EES8_S8_bjS8_NS5_IS6_S8_EES8_NS5_IlS8_EES8_jjPS6_PjSD_j,@function
_ZN2at6native6mbtopk10gatherTopKIsmLin1EEEvNS_4cuda6detail10TensorInfoIKT_T0_EES8_S8_bjS8_NS5_IS6_S8_EES8_NS5_IlS8_EES8_jjPS6_PjSD_j: ; @_ZN2at6native6mbtopk10gatherTopKIsmLin1EEEvNS_4cuda6detail10TensorInfoIKT_T0_EES8_S8_bjS8_NS5_IS6_S8_EES8_NS5_IlS8_EES8_jjPS6_PjSD_j
; %bb.0:
	s_clause 0x1
	s_load_b64 s[2:3], s[0:1], 0x538
	s_load_b32 s4, s[0:1], 0x530
	s_waitcnt lgkmcnt(0)
	s_mul_i32 s3, s3, s15
	s_delay_alu instid0(SALU_CYCLE_1) | instskip(NEXT) | instid1(SALU_CYCLE_1)
	s_add_i32 s3, s3, s14
	s_mul_i32 s3, s3, s2
	s_delay_alu instid0(SALU_CYCLE_1) | instskip(NEXT) | instid1(SALU_CYCLE_1)
	s_add_i32 s3, s3, s13
	s_cmp_ge_u32 s3, s4
	s_cbranch_scc1 .LBB176_67
; %bb.1:
	s_load_b64 s[16:17], s[0:1], 0x510
	s_waitcnt lgkmcnt(0)
	v_cvt_f32_u32_e32 v1, s17
	s_sub_i32 s4, 0, s17
	s_lshl_b32 s33, s16, 8
	s_delay_alu instid0(VALU_DEP_1) | instskip(SKIP_2) | instid1(VALU_DEP_1)
	v_rcp_iflag_f32_e32 v1, v1
	s_waitcnt_depctr 0xfff
	v_mul_f32_e32 v1, 0x4f7ffffe, v1
	v_cvt_u32_f32_e32 v1, v1
	s_delay_alu instid0(VALU_DEP_1) | instskip(NEXT) | instid1(VALU_DEP_1)
	v_readfirstlane_b32 s2, v1
	s_mul_i32 s4, s4, s2
	s_delay_alu instid0(SALU_CYCLE_1) | instskip(NEXT) | instid1(SALU_CYCLE_1)
	s_mul_hi_u32 s4, s2, s4
	s_add_i32 s2, s2, s4
	s_load_b128 s[4:7], s[0:1], 0x1a0
	s_mul_hi_u32 s2, s3, s2
	s_delay_alu instid0(SALU_CYCLE_1) | instskip(SKIP_2) | instid1(SALU_CYCLE_1)
	s_mul_i32 s8, s2, s17
	s_add_i32 s9, s2, 1
	s_sub_i32 s8, s3, s8
	s_sub_i32 s10, s8, s17
	s_cmp_ge_u32 s8, s17
	s_cselect_b32 s2, s9, s2
	s_cselect_b32 s8, s10, s8
	s_add_i32 s9, s2, 1
	s_cmp_ge_u32 s8, s17
	s_cselect_b32 s2, s9, s2
	s_delay_alu instid0(SALU_CYCLE_1) | instskip(NEXT) | instid1(SALU_CYCLE_1)
	s_mul_i32 s20, s2, s17
	s_sub_i32 s50, s3, s20
	s_delay_alu instid0(SALU_CYCLE_1) | instskip(NEXT) | instid1(SALU_CYCLE_1)
	s_add_i32 s3, s50, 1
	s_cmp_lt_u32 s3, s17
	s_mov_b32 s3, 0
	s_cbranch_scc1 .LBB176_3
; %bb.2:
	s_mul_i32 s8, s50, s33
	s_waitcnt lgkmcnt(0)
	s_sub_u32 s8, s4, s8
	s_subb_u32 s9, s5, 0
	s_add_u32 s8, s8, 0xff
	s_addc_u32 s9, s9, 0
	s_delay_alu instid0(SALU_CYCLE_1) | instskip(NEXT) | instid1(SALU_CYCLE_1)
	s_ashr_i32 s10, s9, 31
	s_lshr_b32 s10, s10, 24
	s_delay_alu instid0(SALU_CYCLE_1) | instskip(SKIP_1) | instid1(SALU_CYCLE_1)
	s_add_u32 s8, s8, s10
	s_addc_u32 s9, s9, 0
	v_alignbit_b32 v1, s9, s8, 8
	s_delay_alu instid0(VALU_DEP_1)
	v_readfirstlane_b32 s16, v1
.LBB176_3:
	s_load_b32 s9, s[0:1], 0x198
	s_mov_b64 s[18:19], 0
	s_mov_b64 s[22:23], s[2:3]
	s_waitcnt lgkmcnt(0)
	s_cmp_lt_i32 s9, 2
	s_cbranch_scc1 .LBB176_11
; %bb.4:
	s_mov_b32 s8, 0
	s_add_i32 s10, s9, -1
	s_mov_b32 s11, s8
	s_add_i32 s21, s9, 1
	s_lshl_b64 s[10:11], s[10:11], 3
	s_mov_b64 s[12:13], s[2:3]
	s_add_u32 s9, s10, s0
	s_addc_u32 s11, s11, s1
	s_add_u32 s10, s9, 8
	s_addc_u32 s11, s11, 0
.LBB176_5:                              ; =>This Inner Loop Header: Depth=1
	s_load_b64 s[14:15], s[10:11], 0x0
	s_waitcnt lgkmcnt(0)
	s_or_b64 s[22:23], s[12:13], s[14:15]
	s_delay_alu instid0(SALU_CYCLE_1) | instskip(NEXT) | instid1(SALU_CYCLE_1)
	s_mov_b32 s9, s23
                                        ; implicit-def: $sgpr22_sgpr23
	s_cmp_lg_u64 s[8:9], 0
	s_mov_b32 s9, -1
	s_cbranch_scc0 .LBB176_7
; %bb.6:                                ;   in Loop: Header=BB176_5 Depth=1
	v_cvt_f32_u32_e32 v1, s14
	v_cvt_f32_u32_e32 v2, s15
	s_sub_u32 s23, 0, s14
	s_subb_u32 s24, 0, s15
	s_waitcnt_depctr 0xfff
	v_fmac_f32_e32 v1, 0x4f800000, v2
	s_delay_alu instid0(VALU_DEP_1) | instskip(SKIP_2) | instid1(VALU_DEP_1)
	v_rcp_f32_e32 v1, v1
	s_waitcnt_depctr 0xfff
	v_mul_f32_e32 v1, 0x5f7ffffc, v1
	v_mul_f32_e32 v2, 0x2f800000, v1
	s_delay_alu instid0(VALU_DEP_1) | instskip(NEXT) | instid1(VALU_DEP_1)
	v_trunc_f32_e32 v2, v2
	v_fmac_f32_e32 v1, 0xcf800000, v2
	v_cvt_u32_f32_e32 v2, v2
	s_delay_alu instid0(VALU_DEP_2) | instskip(NEXT) | instid1(VALU_DEP_2)
	v_cvt_u32_f32_e32 v1, v1
	v_readfirstlane_b32 s9, v2
	s_delay_alu instid0(VALU_DEP_2) | instskip(NEXT) | instid1(VALU_DEP_2)
	v_readfirstlane_b32 s22, v1
	s_mul_i32 s25, s23, s9
	s_delay_alu instid0(VALU_DEP_1)
	s_mul_hi_u32 s27, s23, s22
	s_mul_i32 s26, s24, s22
	s_add_i32 s25, s27, s25
	s_mul_i32 s28, s23, s22
	s_add_i32 s25, s25, s26
	s_mul_hi_u32 s27, s22, s28
	s_mul_hi_u32 s29, s9, s28
	s_mul_i32 s26, s9, s28
	s_mul_hi_u32 s28, s22, s25
	s_mul_i32 s22, s22, s25
	s_mul_hi_u32 s30, s9, s25
	s_add_u32 s22, s27, s22
	s_addc_u32 s27, 0, s28
	s_add_u32 s22, s22, s26
	s_mul_i32 s25, s9, s25
	s_addc_u32 s22, s27, s29
	s_addc_u32 s26, s30, 0
	s_add_u32 s22, s22, s25
	s_addc_u32 s25, 0, s26
	v_add_co_u32 v1, s22, v1, s22
	s_delay_alu instid0(VALU_DEP_1) | instskip(SKIP_1) | instid1(VALU_DEP_1)
	s_cmp_lg_u32 s22, 0
	s_addc_u32 s9, s9, s25
	v_readfirstlane_b32 s22, v1
	s_mul_i32 s25, s23, s9
	s_delay_alu instid0(VALU_DEP_1)
	s_mul_hi_u32 s26, s23, s22
	s_mul_i32 s24, s24, s22
	s_add_i32 s25, s26, s25
	s_mul_i32 s23, s23, s22
	s_add_i32 s25, s25, s24
	s_mul_hi_u32 s26, s9, s23
	s_mul_i32 s27, s9, s23
	s_mul_hi_u32 s23, s22, s23
	s_mul_hi_u32 s28, s22, s25
	s_mul_i32 s22, s22, s25
	s_mul_hi_u32 s24, s9, s25
	s_add_u32 s22, s23, s22
	s_addc_u32 s23, 0, s28
	s_add_u32 s22, s22, s27
	s_mul_i32 s25, s9, s25
	s_addc_u32 s22, s23, s26
	s_addc_u32 s23, s24, 0
	s_add_u32 s22, s22, s25
	s_addc_u32 s23, 0, s23
	v_add_co_u32 v1, s22, v1, s22
	s_delay_alu instid0(VALU_DEP_1) | instskip(SKIP_1) | instid1(VALU_DEP_1)
	s_cmp_lg_u32 s22, 0
	s_addc_u32 s9, s9, s23
	v_readfirstlane_b32 s22, v1
	s_mul_i32 s24, s12, s9
	s_mul_hi_u32 s23, s12, s9
	s_mul_hi_u32 s25, s13, s9
	s_mul_i32 s9, s13, s9
	s_mul_hi_u32 s26, s12, s22
	s_mul_hi_u32 s27, s13, s22
	s_mul_i32 s22, s13, s22
	s_add_u32 s24, s26, s24
	s_addc_u32 s23, 0, s23
	s_add_u32 s22, s24, s22
	s_addc_u32 s22, s23, s27
	s_addc_u32 s23, s25, 0
	s_add_u32 s22, s22, s9
	s_addc_u32 s23, 0, s23
	s_mul_hi_u32 s9, s14, s22
	s_mul_i32 s25, s14, s23
	s_mul_i32 s26, s14, s22
	s_add_i32 s9, s9, s25
	v_sub_co_u32 v1, s25, s12, s26
	s_mul_i32 s24, s15, s22
	s_delay_alu instid0(SALU_CYCLE_1) | instskip(NEXT) | instid1(VALU_DEP_1)
	s_add_i32 s9, s9, s24
	v_sub_co_u32 v2, s26, v1, s14
	s_sub_i32 s24, s13, s9
	s_cmp_lg_u32 s25, 0
	s_subb_u32 s24, s24, s15
	s_cmp_lg_u32 s26, 0
	v_readfirstlane_b32 s26, v2
	s_subb_u32 s24, s24, 0
	s_delay_alu instid0(SALU_CYCLE_1) | instskip(SKIP_1) | instid1(VALU_DEP_1)
	s_cmp_ge_u32 s24, s15
	s_cselect_b32 s27, -1, 0
	s_cmp_ge_u32 s26, s14
	s_cselect_b32 s26, -1, 0
	s_cmp_eq_u32 s24, s15
	s_cselect_b32 s24, s26, s27
	s_add_u32 s26, s22, 1
	s_addc_u32 s27, s23, 0
	s_add_u32 s28, s22, 2
	s_addc_u32 s29, s23, 0
	s_cmp_lg_u32 s24, 0
	s_cselect_b32 s24, s28, s26
	s_cselect_b32 s26, s29, s27
	s_cmp_lg_u32 s25, 0
	v_readfirstlane_b32 s25, v1
	s_subb_u32 s9, s13, s9
	s_delay_alu instid0(SALU_CYCLE_1) | instskip(SKIP_1) | instid1(VALU_DEP_1)
	s_cmp_ge_u32 s9, s15
	s_cselect_b32 s27, -1, 0
	s_cmp_ge_u32 s25, s14
	s_cselect_b32 s25, -1, 0
	s_cmp_eq_u32 s9, s15
	s_cselect_b32 s9, s25, s27
	s_delay_alu instid0(SALU_CYCLE_1)
	s_cmp_lg_u32 s9, 0
	s_mov_b32 s9, 0
	s_cselect_b32 s23, s26, s23
	s_cselect_b32 s22, s24, s22
.LBB176_7:                              ;   in Loop: Header=BB176_5 Depth=1
	s_and_not1_b32 vcc_lo, exec_lo, s9
	s_cbranch_vccnz .LBB176_9
; %bb.8:                                ;   in Loop: Header=BB176_5 Depth=1
	v_cvt_f32_u32_e32 v1, s14
	s_sub_i32 s22, 0, s14
	s_waitcnt_depctr 0xfff
	v_rcp_iflag_f32_e32 v1, v1
	s_waitcnt_depctr 0xfff
	v_mul_f32_e32 v1, 0x4f7ffffe, v1
	s_delay_alu instid0(VALU_DEP_1) | instskip(NEXT) | instid1(VALU_DEP_1)
	v_cvt_u32_f32_e32 v1, v1
	v_readfirstlane_b32 s9, v1
	s_delay_alu instid0(VALU_DEP_1) | instskip(NEXT) | instid1(SALU_CYCLE_1)
	s_mul_i32 s22, s22, s9
	s_mul_hi_u32 s22, s9, s22
	s_delay_alu instid0(SALU_CYCLE_1) | instskip(NEXT) | instid1(SALU_CYCLE_1)
	s_add_i32 s9, s9, s22
	s_mul_hi_u32 s9, s12, s9
	s_delay_alu instid0(SALU_CYCLE_1) | instskip(SKIP_2) | instid1(SALU_CYCLE_1)
	s_mul_i32 s22, s9, s14
	s_add_i32 s23, s9, 1
	s_sub_i32 s22, s12, s22
	s_sub_i32 s24, s22, s14
	s_cmp_ge_u32 s22, s14
	s_cselect_b32 s9, s23, s9
	s_cselect_b32 s22, s24, s22
	s_add_i32 s23, s9, 1
	s_cmp_ge_u32 s22, s14
	s_cselect_b32 s22, s23, s9
	s_mov_b32 s23, s8
.LBB176_9:                              ;   in Loop: Header=BB176_5 Depth=1
	s_load_b64 s[24:25], s[10:11], 0xc8
	s_mul_i32 s9, s22, s15
	s_mul_hi_u32 s15, s22, s14
	s_mul_i32 s26, s23, s14
	s_add_i32 s9, s15, s9
	s_mul_i32 s14, s22, s14
	s_add_i32 s9, s9, s26
	s_sub_u32 s12, s12, s14
	s_subb_u32 s9, s13, s9
	s_waitcnt lgkmcnt(0)
	s_mul_i32 s9, s24, s9
	s_mul_hi_u32 s13, s24, s12
	s_mul_i32 s14, s25, s12
	s_add_i32 s9, s13, s9
	s_mul_i32 s12, s24, s12
	s_add_i32 s9, s9, s14
	s_add_u32 s18, s12, s18
	s_addc_u32 s19, s9, s19
	s_add_i32 s21, s21, -1
	s_add_u32 s10, s10, -8
	s_addc_u32 s11, s11, -1
	s_cmp_gt_u32 s21, 2
	s_cbranch_scc0 .LBB176_11
; %bb.10:                               ;   in Loop: Header=BB176_5 Depth=1
	s_mov_b64 s[12:13], s[22:23]
	s_branch .LBB176_5
.LBB176_11:
	s_clause 0x1
	s_load_b32 s11, s[0:1], 0x358
	s_load_b64 s[26:27], s[0:1], 0xd0
	s_add_u32 s8, s0, 0x1c0
	s_addc_u32 s9, s1, 0
	s_mov_b64 s[24:25], 0
	s_mov_b64 s[28:29], s[2:3]
	s_waitcnt lgkmcnt(0)
	s_cmp_lt_i32 s11, 2
	s_cbranch_scc1 .LBB176_19
; %bb.12:
	s_mov_b32 s10, 0
	s_add_i32 s12, s11, -1
	s_mov_b32 s13, s10
	s_add_i32 s21, s11, 1
	s_lshl_b64 s[12:13], s[12:13], 3
	s_mov_b64 s[14:15], s[2:3]
	s_add_u32 s11, s12, s8
	s_addc_u32 s13, s13, s9
	s_add_u32 s12, s11, 8
	s_addc_u32 s13, s13, 0
.LBB176_13:                             ; =>This Inner Loop Header: Depth=1
	s_load_b64 s[30:31], s[12:13], 0x0
	s_waitcnt lgkmcnt(0)
	s_or_b64 s[28:29], s[14:15], s[30:31]
	s_delay_alu instid0(SALU_CYCLE_1) | instskip(NEXT) | instid1(SALU_CYCLE_1)
	s_mov_b32 s11, s29
                                        ; implicit-def: $sgpr28_sgpr29
	s_cmp_lg_u64 s[10:11], 0
	s_mov_b32 s11, -1
	s_cbranch_scc0 .LBB176_15
; %bb.14:                               ;   in Loop: Header=BB176_13 Depth=1
	v_cvt_f32_u32_e32 v1, s30
	v_cvt_f32_u32_e32 v2, s31
	s_sub_u32 s29, 0, s30
	s_subb_u32 s34, 0, s31
	s_waitcnt_depctr 0xfff
	v_fmac_f32_e32 v1, 0x4f800000, v2
	s_delay_alu instid0(VALU_DEP_1) | instskip(SKIP_2) | instid1(VALU_DEP_1)
	v_rcp_f32_e32 v1, v1
	s_waitcnt_depctr 0xfff
	v_mul_f32_e32 v1, 0x5f7ffffc, v1
	v_mul_f32_e32 v2, 0x2f800000, v1
	s_delay_alu instid0(VALU_DEP_1) | instskip(NEXT) | instid1(VALU_DEP_1)
	v_trunc_f32_e32 v2, v2
	v_fmac_f32_e32 v1, 0xcf800000, v2
	v_cvt_u32_f32_e32 v2, v2
	s_delay_alu instid0(VALU_DEP_2) | instskip(NEXT) | instid1(VALU_DEP_2)
	v_cvt_u32_f32_e32 v1, v1
	v_readfirstlane_b32 s11, v2
	s_delay_alu instid0(VALU_DEP_2) | instskip(NEXT) | instid1(VALU_DEP_2)
	v_readfirstlane_b32 s28, v1
	s_mul_i32 s35, s29, s11
	s_delay_alu instid0(VALU_DEP_1)
	s_mul_hi_u32 s37, s29, s28
	s_mul_i32 s36, s34, s28
	s_add_i32 s35, s37, s35
	s_mul_i32 s38, s29, s28
	s_add_i32 s35, s35, s36
	s_mul_hi_u32 s37, s28, s38
	s_mul_hi_u32 s39, s11, s38
	s_mul_i32 s36, s11, s38
	s_mul_hi_u32 s38, s28, s35
	s_mul_i32 s28, s28, s35
	s_mul_hi_u32 s40, s11, s35
	s_add_u32 s28, s37, s28
	s_addc_u32 s37, 0, s38
	s_add_u32 s28, s28, s36
	s_mul_i32 s35, s11, s35
	s_addc_u32 s28, s37, s39
	s_addc_u32 s36, s40, 0
	s_add_u32 s28, s28, s35
	s_addc_u32 s35, 0, s36
	v_add_co_u32 v1, s28, v1, s28
	s_delay_alu instid0(VALU_DEP_1) | instskip(SKIP_1) | instid1(VALU_DEP_1)
	s_cmp_lg_u32 s28, 0
	s_addc_u32 s11, s11, s35
	v_readfirstlane_b32 s28, v1
	s_mul_i32 s35, s29, s11
	s_delay_alu instid0(VALU_DEP_1)
	s_mul_hi_u32 s36, s29, s28
	s_mul_i32 s34, s34, s28
	s_add_i32 s35, s36, s35
	s_mul_i32 s29, s29, s28
	s_add_i32 s35, s35, s34
	s_mul_hi_u32 s36, s11, s29
	s_mul_i32 s37, s11, s29
	s_mul_hi_u32 s29, s28, s29
	s_mul_hi_u32 s38, s28, s35
	s_mul_i32 s28, s28, s35
	s_mul_hi_u32 s34, s11, s35
	s_add_u32 s28, s29, s28
	s_addc_u32 s29, 0, s38
	s_add_u32 s28, s28, s37
	s_mul_i32 s35, s11, s35
	s_addc_u32 s28, s29, s36
	s_addc_u32 s29, s34, 0
	s_add_u32 s28, s28, s35
	s_addc_u32 s29, 0, s29
	v_add_co_u32 v1, s28, v1, s28
	s_delay_alu instid0(VALU_DEP_1) | instskip(SKIP_1) | instid1(VALU_DEP_1)
	s_cmp_lg_u32 s28, 0
	s_addc_u32 s11, s11, s29
	v_readfirstlane_b32 s28, v1
	s_mul_i32 s34, s14, s11
	s_mul_hi_u32 s29, s14, s11
	s_mul_hi_u32 s35, s15, s11
	s_mul_i32 s11, s15, s11
	s_mul_hi_u32 s36, s14, s28
	s_mul_hi_u32 s37, s15, s28
	s_mul_i32 s28, s15, s28
	s_add_u32 s34, s36, s34
	s_addc_u32 s29, 0, s29
	s_add_u32 s28, s34, s28
	s_addc_u32 s28, s29, s37
	s_addc_u32 s29, s35, 0
	s_add_u32 s28, s28, s11
	s_addc_u32 s29, 0, s29
	s_mul_hi_u32 s11, s30, s28
	s_mul_i32 s35, s30, s29
	s_mul_i32 s36, s30, s28
	s_add_i32 s11, s11, s35
	v_sub_co_u32 v1, s35, s14, s36
	s_mul_i32 s34, s31, s28
	s_delay_alu instid0(SALU_CYCLE_1) | instskip(NEXT) | instid1(VALU_DEP_1)
	s_add_i32 s11, s11, s34
	v_sub_co_u32 v2, s36, v1, s30
	s_sub_i32 s34, s15, s11
	s_cmp_lg_u32 s35, 0
	s_subb_u32 s34, s34, s31
	s_cmp_lg_u32 s36, 0
	v_readfirstlane_b32 s36, v2
	s_subb_u32 s34, s34, 0
	s_delay_alu instid0(SALU_CYCLE_1) | instskip(SKIP_1) | instid1(VALU_DEP_1)
	s_cmp_ge_u32 s34, s31
	s_cselect_b32 s37, -1, 0
	s_cmp_ge_u32 s36, s30
	s_cselect_b32 s36, -1, 0
	s_cmp_eq_u32 s34, s31
	s_cselect_b32 s34, s36, s37
	s_add_u32 s36, s28, 1
	s_addc_u32 s37, s29, 0
	s_add_u32 s38, s28, 2
	s_addc_u32 s39, s29, 0
	s_cmp_lg_u32 s34, 0
	s_cselect_b32 s34, s38, s36
	s_cselect_b32 s36, s39, s37
	s_cmp_lg_u32 s35, 0
	v_readfirstlane_b32 s35, v1
	s_subb_u32 s11, s15, s11
	s_delay_alu instid0(SALU_CYCLE_1) | instskip(SKIP_1) | instid1(VALU_DEP_1)
	s_cmp_ge_u32 s11, s31
	s_cselect_b32 s37, -1, 0
	s_cmp_ge_u32 s35, s30
	s_cselect_b32 s35, -1, 0
	s_cmp_eq_u32 s11, s31
	s_cselect_b32 s11, s35, s37
	s_delay_alu instid0(SALU_CYCLE_1)
	s_cmp_lg_u32 s11, 0
	s_mov_b32 s11, 0
	s_cselect_b32 s29, s36, s29
	s_cselect_b32 s28, s34, s28
.LBB176_15:                             ;   in Loop: Header=BB176_13 Depth=1
	s_and_not1_b32 vcc_lo, exec_lo, s11
	s_cbranch_vccnz .LBB176_17
; %bb.16:                               ;   in Loop: Header=BB176_13 Depth=1
	v_cvt_f32_u32_e32 v1, s30
	s_sub_i32 s28, 0, s30
	s_waitcnt_depctr 0xfff
	v_rcp_iflag_f32_e32 v1, v1
	s_waitcnt_depctr 0xfff
	v_mul_f32_e32 v1, 0x4f7ffffe, v1
	s_delay_alu instid0(VALU_DEP_1) | instskip(NEXT) | instid1(VALU_DEP_1)
	v_cvt_u32_f32_e32 v1, v1
	v_readfirstlane_b32 s11, v1
	s_delay_alu instid0(VALU_DEP_1) | instskip(NEXT) | instid1(SALU_CYCLE_1)
	s_mul_i32 s28, s28, s11
	s_mul_hi_u32 s28, s11, s28
	s_delay_alu instid0(SALU_CYCLE_1) | instskip(NEXT) | instid1(SALU_CYCLE_1)
	s_add_i32 s11, s11, s28
	s_mul_hi_u32 s11, s14, s11
	s_delay_alu instid0(SALU_CYCLE_1) | instskip(SKIP_2) | instid1(SALU_CYCLE_1)
	s_mul_i32 s28, s11, s30
	s_add_i32 s29, s11, 1
	s_sub_i32 s28, s14, s28
	s_sub_i32 s34, s28, s30
	s_cmp_ge_u32 s28, s30
	s_cselect_b32 s11, s29, s11
	s_cselect_b32 s28, s34, s28
	s_add_i32 s29, s11, 1
	s_cmp_ge_u32 s28, s30
	s_cselect_b32 s28, s29, s11
	s_mov_b32 s29, s10
.LBB176_17:                             ;   in Loop: Header=BB176_13 Depth=1
	s_load_b64 s[34:35], s[12:13], 0xc8
	s_mul_i32 s11, s28, s31
	s_mul_hi_u32 s31, s28, s30
	s_mul_i32 s36, s29, s30
	s_add_i32 s11, s31, s11
	s_mul_i32 s30, s28, s30
	s_add_i32 s11, s11, s36
	s_sub_u32 s14, s14, s30
	s_subb_u32 s11, s15, s11
	s_waitcnt lgkmcnt(0)
	s_mul_i32 s11, s34, s11
	s_mul_hi_u32 s15, s34, s14
	s_mul_i32 s30, s35, s14
	s_add_i32 s11, s15, s11
	s_mul_i32 s14, s34, s14
	s_add_i32 s11, s11, s30
	s_add_u32 s24, s14, s24
	s_addc_u32 s25, s11, s25
	s_add_i32 s21, s21, -1
	s_add_u32 s12, s12, -8
	s_addc_u32 s13, s13, -1
	s_cmp_gt_u32 s21, 2
	s_cbranch_scc0 .LBB176_19
; %bb.18:                               ;   in Loop: Header=BB176_13 Depth=1
	s_mov_b64 s[14:15], s[28:29]
	s_branch .LBB176_13
.LBB176_19:
	s_clause 0x1
	s_load_b32 s11, s[0:1], 0x500
	s_load_b64 s[34:35], s[8:9], 0xd0
	s_add_u32 s9, s0, 0x368
	s_addc_u32 s10, s1, 0
	s_mov_b64 s[30:31], 0
	s_waitcnt lgkmcnt(0)
	s_cmp_lt_i32 s11, 2
	s_cbranch_scc1 .LBB176_27
; %bb.20:
	s_mov_b32 s8, 0
	s_add_i32 s12, s11, -1
	s_mov_b32 s13, s8
	s_add_i32 s21, s11, 1
	s_lshl_b64 s[12:13], s[12:13], 3
	s_delay_alu instid0(SALU_CYCLE_1)
	s_add_u32 s9, s12, s9
	s_addc_u32 s11, s13, s10
	s_add_u32 s10, s9, 8
	s_addc_u32 s11, s11, 0
	s_mov_b64 s[12:13], s[2:3]
.LBB176_21:                             ; =>This Inner Loop Header: Depth=1
	s_load_b64 s[14:15], s[10:11], 0x0
	s_waitcnt lgkmcnt(0)
	s_or_b64 s[36:37], s[12:13], s[14:15]
	s_delay_alu instid0(SALU_CYCLE_1) | instskip(NEXT) | instid1(SALU_CYCLE_1)
	s_mov_b32 s9, s37
                                        ; implicit-def: $sgpr36_sgpr37
	s_cmp_lg_u64 s[8:9], 0
	s_mov_b32 s9, -1
	s_cbranch_scc0 .LBB176_23
; %bb.22:                               ;   in Loop: Header=BB176_21 Depth=1
	v_cvt_f32_u32_e32 v1, s14
	v_cvt_f32_u32_e32 v2, s15
	s_sub_u32 s37, 0, s14
	s_subb_u32 s38, 0, s15
	s_waitcnt_depctr 0xfff
	v_fmac_f32_e32 v1, 0x4f800000, v2
	s_delay_alu instid0(VALU_DEP_1) | instskip(SKIP_2) | instid1(VALU_DEP_1)
	v_rcp_f32_e32 v1, v1
	s_waitcnt_depctr 0xfff
	v_mul_f32_e32 v1, 0x5f7ffffc, v1
	v_mul_f32_e32 v2, 0x2f800000, v1
	s_delay_alu instid0(VALU_DEP_1) | instskip(NEXT) | instid1(VALU_DEP_1)
	v_trunc_f32_e32 v2, v2
	v_fmac_f32_e32 v1, 0xcf800000, v2
	v_cvt_u32_f32_e32 v2, v2
	s_delay_alu instid0(VALU_DEP_2) | instskip(NEXT) | instid1(VALU_DEP_2)
	v_cvt_u32_f32_e32 v1, v1
	v_readfirstlane_b32 s9, v2
	s_delay_alu instid0(VALU_DEP_2) | instskip(NEXT) | instid1(VALU_DEP_2)
	v_readfirstlane_b32 s36, v1
	s_mul_i32 s39, s37, s9
	s_delay_alu instid0(VALU_DEP_1)
	s_mul_hi_u32 s41, s37, s36
	s_mul_i32 s40, s38, s36
	s_add_i32 s39, s41, s39
	s_mul_i32 s42, s37, s36
	s_add_i32 s39, s39, s40
	s_mul_hi_u32 s41, s36, s42
	s_mul_hi_u32 s43, s9, s42
	s_mul_i32 s40, s9, s42
	s_mul_hi_u32 s42, s36, s39
	s_mul_i32 s36, s36, s39
	s_mul_hi_u32 s44, s9, s39
	s_add_u32 s36, s41, s36
	s_addc_u32 s41, 0, s42
	s_add_u32 s36, s36, s40
	s_mul_i32 s39, s9, s39
	s_addc_u32 s36, s41, s43
	s_addc_u32 s40, s44, 0
	s_add_u32 s36, s36, s39
	s_addc_u32 s39, 0, s40
	v_add_co_u32 v1, s36, v1, s36
	s_delay_alu instid0(VALU_DEP_1) | instskip(SKIP_1) | instid1(VALU_DEP_1)
	s_cmp_lg_u32 s36, 0
	s_addc_u32 s9, s9, s39
	v_readfirstlane_b32 s36, v1
	s_mul_i32 s39, s37, s9
	s_delay_alu instid0(VALU_DEP_1)
	s_mul_hi_u32 s40, s37, s36
	s_mul_i32 s38, s38, s36
	s_add_i32 s39, s40, s39
	s_mul_i32 s37, s37, s36
	s_add_i32 s39, s39, s38
	s_mul_hi_u32 s40, s9, s37
	s_mul_i32 s41, s9, s37
	s_mul_hi_u32 s37, s36, s37
	s_mul_hi_u32 s42, s36, s39
	s_mul_i32 s36, s36, s39
	s_mul_hi_u32 s38, s9, s39
	s_add_u32 s36, s37, s36
	s_addc_u32 s37, 0, s42
	s_add_u32 s36, s36, s41
	s_mul_i32 s39, s9, s39
	s_addc_u32 s36, s37, s40
	s_addc_u32 s37, s38, 0
	s_add_u32 s36, s36, s39
	s_addc_u32 s37, 0, s37
	v_add_co_u32 v1, s36, v1, s36
	s_delay_alu instid0(VALU_DEP_1) | instskip(SKIP_1) | instid1(VALU_DEP_1)
	s_cmp_lg_u32 s36, 0
	s_addc_u32 s9, s9, s37
	v_readfirstlane_b32 s36, v1
	s_mul_i32 s38, s12, s9
	s_mul_hi_u32 s37, s12, s9
	s_mul_hi_u32 s39, s13, s9
	s_mul_i32 s9, s13, s9
	s_mul_hi_u32 s40, s12, s36
	s_mul_hi_u32 s41, s13, s36
	s_mul_i32 s36, s13, s36
	s_add_u32 s38, s40, s38
	s_addc_u32 s37, 0, s37
	s_add_u32 s36, s38, s36
	s_addc_u32 s36, s37, s41
	s_addc_u32 s37, s39, 0
	s_add_u32 s36, s36, s9
	s_addc_u32 s37, 0, s37
	s_mul_hi_u32 s9, s14, s36
	s_mul_i32 s39, s14, s37
	s_mul_i32 s40, s14, s36
	s_add_i32 s9, s9, s39
	v_sub_co_u32 v1, s39, s12, s40
	s_mul_i32 s38, s15, s36
	s_delay_alu instid0(SALU_CYCLE_1) | instskip(NEXT) | instid1(VALU_DEP_1)
	s_add_i32 s9, s9, s38
	v_sub_co_u32 v2, s40, v1, s14
	s_sub_i32 s38, s13, s9
	s_cmp_lg_u32 s39, 0
	s_subb_u32 s38, s38, s15
	s_cmp_lg_u32 s40, 0
	v_readfirstlane_b32 s40, v2
	s_subb_u32 s38, s38, 0
	s_delay_alu instid0(SALU_CYCLE_1) | instskip(SKIP_1) | instid1(VALU_DEP_1)
	s_cmp_ge_u32 s38, s15
	s_cselect_b32 s41, -1, 0
	s_cmp_ge_u32 s40, s14
	s_cselect_b32 s40, -1, 0
	s_cmp_eq_u32 s38, s15
	s_cselect_b32 s38, s40, s41
	s_add_u32 s40, s36, 1
	s_addc_u32 s41, s37, 0
	s_add_u32 s42, s36, 2
	s_addc_u32 s43, s37, 0
	s_cmp_lg_u32 s38, 0
	s_cselect_b32 s38, s42, s40
	s_cselect_b32 s40, s43, s41
	s_cmp_lg_u32 s39, 0
	v_readfirstlane_b32 s39, v1
	s_subb_u32 s9, s13, s9
	s_delay_alu instid0(SALU_CYCLE_1) | instskip(SKIP_1) | instid1(VALU_DEP_1)
	s_cmp_ge_u32 s9, s15
	s_cselect_b32 s41, -1, 0
	s_cmp_ge_u32 s39, s14
	s_cselect_b32 s39, -1, 0
	s_cmp_eq_u32 s9, s15
	s_cselect_b32 s9, s39, s41
	s_delay_alu instid0(SALU_CYCLE_1)
	s_cmp_lg_u32 s9, 0
	s_mov_b32 s9, 0
	s_cselect_b32 s37, s40, s37
	s_cselect_b32 s36, s38, s36
.LBB176_23:                             ;   in Loop: Header=BB176_21 Depth=1
	s_and_not1_b32 vcc_lo, exec_lo, s9
	s_cbranch_vccnz .LBB176_25
; %bb.24:                               ;   in Loop: Header=BB176_21 Depth=1
	v_cvt_f32_u32_e32 v1, s14
	s_sub_i32 s36, 0, s14
	s_waitcnt_depctr 0xfff
	v_rcp_iflag_f32_e32 v1, v1
	s_waitcnt_depctr 0xfff
	v_mul_f32_e32 v1, 0x4f7ffffe, v1
	s_delay_alu instid0(VALU_DEP_1) | instskip(NEXT) | instid1(VALU_DEP_1)
	v_cvt_u32_f32_e32 v1, v1
	v_readfirstlane_b32 s9, v1
	s_delay_alu instid0(VALU_DEP_1) | instskip(NEXT) | instid1(SALU_CYCLE_1)
	s_mul_i32 s36, s36, s9
	s_mul_hi_u32 s36, s9, s36
	s_delay_alu instid0(SALU_CYCLE_1) | instskip(NEXT) | instid1(SALU_CYCLE_1)
	s_add_i32 s9, s9, s36
	s_mul_hi_u32 s9, s12, s9
	s_delay_alu instid0(SALU_CYCLE_1) | instskip(SKIP_2) | instid1(SALU_CYCLE_1)
	s_mul_i32 s36, s9, s14
	s_add_i32 s37, s9, 1
	s_sub_i32 s36, s12, s36
	s_sub_i32 s38, s36, s14
	s_cmp_ge_u32 s36, s14
	s_cselect_b32 s9, s37, s9
	s_cselect_b32 s36, s38, s36
	s_add_i32 s37, s9, 1
	s_cmp_ge_u32 s36, s14
	s_cselect_b32 s36, s37, s9
	s_mov_b32 s37, s8
.LBB176_25:                             ;   in Loop: Header=BB176_21 Depth=1
	s_load_b64 s[38:39], s[10:11], 0xc8
	s_mul_i32 s9, s36, s15
	s_mul_hi_u32 s15, s36, s14
	s_mul_i32 s40, s37, s14
	s_add_i32 s9, s15, s9
	s_mul_i32 s14, s36, s14
	s_add_i32 s9, s9, s40
	s_sub_u32 s12, s12, s14
	s_subb_u32 s9, s13, s9
	s_waitcnt lgkmcnt(0)
	s_mul_i32 s9, s38, s9
	s_mul_hi_u32 s13, s38, s12
	s_mul_i32 s14, s39, s12
	s_add_i32 s9, s13, s9
	s_mul_i32 s12, s38, s12
	s_add_i32 s9, s9, s14
	s_add_u32 s30, s12, s30
	s_addc_u32 s31, s9, s31
	s_add_i32 s21, s21, -1
	s_add_u32 s10, s10, -8
	s_addc_u32 s11, s11, -1
	s_cmp_gt_u32 s21, 2
	s_cbranch_scc0 .LBB176_28
; %bb.26:                               ;   in Loop: Header=BB176_21 Depth=1
	s_mov_b64 s[12:13], s[36:37]
	s_branch .LBB176_21
.LBB176_27:
	s_mov_b64 s[36:37], s[2:3]
.LBB176_28:
	s_load_b128 s[8:11], s[0:1], 0x518
	s_lshl_b64 s[2:3], s[2:3], 1
	v_mov_b32_e32 v1, 0
	s_mov_b32 s21, 0
	s_waitcnt lgkmcnt(0)
	s_add_u32 s2, s8, s2
	s_addc_u32 s3, s9, s3
	global_load_u16 v8, v1, s[2:3]
	s_clause 0x3
	s_load_b64 s[42:43], s[0:1], 0x0
	s_load_b64 s[40:41], s[0:1], 0x1c0
	;; [unrolled: 1-line block ×4, first 2 shown]
	v_cmp_ne_u32_e64 s2, 0, v0
	v_cmp_eq_u32_e64 s3, 0, v0
	s_delay_alu instid0(VALU_DEP_1)
	s_and_saveexec_b32 s51, s3
	s_cbranch_execz .LBB176_44
; %bb.29:
	s_load_b64 s[44:45], s[0:1], 0x528
	s_lshl_b64 s[46:47], s[20:21], 2
	s_mov_b32 s20, 0
	s_add_u32 s12, s10, s46
	s_addc_u32 s13, s11, s47
	s_mov_b32 s52, 0
	s_waitcnt lgkmcnt(0)
	s_add_u32 s14, s44, s46
	s_addc_u32 s15, s45, s47
	s_cmp_lt_u32 s17, 4
	s_cbranch_scc1 .LBB176_41
; %bb.30:
	s_mov_b32 s53, 0
.LBB176_31:                             ; =>This Inner Loop Header: Depth=1
	s_add_u32 s12, s10, s46
	s_addc_u32 s13, s11, s47
	s_add_u32 s48, s44, s46
	s_load_b128 s[12:15], s[12:13], 0x0
	s_addc_u32 s49, s45, s47
	s_cmp_ge_u32 s53, s50
	s_cbranch_scc0 .LBB176_38
; %bb.32:                               ;   in Loop: Header=BB176_31 Depth=1
	s_add_i32 s54, s53, 1
	s_delay_alu instid0(SALU_CYCLE_1)
	s_cmp_ge_u32 s54, s50
	s_cbranch_scc0 .LBB176_39
.LBB176_33:                             ;   in Loop: Header=BB176_31 Depth=1
	s_add_i32 s54, s54, 1
	s_delay_alu instid0(SALU_CYCLE_1)
	s_cmp_ge_u32 s54, s50
	s_cbranch_scc0 .LBB176_40
.LBB176_34:                             ;   in Loop: Header=BB176_31 Depth=1
	s_add_i32 s54, s54, 1
	s_delay_alu instid0(SALU_CYCLE_1)
	s_cmp_ge_u32 s54, s50
	s_cbranch_scc1 .LBB176_36
.LBB176_35:                             ;   in Loop: Header=BB176_31 Depth=1
	s_load_b32 s48, s[48:49], 0xc
	s_waitcnt lgkmcnt(0)
	s_add_i32 s21, s21, s15
	s_add_i32 s20, s48, s20
.LBB176_36:                             ;   in Loop: Header=BB176_31 Depth=1
	s_waitcnt lgkmcnt(0)
	s_add_i32 s12, s12, s52
	s_delay_alu instid0(SALU_CYCLE_1) | instskip(NEXT) | instid1(SALU_CYCLE_1)
	s_add_i32 s12, s12, s13
	s_add_i32 s12, s12, s14
	s_delay_alu instid0(SALU_CYCLE_1)
	s_add_i32 s52, s12, s15
	s_add_u32 s10, s10, 16
	s_addc_u32 s11, s11, 0
	s_add_u32 s44, s44, 16
	s_addc_u32 s45, s45, 0
	s_add_i32 s49, s54, 4
	s_add_u32 s14, s44, s46
	s_addc_u32 s15, s45, s47
	s_add_u32 s12, s10, s46
	s_addc_u32 s13, s11, s47
	s_add_i32 s48, s54, 1
	s_cmp_ge_u32 s49, s17
	s_cbranch_scc1 .LBB176_42
; %bb.37:                               ;   in Loop: Header=BB176_31 Depth=1
	s_mov_b32 s53, s48
	s_branch .LBB176_31
.LBB176_38:                             ;   in Loop: Header=BB176_31 Depth=1
	s_load_b32 s54, s[48:49], 0x0
	s_waitcnt lgkmcnt(0)
	s_add_i32 s21, s12, s21
	s_add_i32 s20, s54, s20
	;; [unrolled: 1-line block ×3, first 2 shown]
	s_delay_alu instid0(SALU_CYCLE_1)
	s_cmp_ge_u32 s54, s50
	s_cbranch_scc1 .LBB176_33
.LBB176_39:                             ;   in Loop: Header=BB176_31 Depth=1
	s_load_b32 s55, s[48:49], 0x4
	s_waitcnt lgkmcnt(0)
	s_add_i32 s21, s21, s13
	s_add_i32 s20, s55, s20
	;; [unrolled: 1-line block ×3, first 2 shown]
	s_delay_alu instid0(SALU_CYCLE_1)
	s_cmp_ge_u32 s54, s50
	s_cbranch_scc1 .LBB176_34
.LBB176_40:                             ;   in Loop: Header=BB176_31 Depth=1
	s_load_b32 s55, s[48:49], 0x8
	s_waitcnt lgkmcnt(0)
	s_add_i32 s21, s21, s14
	s_add_i32 s20, s55, s20
	;; [unrolled: 1-line block ×3, first 2 shown]
	s_delay_alu instid0(SALU_CYCLE_1)
	s_cmp_ge_u32 s54, s50
	s_cbranch_scc0 .LBB176_35
	s_branch .LBB176_36
.LBB176_41:
	s_mov_b32 s10, 0
	s_delay_alu instid0(SALU_CYCLE_1)
	s_cmp_ge_u32 s10, s17
	s_cbranch_scc0 .LBB176_65
	s_branch .LBB176_43
.LBB176_42:
	s_add_i32 s10, s53, 4
	s_delay_alu instid0(SALU_CYCLE_1)
	s_cmp_ge_u32 s10, s17
	s_cbranch_scc0 .LBB176_65
.LBB176_43:
	v_dual_mov_b32 v1, s20 :: v_dual_mov_b32 v2, s52
	v_dual_mov_b32 v3, s21 :: v_dual_mov_b32 v4, 0
	ds_store_b96 v4, v[1:3] offset:1056
.LBB176_44:
	s_or_b32 exec_lo, exec_lo, s51
	s_cmp_eq_u32 s16, 0
	s_waitcnt vmcnt(0) lgkmcnt(0)
	s_barrier
	buffer_gl0_inv
	s_cbranch_scc1 .LBB176_67
; %bb.45:
	s_mul_i32 s10, s34, s29
	s_mul_hi_u32 s11, s34, s28
	s_mul_hi_u32 s12, s26, s22
	s_add_i32 s10, s11, s10
	s_mul_i32 s11, s26, s23
	s_mul_i32 s13, s35, s28
	s_add_i32 s12, s12, s11
	s_mul_i32 s14, s27, s22
	v_mov_b32_e32 v5, 0
	v_bfe_i32 v4, v8, 0, 16
	s_add_i32 s11, s10, s13
	s_add_i32 s13, s12, s14
	s_mul_i32 s10, s38, s37
	s_mul_hi_u32 s14, s38, s36
	s_mul_i32 s12, s26, s22
	s_add_i32 s10, s14, s10
	s_mul_i32 s14, s39, s36
	s_lshl_b64 s[12:13], s[12:13], 1
	s_add_i32 s21, s10, s14
	v_add_nc_u32_e32 v9, 0x8000, v4
	v_add_nc_u32_e32 v4, -1, v0
	ds_load_b96 v[1:3], v5 offset:1056
	s_add_u32 s14, s42, s12
	s_addc_u32 s15, s43, s13
	s_lshl_b64 s[12:13], s[18:19], 1
	s_mul_i32 s10, s34, s28
	s_add_u32 s14, s14, s12
	s_addc_u32 s15, s15, s13
	s_lshl_b64 s[10:11], s[10:11], 1
	s_mul_i32 s20, s38, s36
	s_add_u32 s12, s40, s10
	s_addc_u32 s13, s41, s11
	s_lshl_b64 s[10:11], s[24:25], 1
	v_lshlrev_b32_e32 v12, 3, v0
	s_add_u32 s17, s12, s10
	s_addc_u32 s18, s13, s11
	s_lshl_b64 s[10:11], s[20:21], 3
	v_lshrrev_b32_e32 v13, 2, v0
	s_add_u32 s10, s8, s10
	s_addc_u32 s11, s9, s11
	s_lshl_b64 s[8:9], s[30:31], 3
	s_waitcnt lgkmcnt(0)
	v_add_nc_u32_e32 v1, v1, v2
	s_add_u32 s19, s10, s8
	s_addc_u32 s20, s11, s9
	s_clause 0x3
	s_load_b32 s21, s[0:1], 0x1b0
	s_load_b64 s[8:9], s[0:1], 0x1b8
	s_load_b64 s[10:11], s[0:1], 0x360
	;; [unrolled: 1-line block ×3, first 2 shown]
	v_lshrrev_b32_e32 v2, 5, v0
	v_mad_u64_u32 v[6:7], null, s50, s33, v[0:1]
	v_lshrrev_b32_e32 v14, 5, v4
	v_mbcnt_lo_u32_b32 v10, -1, 0
	s_delay_alu instid0(VALU_DEP_4)
	v_add_lshl_u32 v11, v2, v0, 2
	v_cmp_gt_u32_e64 s0, 32, v0
	v_add_lshl_u32 v0, v13, v12, 2
	v_add_lshl_u32 v12, v14, v4, 2
	v_dual_mov_b32 v4, v6 :: v_dual_and_b32 v13, 15, v10
	v_bfe_i32 v14, v10, 4, 1
	v_add_nc_u32_e32 v15, -1, v10
                                        ; implicit-def: $vgpr16
	s_waitcnt lgkmcnt(0)
	s_bitcmp1_b32 s21, 0
	s_cselect_b32 s1, -1, 0
	s_branch .LBB176_48
.LBB176_46:                             ;   in Loop: Header=BB176_48 Depth=1
	s_or_b32 exec_lo, exec_lo, s21
	v_add_nc_u32_e32 v1, v2, v1
.LBB176_47:                             ;   in Loop: Header=BB176_48 Depth=1
	v_add_nc_u32_e32 v3, v17, v3
	v_add_nc_u32_e32 v4, 0x100, v4
	s_add_i32 s16, s16, -1
	s_delay_alu instid0(SALU_CYCLE_1)
	s_cmp_lg_u32 s16, 0
	s_cbranch_scc0 .LBB176_67
.LBB176_48:                             ; =>This Inner Loop Header: Depth=1
	v_mov_b32_e32 v2, v5
	v_mov_b32_e32 v6, v5
	s_mov_b32 s21, exec_lo
	v_cmpx_gt_u64_e64 s[4:5], v[4:5]
	s_cbranch_execz .LBB176_50
; %bb.49:                               ;   in Loop: Header=BB176_48 Depth=1
	v_mad_u64_u32 v[6:7], null, v4, s8, 0
	s_delay_alu instid0(VALU_DEP_1) | instskip(NEXT) | instid1(VALU_DEP_1)
	v_mov_b32_e32 v2, v7
	v_mad_u64_u32 v[16:17], null, v4, s9, v[2:3]
	s_delay_alu instid0(VALU_DEP_1) | instskip(NEXT) | instid1(VALU_DEP_1)
	v_mov_b32_e32 v7, v16
	v_lshlrev_b64 v[6:7], 1, v[6:7]
	s_delay_alu instid0(VALU_DEP_1) | instskip(NEXT) | instid1(VALU_DEP_2)
	v_add_co_u32 v6, vcc_lo, s14, v6
	v_add_co_ci_u32_e32 v7, vcc_lo, s15, v7, vcc_lo
	global_load_u16 v16, v[6:7], off
	s_waitcnt vmcnt(0)
	v_bfe_i32 v2, v16, 0, 16
	s_delay_alu instid0(VALU_DEP_1) | instskip(NEXT) | instid1(VALU_DEP_1)
	v_add_nc_u32_e32 v2, 0x8000, v2
	v_cmp_gt_u32_e32 vcc_lo, v2, v9
	v_cndmask_b32_e64 v6, 0, 1, vcc_lo
	v_cmp_lt_u32_e32 vcc_lo, v2, v9
	v_cndmask_b32_e64 v2, 0, 1, vcc_lo
	v_cmp_eq_u16_e32 vcc_lo, v16, v8
	s_delay_alu instid0(VALU_DEP_2) | instskip(SKIP_1) | instid1(VALU_DEP_2)
	v_cndmask_b32_e64 v2, v2, v6, s1
	v_cndmask_b32_e64 v6, 0, 1, vcc_lo
	v_and_b32_e32 v2, 1, v2
.LBB176_50:                             ;   in Loop: Header=BB176_48 Depth=1
	s_or_b32 exec_lo, exec_lo, s21
	ds_store_b32 v11, v2
	s_waitcnt lgkmcnt(0)
	s_waitcnt_vscnt null, 0x0
	s_barrier
	buffer_gl0_inv
	s_and_saveexec_b32 s21, s0
	s_cbranch_execz .LBB176_52
; %bb.51:                               ;   in Loop: Header=BB176_48 Depth=1
	ds_load_2addr_b32 v[17:18], v0 offset1:1
	ds_load_2addr_b32 v[19:20], v0 offset0:2 offset1:3
	ds_load_2addr_b32 v[21:22], v0 offset0:4 offset1:5
	;; [unrolled: 1-line block ×3, first 2 shown]
	v_cmp_ne_u32_e32 vcc_lo, 0, v13
	; wave barrier
	s_waitcnt lgkmcnt(3)
	v_add_nc_u32_e32 v7, v18, v17
	s_waitcnt lgkmcnt(2)
	s_delay_alu instid0(VALU_DEP_1) | instskip(SKIP_1) | instid1(VALU_DEP_1)
	v_add3_u32 v7, v7, v19, v20
	s_waitcnt lgkmcnt(1)
	v_add3_u32 v7, v7, v21, v22
	s_waitcnt lgkmcnt(0)
	s_delay_alu instid0(VALU_DEP_1) | instskip(NEXT) | instid1(VALU_DEP_1)
	v_add3_u32 v7, v7, v23, v24
	v_mov_b32_dpp v18, v7 row_shr:1 row_mask:0xf bank_mask:0xf
	s_delay_alu instid0(VALU_DEP_1) | instskip(SKIP_1) | instid1(VALU_DEP_2)
	v_cndmask_b32_e32 v18, 0, v18, vcc_lo
	v_cmp_lt_u32_e32 vcc_lo, 1, v13
	v_add_nc_u32_e32 v7, v18, v7
	s_delay_alu instid0(VALU_DEP_1) | instskip(NEXT) | instid1(VALU_DEP_1)
	v_mov_b32_dpp v18, v7 row_shr:2 row_mask:0xf bank_mask:0xf
	v_cndmask_b32_e32 v18, 0, v18, vcc_lo
	v_cmp_lt_u32_e32 vcc_lo, 3, v13
	s_delay_alu instid0(VALU_DEP_2) | instskip(NEXT) | instid1(VALU_DEP_1)
	v_add_nc_u32_e32 v7, v7, v18
	v_mov_b32_dpp v18, v7 row_shr:4 row_mask:0xf bank_mask:0xf
	s_delay_alu instid0(VALU_DEP_1) | instskip(SKIP_1) | instid1(VALU_DEP_2)
	v_cndmask_b32_e32 v18, 0, v18, vcc_lo
	v_cmp_lt_u32_e32 vcc_lo, 7, v13
	v_add_nc_u32_e32 v7, v7, v18
	s_delay_alu instid0(VALU_DEP_1) | instskip(NEXT) | instid1(VALU_DEP_1)
	v_mov_b32_dpp v18, v7 row_shr:8 row_mask:0xf bank_mask:0xf
	v_cndmask_b32_e32 v18, 0, v18, vcc_lo
	v_cmp_gt_i32_e32 vcc_lo, 0, v15
	s_delay_alu instid0(VALU_DEP_2)
	v_add_nc_u32_e32 v7, v7, v18
	v_cndmask_b32_e32 v19, v15, v10, vcc_lo
	ds_swizzle_b32 v18, v7 offset:swizzle(BROADCAST,32,15)
	v_lshlrev_b32_e32 v19, 2, v19
	s_waitcnt lgkmcnt(0)
	v_and_b32_e32 v18, v14, v18
	s_delay_alu instid0(VALU_DEP_1) | instskip(SKIP_3) | instid1(VALU_DEP_1)
	v_add_nc_u32_e32 v7, v7, v18
	ds_bpermute_b32 v7, v19, v7
	s_waitcnt lgkmcnt(0)
	v_add_nc_u32_e32 v7, v7, v17
	v_cndmask_b32_e64 v7, v7, v2, s3
	ds_store_b32 v0, v7
	; wave barrier
	ds_load_2addr_b32 v[17:18], v0 offset0:1 offset1:2
	ds_load_2addr_b32 v[19:20], v0 offset0:3 offset1:4
	;; [unrolled: 1-line block ×3, first 2 shown]
	ds_load_b32 v23, v0 offset:28
	s_waitcnt lgkmcnt(3)
	v_add_nc_u32_e32 v7, v17, v7
	s_delay_alu instid0(VALU_DEP_1) | instskip(SKIP_1) | instid1(VALU_DEP_1)
	v_add_nc_u32_e32 v17, v18, v7
	s_waitcnt lgkmcnt(2)
	v_add_nc_u32_e32 v18, v19, v17
	s_delay_alu instid0(VALU_DEP_1) | instskip(SKIP_1) | instid1(VALU_DEP_1)
	v_add_nc_u32_e32 v19, v20, v18
	;; [unrolled: 4-line block ×3, first 2 shown]
	s_waitcnt lgkmcnt(0)
	v_add_nc_u32_e32 v22, v23, v21
	ds_store_2addr_b32 v0, v7, v17 offset0:1 offset1:2
	ds_store_2addr_b32 v0, v18, v19 offset0:3 offset1:4
	;; [unrolled: 1-line block ×3, first 2 shown]
	ds_store_b32 v0, v22 offset:28
.LBB176_52:                             ;   in Loop: Header=BB176_48 Depth=1
	s_or_b32 exec_lo, exec_lo, s21
	v_mov_b32_e32 v7, 0
	s_waitcnt lgkmcnt(0)
	s_barrier
	buffer_gl0_inv
	s_and_saveexec_b32 s21, s2
	s_cbranch_execz .LBB176_54
; %bb.53:                               ;   in Loop: Header=BB176_48 Depth=1
	ds_load_b32 v7, v12
.LBB176_54:                             ;   in Loop: Header=BB176_48 Depth=1
	s_or_b32 exec_lo, exec_lo, s21
	ds_load_b32 v17, v5 offset:1048
	s_mov_b32 s21, exec_lo
	s_waitcnt lgkmcnt(0)
	s_barrier
	buffer_gl0_inv
	v_cmpx_ne_u32_e32 0, v2
	s_cbranch_execz .LBB176_56
; %bb.55:                               ;   in Loop: Header=BB176_48 Depth=1
	v_add_nc_u32_e32 v24, v7, v3
	s_delay_alu instid0(VALU_DEP_1) | instskip(NEXT) | instid1(VALU_DEP_1)
	v_mad_u64_u32 v[20:21], null, v24, s12, 0
	v_mov_b32_e32 v7, v21
	v_mad_u64_u32 v[18:19], null, v24, s10, 0
	s_delay_alu instid0(VALU_DEP_1) | instskip(NEXT) | instid1(VALU_DEP_1)
	v_mov_b32_e32 v2, v19
	v_mad_u64_u32 v[21:22], null, v24, s11, v[2:3]
	s_delay_alu instid0(VALU_DEP_4) | instskip(NEXT) | instid1(VALU_DEP_2)
	v_mad_u64_u32 v[22:23], null, v24, s13, v[7:8]
	v_mov_b32_e32 v19, v21
	s_delay_alu instid0(VALU_DEP_2) | instskip(NEXT) | instid1(VALU_DEP_2)
	v_mov_b32_e32 v21, v22
	v_lshlrev_b64 v[18:19], 1, v[18:19]
	s_delay_alu instid0(VALU_DEP_2) | instskip(NEXT) | instid1(VALU_DEP_2)
	v_lshlrev_b64 v[20:21], 3, v[20:21]
	v_add_co_u32 v18, vcc_lo, s17, v18
	s_delay_alu instid0(VALU_DEP_3) | instskip(NEXT) | instid1(VALU_DEP_3)
	v_add_co_ci_u32_e32 v19, vcc_lo, s18, v19, vcc_lo
	v_add_co_u32 v20, vcc_lo, s19, v20
	s_delay_alu instid0(VALU_DEP_4)
	v_add_co_ci_u32_e32 v21, vcc_lo, s20, v21, vcc_lo
	global_store_b16 v[18:19], v16, off
	global_store_b64 v[20:21], v[4:5], off
.LBB176_56:                             ;   in Loop: Header=BB176_48 Depth=1
	s_or_b32 exec_lo, exec_lo, s21
	v_mov_b32_e32 v2, v5
	s_delay_alu instid0(VALU_DEP_1)
	v_cmp_le_u64_e32 vcc_lo, s[6:7], v[1:2]
	s_cbranch_vccnz .LBB176_47
; %bb.57:                               ;   in Loop: Header=BB176_48 Depth=1
	ds_store_b32 v11, v6
	s_waitcnt lgkmcnt(0)
	s_waitcnt_vscnt null, 0x0
	s_barrier
	buffer_gl0_inv
	s_and_saveexec_b32 s21, s0
	s_cbranch_execz .LBB176_59
; %bb.58:                               ;   in Loop: Header=BB176_48 Depth=1
	ds_load_2addr_b32 v[18:19], v0 offset1:1
	ds_load_2addr_b32 v[20:21], v0 offset0:2 offset1:3
	ds_load_2addr_b32 v[22:23], v0 offset0:4 offset1:5
	;; [unrolled: 1-line block ×3, first 2 shown]
	v_cmp_ne_u32_e32 vcc_lo, 0, v13
	; wave barrier
	s_waitcnt lgkmcnt(3)
	v_add_nc_u32_e32 v2, v19, v18
	s_waitcnt lgkmcnt(2)
	s_delay_alu instid0(VALU_DEP_1) | instskip(SKIP_1) | instid1(VALU_DEP_1)
	v_add3_u32 v2, v2, v20, v21
	s_waitcnt lgkmcnt(1)
	v_add3_u32 v2, v2, v22, v23
	s_waitcnt lgkmcnt(0)
	s_delay_alu instid0(VALU_DEP_1) | instskip(NEXT) | instid1(VALU_DEP_1)
	v_add3_u32 v2, v2, v24, v25
	v_mov_b32_dpp v7, v2 row_shr:1 row_mask:0xf bank_mask:0xf
	s_delay_alu instid0(VALU_DEP_1) | instskip(SKIP_1) | instid1(VALU_DEP_2)
	v_cndmask_b32_e32 v7, 0, v7, vcc_lo
	v_cmp_lt_u32_e32 vcc_lo, 1, v13
	v_add_nc_u32_e32 v2, v7, v2
	s_delay_alu instid0(VALU_DEP_1) | instskip(NEXT) | instid1(VALU_DEP_1)
	v_mov_b32_dpp v7, v2 row_shr:2 row_mask:0xf bank_mask:0xf
	v_cndmask_b32_e32 v7, 0, v7, vcc_lo
	v_cmp_lt_u32_e32 vcc_lo, 3, v13
	s_delay_alu instid0(VALU_DEP_2) | instskip(NEXT) | instid1(VALU_DEP_1)
	v_add_nc_u32_e32 v2, v2, v7
	v_mov_b32_dpp v7, v2 row_shr:4 row_mask:0xf bank_mask:0xf
	s_delay_alu instid0(VALU_DEP_1) | instskip(SKIP_1) | instid1(VALU_DEP_2)
	v_cndmask_b32_e32 v7, 0, v7, vcc_lo
	v_cmp_lt_u32_e32 vcc_lo, 7, v13
	v_add_nc_u32_e32 v2, v2, v7
	s_delay_alu instid0(VALU_DEP_1) | instskip(NEXT) | instid1(VALU_DEP_1)
	v_mov_b32_dpp v7, v2 row_shr:8 row_mask:0xf bank_mask:0xf
	v_cndmask_b32_e32 v7, 0, v7, vcc_lo
	v_cmp_gt_i32_e32 vcc_lo, 0, v15
	s_delay_alu instid0(VALU_DEP_2) | instskip(SKIP_4) | instid1(VALU_DEP_1)
	v_dual_cndmask_b32 v19, v15, v10 :: v_dual_add_nc_u32 v2, v2, v7
	ds_swizzle_b32 v7, v2 offset:swizzle(BROADCAST,32,15)
	v_lshlrev_b32_e32 v19, 2, v19
	s_waitcnt lgkmcnt(0)
	v_and_b32_e32 v7, v14, v7
	v_add_nc_u32_e32 v2, v2, v7
	ds_bpermute_b32 v2, v19, v2
	s_waitcnt lgkmcnt(0)
	v_add_nc_u32_e32 v2, v2, v18
	s_delay_alu instid0(VALU_DEP_1)
	v_cndmask_b32_e64 v2, v2, v6, s3
	ds_store_b32 v0, v2
	; wave barrier
	ds_load_2addr_b32 v[18:19], v0 offset0:1 offset1:2
	ds_load_2addr_b32 v[20:21], v0 offset0:3 offset1:4
	;; [unrolled: 1-line block ×3, first 2 shown]
	ds_load_b32 v7, v0 offset:28
	s_waitcnt lgkmcnt(3)
	v_add_nc_u32_e32 v2, v18, v2
	s_delay_alu instid0(VALU_DEP_1) | instskip(SKIP_1) | instid1(VALU_DEP_1)
	v_add_nc_u32_e32 v18, v19, v2
	s_waitcnt lgkmcnt(2)
	v_add_nc_u32_e32 v19, v20, v18
	s_delay_alu instid0(VALU_DEP_1) | instskip(SKIP_1) | instid1(VALU_DEP_1)
	v_add_nc_u32_e32 v20, v21, v19
	;; [unrolled: 4-line block ×3, first 2 shown]
	s_waitcnt lgkmcnt(0)
	v_add_nc_u32_e32 v7, v7, v22
	ds_store_2addr_b32 v0, v2, v18 offset0:1 offset1:2
	ds_store_2addr_b32 v0, v19, v20 offset0:3 offset1:4
	ds_store_2addr_b32 v0, v21, v22 offset0:5 offset1:6
	ds_store_b32 v0, v7 offset:28
.LBB176_59:                             ;   in Loop: Header=BB176_48 Depth=1
	s_or_b32 exec_lo, exec_lo, s21
	v_mov_b32_e32 v7, 0
	s_waitcnt lgkmcnt(0)
	s_barrier
	buffer_gl0_inv
	s_and_saveexec_b32 s21, s2
	s_cbranch_execz .LBB176_61
; %bb.60:                               ;   in Loop: Header=BB176_48 Depth=1
	ds_load_b32 v7, v12
.LBB176_61:                             ;   in Loop: Header=BB176_48 Depth=1
	s_or_b32 exec_lo, exec_lo, s21
	ds_load_b32 v2, v5 offset:1048
	s_mov_b32 s21, exec_lo
	s_waitcnt lgkmcnt(0)
	s_barrier
	buffer_gl0_inv
	v_cmpx_ne_u32_e32 0, v6
	s_cbranch_execz .LBB176_46
; %bb.62:                               ;   in Loop: Header=BB176_48 Depth=1
	v_dual_mov_b32 v7, v5 :: v_dual_add_nc_u32 v6, v7, v1
	s_delay_alu instid0(VALU_DEP_1)
	v_cmp_gt_u64_e32 vcc_lo, s[6:7], v[6:7]
	s_and_b32 exec_lo, exec_lo, vcc_lo
	s_cbranch_execz .LBB176_46
; %bb.63:                               ;   in Loop: Header=BB176_48 Depth=1
	v_mad_u64_u32 v[18:19], null, v6, s10, 0
	v_mad_u64_u32 v[20:21], null, v6, s12, 0
	s_delay_alu instid0(VALU_DEP_2) | instskip(NEXT) | instid1(VALU_DEP_2)
	v_mov_b32_e32 v7, v19
	v_mov_b32_e32 v19, v21
	s_delay_alu instid0(VALU_DEP_2) | instskip(NEXT) | instid1(VALU_DEP_2)
	v_mad_u64_u32 v[21:22], null, v6, s11, v[7:8]
	v_mad_u64_u32 v[22:23], null, v6, s13, v[19:20]
	s_delay_alu instid0(VALU_DEP_2) | instskip(NEXT) | instid1(VALU_DEP_2)
	v_mov_b32_e32 v19, v21
	v_mov_b32_e32 v21, v22
	s_delay_alu instid0(VALU_DEP_2) | instskip(NEXT) | instid1(VALU_DEP_2)
	v_lshlrev_b64 v[6:7], 1, v[18:19]
	v_lshlrev_b64 v[18:19], 3, v[20:21]
	s_delay_alu instid0(VALU_DEP_2) | instskip(NEXT) | instid1(VALU_DEP_3)
	v_add_co_u32 v6, vcc_lo, s17, v6
	v_add_co_ci_u32_e32 v7, vcc_lo, s18, v7, vcc_lo
	s_delay_alu instid0(VALU_DEP_3) | instskip(NEXT) | instid1(VALU_DEP_4)
	v_add_co_u32 v18, vcc_lo, s19, v18
	v_add_co_ci_u32_e32 v19, vcc_lo, s20, v19, vcc_lo
	global_store_b16 v[6:7], v16, off
	global_store_b64 v[18:19], v[4:5], off
	s_branch .LBB176_46
	.p2align	6
.LBB176_64:                             ;   in Loop: Header=BB176_65 Depth=1
	s_add_u32 s12, s12, 4
	s_addc_u32 s13, s13, 0
	s_waitcnt lgkmcnt(0)
	s_add_i32 s52, s11, s52
	s_add_u32 s14, s14, 4
	s_addc_u32 s15, s15, 0
	s_add_i32 s10, s10, 1
	s_delay_alu instid0(SALU_CYCLE_1)
	s_cmp_lt_u32 s10, s17
	s_cbranch_scc0 .LBB176_43
.LBB176_65:                             ; =>This Inner Loop Header: Depth=1
	s_load_b32 s11, s[12:13], 0x0
	s_cmp_ge_u32 s10, s50
	s_cbranch_scc1 .LBB176_64
; %bb.66:                               ;   in Loop: Header=BB176_65 Depth=1
	s_load_b32 s44, s[14:15], 0x0
	s_waitcnt lgkmcnt(0)
	s_add_i32 s21, s11, s21
	s_add_i32 s20, s44, s20
	s_branch .LBB176_64
.LBB176_67:
	s_nop 0
	s_sendmsg sendmsg(MSG_DEALLOC_VGPRS)
	s_endpgm
	.section	.rodata,"a",@progbits
	.p2align	6, 0x0
	.amdhsa_kernel _ZN2at6native6mbtopk10gatherTopKIsmLin1EEEvNS_4cuda6detail10TensorInfoIKT_T0_EES8_S8_bjS8_NS5_IS6_S8_EES8_NS5_IlS8_EES8_jjPS6_PjSD_j
		.amdhsa_group_segment_fixed_size 1068
		.amdhsa_private_segment_fixed_size 0
		.amdhsa_kernarg_size 1592
		.amdhsa_user_sgpr_count 13
		.amdhsa_user_sgpr_dispatch_ptr 0
		.amdhsa_user_sgpr_queue_ptr 0
		.amdhsa_user_sgpr_kernarg_segment_ptr 1
		.amdhsa_user_sgpr_dispatch_id 0
		.amdhsa_user_sgpr_private_segment_size 0
		.amdhsa_wavefront_size32 1
		.amdhsa_uses_dynamic_stack 0
		.amdhsa_enable_private_segment 0
		.amdhsa_system_sgpr_workgroup_id_x 1
		.amdhsa_system_sgpr_workgroup_id_y 1
		.amdhsa_system_sgpr_workgroup_id_z 1
		.amdhsa_system_sgpr_workgroup_info 0
		.amdhsa_system_vgpr_workitem_id 0
		.amdhsa_next_free_vgpr 26
		.amdhsa_next_free_sgpr 56
		.amdhsa_reserve_vcc 1
		.amdhsa_float_round_mode_32 0
		.amdhsa_float_round_mode_16_64 0
		.amdhsa_float_denorm_mode_32 3
		.amdhsa_float_denorm_mode_16_64 3
		.amdhsa_dx10_clamp 1
		.amdhsa_ieee_mode 1
		.amdhsa_fp16_overflow 0
		.amdhsa_workgroup_processor_mode 1
		.amdhsa_memory_ordered 1
		.amdhsa_forward_progress 0
		.amdhsa_shared_vgpr_count 0
		.amdhsa_exception_fp_ieee_invalid_op 0
		.amdhsa_exception_fp_denorm_src 0
		.amdhsa_exception_fp_ieee_div_zero 0
		.amdhsa_exception_fp_ieee_overflow 0
		.amdhsa_exception_fp_ieee_underflow 0
		.amdhsa_exception_fp_ieee_inexact 0
		.amdhsa_exception_int_div_zero 0
	.end_amdhsa_kernel
	.section	.text._ZN2at6native6mbtopk10gatherTopKIsmLin1EEEvNS_4cuda6detail10TensorInfoIKT_T0_EES8_S8_bjS8_NS5_IS6_S8_EES8_NS5_IlS8_EES8_jjPS6_PjSD_j,"axG",@progbits,_ZN2at6native6mbtopk10gatherTopKIsmLin1EEEvNS_4cuda6detail10TensorInfoIKT_T0_EES8_S8_bjS8_NS5_IS6_S8_EES8_NS5_IlS8_EES8_jjPS6_PjSD_j,comdat
.Lfunc_end176:
	.size	_ZN2at6native6mbtopk10gatherTopKIsmLin1EEEvNS_4cuda6detail10TensorInfoIKT_T0_EES8_S8_bjS8_NS5_IS6_S8_EES8_NS5_IlS8_EES8_jjPS6_PjSD_j, .Lfunc_end176-_ZN2at6native6mbtopk10gatherTopKIsmLin1EEEvNS_4cuda6detail10TensorInfoIKT_T0_EES8_S8_bjS8_NS5_IS6_S8_EES8_NS5_IlS8_EES8_jjPS6_PjSD_j
                                        ; -- End function
	.section	.AMDGPU.csdata,"",@progbits
; Kernel info:
; codeLenInByte = 5432
; NumSgprs: 58
; NumVgprs: 26
; ScratchSize: 0
; MemoryBound: 0
; FloatMode: 240
; IeeeMode: 1
; LDSByteSize: 1068 bytes/workgroup (compile time only)
; SGPRBlocks: 7
; VGPRBlocks: 3
; NumSGPRsForWavesPerEU: 58
; NumVGPRsForWavesPerEU: 26
; Occupancy: 16
; WaveLimiterHint : 1
; COMPUTE_PGM_RSRC2:SCRATCH_EN: 0
; COMPUTE_PGM_RSRC2:USER_SGPR: 13
; COMPUTE_PGM_RSRC2:TRAP_HANDLER: 0
; COMPUTE_PGM_RSRC2:TGID_X_EN: 1
; COMPUTE_PGM_RSRC2:TGID_Y_EN: 1
; COMPUTE_PGM_RSRC2:TGID_Z_EN: 1
; COMPUTE_PGM_RSRC2:TIDIG_COMP_CNT: 0
	.section	.text._ZN2at6native6sbtopk10gatherTopKIsmLin1ELb0EEEvNS_4cuda6detail10TensorInfoIKT_T0_EES8_S8_bS8_S8_NS5_IS6_S8_EES8_NS5_IlS8_EES8_PS6_,"axG",@progbits,_ZN2at6native6sbtopk10gatherTopKIsmLin1ELb0EEEvNS_4cuda6detail10TensorInfoIKT_T0_EES8_S8_bS8_S8_NS5_IS6_S8_EES8_NS5_IlS8_EES8_PS6_,comdat
	.protected	_ZN2at6native6sbtopk10gatherTopKIsmLin1ELb0EEEvNS_4cuda6detail10TensorInfoIKT_T0_EES8_S8_bS8_S8_NS5_IS6_S8_EES8_NS5_IlS8_EES8_PS6_ ; -- Begin function _ZN2at6native6sbtopk10gatherTopKIsmLin1ELb0EEEvNS_4cuda6detail10TensorInfoIKT_T0_EES8_S8_bS8_S8_NS5_IS6_S8_EES8_NS5_IlS8_EES8_PS6_
	.globl	_ZN2at6native6sbtopk10gatherTopKIsmLin1ELb0EEEvNS_4cuda6detail10TensorInfoIKT_T0_EES8_S8_bS8_S8_NS5_IS6_S8_EES8_NS5_IlS8_EES8_PS6_
	.p2align	8
	.type	_ZN2at6native6sbtopk10gatherTopKIsmLin1ELb0EEEvNS_4cuda6detail10TensorInfoIKT_T0_EES8_S8_bS8_S8_NS5_IS6_S8_EES8_NS5_IlS8_EES8_PS6_,@function
_ZN2at6native6sbtopk10gatherTopKIsmLin1ELb0EEEvNS_4cuda6detail10TensorInfoIKT_T0_EES8_S8_bS8_S8_NS5_IS6_S8_EES8_NS5_IlS8_EES8_PS6_: ; @_ZN2at6native6sbtopk10gatherTopKIsmLin1ELb0EEEvNS_4cuda6detail10TensorInfoIKT_T0_EES8_S8_bS8_S8_NS5_IS6_S8_EES8_NS5_IlS8_EES8_PS6_
; %bb.0:
	s_clause 0x1
	s_load_b64 s[10:11], s[0:1], 0x520
	s_load_b128 s[28:31], s[0:1], 0x1b8
	s_add_u32 s8, s0, 0x520
	s_addc_u32 s9, s1, 0
	s_mov_b32 s5, 0
	s_waitcnt lgkmcnt(0)
	s_mul_i32 s2, s11, s15
	s_delay_alu instid0(SALU_CYCLE_1) | instskip(NEXT) | instid1(SALU_CYCLE_1)
	s_add_i32 s2, s2, s14
	s_mul_i32 s2, s2, s10
	s_delay_alu instid0(SALU_CYCLE_1) | instskip(NEXT) | instid1(SALU_CYCLE_1)
	s_add_i32 s4, s2, s13
	v_cmp_ge_u64_e64 s2, s[4:5], s[28:29]
	s_delay_alu instid0(VALU_DEP_1)
	s_and_b32 vcc_lo, exec_lo, s2
	s_cbranch_vccnz .LBB177_560
; %bb.1:
	s_load_b32 s11, s[0:1], 0x198
	s_mov_b64 s[2:3], 0
	s_mov_b64 s[6:7], s[4:5]
	s_waitcnt lgkmcnt(0)
	s_cmp_lt_i32 s11, 2
	s_cbranch_scc1 .LBB177_9
; %bb.2:
	s_mov_b32 s14, 0
	s_add_i32 s2, s11, -1
	s_mov_b32 s3, s14
	s_add_i32 s11, s11, 1
	s_lshl_b64 s[6:7], s[2:3], 3
	s_mov_b64 s[2:3], 0
	s_add_u32 s6, s6, s0
	s_addc_u32 s7, s7, s1
	s_add_u32 s16, s6, 8
	s_addc_u32 s17, s7, 0
	s_mov_b64 s[18:19], s[4:5]
.LBB177_3:                              ; =>This Inner Loop Header: Depth=1
	s_load_b64 s[20:21], s[16:17], 0x0
	s_mov_b32 s12, -1
	s_waitcnt lgkmcnt(0)
	s_or_b64 s[6:7], s[18:19], s[20:21]
	s_delay_alu instid0(SALU_CYCLE_1) | instskip(NEXT) | instid1(SALU_CYCLE_1)
	s_mov_b32 s15, s7
                                        ; implicit-def: $sgpr6_sgpr7
	s_cmp_lg_u64 s[14:15], 0
	s_cbranch_scc0 .LBB177_5
; %bb.4:                                ;   in Loop: Header=BB177_3 Depth=1
	v_cvt_f32_u32_e32 v1, s20
	v_cvt_f32_u32_e32 v2, s21
	s_sub_u32 s12, 0, s20
	s_subb_u32 s15, 0, s21
	s_waitcnt_depctr 0xfff
	v_fmac_f32_e32 v1, 0x4f800000, v2
	s_delay_alu instid0(VALU_DEP_1) | instskip(SKIP_2) | instid1(VALU_DEP_1)
	v_rcp_f32_e32 v1, v1
	s_waitcnt_depctr 0xfff
	v_mul_f32_e32 v1, 0x5f7ffffc, v1
	v_mul_f32_e32 v2, 0x2f800000, v1
	s_delay_alu instid0(VALU_DEP_1) | instskip(NEXT) | instid1(VALU_DEP_1)
	v_trunc_f32_e32 v2, v2
	v_fmac_f32_e32 v1, 0xcf800000, v2
	v_cvt_u32_f32_e32 v2, v2
	s_delay_alu instid0(VALU_DEP_2) | instskip(NEXT) | instid1(VALU_DEP_2)
	v_cvt_u32_f32_e32 v1, v1
	v_readfirstlane_b32 s6, v2
	s_delay_alu instid0(VALU_DEP_2) | instskip(NEXT) | instid1(VALU_DEP_2)
	v_readfirstlane_b32 s7, v1
	s_mul_i32 s22, s12, s6
	s_delay_alu instid0(VALU_DEP_1)
	s_mul_hi_u32 s24, s12, s7
	s_mul_i32 s23, s15, s7
	s_add_i32 s22, s24, s22
	s_mul_i32 s25, s12, s7
	s_add_i32 s22, s22, s23
	s_mul_hi_u32 s24, s7, s25
	s_mul_hi_u32 s26, s6, s25
	s_mul_i32 s23, s6, s25
	s_mul_hi_u32 s25, s7, s22
	s_mul_i32 s7, s7, s22
	s_mul_hi_u32 s27, s6, s22
	s_add_u32 s7, s24, s7
	s_addc_u32 s24, 0, s25
	s_add_u32 s7, s7, s23
	s_mul_i32 s22, s6, s22
	s_addc_u32 s7, s24, s26
	s_addc_u32 s23, s27, 0
	s_add_u32 s7, s7, s22
	s_addc_u32 s22, 0, s23
	v_add_co_u32 v1, s7, v1, s7
	s_delay_alu instid0(VALU_DEP_1) | instskip(SKIP_1) | instid1(VALU_DEP_1)
	s_cmp_lg_u32 s7, 0
	s_addc_u32 s6, s6, s22
	v_readfirstlane_b32 s7, v1
	s_mul_i32 s22, s12, s6
	s_delay_alu instid0(VALU_DEP_1)
	s_mul_hi_u32 s23, s12, s7
	s_mul_i32 s15, s15, s7
	s_add_i32 s22, s23, s22
	s_mul_i32 s12, s12, s7
	s_add_i32 s22, s22, s15
	s_mul_hi_u32 s23, s6, s12
	s_mul_i32 s24, s6, s12
	s_mul_hi_u32 s12, s7, s12
	s_mul_hi_u32 s25, s7, s22
	s_mul_i32 s7, s7, s22
	s_mul_hi_u32 s15, s6, s22
	s_add_u32 s7, s12, s7
	s_addc_u32 s12, 0, s25
	s_add_u32 s7, s7, s24
	s_mul_i32 s22, s6, s22
	s_addc_u32 s7, s12, s23
	s_addc_u32 s12, s15, 0
	s_add_u32 s7, s7, s22
	s_addc_u32 s12, 0, s12
	v_add_co_u32 v1, s7, v1, s7
	s_delay_alu instid0(VALU_DEP_1) | instskip(SKIP_1) | instid1(VALU_DEP_1)
	s_cmp_lg_u32 s7, 0
	s_addc_u32 s6, s6, s12
	v_readfirstlane_b32 s7, v1
	s_mul_i32 s15, s18, s6
	s_mul_hi_u32 s12, s18, s6
	s_mul_hi_u32 s22, s19, s6
	s_mul_i32 s6, s19, s6
	s_mul_hi_u32 s23, s18, s7
	s_mul_hi_u32 s24, s19, s7
	s_mul_i32 s7, s19, s7
	s_add_u32 s15, s23, s15
	s_addc_u32 s12, 0, s12
	s_add_u32 s7, s15, s7
	s_addc_u32 s7, s12, s24
	s_addc_u32 s12, s22, 0
	s_add_u32 s6, s7, s6
	s_addc_u32 s7, 0, s12
	s_mul_hi_u32 s12, s20, s6
	s_mul_i32 s22, s20, s7
	s_mul_i32 s23, s20, s6
	s_add_i32 s12, s12, s22
	v_sub_co_u32 v1, s22, s18, s23
	s_mul_i32 s15, s21, s6
	s_delay_alu instid0(SALU_CYCLE_1) | instskip(NEXT) | instid1(VALU_DEP_1)
	s_add_i32 s12, s12, s15
	v_sub_co_u32 v2, s23, v1, s20
	s_sub_i32 s15, s19, s12
	s_cmp_lg_u32 s22, 0
	s_subb_u32 s15, s15, s21
	s_cmp_lg_u32 s23, 0
	v_readfirstlane_b32 s23, v2
	s_subb_u32 s15, s15, 0
	s_delay_alu instid0(SALU_CYCLE_1) | instskip(SKIP_1) | instid1(VALU_DEP_1)
	s_cmp_ge_u32 s15, s21
	s_cselect_b32 s24, -1, 0
	s_cmp_ge_u32 s23, s20
	s_cselect_b32 s23, -1, 0
	s_cmp_eq_u32 s15, s21
	s_cselect_b32 s15, s23, s24
	s_add_u32 s23, s6, 1
	s_addc_u32 s24, s7, 0
	s_add_u32 s25, s6, 2
	s_addc_u32 s26, s7, 0
	s_cmp_lg_u32 s15, 0
	s_cselect_b32 s15, s25, s23
	s_cselect_b32 s23, s26, s24
	s_cmp_lg_u32 s22, 0
	v_readfirstlane_b32 s22, v1
	s_subb_u32 s12, s19, s12
	s_delay_alu instid0(SALU_CYCLE_1) | instskip(SKIP_1) | instid1(VALU_DEP_1)
	s_cmp_ge_u32 s12, s21
	s_cselect_b32 s24, -1, 0
	s_cmp_ge_u32 s22, s20
	s_cselect_b32 s22, -1, 0
	s_cmp_eq_u32 s12, s21
	s_cselect_b32 s12, s22, s24
	s_delay_alu instid0(SALU_CYCLE_1)
	s_cmp_lg_u32 s12, 0
	s_mov_b32 s12, 0
	s_cselect_b32 s7, s23, s7
	s_cselect_b32 s6, s15, s6
.LBB177_5:                              ;   in Loop: Header=BB177_3 Depth=1
	s_and_not1_b32 vcc_lo, exec_lo, s12
	s_cbranch_vccnz .LBB177_7
; %bb.6:                                ;   in Loop: Header=BB177_3 Depth=1
	v_cvt_f32_u32_e32 v1, s20
	s_sub_i32 s7, 0, s20
	s_waitcnt_depctr 0xfff
	v_rcp_iflag_f32_e32 v1, v1
	s_waitcnt_depctr 0xfff
	v_mul_f32_e32 v1, 0x4f7ffffe, v1
	s_delay_alu instid0(VALU_DEP_1) | instskip(NEXT) | instid1(VALU_DEP_1)
	v_cvt_u32_f32_e32 v1, v1
	v_readfirstlane_b32 s6, v1
	s_delay_alu instid0(VALU_DEP_1) | instskip(NEXT) | instid1(SALU_CYCLE_1)
	s_mul_i32 s7, s7, s6
	s_mul_hi_u32 s7, s6, s7
	s_delay_alu instid0(SALU_CYCLE_1) | instskip(NEXT) | instid1(SALU_CYCLE_1)
	s_add_i32 s6, s6, s7
	s_mul_hi_u32 s6, s18, s6
	s_delay_alu instid0(SALU_CYCLE_1) | instskip(SKIP_2) | instid1(SALU_CYCLE_1)
	s_mul_i32 s7, s6, s20
	s_add_i32 s12, s6, 1
	s_sub_i32 s7, s18, s7
	s_sub_i32 s15, s7, s20
	s_cmp_ge_u32 s7, s20
	s_cselect_b32 s6, s12, s6
	s_cselect_b32 s7, s15, s7
	s_add_i32 s12, s6, 1
	s_cmp_ge_u32 s7, s20
	s_mov_b32 s7, s14
	s_cselect_b32 s6, s12, s6
.LBB177_7:                              ;   in Loop: Header=BB177_3 Depth=1
	s_load_b64 s[22:23], s[16:17], 0xc8
	s_mul_i32 s12, s6, s21
	s_mul_hi_u32 s15, s6, s20
	s_mul_i32 s21, s7, s20
	s_add_i32 s12, s15, s12
	s_mul_i32 s15, s6, s20
	s_add_i32 s12, s12, s21
	s_sub_u32 s15, s18, s15
	s_subb_u32 s12, s19, s12
	s_waitcnt lgkmcnt(0)
	s_mul_i32 s12, s22, s12
	s_mul_hi_u32 s18, s22, s15
	s_mul_i32 s19, s23, s15
	s_add_i32 s12, s18, s12
	s_mul_i32 s15, s22, s15
	s_add_i32 s12, s12, s19
	s_add_u32 s2, s15, s2
	s_addc_u32 s3, s12, s3
	s_add_i32 s11, s11, -1
	s_add_u32 s16, s16, -8
	s_addc_u32 s17, s17, -1
	s_cmp_gt_u32 s11, 2
	s_cbranch_scc0 .LBB177_9
; %bb.8:                                ;   in Loop: Header=BB177_3 Depth=1
	s_mov_b64 s[18:19], s[6:7]
	s_branch .LBB177_3
.LBB177_9:
	s_clause 0x1
	s_load_b32 s11, s[0:1], 0x360
	s_load_b64 s[14:15], s[0:1], 0xd0
	s_add_u32 s16, s0, 0x1c8
	s_addc_u32 s17, s1, 0
	s_mov_b64 s[28:29], 0
	s_mov_b64 s[40:41], s[4:5]
	s_waitcnt lgkmcnt(0)
	s_cmp_lt_i32 s11, 2
	s_cbranch_scc1 .LBB177_17
; %bb.10:
	s_mov_b32 s18, 0
	s_add_i32 s20, s11, -1
	s_mov_b32 s21, s18
	s_add_i32 s11, s11, 1
	s_lshl_b64 s[20:21], s[20:21], 3
	s_mov_b64 s[22:23], s[4:5]
	s_add_u32 s12, s20, s16
	s_addc_u32 s19, s21, s17
	s_add_u32 s20, s12, 8
	s_addc_u32 s21, s19, 0
.LBB177_11:                             ; =>This Inner Loop Header: Depth=1
	s_load_b64 s[24:25], s[20:21], 0x0
	s_mov_b32 s12, -1
                                        ; implicit-def: $sgpr40_sgpr41
	s_waitcnt lgkmcnt(0)
	s_or_b64 s[26:27], s[22:23], s[24:25]
	s_delay_alu instid0(SALU_CYCLE_1) | instskip(NEXT) | instid1(SALU_CYCLE_1)
	s_mov_b32 s19, s27
	s_cmp_lg_u64 s[18:19], 0
	s_cbranch_scc0 .LBB177_13
; %bb.12:                               ;   in Loop: Header=BB177_11 Depth=1
	v_cvt_f32_u32_e32 v1, s24
	v_cvt_f32_u32_e32 v2, s25
	s_sub_u32 s26, 0, s24
	s_subb_u32 s27, 0, s25
	s_waitcnt_depctr 0xfff
	v_fmac_f32_e32 v1, 0x4f800000, v2
	s_delay_alu instid0(VALU_DEP_1) | instskip(SKIP_2) | instid1(VALU_DEP_1)
	v_rcp_f32_e32 v1, v1
	s_waitcnt_depctr 0xfff
	v_mul_f32_e32 v1, 0x5f7ffffc, v1
	v_mul_f32_e32 v2, 0x2f800000, v1
	s_delay_alu instid0(VALU_DEP_1) | instskip(NEXT) | instid1(VALU_DEP_1)
	v_trunc_f32_e32 v2, v2
	v_fmac_f32_e32 v1, 0xcf800000, v2
	v_cvt_u32_f32_e32 v2, v2
	s_delay_alu instid0(VALU_DEP_2) | instskip(NEXT) | instid1(VALU_DEP_2)
	v_cvt_u32_f32_e32 v1, v1
	v_readfirstlane_b32 s12, v2
	s_delay_alu instid0(VALU_DEP_2) | instskip(NEXT) | instid1(VALU_DEP_2)
	v_readfirstlane_b32 s19, v1
	s_mul_i32 s33, s26, s12
	s_delay_alu instid0(VALU_DEP_1)
	s_mul_hi_u32 s35, s26, s19
	s_mul_i32 s34, s27, s19
	s_add_i32 s33, s35, s33
	s_mul_i32 s36, s26, s19
	s_add_i32 s33, s33, s34
	s_mul_hi_u32 s35, s19, s36
	s_mul_hi_u32 s37, s12, s36
	s_mul_i32 s34, s12, s36
	s_mul_hi_u32 s36, s19, s33
	s_mul_i32 s19, s19, s33
	s_mul_hi_u32 s38, s12, s33
	s_add_u32 s19, s35, s19
	s_addc_u32 s35, 0, s36
	s_add_u32 s19, s19, s34
	s_mul_i32 s33, s12, s33
	s_addc_u32 s19, s35, s37
	s_addc_u32 s34, s38, 0
	s_add_u32 s19, s19, s33
	s_addc_u32 s33, 0, s34
	v_add_co_u32 v1, s19, v1, s19
	s_delay_alu instid0(VALU_DEP_1) | instskip(SKIP_1) | instid1(VALU_DEP_1)
	s_cmp_lg_u32 s19, 0
	s_addc_u32 s12, s12, s33
	v_readfirstlane_b32 s19, v1
	s_mul_i32 s33, s26, s12
	s_delay_alu instid0(VALU_DEP_1)
	s_mul_hi_u32 s34, s26, s19
	s_mul_i32 s27, s27, s19
	s_add_i32 s33, s34, s33
	s_mul_i32 s26, s26, s19
	s_add_i32 s33, s33, s27
	s_mul_hi_u32 s34, s12, s26
	s_mul_i32 s35, s12, s26
	s_mul_hi_u32 s26, s19, s26
	s_mul_hi_u32 s36, s19, s33
	s_mul_i32 s19, s19, s33
	s_mul_hi_u32 s27, s12, s33
	s_add_u32 s19, s26, s19
	s_addc_u32 s26, 0, s36
	s_add_u32 s19, s19, s35
	s_mul_i32 s33, s12, s33
	s_addc_u32 s19, s26, s34
	s_addc_u32 s26, s27, 0
	s_add_u32 s19, s19, s33
	s_addc_u32 s26, 0, s26
	v_add_co_u32 v1, s19, v1, s19
	s_delay_alu instid0(VALU_DEP_1) | instskip(SKIP_1) | instid1(VALU_DEP_1)
	s_cmp_lg_u32 s19, 0
	s_addc_u32 s12, s12, s26
	v_readfirstlane_b32 s19, v1
	s_mul_i32 s27, s22, s12
	s_mul_hi_u32 s26, s22, s12
	s_mul_hi_u32 s33, s23, s12
	s_mul_i32 s12, s23, s12
	s_mul_hi_u32 s34, s22, s19
	s_mul_hi_u32 s35, s23, s19
	s_mul_i32 s19, s23, s19
	s_add_u32 s27, s34, s27
	s_addc_u32 s26, 0, s26
	s_add_u32 s19, s27, s19
	s_addc_u32 s19, s26, s35
	s_addc_u32 s26, s33, 0
	s_add_u32 s19, s19, s12
	s_addc_u32 s26, 0, s26
	s_mul_hi_u32 s12, s24, s19
	s_mul_i32 s33, s24, s26
	s_mul_i32 s34, s24, s19
	s_add_i32 s12, s12, s33
	v_sub_co_u32 v1, s33, s22, s34
	s_mul_i32 s27, s25, s19
	s_delay_alu instid0(SALU_CYCLE_1) | instskip(NEXT) | instid1(VALU_DEP_1)
	s_add_i32 s12, s12, s27
	v_sub_co_u32 v2, s34, v1, s24
	s_sub_i32 s27, s23, s12
	s_cmp_lg_u32 s33, 0
	s_subb_u32 s27, s27, s25
	s_cmp_lg_u32 s34, 0
	v_readfirstlane_b32 s34, v2
	s_subb_u32 s27, s27, 0
	s_delay_alu instid0(SALU_CYCLE_1) | instskip(SKIP_1) | instid1(VALU_DEP_1)
	s_cmp_ge_u32 s27, s25
	s_cselect_b32 s35, -1, 0
	s_cmp_ge_u32 s34, s24
	s_cselect_b32 s34, -1, 0
	s_cmp_eq_u32 s27, s25
	s_cselect_b32 s27, s34, s35
	s_add_u32 s34, s19, 1
	s_addc_u32 s35, s26, 0
	s_add_u32 s36, s19, 2
	s_addc_u32 s37, s26, 0
	s_cmp_lg_u32 s27, 0
	s_cselect_b32 s27, s36, s34
	s_cselect_b32 s34, s37, s35
	s_cmp_lg_u32 s33, 0
	v_readfirstlane_b32 s33, v1
	s_subb_u32 s12, s23, s12
	s_delay_alu instid0(SALU_CYCLE_1) | instskip(SKIP_1) | instid1(VALU_DEP_1)
	s_cmp_ge_u32 s12, s25
	s_cselect_b32 s35, -1, 0
	s_cmp_ge_u32 s33, s24
	s_cselect_b32 s33, -1, 0
	s_cmp_eq_u32 s12, s25
	s_cselect_b32 s12, s33, s35
	s_delay_alu instid0(SALU_CYCLE_1)
	s_cmp_lg_u32 s12, 0
	s_mov_b32 s12, 0
	s_cselect_b32 s41, s34, s26
	s_cselect_b32 s40, s27, s19
.LBB177_13:                             ;   in Loop: Header=BB177_11 Depth=1
	s_and_not1_b32 vcc_lo, exec_lo, s12
	s_cbranch_vccnz .LBB177_15
; %bb.14:                               ;   in Loop: Header=BB177_11 Depth=1
	v_cvt_f32_u32_e32 v1, s24
	s_sub_i32 s19, 0, s24
	s_mov_b32 s41, s18
	s_waitcnt_depctr 0xfff
	v_rcp_iflag_f32_e32 v1, v1
	s_waitcnt_depctr 0xfff
	v_mul_f32_e32 v1, 0x4f7ffffe, v1
	s_delay_alu instid0(VALU_DEP_1) | instskip(NEXT) | instid1(VALU_DEP_1)
	v_cvt_u32_f32_e32 v1, v1
	v_readfirstlane_b32 s12, v1
	s_delay_alu instid0(VALU_DEP_1) | instskip(NEXT) | instid1(SALU_CYCLE_1)
	s_mul_i32 s19, s19, s12
	s_mul_hi_u32 s19, s12, s19
	s_delay_alu instid0(SALU_CYCLE_1) | instskip(NEXT) | instid1(SALU_CYCLE_1)
	s_add_i32 s12, s12, s19
	s_mul_hi_u32 s12, s22, s12
	s_delay_alu instid0(SALU_CYCLE_1) | instskip(SKIP_2) | instid1(SALU_CYCLE_1)
	s_mul_i32 s19, s12, s24
	s_add_i32 s26, s12, 1
	s_sub_i32 s19, s22, s19
	s_sub_i32 s27, s19, s24
	s_cmp_ge_u32 s19, s24
	s_cselect_b32 s12, s26, s12
	s_cselect_b32 s19, s27, s19
	s_add_i32 s26, s12, 1
	s_cmp_ge_u32 s19, s24
	s_cselect_b32 s40, s26, s12
.LBB177_15:                             ;   in Loop: Header=BB177_11 Depth=1
	s_load_b64 s[26:27], s[20:21], 0xc8
	s_mul_i32 s12, s40, s25
	s_mul_hi_u32 s19, s40, s24
	s_mul_i32 s25, s41, s24
	s_add_i32 s12, s19, s12
	s_mul_i32 s19, s40, s24
	s_add_i32 s12, s12, s25
	s_sub_u32 s19, s22, s19
	s_subb_u32 s12, s23, s12
	s_waitcnt lgkmcnt(0)
	s_mul_i32 s12, s26, s12
	s_mul_hi_u32 s22, s26, s19
	s_mul_i32 s23, s27, s19
	s_add_i32 s12, s22, s12
	s_mul_i32 s19, s26, s19
	s_add_i32 s12, s12, s23
	s_add_u32 s28, s19, s28
	s_addc_u32 s29, s12, s29
	s_add_i32 s11, s11, -1
	s_add_u32 s20, s20, -8
	s_addc_u32 s21, s21, -1
	s_cmp_gt_u32 s11, 2
	s_cbranch_scc0 .LBB177_17
; %bb.16:                               ;   in Loop: Header=BB177_11 Depth=1
	s_mov_b64 s[22:23], s[40:41]
	s_branch .LBB177_11
.LBB177_17:
	s_clause 0x1
	s_load_b32 s11, s[0:1], 0x508
	s_load_b64 s[16:17], s[16:17], 0xd0
                                        ; implicit-def: $vgpr50 : SGPR spill to VGPR lane
	s_add_u32 s12, s0, 0x370
	s_mov_b64 s[44:45], 0
	s_waitcnt lgkmcnt(0)
	v_writelane_b32 v50, s16, 0
	v_writelane_b32 v50, s17, 1
	s_addc_u32 s17, s1, 0
	s_cmp_lt_i32 s11, 2
	s_cbranch_scc1 .LBB177_25
; %bb.18:
	s_mov_b32 s16, 0
	s_add_i32 s18, s11, -1
	s_mov_b32 s19, s16
	s_add_i32 s11, s11, 1
	s_lshl_b64 s[18:19], s[18:19], 3
	s_delay_alu instid0(SALU_CYCLE_1)
	s_add_u32 s12, s18, s12
	s_addc_u32 s17, s19, s17
	s_add_u32 s18, s12, 8
	s_addc_u32 s19, s17, 0
.LBB177_19:                             ; =>This Inner Loop Header: Depth=1
	s_load_b64 s[20:21], s[18:19], 0x0
	s_mov_b32 s12, -1
                                        ; implicit-def: $sgpr52_sgpr53
	s_waitcnt lgkmcnt(0)
	s_or_b64 s[22:23], s[4:5], s[20:21]
	s_delay_alu instid0(SALU_CYCLE_1) | instskip(NEXT) | instid1(SALU_CYCLE_1)
	s_mov_b32 s17, s23
	s_cmp_lg_u64 s[16:17], 0
	s_cbranch_scc0 .LBB177_21
; %bb.20:                               ;   in Loop: Header=BB177_19 Depth=1
	v_cvt_f32_u32_e32 v1, s20
	v_cvt_f32_u32_e32 v2, s21
	s_sub_u32 s22, 0, s20
	s_subb_u32 s23, 0, s21
	s_waitcnt_depctr 0xfff
	v_fmac_f32_e32 v1, 0x4f800000, v2
	s_delay_alu instid0(VALU_DEP_1) | instskip(SKIP_2) | instid1(VALU_DEP_1)
	v_rcp_f32_e32 v1, v1
	s_waitcnt_depctr 0xfff
	v_mul_f32_e32 v1, 0x5f7ffffc, v1
	v_mul_f32_e32 v2, 0x2f800000, v1
	s_delay_alu instid0(VALU_DEP_1) | instskip(NEXT) | instid1(VALU_DEP_1)
	v_trunc_f32_e32 v2, v2
	v_fmac_f32_e32 v1, 0xcf800000, v2
	v_cvt_u32_f32_e32 v2, v2
	s_delay_alu instid0(VALU_DEP_2) | instskip(NEXT) | instid1(VALU_DEP_2)
	v_cvt_u32_f32_e32 v1, v1
	v_readfirstlane_b32 s12, v2
	s_delay_alu instid0(VALU_DEP_2) | instskip(NEXT) | instid1(VALU_DEP_2)
	v_readfirstlane_b32 s17, v1
	s_mul_i32 s24, s22, s12
	s_delay_alu instid0(VALU_DEP_1)
	s_mul_hi_u32 s26, s22, s17
	s_mul_i32 s25, s23, s17
	s_add_i32 s24, s26, s24
	s_mul_i32 s27, s22, s17
	s_add_i32 s24, s24, s25
	s_mul_hi_u32 s26, s17, s27
	s_mul_hi_u32 s33, s12, s27
	s_mul_i32 s25, s12, s27
	s_mul_hi_u32 s27, s17, s24
	s_mul_i32 s17, s17, s24
	s_mul_hi_u32 s34, s12, s24
	s_add_u32 s17, s26, s17
	s_addc_u32 s26, 0, s27
	s_add_u32 s17, s17, s25
	s_mul_i32 s24, s12, s24
	s_addc_u32 s17, s26, s33
	s_addc_u32 s25, s34, 0
	s_add_u32 s17, s17, s24
	s_addc_u32 s24, 0, s25
	v_add_co_u32 v1, s17, v1, s17
	s_delay_alu instid0(VALU_DEP_1) | instskip(SKIP_1) | instid1(VALU_DEP_1)
	s_cmp_lg_u32 s17, 0
	s_addc_u32 s12, s12, s24
	v_readfirstlane_b32 s17, v1
	s_mul_i32 s24, s22, s12
	s_delay_alu instid0(VALU_DEP_1)
	s_mul_hi_u32 s25, s22, s17
	s_mul_i32 s23, s23, s17
	s_add_i32 s24, s25, s24
	s_mul_i32 s22, s22, s17
	s_add_i32 s24, s24, s23
	s_mul_hi_u32 s25, s12, s22
	s_mul_i32 s26, s12, s22
	s_mul_hi_u32 s22, s17, s22
	s_mul_hi_u32 s27, s17, s24
	s_mul_i32 s17, s17, s24
	s_mul_hi_u32 s23, s12, s24
	s_add_u32 s17, s22, s17
	s_addc_u32 s22, 0, s27
	s_add_u32 s17, s17, s26
	s_mul_i32 s24, s12, s24
	s_addc_u32 s17, s22, s25
	s_addc_u32 s22, s23, 0
	s_add_u32 s17, s17, s24
	s_addc_u32 s22, 0, s22
	v_add_co_u32 v1, s17, v1, s17
	s_delay_alu instid0(VALU_DEP_1) | instskip(SKIP_1) | instid1(VALU_DEP_1)
	s_cmp_lg_u32 s17, 0
	s_addc_u32 s12, s12, s22
	v_readfirstlane_b32 s17, v1
	s_mul_i32 s23, s4, s12
	s_mul_hi_u32 s22, s4, s12
	s_mul_hi_u32 s24, s5, s12
	s_mul_i32 s12, s5, s12
	s_mul_hi_u32 s25, s4, s17
	s_mul_hi_u32 s26, s5, s17
	s_mul_i32 s17, s5, s17
	s_add_u32 s23, s25, s23
	s_addc_u32 s22, 0, s22
	s_add_u32 s17, s23, s17
	s_addc_u32 s17, s22, s26
	s_addc_u32 s22, s24, 0
	s_add_u32 s17, s17, s12
	s_addc_u32 s22, 0, s22
	s_mul_hi_u32 s12, s20, s17
	s_mul_i32 s24, s20, s22
	s_mul_i32 s25, s20, s17
	s_add_i32 s12, s12, s24
	v_sub_co_u32 v1, s24, s4, s25
	s_mul_i32 s23, s21, s17
	s_delay_alu instid0(SALU_CYCLE_1) | instskip(NEXT) | instid1(VALU_DEP_1)
	s_add_i32 s12, s12, s23
	v_sub_co_u32 v2, s25, v1, s20
	s_sub_i32 s23, s5, s12
	s_cmp_lg_u32 s24, 0
	s_subb_u32 s23, s23, s21
	s_cmp_lg_u32 s25, 0
	v_readfirstlane_b32 s25, v2
	s_subb_u32 s23, s23, 0
	s_delay_alu instid0(SALU_CYCLE_1) | instskip(SKIP_1) | instid1(VALU_DEP_1)
	s_cmp_ge_u32 s23, s21
	s_cselect_b32 s26, -1, 0
	s_cmp_ge_u32 s25, s20
	s_cselect_b32 s25, -1, 0
	s_cmp_eq_u32 s23, s21
	s_cselect_b32 s23, s25, s26
	s_add_u32 s25, s17, 1
	s_addc_u32 s26, s22, 0
	s_add_u32 s27, s17, 2
	s_addc_u32 s33, s22, 0
	s_cmp_lg_u32 s23, 0
	s_cselect_b32 s23, s27, s25
	s_cselect_b32 s25, s33, s26
	s_cmp_lg_u32 s24, 0
	v_readfirstlane_b32 s24, v1
	s_subb_u32 s12, s5, s12
	s_delay_alu instid0(SALU_CYCLE_1) | instskip(SKIP_1) | instid1(VALU_DEP_1)
	s_cmp_ge_u32 s12, s21
	s_cselect_b32 s26, -1, 0
	s_cmp_ge_u32 s24, s20
	s_cselect_b32 s24, -1, 0
	s_cmp_eq_u32 s12, s21
	s_cselect_b32 s12, s24, s26
	s_delay_alu instid0(SALU_CYCLE_1)
	s_cmp_lg_u32 s12, 0
	s_mov_b32 s12, 0
	s_cselect_b32 s53, s25, s22
	s_cselect_b32 s52, s23, s17
.LBB177_21:                             ;   in Loop: Header=BB177_19 Depth=1
	s_and_not1_b32 vcc_lo, exec_lo, s12
	s_cbranch_vccnz .LBB177_23
; %bb.22:                               ;   in Loop: Header=BB177_19 Depth=1
	v_cvt_f32_u32_e32 v1, s20
	s_sub_i32 s17, 0, s20
	s_mov_b32 s53, s16
	s_waitcnt_depctr 0xfff
	v_rcp_iflag_f32_e32 v1, v1
	s_waitcnt_depctr 0xfff
	v_mul_f32_e32 v1, 0x4f7ffffe, v1
	s_delay_alu instid0(VALU_DEP_1) | instskip(NEXT) | instid1(VALU_DEP_1)
	v_cvt_u32_f32_e32 v1, v1
	v_readfirstlane_b32 s12, v1
	s_delay_alu instid0(VALU_DEP_1) | instskip(NEXT) | instid1(SALU_CYCLE_1)
	s_mul_i32 s17, s17, s12
	s_mul_hi_u32 s17, s12, s17
	s_delay_alu instid0(SALU_CYCLE_1) | instskip(NEXT) | instid1(SALU_CYCLE_1)
	s_add_i32 s12, s12, s17
	s_mul_hi_u32 s12, s4, s12
	s_delay_alu instid0(SALU_CYCLE_1) | instskip(SKIP_2) | instid1(SALU_CYCLE_1)
	s_mul_i32 s17, s12, s20
	s_add_i32 s22, s12, 1
	s_sub_i32 s17, s4, s17
	s_sub_i32 s23, s17, s20
	s_cmp_ge_u32 s17, s20
	s_cselect_b32 s12, s22, s12
	s_cselect_b32 s17, s23, s17
	s_add_i32 s22, s12, 1
	s_cmp_ge_u32 s17, s20
	s_cselect_b32 s52, s22, s12
.LBB177_23:                             ;   in Loop: Header=BB177_19 Depth=1
	s_load_b64 s[22:23], s[18:19], 0xc8
	s_mul_i32 s12, s52, s21
	s_mul_hi_u32 s17, s52, s20
	s_mul_i32 s21, s53, s20
	s_add_i32 s12, s17, s12
	s_mul_i32 s17, s52, s20
	s_add_i32 s12, s12, s21
	s_sub_u32 s4, s4, s17
	s_subb_u32 s5, s5, s12
	s_waitcnt lgkmcnt(0)
	s_mul_i32 s5, s22, s5
	s_mul_hi_u32 s12, s22, s4
	s_mul_i32 s17, s23, s4
	s_add_i32 s5, s12, s5
	s_mul_i32 s4, s22, s4
	s_add_i32 s5, s5, s17
	s_add_u32 s44, s4, s44
	s_addc_u32 s45, s5, s45
	s_add_i32 s11, s11, -1
	s_add_u32 s18, s18, -8
	s_addc_u32 s19, s19, -1
	s_cmp_gt_u32 s11, 2
	s_cbranch_scc0 .LBB177_26
; %bb.24:                               ;   in Loop: Header=BB177_19 Depth=1
	s_mov_b64 s[4:5], s[52:53]
	s_branch .LBB177_19
.LBB177_25:
	s_mov_b64 s[52:53], s[4:5]
.LBB177_26:
	s_clause 0x2
	s_load_b128 s[36:39], s[0:1], 0x1a0
	s_load_b64 s[16:17], s[0:1], 0x0
	s_load_b64 s[4:5], s[0:1], 0x370
	s_mov_b32 s61, 0
	s_waitcnt lgkmcnt(0)
	v_writelane_b32 v50, s4, 2
	v_writelane_b32 v50, s5, 3
	v_cmp_eq_u32_e64 s5, 0, v0
	s_delay_alu instid0(VALU_DEP_1)
	s_and_saveexec_b32 s4, s5
	s_cbranch_execz .LBB177_28
; %bb.27:
	v_dual_mov_b32 v1, 0 :: v_dual_mov_b32 v4, s37
	s_delay_alu instid0(VALU_DEP_1)
	v_dual_mov_b32 v3, s36 :: v_dual_mov_b32 v2, v1
	ds_store_b32 v1, v1 offset:5144
	ds_store_b128 v1, v[1:4] offset:5120
.LBB177_28:
	s_or_b32 exec_lo, exec_lo, s4
	s_mul_i32 s7, s14, s7
	s_mul_hi_u32 s11, s14, s6
	s_load_b32 s4, s[0:1], 0x1b0
	s_mul_i32 s12, s15, s6
	s_add_i32 s7, s11, s7
	s_mul_i32 s6, s14, s6
	s_add_i32 s7, s7, s12
	v_lshlrev_b32_e32 v45, 3, v0
	s_waitcnt lgkmcnt(0)
	s_lshl_b64 s[18:19], s[6:7], 1
	s_barrier
	buffer_gl0_inv
	s_load_b32 s7, s[8:9], 0xc
	v_or_b32_e32 v24, 2, v45
	s_lshl_b64 s[48:49], s[2:3], 1
	s_add_u32 s14, s16, s18
	s_addc_u32 s15, s17, s19
	v_mbcnt_lo_u32_b32 v41, -1, 0
	v_mad_u64_u32 v[20:21], null, s30, v24, s[14:15]
	v_mad_u64_u32 v[2:3], null, v0, s30, 0
	s_add_u32 s80, s14, s48
	s_addc_u32 s81, s15, s49
	s_bitcmp1_b32 s4, 0
	v_cmp_gt_u32_e32 vcc_lo, 32, v0
	s_delay_alu instid0(VALU_DEP_3)
	v_mov_b32_e32 v8, v21
	v_cmp_gt_i32_e64 s4, 4, v41
	v_or_b32_e32 v9, 6, v45
	v_or_b32_e32 v12, 4, v45
	v_lshrrev_b32_e32 v6, 3, v0
	s_cselect_b32 s2, -1, 0
	s_waitcnt lgkmcnt(0)
	s_and_b32 s33, s7, 0xffff
	v_dual_mov_b32 v1, v3 :: v_dual_lshlrev_b32 v14, 2, v0
	s_xor_b32 s82, s2, -1
	s_and_b32 s83, vcc_lo, s4
	s_bfe_u32 s11, s7, 0xb0005
	v_mad_u64_u32 v[16:17], null, s30, v9, s[14:15]
	v_mad_u64_u32 v[18:19], null, s30, v12, s[14:15]
	s_add_u32 s85, s33, -1
	v_dual_mov_b32 v13, 0 :: v_dual_and_b32 v42, 0x7c, v6
	s_addc_u32 s86, 0, -1
	v_lshlrev_b64 v[6:7], v41, -1
	s_add_u32 s87, s85, s36
	s_addc_u32 s27, s86, s37
	v_mad_u64_u32 v[3:4], null, v0, s31, v[1:2]
	s_cmp_lt_u32 s13, s10
	v_lshlrev_b32_e32 v43, 1, v0
	s_cselect_b32 s10, 12, 18
	v_not_b32_e32 v40, v6
	v_dual_mov_b32 v6, v17 :: v_dual_mov_b32 v7, v19
	v_mov_b32_e32 v48, 0
	s_add_u32 s62, s8, s10
	s_addc_u32 s63, s9, 0
	s_add_i32 s8, s11, -1
	s_bfe_u32 s88, s33, 0x30005
	s_cmp_gt_u32 s8, 6
	v_lshlrev_b64 v[4:5], 1, v[2:3]
	v_mad_u64_u32 v[21:22], null, s31, v9, v[6:7]
	s_cselect_b32 s89, -1, 0
	s_and_b32 s90, s11, 0x7f8
	v_mad_u64_u32 v[22:23], null, s31, v12, v[7:8]
	s_cmp_lg_u32 s88, 0
	v_lshlrev_b64 v[2:3], 3, v[2:3]
	v_cmp_gt_u16_e64 s91, s7, 31
	s_cselect_b32 s92, -1, 0
	s_add_u32 s7, s18, s48
	s_addc_u32 s8, s19, s49
	v_add_co_u32 v10, vcc_lo, s80, v4
	v_mad_u64_u32 v[6:7], null, s31, v24, v[8:9]
	s_add_u32 s64, s16, s7
	v_writelane_b32 v50, s2, 4
	s_addc_u32 s65, s17, s8
	s_lshl_b64 s[66:67], s[30:31], 1
	s_lshl_b64 s[68:69], s[30:31], 3
	s_lshl_b32 s93, s33, 1
	v_dual_mov_b32 v1, v13 :: v_dual_add_nc_u32 v44, 0xc00, v43
	v_add_co_ci_u32_e32 v11, vcc_lo, s81, v5, vcc_lo
	s_add_u32 s7, s16, s48
	v_mov_b32_e32 v19, v22
	v_add_co_u32 v22, vcc_lo, s14, v2
	s_addc_u32 s8, s17, s49
	s_add_u32 s7, s7, s18
	v_add_co_ci_u32_e32 v23, vcc_lo, s15, v3, vcc_lo
	v_writelane_b32 v50, s18, 5
	s_addc_u32 s11, s8, s19
	v_add_co_u32 v24, vcc_lo, s7, v4
	v_cmp_lt_u64_e64 s84, 0x600, s[36:37]
	v_cmp_gt_u64_e64 s4, s[36:37], v[0:1]
	v_dual_mov_b32 v15, v13 :: v_dual_mov_b32 v26, s38
	s_mul_i32 s9, s31, s33
	s_mul_hi_u32 s10, s30, s33
	v_cmp_eq_u32_e64 s2, 0, v41
	v_cmp_gt_u32_e64 s6, 2, v0
	v_mov_b32_e32 v17, v21
	v_mov_b32_e32 v21, v6
	v_lshl_or_b32 v46, v41, 3, 0xc00
	v_add_co_ci_u32_e32 v25, vcc_lo, s11, v5, vcc_lo
	v_mov_b32_e32 v27, s39
	v_mov_b32_e32 v49, 0
	;; [unrolled: 1-line block ×3, first 2 shown]
	s_add_i32 s9, s10, s9
	s_mul_i32 s8, s30, s33
	s_mov_b32 s100, 14
	s_lshl_b64 s[34:35], s[8:9], 1
	s_mov_b32 s94, 0
	s_mov_b32 s96, 0
	v_writelane_b32 v50, s19, 6
                                        ; implicit-def: $sgpr95
                                        ; implicit-def: $sgpr99
                                        ; implicit-def: $sgpr98
                                        ; implicit-def: $sgpr101
                                        ; implicit-def: $sgpr97
                                        ; implicit-def: $sgpr102
                                        ; implicit-def: $sgpr104
                                        ; implicit-def: $sgpr103
                                        ; implicit-def: $vcc_hi
                                        ; implicit-def: $sgpr54
	s_branch .LBB177_31
.LBB177_29:                             ;   in Loop: Header=BB177_31 Depth=1
	s_or_b32 exec_lo, exec_lo, s10
	v_dual_mov_b32 v47, v29 :: v_dual_mov_b32 v48, v28
	v_dual_mov_b32 v27, v3 :: v_dual_mov_b32 v26, v2
	v_mov_b32_e32 v49, v30
	s_and_not1_b32 s3, s54, exec_lo
	s_and_b32 s9, s9, exec_lo
	s_and_not1_b32 vcc_hi, vcc_hi, exec_lo
	s_or_b32 s54, s3, s9
	s_and_not1_b32 s103, s103, exec_lo
	s_and_not1_b32 s104, s104, exec_lo
	;; [unrolled: 1-line block ×3, first 2 shown]
	s_or_not1_b32 s8, s8, exec_lo
.LBB177_30:                             ;   in Loop: Header=BB177_31 Depth=1
	s_or_b32 exec_lo, exec_lo, s7
	s_delay_alu instid0(SALU_CYCLE_1) | instskip(NEXT) | instid1(SALU_CYCLE_1)
	s_and_b32 s7, exec_lo, s8
	s_or_b32 s94, s7, s94
	s_and_not1_b32 s7, s97, exec_lo
	s_and_b32 s8, s54, exec_lo
	s_and_not1_b32 s9, s101, exec_lo
	s_or_b32 s97, s7, s8
	s_and_b32 s7, vcc_hi, exec_lo
	s_and_not1_b32 s8, s98, exec_lo
	s_and_b32 s10, s103, exec_lo
	s_or_b32 s101, s9, s7
	s_or_b32 s98, s8, s10
	s_and_not1_b32 s7, s99, exec_lo
	s_and_b32 s8, s104, exec_lo
	s_and_not1_b32 s9, s95, exec_lo
	s_and_b32 s10, s102, exec_lo
	s_or_b32 s99, s7, s8
	s_or_b32 s95, s9, s10
	s_and_not1_b32 exec_lo, exec_lo, s94
	s_cbranch_execz .LBB177_500
.LBB177_31:                             ; =>This Loop Header: Depth=1
                                        ;     Child Loop BB177_36 Depth 2
                                        ;     Child Loop BB177_54 Depth 2
	;; [unrolled: 1-line block ×24, first 2 shown]
	ds_load_b128 v[2:5], v13 offset:5120
	s_waitcnt lgkmcnt(0)
	v_readfirstlane_b32 s71, v3
	v_readfirstlane_b32 s70, v2
	s_delay_alu instid0(VALU_DEP_1)
	s_cmp_lg_u64 s[70:71], 0
	s_cbranch_scc1 .LBB177_61
; %bb.32:                               ;   in Loop: Header=BB177_31 Depth=1
	s_and_b32 vcc_lo, exec_lo, s84
	s_cbranch_vccz .LBB177_44
; %bb.33:                               ;   in Loop: Header=BB177_31 Depth=1
	v_cmp_gt_u64_e32 vcc_lo, 0x601, v[4:5]
	s_mov_b32 s9, 0
	s_mov_b32 s7, 0
	s_cbranch_vccz .LBB177_45
; %bb.34:                               ;   in Loop: Header=BB177_31 Depth=1
	global_load_u16 v6, v13, s[62:63]
	global_load_u16 v7, v[10:11], off
	s_mov_b32 s11, 0
	s_waitcnt vmcnt(1)
	v_readfirstlane_b32 s7, v6
	v_and_b32_e32 v6, 0xffff, v6
	s_delay_alu instid0(VALU_DEP_2) | instskip(NEXT) | instid1(SALU_CYCLE_1)
	s_and_b32 s7, 0xffff, s7
	v_add_nc_u32_e32 v8, s7, v0
	s_mul_i32 s8, s67, s7
	s_mul_hi_u32 s10, s66, s7
	s_mul_i32 s12, s66, s7
	s_add_i32 s10, s10, s8
	v_mad_u64_u32 v[2:3], null, s66, v8, s[64:65]
	s_delay_alu instid0(VALU_DEP_1) | instskip(NEXT) | instid1(VALU_DEP_1)
	v_mad_u64_u32 v[4:5], null, s67, v8, v[3:4]
	v_mov_b32_e32 v3, v4
	v_dual_mov_b32 v5, v1 :: v_dual_mov_b32 v4, v0
	s_branch .LBB177_36
.LBB177_35:                             ;   in Loop: Header=BB177_36 Depth=2
	s_or_b32 exec_lo, exec_lo, s8
	v_add_co_u32 v2, vcc_lo, v2, s12
	v_add_co_ci_u32_e32 v3, vcc_lo, s10, v3, vcc_lo
	v_mov_b32_e32 v7, v8
	s_and_not1_b32 exec_lo, exec_lo, s11
	s_cbranch_execz .LBB177_46
.LBB177_36:                             ;   Parent Loop BB177_31 Depth=1
                                        ; =>  This Inner Loop Header: Depth=2
	s_delay_alu instid0(VALU_DEP_1) | instskip(NEXT) | instid1(VALU_DEP_2)
	v_add_co_u32 v4, vcc_lo, v4, v6
	v_add_co_ci_u32_e32 v5, vcc_lo, 0, v5, vcc_lo
	s_waitcnt lgkmcnt(0)
	v_dual_mov_b32 v9, 0 :: v_dual_mov_b32 v8, 0
	s_mov_b32 s8, exec_lo
	s_delay_alu instid0(VALU_DEP_2)
	v_cmp_le_u64_e32 vcc_lo, s[36:37], v[4:5]
	v_cmpx_gt_u64_e64 s[36:37], v[4:5]
	s_cbranch_execz .LBB177_38
; %bb.37:                               ;   in Loop: Header=BB177_36 Depth=2
	global_load_u16 v8, v[2:3], off
.LBB177_38:                             ;   in Loop: Header=BB177_36 Depth=2
	s_or_b32 exec_lo, exec_lo, s8
	s_waitcnt vmcnt(0)
	v_bfe_i32 v12, v7, 0, 16
	s_delay_alu instid0(VALU_DEP_1) | instskip(NEXT) | instid1(VALU_DEP_1)
	v_add_nc_u32_e32 v12, 0x8000, v12
	v_and_b32_e32 v12, v12, v47
	s_delay_alu instid0(VALU_DEP_1) | instskip(NEXT) | instid1(VALU_DEP_1)
	v_cmp_eq_u32_e64 s7, v12, v48
	s_cmp_lg_u32 s7, 0
	s_cselect_b32 s8, -1, 0
	s_delay_alu instid0(SALU_CYCLE_1) | instskip(NEXT) | instid1(SALU_CYCLE_1)
	s_and_b32 s8, s2, s8
	s_and_saveexec_b32 s13, s8
	s_cbranch_execz .LBB177_42
; %bb.39:                               ;   in Loop: Header=BB177_36 Depth=2
	s_mov_b32 s16, exec_lo
	s_bcnt1_i32_b32 s14, s7
	v_mbcnt_lo_u32_b32 v9, s16, 0
	s_mov_b32 s15, exec_lo
                                        ; implicit-def: $vgpr12
	s_delay_alu instid0(VALU_DEP_1)
	v_cmpx_eq_u32_e32 0, v9
	s_cbranch_execz .LBB177_41
; %bb.40:                               ;   in Loop: Header=BB177_36 Depth=2
	s_bcnt1_i32_b32 s8, s16
	s_delay_alu instid0(SALU_CYCLE_1) | instskip(NEXT) | instid1(SALU_CYCLE_1)
	s_mul_i32 s8, s14, s8
	v_mov_b32_e32 v12, s8
	ds_add_rtn_u32 v12, v13, v12 offset:5144
.LBB177_41:                             ;   in Loop: Header=BB177_36 Depth=2
	s_or_b32 exec_lo, exec_lo, s15
	s_waitcnt lgkmcnt(0)
	v_readfirstlane_b32 s8, v12
	s_delay_alu instid0(VALU_DEP_1)
	v_mad_u32_u24 v9, s14, v9, s8
.LBB177_42:                             ;   in Loop: Header=BB177_36 Depth=2
	s_or_b32 exec_lo, exec_lo, s13
	ds_bpermute_b32 v9, v13, v9
	s_and_b32 s8, exec_lo, vcc_lo
	s_delay_alu instid0(SALU_CYCLE_1)
	s_or_b32 s11, s8, s11
	s_and_saveexec_b32 s8, s7
	s_cbranch_execz .LBB177_35
; %bb.43:                               ;   in Loop: Header=BB177_36 Depth=2
	v_and_b32_e32 v12, s7, v40
	s_delay_alu instid0(VALU_DEP_1) | instskip(NEXT) | instid1(VALU_DEP_1)
	v_bcnt_u32_b32 v12, v12, 0
	v_lshlrev_b32_e32 v12, 1, v12
	s_waitcnt lgkmcnt(0)
	s_delay_alu instid0(VALU_DEP_1)
	v_lshl_add_u32 v9, v9, 1, v12
	ds_store_b16 v9, v7
	s_branch .LBB177_35
.LBB177_44:                             ;   in Loop: Header=BB177_31 Depth=1
	s_mov_b32 s7, 0
                                        ; implicit-def: $sgpr70_sgpr71
	s_cbranch_execnz .LBB177_49
	s_branch .LBB177_59
.LBB177_45:                             ;   in Loop: Header=BB177_31 Depth=1
	s_mov_b64 s[70:71], 0
	s_and_b32 vcc_lo, exec_lo, s9
	s_cbranch_vccnz .LBB177_49
	s_branch .LBB177_59
.LBB177_46:                             ;   in Loop: Header=BB177_31 Depth=1
	s_or_b32 exec_lo, exec_lo, s11
	s_waitcnt lgkmcnt(0)
	s_barrier
	buffer_gl0_inv
	s_and_saveexec_b32 s7, s5
	s_cbranch_execz .LBB177_48
; %bb.47:                               ;   in Loop: Header=BB177_31 Depth=1
	ds_load_b32 v2, v13 offset:5144
	s_waitcnt lgkmcnt(0)
	v_ashrrev_i32_e32 v3, 31, v2
	ds_store_b64 v13, v[2:3] offset:5120
.LBB177_48:                             ;   in Loop: Header=BB177_31 Depth=1
	s_or_b32 exec_lo, exec_lo, s7
	s_waitcnt lgkmcnt(0)
	s_mov_b32 s7, -1
	s_barrier
	s_mov_b64 s[70:71], 0
	s_and_b32 vcc_lo, exec_lo, s9
	s_cbranch_vccz .LBB177_59
.LBB177_49:                             ;   in Loop: Header=BB177_31 Depth=1
	v_mov_b32_e32 v6, 0
	s_and_saveexec_b32 s7, s4
	s_cbranch_execz .LBB177_51
; %bb.50:                               ;   in Loop: Header=BB177_31 Depth=1
	global_load_u16 v6, v[10:11], off
.LBB177_51:                             ;   in Loop: Header=BB177_31 Depth=1
	s_or_b32 exec_lo, exec_lo, s7
	s_and_saveexec_b32 s8, s4
	s_cbranch_execz .LBB177_56
; %bb.52:                               ;   in Loop: Header=BB177_31 Depth=1
	global_load_u16 v8, v13, s[62:63]
	s_mov_b32 s12, 0
	s_waitcnt vmcnt(0)
	v_readfirstlane_b32 s7, v8
	v_and_b32_e32 v8, 0xffff, v8
	s_delay_alu instid0(VALU_DEP_2) | instskip(NEXT) | instid1(SALU_CYCLE_1)
	s_and_b32 s7, 0xffff, s7
	v_add_nc_u32_e32 v7, s7, v0
	s_mul_i32 s10, s67, s7
	s_mul_hi_u32 s11, s66, s7
	s_lshl_b32 s9, s7, 1
	s_add_i32 s10, s11, s10
	v_mad_u64_u32 v[2:3], null, s66, v7, s[64:65]
	s_mul_i32 s11, s66, s7
	s_delay_alu instid0(VALU_DEP_1) | instskip(SKIP_1) | instid1(VALU_DEP_2)
	v_mad_u64_u32 v[4:5], null, s67, v7, v[3:4]
	v_mov_b32_e32 v7, v43
	v_mov_b32_e32 v3, v4
	v_dual_mov_b32 v5, v1 :: v_dual_mov_b32 v4, v0
	s_branch .LBB177_54
	.p2align	6
.LBB177_53:                             ;   in Loop: Header=BB177_54 Depth=2
	s_or_b32 exec_lo, exec_lo, s13
	s_delay_alu instid0(SALU_CYCLE_1)
	s_and_b32 s7, exec_lo, vcc_lo
	v_add_co_u32 v2, vcc_lo, v2, s11
	ds_store_b16 v7, v6
	s_waitcnt vmcnt(0)
	v_dual_mov_b32 v6, v9 :: v_dual_add_nc_u32 v7, s9, v7
	v_add_co_ci_u32_e32 v3, vcc_lo, s10, v3, vcc_lo
	s_or_b32 s12, s7, s12
	s_delay_alu instid0(SALU_CYCLE_1)
	s_and_not1_b32 exec_lo, exec_lo, s12
	s_cbranch_execz .LBB177_56
.LBB177_54:                             ;   Parent Loop BB177_31 Depth=1
                                        ; =>  This Inner Loop Header: Depth=2
	s_delay_alu instid0(VALU_DEP_1) | instskip(NEXT) | instid1(VALU_DEP_2)
	v_add_co_u32 v4, vcc_lo, v4, v8
	v_add_co_ci_u32_e32 v5, vcc_lo, 0, v5, vcc_lo
	v_mov_b32_e32 v9, 0
	s_mov_b32 s13, exec_lo
	s_delay_alu instid0(VALU_DEP_2)
	v_cmp_le_u64_e32 vcc_lo, s[36:37], v[4:5]
	v_cmpx_gt_u64_e64 s[36:37], v[4:5]
	s_cbranch_execz .LBB177_53
; %bb.55:                               ;   in Loop: Header=BB177_54 Depth=2
	global_load_u16 v9, v[2:3], off
	s_branch .LBB177_53
.LBB177_56:                             ;   in Loop: Header=BB177_31 Depth=1
	s_or_b32 exec_lo, exec_lo, s8
	s_waitcnt vmcnt(0) lgkmcnt(0)
	s_barrier
	buffer_gl0_inv
	s_and_saveexec_b32 s7, s5
	s_cbranch_execz .LBB177_58
; %bb.57:                               ;   in Loop: Header=BB177_31 Depth=1
	v_dual_mov_b32 v2, s36 :: v_dual_mov_b32 v3, s37
	ds_store_b64 v13, v[2:3] offset:5120
.LBB177_58:                             ;   in Loop: Header=BB177_31 Depth=1
	s_or_b32 exec_lo, exec_lo, s7
	s_mov_b32 s7, -1
	s_waitcnt lgkmcnt(0)
	s_barrier
                                        ; implicit-def: $sgpr70_sgpr71
.LBB177_59:                             ;   in Loop: Header=BB177_31 Depth=1
	s_and_b32 vcc_lo, exec_lo, s7
	s_cbranch_vccz .LBB177_61
; %bb.60:                               ;   in Loop: Header=BB177_31 Depth=1
	buffer_gl0_inv
	ds_load_b64 v[2:3], v13 offset:5120
	s_waitcnt lgkmcnt(0)
	v_readfirstlane_b32 s70, v2
.LBB177_61:                             ;   in Loop: Header=BB177_31 Depth=1
	s_delay_alu instid0(VALU_DEP_1)
	s_cmp_lt_i32 s70, 1
	s_cbranch_scc0 .LBB177_76
; %bb.62:                               ;   in Loop: Header=BB177_31 Depth=1
	global_load_u16 v2, v13, s[62:63]
	s_mov_b32 s8, s61
	s_mov_b32 s9, s37
	s_waitcnt vmcnt(0)
	v_readfirstlane_b32 s7, v2
	s_delay_alu instid0(VALU_DEP_1) | instskip(NEXT) | instid1(SALU_CYCLE_1)
	s_and_b32 s26, s7, 0xffff
	s_lshl_b32 s46, s26, 2
	s_cmp_lg_u64 s[8:9], 0
	s_cbranch_scc0 .LBB177_96
; %bb.63:                               ;   in Loop: Header=BB177_31 Depth=1
	v_cvt_f32_u32_e32 v2, s46
	s_sub_u32 s9, 0, s46
	s_subb_u32 s10, 0, 0
	s_delay_alu instid0(VALU_DEP_1) | instskip(NEXT) | instid1(VALU_DEP_1)
	v_fmac_f32_e64 v2, 0, 0x4f800000
	v_rcp_f32_e32 v2, v2
	s_waitcnt_depctr 0xfff
	v_mul_f32_e32 v2, 0x5f7ffffc, v2
	s_delay_alu instid0(VALU_DEP_1) | instskip(NEXT) | instid1(VALU_DEP_1)
	v_mul_f32_e32 v3, 0x2f800000, v2
	v_trunc_f32_e32 v3, v3
	s_delay_alu instid0(VALU_DEP_1) | instskip(SKIP_1) | instid1(VALU_DEP_2)
	v_fmac_f32_e32 v2, 0xcf800000, v3
	v_cvt_u32_f32_e32 v3, v3
	v_cvt_u32_f32_e32 v2, v2
	s_delay_alu instid0(VALU_DEP_2) | instskip(NEXT) | instid1(VALU_DEP_2)
	v_readfirstlane_b32 s7, v3
	v_readfirstlane_b32 s8, v2
	s_delay_alu instid0(VALU_DEP_2) | instskip(NEXT) | instid1(VALU_DEP_1)
	s_mul_i32 s11, s9, s7
	s_mul_hi_u32 s13, s9, s8
	s_mul_i32 s12, s10, s8
	s_add_i32 s11, s13, s11
	s_mul_i32 s14, s9, s8
	s_add_i32 s11, s11, s12
	s_mul_hi_u32 s13, s8, s14
	s_mul_hi_u32 s15, s7, s14
	s_mul_i32 s12, s7, s14
	s_mul_hi_u32 s14, s8, s11
	s_mul_i32 s8, s8, s11
	s_mul_hi_u32 s16, s7, s11
	s_add_u32 s8, s13, s8
	s_addc_u32 s13, 0, s14
	s_add_u32 s8, s8, s12
	s_mul_i32 s11, s7, s11
	s_addc_u32 s8, s13, s15
	s_addc_u32 s12, s16, 0
	s_add_u32 s8, s8, s11
	s_addc_u32 s11, 0, s12
	v_add_co_u32 v2, s8, v2, s8
	s_delay_alu instid0(VALU_DEP_1) | instskip(SKIP_1) | instid1(VALU_DEP_1)
	s_cmp_lg_u32 s8, 0
	s_addc_u32 s7, s7, s11
	v_readfirstlane_b32 s8, v2
	s_mul_i32 s11, s9, s7
	s_delay_alu instid0(VALU_DEP_1)
	s_mul_hi_u32 s12, s9, s8
	s_mul_i32 s10, s10, s8
	s_add_i32 s11, s12, s11
	s_mul_i32 s9, s9, s8
	s_add_i32 s11, s11, s10
	s_mul_hi_u32 s12, s7, s9
	s_mul_i32 s13, s7, s9
	s_mul_hi_u32 s9, s8, s9
	s_mul_hi_u32 s14, s8, s11
	s_mul_i32 s8, s8, s11
	s_mul_hi_u32 s10, s7, s11
	s_add_u32 s8, s9, s8
	s_addc_u32 s9, 0, s14
	s_add_u32 s8, s8, s13
	s_mul_i32 s11, s7, s11
	s_addc_u32 s8, s9, s12
	s_addc_u32 s9, s10, 0
	s_add_u32 s8, s8, s11
	s_addc_u32 s9, 0, s9
	v_add_co_u32 v2, s8, v2, s8
	s_delay_alu instid0(VALU_DEP_1) | instskip(SKIP_1) | instid1(VALU_DEP_1)
	s_cmp_lg_u32 s8, 0
	s_addc_u32 s7, s7, s9
	v_readfirstlane_b32 s8, v2
	s_mul_i32 s10, s36, s7
	s_mul_hi_u32 s9, s36, s7
	s_mul_hi_u32 s11, s37, s7
	s_mul_i32 s7, s37, s7
	s_mul_hi_u32 s12, s36, s8
	s_mul_hi_u32 s13, s37, s8
	s_mul_i32 s8, s37, s8
	s_add_u32 s10, s12, s10
	s_addc_u32 s9, 0, s9
	s_add_u32 s8, s10, s8
	s_addc_u32 s8, s9, s13
	s_addc_u32 s9, s11, 0
	s_add_u32 s7, s8, s7
	s_addc_u32 s8, 0, s9
	s_mul_hi_u32 s9, s46, s7
	s_mul_i32 s7, s46, s7
	s_mul_i32 s8, s46, s8
	v_sub_co_u32 v2, s7, s36, s7
	s_add_i32 s9, s9, s8
	s_cmp_lg_u32 s7, 0
	s_delay_alu instid0(VALU_DEP_1) | instskip(SKIP_2) | instid1(VALU_DEP_1)
	v_sub_co_u32 v3, s7, v2, s46
	s_subb_u32 s8, s37, s9
	s_cmp_lg_u32 s7, 0
	v_cmp_le_u32_e32 vcc_lo, s46, v3
	v_sub_co_u32 v4, s7, v3, s46
	s_subb_u32 s9, s8, 0
	s_cmp_lg_u32 s7, 0
	v_cndmask_b32_e64 v5, 0, -1, vcc_lo
	s_subb_u32 s7, s9, 0
	s_cmp_eq_u32 s9, 0
	v_mov_b32_e32 v7, s7
	s_cselect_b32 vcc_lo, -1, 0
	s_cmp_eq_u32 s8, 0
	v_cndmask_b32_e32 v5, -1, v5, vcc_lo
	v_cmp_le_u32_e32 vcc_lo, s46, v2
	s_cselect_b32 s7, -1, 0
	v_cndmask_b32_e64 v6, 0, -1, vcc_lo
	s_delay_alu instid0(VALU_DEP_3) | instskip(NEXT) | instid1(VALU_DEP_2)
	v_cmp_ne_u32_e32 vcc_lo, 0, v5
	v_cndmask_b32_e64 v5, -1, v6, s7
	v_cndmask_b32_e32 v6, s9, v7, vcc_lo
	v_cndmask_b32_e32 v4, v3, v4, vcc_lo
	s_delay_alu instid0(VALU_DEP_3) | instskip(NEXT) | instid1(VALU_DEP_3)
	v_cmp_ne_u32_e32 vcc_lo, 0, v5
	v_cndmask_b32_e32 v3, s8, v6, vcc_lo
	s_delay_alu instid0(VALU_DEP_3)
	v_cndmask_b32_e32 v2, v2, v4, vcc_lo
	s_cbranch_execnz .LBB177_65
.LBB177_64:                             ;   in Loop: Header=BB177_31 Depth=1
	v_cvt_f32_u32_e32 v2, s46
	s_sub_i32 s7, 0, s46
	s_delay_alu instid0(VALU_DEP_1) | instskip(SKIP_2) | instid1(VALU_DEP_1)
	v_rcp_iflag_f32_e32 v2, v2
	s_waitcnt_depctr 0xfff
	v_mul_f32_e32 v2, 0x4f7ffffe, v2
	v_cvt_u32_f32_e32 v2, v2
	s_delay_alu instid0(VALU_DEP_1) | instskip(NEXT) | instid1(VALU_DEP_1)
	v_mul_lo_u32 v3, s7, v2
	v_mul_hi_u32 v3, v2, v3
	s_delay_alu instid0(VALU_DEP_1) | instskip(NEXT) | instid1(VALU_DEP_1)
	v_add_nc_u32_e32 v2, v2, v3
	v_mul_hi_u32 v2, s36, v2
	s_delay_alu instid0(VALU_DEP_1) | instskip(NEXT) | instid1(VALU_DEP_1)
	v_mul_lo_u32 v2, v2, s46
	v_sub_nc_u32_e32 v2, s36, v2
	s_delay_alu instid0(VALU_DEP_1) | instskip(SKIP_1) | instid1(VALU_DEP_2)
	v_subrev_nc_u32_e32 v3, s46, v2
	v_cmp_le_u32_e32 vcc_lo, s46, v2
	v_cndmask_b32_e32 v2, v2, v3, vcc_lo
	s_delay_alu instid0(VALU_DEP_1) | instskip(SKIP_1) | instid1(VALU_DEP_2)
	v_subrev_nc_u32_e32 v3, s46, v2
	v_cmp_le_u32_e32 vcc_lo, s46, v2
	v_cndmask_b32_e32 v12, v2, v3, vcc_lo
	s_delay_alu instid0(VALU_DEP_1)
	v_dual_mov_b32 v2, v12 :: v_dual_mov_b32 v3, v13
.LBB177_65:                             ;   in Loop: Header=BB177_31 Depth=1
	s_delay_alu instid0(VALU_DEP_1) | instskip(NEXT) | instid1(VALU_DEP_2)
	v_sub_co_u32 v28, vcc_lo, s36, v2
	v_sub_co_ci_u32_e32 v29, vcc_lo, s37, v3, vcc_lo
	v_mov_b32_e32 v2, 0
	v_mov_b32_e32 v3, 0
	s_mov_b64 s[72:73], 0
	s_mov_b32 s47, exec_lo
	s_delay_alu instid0(VALU_DEP_1)
	v_dual_mov_b32 v5, v3 :: v_dual_mov_b32 v4, v2
	v_dual_mov_b32 v7, v3 :: v_dual_mov_b32 v6, v2
	;; [unrolled: 1-line block ×3, first 2 shown]
	v_cmpx_gt_u64_e64 v[28:29], v[14:15]
	s_cbranch_execz .LBB177_69
; %bb.66:                               ;   in Loop: Header=BB177_31 Depth=1
	v_dual_mov_b32 v31, v23 :: v_dual_mov_b32 v30, v22
	v_dual_mov_b32 v33, v21 :: v_dual_mov_b32 v32, v20
	;; [unrolled: 1-line block ×5, first 2 shown]
	s_mul_i32 s7, s69, s26
	s_mul_hi_u32 s8, s68, s26
	s_and_b32 s55, s100, 0xfe
	s_add_i32 s58, s8, s7
	s_mul_i32 s59, s68, s26
	s_mov_b32 s60, 0
	s_mov_b64 s[74:75], 0
	s_mov_b64 s[76:77], 0
	;; [unrolled: 1-line block ×3, first 2 shown]
.LBB177_67:                             ;   Parent Loop BB177_31 Depth=1
                                        ; =>  This Inner Loop Header: Depth=2
	v_add_co_u32 v2, vcc_lo, v30, s48
	v_add_co_ci_u32_e32 v3, vcc_lo, s49, v31, vcc_lo
	global_load_i16 v4, v[2:3], off
	v_add_co_u32 v2, vcc_lo, v32, s48
	v_add_co_ci_u32_e32 v3, vcc_lo, s49, v33, vcc_lo
	global_load_i16 v5, v[2:3], off
	;; [unrolled: 3-line block ×4, first 2 shown]
	s_waitcnt vmcnt(3)
	v_add_nc_u32_e32 v3, 0x8000, v4
	s_delay_alu instid0(VALU_DEP_1) | instskip(SKIP_1) | instid1(VALU_DEP_2)
	v_and_b32_e32 v4, v3, v47
	v_bfe_u32 v3, v3, s55, 2
	v_cmp_eq_u32_e32 vcc_lo, v4, v48
	s_waitcnt vmcnt(2)
	v_add_nc_u32_e32 v4, 0x8000, v5
	s_delay_alu instid0(VALU_DEP_3)
	v_cmp_eq_u32_e64 s10, 0, v3
	v_cmp_eq_u32_e64 s11, 1, v3
	;; [unrolled: 1-line block ×4, first 2 shown]
	v_and_b32_e32 v5, v4, v47
	v_bfe_u32 v3, v4, s55, 2
	s_and_b32 s10, vcc_lo, s10
	s_delay_alu instid0(VALU_DEP_2)
	v_cmp_eq_u32_e64 s7, v5, v48
	s_waitcnt vmcnt(1)
	v_add_nc_u32_e32 v5, 0x8000, v6
	v_cmp_eq_u32_e64 s14, 0, v3
	s_waitcnt vmcnt(0)
	v_add_nc_u32_e32 v2, 0x8000, v2
	v_cmp_eq_u32_e64 s15, 1, v3
	v_cmp_eq_u32_e64 s16, 2, v3
	v_and_b32_e32 v6, v5, v47
	v_cmp_eq_u32_e64 s17, 3, v3
	v_bfe_u32 v3, v5, s55, 2
	s_and_b32 s14, s7, s14
	s_delay_alu instid0(VALU_DEP_3)
	v_cmp_eq_u32_e64 s8, v6, v48
	v_and_b32_e32 v6, v2, v47
	v_bfe_u32 v2, v2, s55, 2
	v_cmp_eq_u32_e64 s18, 0, v3
	v_cmp_eq_u32_e64 s19, 1, v3
	;; [unrolled: 1-line block ×8, first 2 shown]
	v_cndmask_b32_e64 v2, 0, 1, s10
	s_and_b32 s18, s8, s18
	s_and_b32 s22, s9, s22
	v_cmp_eq_u32_e64 s21, 3, v3
	s_delay_alu instid0(VALU_DEP_2) | instskip(SKIP_1) | instid1(VALU_DEP_2)
	v_cmp_ne_u32_e64 s10, 0, v2
	v_cndmask_b32_e64 v2, 0, 1, s14
	s_bcnt1_i32_b32 s10, s10
	s_delay_alu instid0(VALU_DEP_1) | instskip(SKIP_1) | instid1(VALU_DEP_2)
	v_cmp_ne_u32_e64 s14, 0, v2
	v_cndmask_b32_e64 v2, 0, 1, s18
	s_bcnt1_i32_b32 s14, s14
	s_delay_alu instid0(VALU_DEP_1) | instskip(SKIP_2) | instid1(VALU_DEP_2)
	v_cmp_ne_u32_e64 s18, 0, v2
	v_cndmask_b32_e64 v2, 0, 1, s22
	s_add_i32 s10, s14, s10
	s_bcnt1_i32_b32 s18, s18
	s_delay_alu instid0(VALU_DEP_1) | instskip(SKIP_1) | instid1(VALU_DEP_1)
	v_cmp_ne_u32_e64 s22, 0, v2
	s_add_i32 s10, s10, s18
	s_bcnt1_i32_b32 s22, s22
	s_delay_alu instid0(SALU_CYCLE_1) | instskip(NEXT) | instid1(SALU_CYCLE_1)
	s_add_i32 s10, s10, s22
	s_add_u32 s78, s78, s10
	s_addc_u32 s79, s79, 0
	s_and_b32 s10, vcc_lo, s11
	s_and_b32 s11, s7, s15
	v_cndmask_b32_e64 v2, 0, 1, s10
	s_and_b32 s14, s8, s19
	s_and_b32 s15, s9, s23
	s_delay_alu instid0(VALU_DEP_1) | instskip(SKIP_1) | instid1(VALU_DEP_2)
	v_cmp_ne_u32_e64 s10, 0, v2
	v_cndmask_b32_e64 v2, 0, 1, s11
	s_bcnt1_i32_b32 s10, s10
	s_delay_alu instid0(VALU_DEP_1) | instskip(SKIP_1) | instid1(VALU_DEP_2)
	v_cmp_ne_u32_e64 s11, 0, v2
	v_cndmask_b32_e64 v2, 0, 1, s14
	s_bcnt1_i32_b32 s11, s11
	s_delay_alu instid0(VALU_DEP_1) | instskip(SKIP_2) | instid1(VALU_DEP_2)
	v_cmp_ne_u32_e64 s14, 0, v2
	v_cndmask_b32_e64 v2, 0, 1, s15
	s_add_i32 s10, s11, s10
	s_bcnt1_i32_b32 s14, s14
	s_delay_alu instid0(VALU_DEP_1) | instskip(SKIP_1) | instid1(VALU_DEP_1)
	v_cmp_ne_u32_e64 s15, 0, v2
	s_add_i32 s10, s10, s14
	s_bcnt1_i32_b32 s15, s15
	s_delay_alu instid0(SALU_CYCLE_1) | instskip(NEXT) | instid1(SALU_CYCLE_1)
	s_add_i32 s10, s10, s15
	s_add_u32 s76, s76, s10
	s_addc_u32 s77, s77, 0
	s_and_b32 s10, vcc_lo, s12
	s_and_b32 s11, s7, s16
	v_cndmask_b32_e64 v2, 0, 1, s10
	s_and_b32 s12, s8, s20
	s_and_b32 s14, s9, s24
	v_dual_mov_b32 v4, s76 :: v_dual_mov_b32 v5, s77
	s_delay_alu instid0(VALU_DEP_2) | instskip(SKIP_1) | instid1(VALU_DEP_2)
	v_cmp_ne_u32_e64 s10, 0, v2
	v_cndmask_b32_e64 v2, 0, 1, s11
	s_bcnt1_i32_b32 s10, s10
	s_delay_alu instid0(VALU_DEP_1) | instskip(SKIP_1) | instid1(VALU_DEP_2)
	v_cmp_ne_u32_e64 s11, 0, v2
	v_cndmask_b32_e64 v2, 0, 1, s12
	s_bcnt1_i32_b32 s11, s11
	s_delay_alu instid0(VALU_DEP_1) | instskip(SKIP_3) | instid1(VALU_DEP_3)
	v_cmp_ne_u32_e64 s12, 0, v2
	v_cndmask_b32_e64 v2, 0, 1, s14
	s_add_i32 s10, s11, s10
	v_add_co_u32 v36, s11, v36, s59
	s_bcnt1_i32_b32 s12, s12
	s_delay_alu instid0(VALU_DEP_2) | instskip(SKIP_2) | instid1(VALU_DEP_2)
	v_cmp_ne_u32_e64 s14, 0, v2
	s_add_i32 s10, s10, s12
	v_add_co_u32 v34, s12, v34, s59
	s_bcnt1_i32_b32 s14, s14
	s_delay_alu instid0(SALU_CYCLE_1)
	s_add_i32 s10, s10, s14
	v_add_co_u32 v30, s14, v30, s59
	s_add_u32 s74, s74, s10
	s_addc_u32 s75, s75, 0
	s_and_b32 s10, vcc_lo, s13
	s_and_b32 s7, s7, s17
	v_cndmask_b32_e64 v2, 0, 1, s10
	s_and_b32 s8, s8, s21
	s_and_b32 s9, s9, s25
	v_add_co_u32 v38, s10, v38, s46
	s_delay_alu instid0(VALU_DEP_2) | instskip(SKIP_3) | instid1(VALU_DEP_3)
	v_cmp_ne_u32_e32 vcc_lo, 0, v2
	v_cndmask_b32_e64 v2, 0, 1, s7
	v_add_co_ci_u32_e64 v39, s10, 0, v39, s10
	v_add_co_ci_u32_e64 v37, s10, s58, v37, s11
	v_cmp_ne_u32_e64 s7, 0, v2
	v_cndmask_b32_e64 v2, 0, 1, s8
	s_bcnt1_i32_b32 s11, vcc_lo
	v_add_co_u32 v32, s13, v32, s59
	s_delay_alu instid0(VALU_DEP_3) | instskip(NEXT) | instid1(VALU_DEP_2)
	s_bcnt1_i32_b32 s7, s7
	v_cmp_ne_u32_e64 s8, 0, v2
	v_cndmask_b32_e64 v2, 0, 1, s9
	s_add_i32 s7, s7, s11
	v_add_co_ci_u32_e64 v35, s10, s58, v35, s12
	s_delay_alu instid0(VALU_DEP_3) | instskip(NEXT) | instid1(VALU_DEP_2)
	s_bcnt1_i32_b32 s8, s8
	v_cmp_ne_u32_e64 s9, 0, v2
	s_add_i32 s7, s7, s8
	v_add_co_ci_u32_e64 v33, s10, s58, v33, s13
	v_add_co_ci_u32_e64 v31, s10, s58, v31, s14
	s_delay_alu instid0(VALU_DEP_3)
	s_bcnt1_i32_b32 s9, s9
	v_cmp_ge_u64_e64 s10, v[38:39], v[28:29]
	s_add_i32 s7, s7, s9
	v_mov_b32_e32 v2, s78
	s_add_u32 s72, s72, s7
	s_addc_u32 s73, s73, 0
	v_dual_mov_b32 v6, s74 :: v_dual_mov_b32 v7, s75
	v_dual_mov_b32 v8, s72 :: v_dual_mov_b32 v3, s79
	v_mov_b32_e32 v9, s73
	s_or_b32 s60, s10, s60
	s_delay_alu instid0(SALU_CYCLE_1)
	s_and_not1_b32 exec_lo, exec_lo, s60
	s_cbranch_execnz .LBB177_67
; %bb.68:                               ;   in Loop: Header=BB177_31 Depth=1
	s_or_b32 exec_lo, exec_lo, s60
.LBB177_69:                             ;   in Loop: Header=BB177_31 Depth=1
	s_delay_alu instid0(SALU_CYCLE_1) | instskip(SKIP_3) | instid1(VALU_DEP_2)
	s_or_b32 exec_lo, exec_lo, s47
	v_add_co_u32 v28, vcc_lo, v28, v0
	v_add_co_ci_u32_e32 v29, vcc_lo, 0, v29, vcc_lo
	v_mov_b32_e32 v30, 0
	v_cmp_gt_u64_e32 vcc_lo, s[36:37], v[28:29]
	s_and_saveexec_b32 s8, vcc_lo
	s_cbranch_execz .LBB177_71
; %bb.70:                               ;   in Loop: Header=BB177_31 Depth=1
	v_mul_lo_u32 v12, v29, s30
	v_mul_lo_u32 v32, v28, s31
	v_mad_u64_u32 v[30:31], null, v28, s30, 0
	s_delay_alu instid0(VALU_DEP_1) | instskip(NEXT) | instid1(VALU_DEP_1)
	v_add3_u32 v31, v31, v32, v12
	v_lshlrev_b64 v[30:31], 1, v[30:31]
	s_delay_alu instid0(VALU_DEP_1) | instskip(NEXT) | instid1(VALU_DEP_1)
	v_add_co_u32 v30, s7, s80, v30
	v_add_co_ci_u32_e64 v31, s7, s81, v31, s7
	global_load_u16 v30, v[30:31], off
.LBB177_71:                             ;   in Loop: Header=BB177_31 Depth=1
	s_or_b32 exec_lo, exec_lo, s8
	s_and_saveexec_b32 s11, vcc_lo
	s_cbranch_execz .LBB177_78
; %bb.72:                               ;   in Loop: Header=BB177_31 Depth=1
	s_and_b32 s13, s100, 0xfe
	s_mov_b32 s12, 0
	s_branch .LBB177_74
.LBB177_73:                             ;   in Loop: Header=BB177_74 Depth=2
	s_or_b32 exec_lo, exec_lo, s8
	s_waitcnt vmcnt(0)
	v_bfe_i32 v30, v30, 0, 16
	s_and_b32 s9, exec_lo, vcc_lo
	s_delay_alu instid0(SALU_CYCLE_1) | instskip(NEXT) | instid1(VALU_DEP_1)
	s_or_b32 s12, s9, s12
	v_add_nc_u32_e32 v30, 0x8000, v30
	s_delay_alu instid0(VALU_DEP_1) | instskip(SKIP_1) | instid1(VALU_DEP_2)
	v_and_b32_e32 v31, v30, v47
	v_bfe_u32 v30, v30, s13, 2
	v_cmp_eq_u32_e64 s7, v31, v48
	s_delay_alu instid0(VALU_DEP_2) | instskip(SKIP_2) | instid1(VALU_DEP_3)
	v_cmp_eq_u32_e64 s8, 0, v30
	v_cmp_eq_u32_e32 vcc_lo, 1, v30
	v_cmp_eq_u32_e64 s9, 2, v30
	s_and_b32 s8, s7, s8
	s_delay_alu instid0(SALU_CYCLE_1) | instskip(SKIP_4) | instid1(SALU_CYCLE_1)
	v_cndmask_b32_e64 v31, 0, 1, s8
	s_and_b32 s8, s7, vcc_lo
	v_cmp_eq_u32_e32 vcc_lo, 3, v30
	v_cndmask_b32_e64 v32, 0, 1, s8
	s_and_b32 s8, s7, s9
	v_cndmask_b32_e64 v33, 0, 1, s8
	v_cmp_ne_u32_e64 s8, 0, v31
	s_delay_alu instid0(VALU_DEP_3) | instskip(SKIP_1) | instid1(SALU_CYCLE_1)
	v_cmp_ne_u32_e64 s9, 0, v32
	s_and_b32 s7, s7, vcc_lo
	v_cndmask_b32_e64 v30, 0, 1, s7
	s_delay_alu instid0(VALU_DEP_3)
	s_bcnt1_i32_b32 s7, s8
	v_cmp_ne_u32_e64 s10, 0, v33
	v_add_co_u32 v2, vcc_lo, v2, s7
	s_bcnt1_i32_b32 s8, s9
	v_add_co_ci_u32_e32 v3, vcc_lo, 0, v3, vcc_lo
	v_add_co_u32 v4, vcc_lo, v4, s8
	v_add_co_ci_u32_e32 v5, vcc_lo, 0, v5, vcc_lo
	s_bcnt1_i32_b32 s9, s10
	v_cmp_ne_u32_e32 vcc_lo, 0, v30
	v_mov_b32_e32 v30, v12
	v_add_co_u32 v6, s7, v6, s9
	s_delay_alu instid0(VALU_DEP_1) | instskip(SKIP_1) | instid1(SALU_CYCLE_1)
	v_add_co_ci_u32_e64 v7, s7, 0, v7, s7
	s_bcnt1_i32_b32 s7, vcc_lo
	v_add_co_u32 v8, vcc_lo, v8, s7
	v_add_co_ci_u32_e32 v9, vcc_lo, 0, v9, vcc_lo
	s_and_not1_b32 exec_lo, exec_lo, s12
	s_cbranch_execz .LBB177_77
.LBB177_74:                             ;   Parent Loop BB177_31 Depth=1
                                        ; =>  This Inner Loop Header: Depth=2
	v_add_co_u32 v28, vcc_lo, v28, s26
	v_add_co_ci_u32_e32 v29, vcc_lo, 0, v29, vcc_lo
	v_mov_b32_e32 v12, 0
	s_mov_b32 s8, exec_lo
	s_delay_alu instid0(VALU_DEP_2)
	v_cmp_le_u64_e32 vcc_lo, s[36:37], v[28:29]
	v_cmpx_gt_u64_e64 s[36:37], v[28:29]
	s_cbranch_execz .LBB177_73
; %bb.75:                               ;   in Loop: Header=BB177_74 Depth=2
	v_mul_lo_u32 v12, v29, s30
	v_mul_lo_u32 v33, v28, s31
	v_mad_u64_u32 v[31:32], null, v28, s30, 0
	s_delay_alu instid0(VALU_DEP_1) | instskip(NEXT) | instid1(VALU_DEP_1)
	v_add3_u32 v32, v32, v33, v12
	v_lshlrev_b64 v[31:32], 1, v[31:32]
	s_delay_alu instid0(VALU_DEP_1) | instskip(NEXT) | instid1(VALU_DEP_1)
	v_add_co_u32 v31, s7, s80, v31
	v_add_co_ci_u32_e64 v32, s7, s81, v32, s7
	global_load_u16 v12, v[31:32], off
	s_branch .LBB177_73
.LBB177_76:                             ;   in Loop: Header=BB177_31 Depth=1
                                        ; implicit-def: $vgpr8_vgpr9
                                        ; implicit-def: $vgpr4_vgpr5
	s_cbranch_execnz .LBB177_79
	s_branch .LBB177_88
.LBB177_77:                             ;   in Loop: Header=BB177_31 Depth=1
	s_or_b32 exec_lo, exec_lo, s12
.LBB177_78:                             ;   in Loop: Header=BB177_31 Depth=1
	s_delay_alu instid0(SALU_CYCLE_1)
	s_or_b32 exec_lo, exec_lo, s11
	s_branch .LBB177_88
.LBB177_79:                             ;   in Loop: Header=BB177_31 Depth=1
	global_load_u16 v8, v13, s[62:63]
	s_mov_b64 s[72:73], 0
	s_mov_b32 s47, exec_lo
	s_waitcnt vmcnt(0)
	v_readfirstlane_b32 s7, v8
	v_and_b32_e32 v30, 0xffff, v8
	s_delay_alu instid0(VALU_DEP_2) | instskip(NEXT) | instid1(SALU_CYCLE_1)
	s_and_b32 s7, 0xffff, s7
	s_lshl_b32 s46, s7, 2
	s_delay_alu instid0(SALU_CYCLE_1) | instskip(SKIP_1) | instid1(VALU_DEP_1)
	v_cvt_f32_u32_e32 v2, s46
	s_sub_i32 s8, 0, s46
	v_rcp_iflag_f32_e32 v2, v2
	s_waitcnt_depctr 0xfff
	v_mul_f32_e32 v2, 0x4f7ffffe, v2
	s_delay_alu instid0(VALU_DEP_1) | instskip(NEXT) | instid1(VALU_DEP_1)
	v_cvt_u32_f32_e32 v2, v2
	v_readfirstlane_b32 s7, v2
	v_mov_b32_e32 v2, 0
	v_mov_b32_e32 v3, 0
	s_delay_alu instid0(VALU_DEP_3) | instskip(NEXT) | instid1(VALU_DEP_1)
	s_mul_i32 s8, s8, s7
	v_dual_mov_b32 v5, v3 :: v_dual_mov_b32 v4, v2
	s_mul_hi_u32 s8, s7, s8
	v_dual_mov_b32 v7, v3 :: v_dual_mov_b32 v6, v2
	s_add_i32 s7, s7, s8
	v_dual_mov_b32 v9, v3 :: v_dual_mov_b32 v8, v2
	s_mul_hi_u32 s7, s70, s7
	s_delay_alu instid0(SALU_CYCLE_1) | instskip(NEXT) | instid1(SALU_CYCLE_1)
	s_mul_i32 s7, s7, s46
	s_sub_i32 s7, s70, s7
	s_delay_alu instid0(SALU_CYCLE_1) | instskip(SKIP_2) | instid1(SALU_CYCLE_1)
	s_sub_i32 s8, s7, s46
	s_cmp_ge_u32 s7, s46
	s_cselect_b32 s7, s8, s7
	s_sub_i32 s8, s7, s46
	s_cmp_ge_u32 s7, s46
	s_cselect_b32 s7, s8, s7
	s_delay_alu instid0(SALU_CYCLE_1) | instskip(NEXT) | instid1(SALU_CYCLE_1)
	s_sub_i32 s60, s70, s7
	v_cmpx_gt_u32_e64 s60, v14
	s_cbranch_execz .LBB177_83
; %bb.80:                               ;   in Loop: Header=BB177_31 Depth=1
	v_dual_mov_b32 v31, v45 :: v_dual_lshlrev_b32 v12, 3, v30
	v_dual_mov_b32 v29, v15 :: v_dual_mov_b32 v28, v14
	s_and_b32 s55, s100, 0xfe
	s_mov_b32 s58, 0
	s_mov_b64 s[74:75], 0
	s_mov_b64 s[76:77], 0
	;; [unrolled: 1-line block ×3, first 2 shown]
.LBB177_81:                             ;   Parent Loop BB177_31 Depth=1
                                        ; =>  This Inner Loop Header: Depth=2
	ds_load_b64 v[2:3], v31
	v_add_co_u32 v28, vcc_lo, v28, s46
	v_add_co_ci_u32_e32 v29, vcc_lo, 0, v29, vcc_lo
	s_delay_alu instid0(VALU_DEP_1)
	v_cmp_le_u64_e32 vcc_lo, s[60:61], v[28:29]
	s_waitcnt lgkmcnt(0)
	v_bfe_i32 v4, v2, 0, 16
	v_ashrrev_i32_e32 v2, 16, v2
	v_bfe_i32 v5, v3, 0, 16
	v_ashrrev_i32_e32 v3, 16, v3
	s_delay_alu instid0(VALU_DEP_4) | instskip(NEXT) | instid1(VALU_DEP_4)
	v_add_nc_u32_e32 v4, 0x8000, v4
	v_add_nc_u32_e32 v2, 0x8000, v2
	s_delay_alu instid0(VALU_DEP_4) | instskip(NEXT) | instid1(VALU_DEP_4)
	v_add_nc_u32_e32 v5, 0x8000, v5
	v_add_nc_u32_e32 v3, 0x8000, v3
	s_delay_alu instid0(VALU_DEP_4) | instskip(NEXT) | instid1(VALU_DEP_4)
	v_and_b32_e32 v6, v4, v47
	v_and_b32_e32 v7, v2, v47
	v_bfe_u32 v4, v4, s55, 2
	v_bfe_u32 v2, v2, s55, 2
	v_and_b32_e32 v8, v5, v47
	v_bfe_u32 v5, v5, s55, 2
	v_cmp_eq_u32_e64 s7, v6, v48
	v_and_b32_e32 v6, v3, v47
	v_bfe_u32 v3, v3, s55, 2
	v_cmp_eq_u32_e64 s8, v7, v48
	v_cmp_eq_u32_e64 s11, 0, v4
	;; [unrolled: 1-line block ×7, first 2 shown]
	s_and_b32 s11, s7, s11
	s_and_b32 s12, s8, s12
	v_cmp_eq_u32_e64 s16, 1, v2
	v_cmp_eq_u32_e64 s18, 1, v3
	;; [unrolled: 1-line block ×6, first 2 shown]
	s_and_b32 s13, s9, s13
	v_cndmask_b32_e64 v2, 0, 1, s11
	v_cndmask_b32_e64 v3, 0, 1, s12
	v_cmp_eq_u32_e64 s15, 1, v4
	v_cmp_eq_u32_e64 s19, 2, v4
	;; [unrolled: 1-line block ×3, first 2 shown]
	s_and_b32 s14, s10, s14
	v_cndmask_b32_e64 v4, 0, 1, s13
	v_cmp_eq_u32_e64 s17, 1, v5
	v_cmp_eq_u32_e64 s21, 2, v5
	;; [unrolled: 1-line block ×3, first 2 shown]
	v_cndmask_b32_e64 v5, 0, 1, s14
	v_cmp_ne_u32_e64 s11, 0, v2
	v_cmp_ne_u32_e64 s12, 0, v3
	;; [unrolled: 1-line block ×3, first 2 shown]
	s_delay_alu instid0(VALU_DEP_4) | instskip(NEXT) | instid1(VALU_DEP_4)
	v_cmp_ne_u32_e64 s14, 0, v5
	s_bcnt1_i32_b32 s11, s11
	s_delay_alu instid0(VALU_DEP_3) | instskip(NEXT) | instid1(VALU_DEP_2)
	s_bcnt1_i32_b32 s12, s12
	s_bcnt1_i32_b32 s13, s13
	s_add_i32 s11, s12, s11
	s_bcnt1_i32_b32 s14, s14
	s_add_i32 s11, s11, s13
	s_delay_alu instid0(SALU_CYCLE_1) | instskip(NEXT) | instid1(SALU_CYCLE_1)
	s_add_i32 s11, s11, s14
	s_add_u32 s78, s78, s11
	s_addc_u32 s79, s79, 0
	s_and_b32 s11, s7, s15
	s_and_b32 s12, s8, s16
	;; [unrolled: 1-line block ×3, first 2 shown]
	v_cndmask_b32_e64 v2, 0, 1, s11
	v_cndmask_b32_e64 v3, 0, 1, s12
	s_and_b32 s14, s10, s18
	v_cndmask_b32_e64 v4, 0, 1, s13
	v_cndmask_b32_e64 v5, 0, 1, s14
	v_cmp_ne_u32_e64 s11, 0, v2
	v_cmp_ne_u32_e64 s12, 0, v3
	v_add_nc_u32_e32 v31, v31, v12
	v_cmp_ne_u32_e64 s13, 0, v4
	v_cmp_ne_u32_e64 s14, 0, v5
	s_bcnt1_i32_b32 s11, s11
	s_bcnt1_i32_b32 s12, s12
	s_delay_alu instid0(VALU_DEP_2) | instskip(SKIP_3) | instid1(SALU_CYCLE_1)
	s_bcnt1_i32_b32 s13, s13
	s_add_i32 s11, s12, s11
	s_bcnt1_i32_b32 s14, s14
	s_add_i32 s11, s11, s13
	s_add_i32 s11, s11, s14
	s_delay_alu instid0(SALU_CYCLE_1)
	s_add_u32 s76, s76, s11
	s_addc_u32 s77, s77, 0
	s_and_b32 s11, s7, s19
	s_and_b32 s12, s8, s20
	;; [unrolled: 1-line block ×3, first 2 shown]
	v_cndmask_b32_e64 v2, 0, 1, s11
	v_cndmask_b32_e64 v3, 0, 1, s12
	s_and_b32 s14, s10, s22
	v_cndmask_b32_e64 v4, 0, 1, s13
	v_cndmask_b32_e64 v5, 0, 1, s14
	v_cmp_ne_u32_e64 s11, 0, v2
	v_cmp_ne_u32_e64 s12, 0, v3
	s_delay_alu instid0(VALU_DEP_4) | instskip(NEXT) | instid1(VALU_DEP_4)
	v_cmp_ne_u32_e64 s13, 0, v4
	v_cmp_ne_u32_e64 s14, 0, v5
	s_delay_alu instid0(VALU_DEP_4) | instskip(NEXT) | instid1(VALU_DEP_3)
	s_bcnt1_i32_b32 s11, s11
	s_bcnt1_i32_b32 s12, s12
	s_delay_alu instid0(VALU_DEP_2) | instskip(SKIP_3) | instid1(SALU_CYCLE_1)
	s_bcnt1_i32_b32 s13, s13
	s_add_i32 s11, s12, s11
	s_bcnt1_i32_b32 s14, s14
	s_add_i32 s11, s11, s13
	s_add_i32 s11, s11, s14
	s_delay_alu instid0(SALU_CYCLE_1)
	s_add_u32 s74, s74, s11
	s_addc_u32 s75, s75, 0
	s_and_b32 s7, s7, s23
	s_and_b32 s8, s8, s24
	;; [unrolled: 1-line block ×3, first 2 shown]
	v_cndmask_b32_e64 v2, 0, 1, s7
	v_cndmask_b32_e64 v3, 0, 1, s8
	s_and_b32 s10, s10, s26
	v_cndmask_b32_e64 v4, 0, 1, s9
	v_cndmask_b32_e64 v5, 0, 1, s10
	v_cmp_ne_u32_e64 s7, 0, v2
	v_cmp_ne_u32_e64 s8, 0, v3
	v_mov_b32_e32 v2, s78
	v_cmp_ne_u32_e64 s9, 0, v4
	v_cmp_ne_u32_e64 s10, 0, v5
	s_bcnt1_i32_b32 s7, s7
	s_bcnt1_i32_b32 s8, s8
	v_mov_b32_e32 v4, s76
	s_bcnt1_i32_b32 s9, s9
	s_add_i32 s7, s8, s7
	s_bcnt1_i32_b32 s8, s10
	s_add_i32 s7, s7, s9
	v_mov_b32_e32 v6, s74
	s_add_i32 s7, s7, s8
	v_mov_b32_e32 v3, s79
	s_add_u32 s72, s72, s7
	s_addc_u32 s73, s73, 0
	v_dual_mov_b32 v8, s72 :: v_dual_mov_b32 v5, s77
	v_mov_b32_e32 v7, s75
	v_mov_b32_e32 v9, s73
	s_or_b32 s58, vcc_lo, s58
	s_delay_alu instid0(SALU_CYCLE_1)
	s_and_not1_b32 exec_lo, exec_lo, s58
	s_cbranch_execnz .LBB177_81
; %bb.82:                               ;   in Loop: Header=BB177_31 Depth=1
	s_or_b32 exec_lo, exec_lo, s58
.LBB177_83:                             ;   in Loop: Header=BB177_31 Depth=1
	s_delay_alu instid0(SALU_CYCLE_1) | instskip(SKIP_2) | instid1(VALU_DEP_1)
	s_or_b32 exec_lo, exec_lo, s47
	v_add_nc_u32_e32 v12, s60, v0
	s_mov_b32 s14, exec_lo
	v_cmpx_gt_u32_e64 s70, v12
	s_cbranch_execz .LBB177_87
; %bb.84:                               ;   in Loop: Header=BB177_31 Depth=1
	v_dual_mov_b32 v29, v13 :: v_dual_lshlrev_b32 v32, 1, v30
	v_dual_mov_b32 v28, v12 :: v_dual_lshlrev_b32 v31, 1, v12
	s_mov_b32 s13, 0
	s_and_b32 s12, s70, 0x7fffffff
	s_and_b32 s16, s100, 0xfe
	s_mov_b32 s15, s13
.LBB177_85:                             ;   Parent Loop BB177_31 Depth=1
                                        ; =>  This Inner Loop Header: Depth=2
	ds_load_i16 v12, v31
	v_add_co_u32 v28, vcc_lo, v28, v30
	v_add_co_ci_u32_e32 v29, vcc_lo, 0, v29, vcc_lo
	v_add_nc_u32_e32 v31, v31, v32
	s_delay_alu instid0(VALU_DEP_2) | instskip(SKIP_2) | instid1(VALU_DEP_1)
	v_cmp_le_u64_e32 vcc_lo, s[12:13], v[28:29]
	s_waitcnt lgkmcnt(0)
	v_add_nc_u32_e32 v12, 0x8000, v12
	v_and_b32_e32 v33, v12, v47
	v_bfe_u32 v12, v12, s16, 2
	s_delay_alu instid0(VALU_DEP_2) | instskip(NEXT) | instid1(VALU_DEP_2)
	v_cmp_eq_u32_e64 s7, v33, v48
	v_cmp_eq_u32_e64 s8, 0, v12
	;; [unrolled: 1-line block ×5, first 2 shown]
	s_delay_alu instid0(VALU_DEP_4) | instskip(NEXT) | instid1(SALU_CYCLE_1)
	s_and_b32 s8, s7, s8
	v_cndmask_b32_e64 v12, 0, 1, s8
	s_and_b32 s8, s7, s9
	s_delay_alu instid0(SALU_CYCLE_1)
	v_cndmask_b32_e64 v33, 0, 1, s8
	s_and_b32 s8, s7, s10
	s_and_b32 s7, s7, s11
	v_cndmask_b32_e64 v34, 0, 1, s8
	v_cndmask_b32_e64 v35, 0, 1, s7
	v_cmp_ne_u32_e64 s7, 0, v12
	v_cmp_ne_u32_e64 s8, 0, v33
	s_delay_alu instid0(VALU_DEP_4) | instskip(NEXT) | instid1(VALU_DEP_4)
	v_cmp_ne_u32_e64 s9, 0, v34
	v_cmp_ne_u32_e64 s10, 0, v35
	s_delay_alu instid0(VALU_DEP_4) | instskip(NEXT) | instid1(VALU_DEP_3)
	s_bcnt1_i32_b32 s7, s7
	s_bcnt1_i32_b32 s8, s8
	v_add_co_u32 v2, s7, v2, s7
	s_delay_alu instid0(VALU_DEP_1)
	v_add_co_ci_u32_e64 v3, s7, 0, v3, s7
	v_add_co_u32 v4, s7, v4, s8
	s_bcnt1_i32_b32 s9, s9
	v_add_co_ci_u32_e64 v5, s7, 0, v5, s7
	v_add_co_u32 v6, s7, v6, s9
	s_bcnt1_i32_b32 s10, s10
	v_add_co_ci_u32_e64 v7, s7, 0, v7, s7
	v_add_co_u32 v8, s7, v8, s10
	s_delay_alu instid0(VALU_DEP_1) | instskip(SKIP_1) | instid1(SALU_CYCLE_1)
	v_add_co_ci_u32_e64 v9, s7, 0, v9, s7
	s_or_b32 s15, vcc_lo, s15
	s_and_not1_b32 exec_lo, exec_lo, s15
	s_cbranch_execnz .LBB177_85
; %bb.86:                               ;   in Loop: Header=BB177_31 Depth=1
	s_or_b32 exec_lo, exec_lo, s15
.LBB177_87:                             ;   in Loop: Header=BB177_31 Depth=1
	s_delay_alu instid0(SALU_CYCLE_1)
	s_or_b32 exec_lo, exec_lo, s14
.LBB177_88:                             ;   in Loop: Header=BB177_31 Depth=1
	s_lshl_b32 s7, s96, 7
	s_and_saveexec_b32 s8, s2
	s_cbranch_execz .LBB177_90
; %bb.89:                               ;   in Loop: Header=BB177_31 Depth=1
	v_or_b32_e32 v12, s7, v42
	s_delay_alu instid0(VALU_DEP_1)
	v_lshlrev_b32_e32 v12, 3, v12
	ds_store_b128 v12, v[2:5] offset:3072
	ds_store_b128 v12, v[6:9] offset:3088
.LBB177_90:                             ;   in Loop: Header=BB177_31 Depth=1
	s_or_b32 exec_lo, exec_lo, s8
	s_waitcnt vmcnt(0) lgkmcnt(0)
	s_barrier
	buffer_gl0_inv
	s_and_saveexec_b32 s8, s83
	s_cbranch_execz .LBB177_101
; %bb.91:                               ;   in Loop: Header=BB177_31 Depth=1
	v_mov_b32_e32 v2, 0
	v_mov_b32_e32 v3, 0
	s_and_not1_b32 vcc_lo, exec_lo, s91
	s_cbranch_vccnz .LBB177_100
; %bb.92:                               ;   in Loop: Header=BB177_31 Depth=1
	v_mov_b32_e32 v2, 0
	v_mov_b32_e32 v3, 0
	s_and_not1_b32 vcc_lo, exec_lo, s89
	s_cbranch_vccnz .LBB177_97
; %bb.93:                               ;   in Loop: Header=BB177_31 Depth=1
	v_lshl_add_u32 v4, s96, 10, v46
	s_mov_b32 s9, 0
	s_set_inst_prefetch_distance 0x1
	.p2align	6
.LBB177_94:                             ;   Parent Loop BB177_31 Depth=1
                                        ; =>  This Inner Loop Header: Depth=2
	ds_load_2addr_b64 v[5:8], v4 offset1:4
	ds_load_2addr_b64 v[28:31], v4 offset0:8 offset1:12
	ds_load_2addr_b64 v[32:35], v4 offset0:16 offset1:20
	s_add_i32 s9, s9, 8
	s_delay_alu instid0(SALU_CYCLE_1) | instskip(SKIP_3) | instid1(VALU_DEP_2)
	s_cmp_eq_u32 s90, s9
	s_waitcnt lgkmcnt(2)
	v_add_co_u32 v2, vcc_lo, v5, v2
	v_add_co_ci_u32_e32 v3, vcc_lo, v6, v3, vcc_lo
	v_add_co_u32 v2, vcc_lo, v7, v2
	s_delay_alu instid0(VALU_DEP_2)
	v_add_co_ci_u32_e32 v3, vcc_lo, v8, v3, vcc_lo
	ds_load_2addr_b64 v[5:8], v4 offset0:24 offset1:28
	s_waitcnt lgkmcnt(2)
	v_add_co_u32 v2, vcc_lo, v28, v2
	v_add_co_ci_u32_e32 v3, vcc_lo, v29, v3, vcc_lo
	v_add_nc_u32_e32 v4, 0x100, v4
	s_delay_alu instid0(VALU_DEP_3) | instskip(NEXT) | instid1(VALU_DEP_3)
	v_add_co_u32 v2, vcc_lo, v30, v2
	v_add_co_ci_u32_e32 v3, vcc_lo, v31, v3, vcc_lo
	s_waitcnt lgkmcnt(1)
	s_delay_alu instid0(VALU_DEP_2) | instskip(NEXT) | instid1(VALU_DEP_2)
	v_add_co_u32 v2, vcc_lo, v32, v2
	v_add_co_ci_u32_e32 v3, vcc_lo, v33, v3, vcc_lo
	s_delay_alu instid0(VALU_DEP_2) | instskip(NEXT) | instid1(VALU_DEP_2)
	v_add_co_u32 v2, vcc_lo, v34, v2
	v_add_co_ci_u32_e32 v3, vcc_lo, v35, v3, vcc_lo
	s_waitcnt lgkmcnt(0)
	s_delay_alu instid0(VALU_DEP_2) | instskip(NEXT) | instid1(VALU_DEP_2)
	v_add_co_u32 v2, vcc_lo, v5, v2
	v_add_co_ci_u32_e32 v3, vcc_lo, v6, v3, vcc_lo
	s_delay_alu instid0(VALU_DEP_2) | instskip(NEXT) | instid1(VALU_DEP_2)
	v_add_co_u32 v2, vcc_lo, v7, v2
	v_add_co_ci_u32_e32 v3, vcc_lo, v8, v3, vcc_lo
	s_cbranch_scc0 .LBB177_94
; %bb.95:                               ;   in Loop: Header=BB177_31 Depth=1
	s_set_inst_prefetch_distance 0x2
	s_mov_b32 s9, s90
	s_and_not1_b32 vcc_lo, exec_lo, s92
	s_cbranch_vccz .LBB177_98
	s_branch .LBB177_100
.LBB177_96:                             ;   in Loop: Header=BB177_31 Depth=1
                                        ; implicit-def: $vgpr2_vgpr3
	s_branch .LBB177_64
.LBB177_97:                             ;   in Loop: Header=BB177_31 Depth=1
	s_mov_b32 s9, 0
	s_and_not1_b32 vcc_lo, exec_lo, s92
	s_cbranch_vccnz .LBB177_100
.LBB177_98:                             ;   in Loop: Header=BB177_31 Depth=1
	s_lshl_b32 s10, s96, 10
	s_lshl_b32 s9, s9, 5
	s_delay_alu instid0(SALU_CYCLE_1)
	v_add3_u32 v4, s10, s9, v46
	s_mov_b32 s9, s88
.LBB177_99:                             ;   Parent Loop BB177_31 Depth=1
                                        ; =>  This Inner Loop Header: Depth=2
	ds_load_b64 v[5:6], v4
	v_add_nc_u32_e32 v4, 32, v4
	s_add_i32 s9, s9, -1
	s_delay_alu instid0(SALU_CYCLE_1)
	s_cmp_lg_u32 s9, 0
	s_waitcnt lgkmcnt(0)
	v_add_co_u32 v2, vcc_lo, v5, v2
	v_add_co_ci_u32_e32 v3, vcc_lo, v6, v3, vcc_lo
	s_cbranch_scc1 .LBB177_99
.LBB177_100:                            ;   in Loop: Header=BB177_31 Depth=1
	v_add_lshl_u32 v4, s7, v41, 3
	ds_store_b64 v4, v[2:3] offset:3072
.LBB177_101:                            ;   in Loop: Header=BB177_31 Depth=1
	s_or_b32 exec_lo, exec_lo, s8
	s_lshl_b32 s7, s7, 3
	s_waitcnt lgkmcnt(0)
	v_mov_b32_e32 v6, s7
	s_barrier
	buffer_gl0_inv
	s_and_b32 s22, s100, 0xfe
	v_cmp_eq_u64_e64 s7, 1, v[26:27]
	ds_load_b128 v[2:5], v6 offset:3072
	ds_load_b128 v[6:9], v6 offset:3088
	s_lshl_b32 s20, 3, s22
	s_and_not1_b32 vcc_lo, exec_lo, s82
	s_not_b32 s21, s20
	s_waitcnt lgkmcnt(1)
	v_readfirstlane_b32 s11, v3
	v_readfirstlane_b32 s10, v2
	;; [unrolled: 1-line block ×4, first 2 shown]
	s_waitcnt lgkmcnt(0)
	v_readfirstlane_b32 s15, v7
	v_readfirstlane_b32 s14, v6
	v_readfirstlane_b32 s17, v9
	v_readfirstlane_b32 s16, v8
	s_cbranch_vccnz .LBB177_117
; %bb.102:                              ;   in Loop: Header=BB177_31 Depth=1
	s_cmp_eq_u64 s[10:11], 1
	v_dual_mov_b32 v28, v48 :: v_dual_mov_b32 v29, v47
	v_mov_b32_e32 v30, v49
	s_cselect_b32 s8, -1, 0
                                        ; implicit-def: $sgpr23
                                        ; implicit-def: $sgpr60
                                        ; implicit-def: $sgpr55
	s_delay_alu instid0(SALU_CYCLE_1)
	s_and_b32 s58, s8, s7
	s_mov_b32 s8, -1
	s_and_saveexec_b32 s24, s58
	s_cbranch_execz .LBB177_136
; %bb.103:                              ;   in Loop: Header=BB177_31 Depth=1
	ds_load_b64 v[2:3], v13 offset:5120
	s_waitcnt lgkmcnt(0)
	s_barrier
	buffer_gl0_inv
	v_readfirstlane_b32 s18, v2
	v_readfirstlane_b32 s19, v3
	s_and_saveexec_b32 s8, s6
	s_cbranch_execz .LBB177_105
; %bb.104:                              ;   in Loop: Header=BB177_31 Depth=1
	ds_store_b16 v44, v13
.LBB177_105:                            ;   in Loop: Header=BB177_31 Depth=1
	s_or_b32 exec_lo, exec_lo, s8
	v_and_b32_e32 v28, s21, v48
	v_or_b32_e32 v29, s20, v47
	s_cmp_eq_u64 s[18:19], 0
	s_waitcnt lgkmcnt(0)
	s_barrier
	buffer_gl0_inv
	s_cbranch_scc1 .LBB177_119
; %bb.106:                              ;   in Loop: Header=BB177_31 Depth=1
	s_add_u32 s23, s85, s18
	s_addc_u32 s9, s86, s19
	s_mov_b32 s8, s61
	s_delay_alu instid0(SALU_CYCLE_1)
	s_cmp_lg_u64 s[8:9], 0
	s_cbranch_scc0 .LBB177_163
; %bb.107:                              ;   in Loop: Header=BB177_31 Depth=1
	v_cvt_f32_u32_e32 v2, s33
	s_sub_u32 s25, 0, s33
	s_subb_u32 s26, 0, 0
	s_delay_alu instid0(VALU_DEP_1) | instskip(NEXT) | instid1(VALU_DEP_1)
	v_fmac_f32_e64 v2, 0, 0x4f800000
	v_rcp_f32_e32 v2, v2
	s_waitcnt_depctr 0xfff
	v_mul_f32_e32 v2, 0x5f7ffffc, v2
	s_delay_alu instid0(VALU_DEP_1) | instskip(NEXT) | instid1(VALU_DEP_1)
	v_mul_f32_e32 v3, 0x2f800000, v2
	v_trunc_f32_e32 v3, v3
	s_delay_alu instid0(VALU_DEP_1) | instskip(SKIP_1) | instid1(VALU_DEP_2)
	v_fmac_f32_e32 v2, 0xcf800000, v3
	v_cvt_u32_f32_e32 v3, v3
	v_cvt_u32_f32_e32 v2, v2
	s_delay_alu instid0(VALU_DEP_2) | instskip(NEXT) | instid1(VALU_DEP_2)
	v_readfirstlane_b32 s3, v3
	v_readfirstlane_b32 s8, v2
	s_delay_alu instid0(VALU_DEP_2) | instskip(NEXT) | instid1(VALU_DEP_1)
	s_mul_i32 s42, s25, s3
	s_mul_hi_u32 s46, s25, s8
	s_mul_i32 s43, s26, s8
	s_add_i32 s42, s46, s42
	s_mul_i32 s47, s25, s8
	s_add_i32 s42, s42, s43
	s_mul_hi_u32 s46, s8, s47
	s_mul_hi_u32 s50, s3, s47
	s_mul_i32 s43, s3, s47
	s_mul_hi_u32 s47, s8, s42
	s_mul_i32 s8, s8, s42
	s_mul_hi_u32 s51, s3, s42
	s_add_u32 s8, s46, s8
	s_addc_u32 s46, 0, s47
	s_add_u32 s8, s8, s43
	s_mul_i32 s42, s3, s42
	s_addc_u32 s8, s46, s50
	s_addc_u32 s43, s51, 0
	s_add_u32 s8, s8, s42
	s_addc_u32 s42, 0, s43
	v_add_co_u32 v2, s8, v2, s8
	s_delay_alu instid0(VALU_DEP_1) | instskip(SKIP_1) | instid1(VALU_DEP_1)
	s_cmp_lg_u32 s8, 0
	s_addc_u32 s3, s3, s42
	v_readfirstlane_b32 s8, v2
	s_mul_i32 s42, s25, s3
	s_delay_alu instid0(VALU_DEP_1)
	s_mul_hi_u32 s43, s25, s8
	s_mul_i32 s26, s26, s8
	s_add_i32 s42, s43, s42
	s_mul_i32 s25, s25, s8
	s_add_i32 s42, s42, s26
	s_mul_hi_u32 s43, s3, s25
	s_mul_i32 s46, s3, s25
	s_mul_hi_u32 s25, s8, s25
	s_mul_hi_u32 s47, s8, s42
	s_mul_i32 s8, s8, s42
	s_mul_hi_u32 s26, s3, s42
	s_add_u32 s8, s25, s8
	s_addc_u32 s25, 0, s47
	s_add_u32 s8, s8, s46
	s_mul_i32 s42, s3, s42
	s_addc_u32 s8, s25, s43
	s_addc_u32 s25, s26, 0
	s_add_u32 s8, s8, s42
	s_addc_u32 s25, 0, s25
	v_add_co_u32 v2, s8, v2, s8
	s_delay_alu instid0(VALU_DEP_1) | instskip(SKIP_1) | instid1(VALU_DEP_1)
	s_cmp_lg_u32 s8, 0
	s_addc_u32 s3, s3, s25
	v_readfirstlane_b32 s8, v2
	s_mul_i32 s26, s23, s3
	s_mul_hi_u32 s25, s23, s3
	s_mul_hi_u32 s42, s9, s3
	s_mul_i32 s3, s9, s3
	s_mul_hi_u32 s43, s23, s8
	s_mul_hi_u32 s46, s9, s8
	s_mul_i32 s8, s9, s8
	s_add_u32 s26, s43, s26
	s_addc_u32 s25, 0, s25
	s_add_u32 s8, s26, s8
	s_addc_u32 s8, s25, s46
	s_addc_u32 s25, s42, 0
	s_add_u32 s3, s8, s3
	s_addc_u32 s8, 0, s25
	s_mul_hi_u32 s25, s33, s3
	s_mul_i32 s3, s33, s3
	s_mul_i32 s8, s33, s8
	v_sub_co_u32 v2, s3, s23, s3
	s_add_i32 s25, s25, s8
	s_cmp_lg_u32 s3, 0
	s_delay_alu instid0(VALU_DEP_1) | instskip(SKIP_2) | instid1(VALU_DEP_1)
	v_sub_co_u32 v3, s3, v2, s33
	s_subb_u32 s25, s9, s25
	s_cmp_lg_u32 s3, 0
	v_cmp_le_u32_e32 vcc_lo, s33, v3
	v_sub_co_u32 v4, s3, v3, s33
	s_subb_u32 s26, s25, 0
	s_cmp_lg_u32 s3, 0
	v_cndmask_b32_e64 v5, 0, -1, vcc_lo
	s_subb_u32 s3, s26, 0
	s_cmp_eq_u32 s26, 0
	v_mov_b32_e32 v7, s3
	s_cselect_b32 vcc_lo, -1, 0
	s_cmp_eq_u32 s25, 0
	v_cndmask_b32_e32 v5, -1, v5, vcc_lo
	v_cmp_le_u32_e32 vcc_lo, s33, v2
	s_cselect_b32 s8, -1, 0
	v_cndmask_b32_e64 v6, 0, -1, vcc_lo
	s_delay_alu instid0(VALU_DEP_3) | instskip(NEXT) | instid1(VALU_DEP_2)
	v_cmp_ne_u32_e32 vcc_lo, 0, v5
	v_cndmask_b32_e64 v5, -1, v6, s8
	v_cndmask_b32_e32 v6, s26, v7, vcc_lo
	v_cndmask_b32_e32 v4, v3, v4, vcc_lo
	s_delay_alu instid0(VALU_DEP_3) | instskip(NEXT) | instid1(VALU_DEP_3)
	v_cmp_ne_u32_e32 vcc_lo, 0, v5
	v_cndmask_b32_e32 v3, s25, v6, vcc_lo
	s_delay_alu instid0(VALU_DEP_3)
	v_cndmask_b32_e32 v2, v2, v4, vcc_lo
	s_cbranch_execnz .LBB177_109
.LBB177_108:                            ;   in Loop: Header=BB177_31 Depth=1
	v_cvt_f32_u32_e32 v2, s33
	s_sub_i32 s3, 0, s33
	s_delay_alu instid0(VALU_DEP_1) | instskip(SKIP_2) | instid1(VALU_DEP_1)
	v_rcp_iflag_f32_e32 v2, v2
	s_waitcnt_depctr 0xfff
	v_mul_f32_e32 v2, 0x4f7ffffe, v2
	v_cvt_u32_f32_e32 v2, v2
	s_delay_alu instid0(VALU_DEP_1) | instskip(NEXT) | instid1(VALU_DEP_1)
	v_mul_lo_u32 v3, s3, v2
	v_mul_hi_u32 v3, v2, v3
	s_delay_alu instid0(VALU_DEP_1) | instskip(NEXT) | instid1(VALU_DEP_1)
	v_add_nc_u32_e32 v2, v2, v3
	v_mul_hi_u32 v2, s23, v2
	s_delay_alu instid0(VALU_DEP_1) | instskip(NEXT) | instid1(VALU_DEP_1)
	v_mul_lo_u32 v2, v2, s33
	v_sub_nc_u32_e32 v2, s23, v2
	s_delay_alu instid0(VALU_DEP_1) | instskip(SKIP_1) | instid1(VALU_DEP_2)
	v_subrev_nc_u32_e32 v3, s33, v2
	v_cmp_le_u32_e32 vcc_lo, s33, v2
	v_cndmask_b32_e32 v2, v2, v3, vcc_lo
	s_delay_alu instid0(VALU_DEP_1) | instskip(SKIP_1) | instid1(VALU_DEP_2)
	v_subrev_nc_u32_e32 v3, s33, v2
	v_cmp_le_u32_e32 vcc_lo, s33, v2
	v_cndmask_b32_e32 v12, v2, v3, vcc_lo
	s_delay_alu instid0(VALU_DEP_1)
	v_dual_mov_b32 v2, v12 :: v_dual_mov_b32 v3, v13
.LBB177_109:                            ;   in Loop: Header=BB177_31 Depth=1
	s_delay_alu instid0(VALU_DEP_1) | instskip(NEXT) | instid1(VALU_DEP_2)
	v_sub_co_u32 v2, vcc_lo, s23, v2
	v_sub_co_ci_u32_e32 v3, vcc_lo, s9, v3, vcc_lo
	s_mov_b32 s8, 0
	s_mov_b32 s9, exec_lo
                                        ; implicit-def: $vgpr30
	s_delay_alu instid0(VALU_DEP_1)
	v_cmpx_gt_u64_e64 v[2:3], v[0:1]
	s_cbranch_execz .LBB177_121
; %bb.110:                              ;   in Loop: Header=BB177_31 Depth=1
	v_dual_mov_b32 v6, v43 :: v_dual_mov_b32 v5, v1
	v_mov_b32_e32 v4, v0
	s_mov_b32 s23, 0
                                        ; implicit-def: $sgpr25
	s_set_inst_prefetch_distance 0x1
	s_branch .LBB177_112
	.p2align	6
.LBB177_111:                            ;   in Loop: Header=BB177_112 Depth=2
	s_or_b32 exec_lo, exec_lo, s8
	s_waitcnt lgkmcnt(0)
	s_barrier
	buffer_gl0_inv
	ds_load_b32 v7, v13 offset:3072
	v_add_co_u32 v4, vcc_lo, v4, s33
	v_add_co_ci_u32_e32 v5, vcc_lo, 0, v5, vcc_lo
	v_add_nc_u32_e32 v6, s93, v6
	s_waitcnt lgkmcnt(0)
	s_barrier
	s_delay_alu instid0(VALU_DEP_2) | instskip(SKIP_2) | instid1(VALU_DEP_1)
	v_cmp_ge_u64_e32 vcc_lo, v[4:5], v[2:3]
	buffer_gl0_inv
	v_cmp_ne_u16_e64 s8, 0, v7
	s_or_b32 s3, vcc_lo, s8
	s_delay_alu instid0(SALU_CYCLE_1) | instskip(NEXT) | instid1(SALU_CYCLE_1)
	s_and_b32 s3, exec_lo, s3
	s_or_b32 s23, s3, s23
	s_and_not1_b32 s3, s25, exec_lo
	s_and_b32 s8, s8, exec_lo
	s_delay_alu instid0(SALU_CYCLE_1)
	s_or_b32 s25, s3, s8
	s_and_not1_b32 exec_lo, exec_lo, s23
	s_cbranch_execz .LBB177_120
.LBB177_112:                            ;   Parent Loop BB177_31 Depth=1
                                        ; =>  This Inner Loop Header: Depth=2
	s_delay_alu instid0(VALU_DEP_1)
	v_cmp_gt_u64_e32 vcc_lo, s[18:19], v[4:5]
	v_mov_b32_e32 v7, 0
	s_and_saveexec_b32 s8, vcc_lo
	s_cbranch_execz .LBB177_114
; %bb.113:                              ;   in Loop: Header=BB177_112 Depth=2
	ds_load_u16 v7, v6
.LBB177_114:                            ;   in Loop: Header=BB177_112 Depth=2
	s_or_b32 exec_lo, exec_lo, s8
	s_and_saveexec_b32 s8, vcc_lo
	s_cbranch_execz .LBB177_111
; %bb.115:                              ;   in Loop: Header=BB177_112 Depth=2
	s_waitcnt lgkmcnt(0)
	v_bfe_i32 v8, v7, 0, 16
	s_delay_alu instid0(VALU_DEP_1) | instskip(NEXT) | instid1(VALU_DEP_1)
	v_add_nc_u32_e32 v8, 0x8000, v8
	v_and_b32_e32 v8, v8, v29
	s_delay_alu instid0(VALU_DEP_1)
	v_cmp_eq_u32_e32 vcc_lo, v8, v28
	s_and_b32 exec_lo, exec_lo, vcc_lo
	s_cbranch_execz .LBB177_111
; %bb.116:                              ;   in Loop: Header=BB177_112 Depth=2
	v_perm_b32 v7, v7, 1, 0x5040100
	ds_store_b32 v13, v7 offset:3072
	s_branch .LBB177_111
.LBB177_117:                            ;   in Loop: Header=BB177_31 Depth=1
	s_mov_b32 s25, 0
	s_mov_b32 s24, 0
                                        ; implicit-def: $sgpr55
                                        ; implicit-def: $sgpr60
                                        ; implicit-def: $sgpr23
                                        ; implicit-def: $vgpr6
                                        ; implicit-def: $vgpr2_vgpr3
                                        ; implicit-def: $vgpr28
                                        ; implicit-def: $vgpr29
                                        ; implicit-def: $vgpr30
	s_cbranch_execnz .LBB177_300
.LBB177_118:                            ;   in Loop: Header=BB177_31 Depth=1
	s_mov_b32 s18, s23
	s_mov_b32 s19, s23
	s_and_saveexec_b32 s7, s25
	s_cbranch_execnz .LBB177_496
	s_branch .LBB177_497
.LBB177_119:                            ;   in Loop: Header=BB177_31 Depth=1
	s_mov_b32 s23, -1
	s_mov_b32 s8, 0
                                        ; implicit-def: $sgpr55
                                        ; implicit-def: $vgpr30
	s_mov_b32 s60, s23
	s_cbranch_execnz .LBB177_122
	s_branch .LBB177_135
.LBB177_120:                            ;   in Loop: Header=BB177_31 Depth=1
	s_set_inst_prefetch_distance 0x2
	s_or_b32 exec_lo, exec_lo, s23
	v_lshrrev_b32_e32 v30, 16, v7
	s_and_b32 s8, s25, exec_lo
.LBB177_121:                            ;   in Loop: Header=BB177_31 Depth=1
	s_or_b32 exec_lo, exec_lo, s9
	s_mov_b32 s55, -1
	s_mov_b32 s23, 0
	s_delay_alu instid0(SALU_CYCLE_1)
	s_mov_b32 s60, s23
	s_branch .LBB177_135
.LBB177_122:                            ;   in Loop: Header=BB177_31 Depth=1
	s_mov_b32 s26, s61
	s_delay_alu instid0(SALU_CYCLE_1)
	s_cmp_lg_u64 s[26:27], 0
	s_cbranch_scc0 .LBB177_164
; %bb.123:                              ;   in Loop: Header=BB177_31 Depth=1
	v_cvt_f32_u32_e32 v2, s33
	s_sub_u32 s9, 0, s33
	s_subb_u32 s18, 0, 0
	s_delay_alu instid0(VALU_DEP_1) | instskip(NEXT) | instid1(VALU_DEP_1)
	v_fmac_f32_e64 v2, 0, 0x4f800000
	v_rcp_f32_e32 v2, v2
	s_waitcnt_depctr 0xfff
	v_mul_f32_e32 v2, 0x5f7ffffc, v2
	s_delay_alu instid0(VALU_DEP_1) | instskip(NEXT) | instid1(VALU_DEP_1)
	v_mul_f32_e32 v3, 0x2f800000, v2
	v_trunc_f32_e32 v3, v3
	s_delay_alu instid0(VALU_DEP_1) | instskip(SKIP_1) | instid1(VALU_DEP_2)
	v_fmac_f32_e32 v2, 0xcf800000, v3
	v_cvt_u32_f32_e32 v3, v3
	v_cvt_u32_f32_e32 v2, v2
	s_delay_alu instid0(VALU_DEP_2) | instskip(NEXT) | instid1(VALU_DEP_2)
	v_readfirstlane_b32 s3, v3
	v_readfirstlane_b32 s8, v2
	s_delay_alu instid0(VALU_DEP_2) | instskip(NEXT) | instid1(VALU_DEP_1)
	s_mul_i32 s19, s9, s3
	s_mul_hi_u32 s25, s9, s8
	s_mul_i32 s23, s18, s8
	s_add_i32 s19, s25, s19
	s_mul_i32 s26, s9, s8
	s_add_i32 s19, s19, s23
	s_mul_hi_u32 s25, s8, s26
	s_mul_hi_u32 s42, s3, s26
	s_mul_i32 s23, s3, s26
	s_mul_hi_u32 s26, s8, s19
	s_mul_i32 s8, s8, s19
	s_mul_hi_u32 s43, s3, s19
	s_add_u32 s8, s25, s8
	s_addc_u32 s25, 0, s26
	s_add_u32 s8, s8, s23
	s_mul_i32 s19, s3, s19
	s_addc_u32 s8, s25, s42
	s_addc_u32 s23, s43, 0
	s_add_u32 s8, s8, s19
	s_addc_u32 s19, 0, s23
	v_add_co_u32 v2, s8, v2, s8
	s_delay_alu instid0(VALU_DEP_1) | instskip(SKIP_1) | instid1(VALU_DEP_1)
	s_cmp_lg_u32 s8, 0
	s_addc_u32 s3, s3, s19
	v_readfirstlane_b32 s8, v2
	s_mul_i32 s19, s9, s3
	s_delay_alu instid0(VALU_DEP_1)
	s_mul_hi_u32 s23, s9, s8
	s_mul_i32 s18, s18, s8
	s_add_i32 s19, s23, s19
	s_mul_i32 s9, s9, s8
	s_add_i32 s19, s19, s18
	s_mul_hi_u32 s23, s3, s9
	s_mul_i32 s25, s3, s9
	s_mul_hi_u32 s9, s8, s9
	s_mul_hi_u32 s26, s8, s19
	s_mul_i32 s8, s8, s19
	s_mul_hi_u32 s18, s3, s19
	s_add_u32 s8, s9, s8
	s_addc_u32 s9, 0, s26
	s_add_u32 s8, s8, s25
	s_mul_i32 s19, s3, s19
	s_addc_u32 s8, s9, s23
	s_addc_u32 s9, s18, 0
	s_add_u32 s8, s8, s19
	s_addc_u32 s9, 0, s9
	v_add_co_u32 v2, s8, v2, s8
	s_delay_alu instid0(VALU_DEP_1) | instskip(SKIP_1) | instid1(VALU_DEP_1)
	s_cmp_lg_u32 s8, 0
	s_addc_u32 s3, s3, s9
	v_readfirstlane_b32 s8, v2
	s_mul_i32 s18, s87, s3
	s_mul_hi_u32 s9, s87, s3
	s_mul_hi_u32 s19, s27, s3
	s_mul_i32 s3, s27, s3
	s_mul_hi_u32 s23, s87, s8
	s_mul_hi_u32 s25, s27, s8
	s_mul_i32 s8, s27, s8
	s_add_u32 s18, s23, s18
	s_addc_u32 s9, 0, s9
	s_add_u32 s8, s18, s8
	s_addc_u32 s8, s9, s25
	s_addc_u32 s9, s19, 0
	s_add_u32 s3, s8, s3
	s_addc_u32 s8, 0, s9
	s_mul_hi_u32 s9, s33, s3
	s_mul_i32 s3, s33, s3
	s_mul_i32 s8, s33, s8
	v_sub_co_u32 v2, s3, s87, s3
	s_add_i32 s9, s9, s8
	s_cmp_lg_u32 s3, 0
	s_delay_alu instid0(VALU_DEP_1) | instskip(SKIP_2) | instid1(VALU_DEP_1)
	v_sub_co_u32 v3, s3, v2, s33
	s_subb_u32 s9, s27, s9
	s_cmp_lg_u32 s3, 0
	v_cmp_le_u32_e32 vcc_lo, s33, v3
	v_sub_co_u32 v4, s3, v3, s33
	s_subb_u32 s18, s9, 0
	s_cmp_lg_u32 s3, 0
	v_cndmask_b32_e64 v5, 0, -1, vcc_lo
	s_subb_u32 s3, s18, 0
	s_cmp_eq_u32 s18, 0
	v_mov_b32_e32 v7, s3
	s_cselect_b32 vcc_lo, -1, 0
	s_cmp_eq_u32 s9, 0
	v_cndmask_b32_e32 v5, -1, v5, vcc_lo
	v_cmp_le_u32_e32 vcc_lo, s33, v2
	s_cselect_b32 s8, -1, 0
	v_cndmask_b32_e64 v6, 0, -1, vcc_lo
	s_delay_alu instid0(VALU_DEP_3) | instskip(NEXT) | instid1(VALU_DEP_2)
	v_cmp_ne_u32_e32 vcc_lo, 0, v5
	v_cndmask_b32_e64 v5, -1, v6, s8
	v_cndmask_b32_e32 v6, s18, v7, vcc_lo
	v_cndmask_b32_e32 v4, v3, v4, vcc_lo
	s_delay_alu instid0(VALU_DEP_3) | instskip(NEXT) | instid1(VALU_DEP_3)
	v_cmp_ne_u32_e32 vcc_lo, 0, v5
	v_cndmask_b32_e32 v3, s9, v6, vcc_lo
	s_delay_alu instid0(VALU_DEP_3)
	v_cndmask_b32_e32 v2, v2, v4, vcc_lo
	s_cbranch_execnz .LBB177_125
.LBB177_124:                            ;   in Loop: Header=BB177_31 Depth=1
	v_cvt_f32_u32_e32 v2, s33
	s_sub_i32 s3, 0, s33
	s_delay_alu instid0(VALU_DEP_1) | instskip(SKIP_2) | instid1(VALU_DEP_1)
	v_rcp_iflag_f32_e32 v2, v2
	s_waitcnt_depctr 0xfff
	v_mul_f32_e32 v2, 0x4f7ffffe, v2
	v_cvt_u32_f32_e32 v2, v2
	s_delay_alu instid0(VALU_DEP_1) | instskip(NEXT) | instid1(VALU_DEP_1)
	v_mul_lo_u32 v3, s3, v2
	v_mul_hi_u32 v3, v2, v3
	s_delay_alu instid0(VALU_DEP_1) | instskip(NEXT) | instid1(VALU_DEP_1)
	v_add_nc_u32_e32 v2, v2, v3
	v_mul_hi_u32 v2, s87, v2
	s_delay_alu instid0(VALU_DEP_1) | instskip(NEXT) | instid1(VALU_DEP_1)
	v_mul_lo_u32 v2, v2, s33
	v_sub_nc_u32_e32 v2, s87, v2
	s_delay_alu instid0(VALU_DEP_1) | instskip(SKIP_1) | instid1(VALU_DEP_2)
	v_subrev_nc_u32_e32 v3, s33, v2
	v_cmp_le_u32_e32 vcc_lo, s33, v2
	v_cndmask_b32_e32 v2, v2, v3, vcc_lo
	s_delay_alu instid0(VALU_DEP_1) | instskip(SKIP_1) | instid1(VALU_DEP_2)
	v_subrev_nc_u32_e32 v3, s33, v2
	v_cmp_le_u32_e32 vcc_lo, s33, v2
	v_cndmask_b32_e32 v12, v2, v3, vcc_lo
	s_delay_alu instid0(VALU_DEP_1)
	v_dual_mov_b32 v2, v12 :: v_dual_mov_b32 v3, v13
.LBB177_125:                            ;   in Loop: Header=BB177_31 Depth=1
	s_delay_alu instid0(VALU_DEP_1) | instskip(NEXT) | instid1(VALU_DEP_2)
	v_sub_co_u32 v2, vcc_lo, s87, v2
	v_sub_co_ci_u32_e32 v3, vcc_lo, s27, v3, vcc_lo
	s_mov_b32 s8, 0
	s_mov_b32 s9, exec_lo
                                        ; implicit-def: $vgpr30
	s_delay_alu instid0(VALU_DEP_1)
	v_cmpx_gt_u64_e64 v[2:3], v[0:1]
	s_cbranch_execz .LBB177_134
; %bb.126:                              ;   in Loop: Header=BB177_31 Depth=1
	v_dual_mov_b32 v4, v24 :: v_dual_mov_b32 v5, v25
	v_dual_mov_b32 v7, v1 :: v_dual_mov_b32 v6, v0
	s_mov_b32 s18, 0
                                        ; implicit-def: $sgpr19
	s_set_inst_prefetch_distance 0x1
	s_branch .LBB177_128
	.p2align	6
.LBB177_127:                            ;   in Loop: Header=BB177_128 Depth=2
	s_or_b32 exec_lo, exec_lo, s8
	s_waitcnt vmcnt(0) lgkmcnt(0)
	s_barrier
	buffer_gl0_inv
	ds_load_b32 v8, v13 offset:3072
	v_add_co_u32 v6, vcc_lo, v6, s33
	v_add_co_ci_u32_e32 v7, vcc_lo, 0, v7, vcc_lo
	s_waitcnt lgkmcnt(0)
	s_barrier
	buffer_gl0_inv
	v_cmp_ge_u64_e32 vcc_lo, v[6:7], v[2:3]
	v_cmp_ne_u16_e64 s8, 0, v8
	s_delay_alu instid0(VALU_DEP_1)
	s_or_b32 s3, vcc_lo, s8
	v_add_co_u32 v4, vcc_lo, v4, s34
	s_and_b32 s3, exec_lo, s3
	v_add_co_ci_u32_e32 v5, vcc_lo, s35, v5, vcc_lo
	s_or_b32 s18, s3, s18
	s_and_not1_b32 s3, s19, exec_lo
	s_and_b32 s8, s8, exec_lo
	s_delay_alu instid0(SALU_CYCLE_1)
	s_or_b32 s19, s3, s8
	s_and_not1_b32 exec_lo, exec_lo, s18
	s_cbranch_execz .LBB177_133
.LBB177_128:                            ;   Parent Loop BB177_31 Depth=1
                                        ; =>  This Inner Loop Header: Depth=2
	s_delay_alu instid0(VALU_DEP_1)
	v_cmp_gt_u64_e32 vcc_lo, s[36:37], v[6:7]
	v_mov_b32_e32 v8, 0
	s_and_saveexec_b32 s8, vcc_lo
	s_cbranch_execz .LBB177_130
; %bb.129:                              ;   in Loop: Header=BB177_128 Depth=2
	global_load_u16 v8, v[4:5], off
.LBB177_130:                            ;   in Loop: Header=BB177_128 Depth=2
	s_or_b32 exec_lo, exec_lo, s8
	s_and_saveexec_b32 s8, vcc_lo
	s_cbranch_execz .LBB177_127
; %bb.131:                              ;   in Loop: Header=BB177_128 Depth=2
	s_waitcnt vmcnt(0)
	v_bfe_i32 v9, v8, 0, 16
	s_delay_alu instid0(VALU_DEP_1) | instskip(NEXT) | instid1(VALU_DEP_1)
	v_add_nc_u32_e32 v9, 0x8000, v9
	v_and_b32_e32 v9, v9, v29
	s_delay_alu instid0(VALU_DEP_1)
	v_cmp_eq_u32_e32 vcc_lo, v9, v28
	s_and_b32 exec_lo, exec_lo, vcc_lo
	s_cbranch_execz .LBB177_127
; %bb.132:                              ;   in Loop: Header=BB177_128 Depth=2
	v_perm_b32 v8, v8, 1, 0x5040100
	ds_store_b32 v13, v8 offset:3072
	s_branch .LBB177_127
.LBB177_133:                            ;   in Loop: Header=BB177_31 Depth=1
	s_set_inst_prefetch_distance 0x2
	s_or_b32 exec_lo, exec_lo, s18
	v_lshrrev_b32_e32 v30, 16, v8
	s_and_b32 s8, s19, exec_lo
.LBB177_134:                            ;   in Loop: Header=BB177_31 Depth=1
	s_or_b32 exec_lo, exec_lo, s9
	s_mov_b32 s60, -1
	s_mov_b32 s23, 0
	s_mov_b32 s55, 0
.LBB177_135:                            ;   in Loop: Header=BB177_31 Depth=1
	s_or_not1_b32 s8, s8, exec_lo
.LBB177_136:                            ;   in Loop: Header=BB177_31 Depth=1
	s_or_b32 exec_lo, exec_lo, s24
	s_mov_b32 s70, 0
	s_mov_b32 s25, 0
	;; [unrolled: 1-line block ×3, first 2 shown]
                                        ; implicit-def: $vgpr6
                                        ; implicit-def: $vgpr2_vgpr3
	s_and_saveexec_b32 s71, s8
	s_cbranch_execz .LBB177_299
; %bb.137:                              ;   in Loop: Header=BB177_31 Depth=1
	v_mov_b32_e32 v2, 1
	v_dual_mov_b32 v3, 0 :: v_dual_mov_b32 v6, 1
	s_xor_b32 s3, s58, -1
	s_delay_alu instid0(SALU_CYCLE_1)
	s_and_saveexec_b32 s8, s3
	s_cbranch_execz .LBB177_147
; %bb.138:                              ;   in Loop: Header=BB177_31 Depth=1
                                        ; implicit-def: $sgpr19
                                        ; implicit-def: $sgpr9
	s_mov_b32 s3, exec_lo
	v_cmpx_ge_u64_e64 s[10:11], v[26:27]
	s_xor_b32 s18, exec_lo, s3
	s_cbranch_execz .LBB177_144
; %bb.139:                              ;   in Loop: Header=BB177_31 Depth=1
	ds_load_b64 v[2:3], v13 offset:5120
	s_waitcnt lgkmcnt(0)
	v_cmp_ne_u64_e32 vcc_lo, 0, v[2:3]
	s_cbranch_vccnz .LBB177_143
; %bb.140:                              ;   in Loop: Header=BB177_31 Depth=1
	s_and_saveexec_b32 s9, s5
	s_cbranch_execz .LBB177_142
; %bb.141:                              ;   in Loop: Header=BB177_31 Depth=1
	v_dual_mov_b32 v2, s10 :: v_dual_mov_b32 v3, s11
	ds_store_b64 v13, v[2:3] offset:5128
.LBB177_142:                            ;   in Loop: Header=BB177_31 Depth=1
	s_or_b32 exec_lo, exec_lo, s9
	s_waitcnt lgkmcnt(0)
	s_barrier
	buffer_gl0_inv
.LBB177_143:                            ;   in Loop: Header=BB177_31 Depth=1
	v_and_b32_e32 v28, s21, v28
	v_or_b32_e32 v29, s20, v29
	s_mov_b32 s9, 0
	s_mov_b32 s19, 8
.LBB177_144:                            ;   in Loop: Header=BB177_31 Depth=1
	s_or_saveexec_b32 s18, s18
	v_mov_b32_e32 v2, v26
	v_dual_mov_b32 v6, s19 :: v_dual_mov_b32 v3, v27
	s_xor_b32 exec_lo, exec_lo, s18
; %bb.145:                              ;   in Loop: Header=BB177_31 Depth=1
	v_sub_co_u32 v2, vcc_lo, v26, s10
	v_subrev_co_ci_u32_e32 v3, vcc_lo, s11, v27, vcc_lo
	v_mov_b32_e32 v6, 0
	s_or_b32 s9, s9, exec_lo
; %bb.146:                              ;   in Loop: Header=BB177_31 Depth=1
	s_or_b32 exec_lo, exec_lo, s18
	s_delay_alu instid0(SALU_CYCLE_1)
	s_and_b32 s24, s9, exec_lo
.LBB177_147:                            ;   in Loop: Header=BB177_31 Depth=1
	s_or_b32 exec_lo, exec_lo, s8
	s_mov_b32 s25, -1
                                        ; implicit-def: $sgpr9
                                        ; implicit-def: $sgpr18
                                        ; implicit-def: $sgpr19
	s_and_saveexec_b32 s3, s24
	s_delay_alu instid0(SALU_CYCLE_1)
	s_xor_b32 s24, exec_lo, s3
	s_cbranch_execz .LBB177_296
; %bb.148:                              ;   in Loop: Header=BB177_31 Depth=1
	v_cmp_eq_u64_e32 vcc_lo, 1, v[2:3]
	s_cmp_eq_u64 s[12:13], 1
                                        ; implicit-def: $sgpr25
                                        ; implicit-def: $sgpr73
                                        ; implicit-def: $sgpr72
	s_cselect_b32 s8, -1, 0
	s_delay_alu instid0(SALU_CYCLE_1)
	s_and_b32 s58, s8, vcc_lo
	s_mov_b32 s8, -1
	s_and_saveexec_b32 s46, s58
	s_cbranch_execz .LBB177_182
; %bb.149:                              ;   in Loop: Header=BB177_31 Depth=1
	ds_load_b64 v[4:5], v13 offset:5120
	s_waitcnt lgkmcnt(0)
	s_barrier
	buffer_gl0_inv
	v_readfirstlane_b32 s18, v4
	v_readfirstlane_b32 s19, v5
	s_and_saveexec_b32 s8, s6
	s_cbranch_execz .LBB177_151
; %bb.150:                              ;   in Loop: Header=BB177_31 Depth=1
	ds_store_b16 v44, v13
.LBB177_151:                            ;   in Loop: Header=BB177_31 Depth=1
	s_or_b32 exec_lo, exec_lo, s8
	s_lshl_b32 s8, 1, s22
	v_or_b32_e32 v29, s20, v29
	v_and_or_b32 v28, v28, s21, s8
	s_cmp_eq_u64 s[18:19], 0
	s_waitcnt lgkmcnt(0)
	s_barrier
	buffer_gl0_inv
	s_cbranch_scc1 .LBB177_165
; %bb.152:                              ;   in Loop: Header=BB177_31 Depth=1
	s_add_u32 s25, s85, s18
	s_addc_u32 s9, s86, s19
	s_mov_b32 s8, s61
	s_delay_alu instid0(SALU_CYCLE_1)
	s_cmp_lg_u64 s[8:9], 0
	s_cbranch_scc0 .LBB177_209
; %bb.153:                              ;   in Loop: Header=BB177_31 Depth=1
	v_cvt_f32_u32_e32 v4, s33
	s_sub_u32 s47, 0, s33
	s_subb_u32 s59, 0, 0
	s_delay_alu instid0(VALU_DEP_1) | instskip(NEXT) | instid1(VALU_DEP_1)
	v_fmac_f32_e64 v4, 0, 0x4f800000
	v_rcp_f32_e32 v4, v4
	s_waitcnt_depctr 0xfff
	v_mul_f32_e32 v4, 0x5f7ffffc, v4
	s_delay_alu instid0(VALU_DEP_1) | instskip(NEXT) | instid1(VALU_DEP_1)
	v_mul_f32_e32 v5, 0x2f800000, v4
	v_trunc_f32_e32 v5, v5
	s_delay_alu instid0(VALU_DEP_1) | instskip(SKIP_1) | instid1(VALU_DEP_2)
	v_fmac_f32_e32 v4, 0xcf800000, v5
	v_cvt_u32_f32_e32 v5, v5
	v_cvt_u32_f32_e32 v4, v4
	s_delay_alu instid0(VALU_DEP_2) | instskip(NEXT) | instid1(VALU_DEP_2)
	v_readfirstlane_b32 s8, v5
	v_readfirstlane_b32 s26, v4
	s_delay_alu instid0(VALU_DEP_2) | instskip(NEXT) | instid1(VALU_DEP_1)
	s_mul_i32 s72, s47, s8
	s_mul_hi_u32 s74, s47, s26
	s_mul_i32 s73, s59, s26
	s_add_i32 s72, s74, s72
	s_mul_i32 s75, s47, s26
	s_add_i32 s72, s72, s73
	s_mul_hi_u32 s74, s26, s75
	s_mul_hi_u32 s76, s8, s75
	s_mul_i32 s73, s8, s75
	s_mul_hi_u32 s75, s26, s72
	s_mul_i32 s26, s26, s72
	s_mul_hi_u32 s77, s8, s72
	s_add_u32 s26, s74, s26
	s_addc_u32 s74, 0, s75
	s_add_u32 s26, s26, s73
	s_mul_i32 s72, s8, s72
	s_addc_u32 s26, s74, s76
	s_addc_u32 s73, s77, 0
	s_add_u32 s26, s26, s72
	s_addc_u32 s72, 0, s73
	v_add_co_u32 v4, s26, v4, s26
	s_delay_alu instid0(VALU_DEP_1) | instskip(SKIP_1) | instid1(VALU_DEP_1)
	s_cmp_lg_u32 s26, 0
	s_addc_u32 s8, s8, s72
	v_readfirstlane_b32 s26, v4
	s_mul_i32 s72, s47, s8
	s_delay_alu instid0(VALU_DEP_1)
	s_mul_hi_u32 s73, s47, s26
	s_mul_i32 s59, s59, s26
	s_add_i32 s72, s73, s72
	s_mul_i32 s47, s47, s26
	s_add_i32 s72, s72, s59
	s_mul_hi_u32 s73, s8, s47
	s_mul_i32 s74, s8, s47
	s_mul_hi_u32 s47, s26, s47
	s_mul_hi_u32 s75, s26, s72
	s_mul_i32 s26, s26, s72
	s_mul_hi_u32 s59, s8, s72
	s_add_u32 s26, s47, s26
	s_addc_u32 s47, 0, s75
	s_add_u32 s26, s26, s74
	s_mul_i32 s72, s8, s72
	s_addc_u32 s26, s47, s73
	s_addc_u32 s47, s59, 0
	s_add_u32 s26, s26, s72
	s_addc_u32 s47, 0, s47
	v_add_co_u32 v4, s26, v4, s26
	s_delay_alu instid0(VALU_DEP_1) | instskip(SKIP_1) | instid1(VALU_DEP_1)
	s_cmp_lg_u32 s26, 0
	s_addc_u32 s8, s8, s47
	v_readfirstlane_b32 s26, v4
	s_mul_i32 s59, s25, s8
	s_mul_hi_u32 s47, s25, s8
	s_mul_hi_u32 s72, s9, s8
	s_mul_i32 s8, s9, s8
	s_mul_hi_u32 s73, s25, s26
	s_mul_hi_u32 s74, s9, s26
	s_mul_i32 s26, s9, s26
	s_add_u32 s59, s73, s59
	s_addc_u32 s47, 0, s47
	s_add_u32 s26, s59, s26
	s_addc_u32 s26, s47, s74
	s_addc_u32 s47, s72, 0
	s_add_u32 s8, s26, s8
	s_addc_u32 s26, 0, s47
	s_mul_hi_u32 s47, s33, s8
	s_mul_i32 s8, s33, s8
	s_mul_i32 s26, s33, s26
	v_sub_co_u32 v4, s8, s25, s8
	s_add_i32 s47, s47, s26
	s_cmp_lg_u32 s8, 0
	s_delay_alu instid0(VALU_DEP_1) | instskip(SKIP_3) | instid1(VALU_DEP_2)
	v_sub_co_u32 v5, s8, v4, s33
	s_subb_u32 s26, s9, s47
	s_cmp_lg_u32 s8, 0
	v_cmp_le_u32_e32 vcc_lo, s33, v4
	v_cmp_le_u32_e64 s8, s33, v5
	v_sub_co_u32 v6, s47, v5, s33
	s_subb_u32 s59, s26, 0
	s_cmp_lg_u32 s47, 0
	s_delay_alu instid0(VALU_DEP_2)
	v_cndmask_b32_e64 v7, 0, -1, s8
	s_subb_u32 s47, s59, 0
	s_cmp_eq_u32 s59, 0
	v_mov_b32_e32 v9, s47
	v_cndmask_b32_e64 v8, 0, -1, vcc_lo
	s_cselect_b32 vcc_lo, -1, 0
	s_cmp_eq_u32 s26, 0
	v_cndmask_b32_e32 v7, -1, v7, vcc_lo
	s_cselect_b32 vcc_lo, -1, 0
	v_cndmask_b32_e32 v8, -1, v8, vcc_lo
	s_delay_alu instid0(VALU_DEP_2) | instskip(NEXT) | instid1(VALU_DEP_2)
	v_cmp_ne_u32_e32 vcc_lo, 0, v7
	v_cmp_ne_u32_e64 s8, 0, v8
	v_cndmask_b32_e32 v7, s59, v9, vcc_lo
	v_cndmask_b32_e32 v6, v5, v6, vcc_lo
	s_delay_alu instid0(VALU_DEP_2) | instskip(NEXT) | instid1(VALU_DEP_2)
	v_cndmask_b32_e64 v5, s26, v7, s8
	v_cndmask_b32_e64 v4, v4, v6, s8
	s_cbranch_execnz .LBB177_155
.LBB177_154:                            ;   in Loop: Header=BB177_31 Depth=1
	v_cvt_f32_u32_e32 v4, s33
	s_sub_i32 s8, 0, s33
	s_delay_alu instid0(VALU_DEP_1) | instskip(SKIP_2) | instid1(VALU_DEP_1)
	v_rcp_iflag_f32_e32 v4, v4
	s_waitcnt_depctr 0xfff
	v_mul_f32_e32 v4, 0x4f7ffffe, v4
	v_cvt_u32_f32_e32 v4, v4
	s_delay_alu instid0(VALU_DEP_1) | instskip(NEXT) | instid1(VALU_DEP_1)
	v_mul_lo_u32 v5, s8, v4
	v_mul_hi_u32 v5, v4, v5
	s_delay_alu instid0(VALU_DEP_1) | instskip(NEXT) | instid1(VALU_DEP_1)
	v_add_nc_u32_e32 v4, v4, v5
	v_mul_hi_u32 v4, s25, v4
	s_delay_alu instid0(VALU_DEP_1) | instskip(NEXT) | instid1(VALU_DEP_1)
	v_mul_lo_u32 v4, v4, s33
	v_sub_nc_u32_e32 v4, s25, v4
	s_delay_alu instid0(VALU_DEP_1) | instskip(SKIP_1) | instid1(VALU_DEP_2)
	v_subrev_nc_u32_e32 v5, s33, v4
	v_cmp_le_u32_e32 vcc_lo, s33, v4
	v_cndmask_b32_e32 v4, v4, v5, vcc_lo
	s_delay_alu instid0(VALU_DEP_1) | instskip(SKIP_1) | instid1(VALU_DEP_2)
	v_subrev_nc_u32_e32 v5, s33, v4
	v_cmp_le_u32_e32 vcc_lo, s33, v4
	v_cndmask_b32_e32 v12, v4, v5, vcc_lo
	s_delay_alu instid0(VALU_DEP_1)
	v_dual_mov_b32 v4, v12 :: v_dual_mov_b32 v5, v13
.LBB177_155:                            ;   in Loop: Header=BB177_31 Depth=1
	s_delay_alu instid0(VALU_DEP_1) | instskip(NEXT) | instid1(VALU_DEP_2)
	v_sub_co_u32 v4, vcc_lo, s25, v4
	v_sub_co_ci_u32_e32 v5, vcc_lo, s9, v5, vcc_lo
	s_mov_b32 s8, 0
	s_mov_b32 s9, exec_lo
                                        ; implicit-def: $vgpr30
	s_delay_alu instid0(VALU_DEP_1)
	v_cmpx_gt_u64_e64 v[4:5], v[0:1]
	s_cbranch_execz .LBB177_167
; %bb.156:                              ;   in Loop: Header=BB177_31 Depth=1
	v_dual_mov_b32 v8, v43 :: v_dual_mov_b32 v7, v1
	v_mov_b32_e32 v6, v0
	s_mov_b32 s25, 0
                                        ; implicit-def: $sgpr26
	s_set_inst_prefetch_distance 0x1
	s_branch .LBB177_158
	.p2align	6
.LBB177_157:                            ;   in Loop: Header=BB177_158 Depth=2
	s_or_b32 exec_lo, exec_lo, s8
	s_waitcnt lgkmcnt(0)
	s_barrier
	buffer_gl0_inv
	ds_load_b32 v9, v13 offset:3072
	v_add_co_u32 v6, vcc_lo, v6, s33
	v_add_co_ci_u32_e32 v7, vcc_lo, 0, v7, vcc_lo
	v_add_nc_u32_e32 v8, s93, v8
	s_waitcnt lgkmcnt(0)
	s_barrier
	s_delay_alu instid0(VALU_DEP_2) | instskip(SKIP_2) | instid1(VALU_DEP_1)
	v_cmp_ge_u64_e32 vcc_lo, v[6:7], v[4:5]
	buffer_gl0_inv
	v_cmp_ne_u16_e64 s8, 0, v9
	s_or_b32 s47, vcc_lo, s8
	s_delay_alu instid0(SALU_CYCLE_1) | instskip(NEXT) | instid1(SALU_CYCLE_1)
	s_and_b32 s47, exec_lo, s47
	s_or_b32 s25, s47, s25
	s_and_not1_b32 s26, s26, exec_lo
	s_and_b32 s8, s8, exec_lo
	s_delay_alu instid0(SALU_CYCLE_1)
	s_or_b32 s26, s26, s8
	s_and_not1_b32 exec_lo, exec_lo, s25
	s_cbranch_execz .LBB177_166
.LBB177_158:                            ;   Parent Loop BB177_31 Depth=1
                                        ; =>  This Inner Loop Header: Depth=2
	s_delay_alu instid0(VALU_DEP_1)
	v_cmp_gt_u64_e32 vcc_lo, s[18:19], v[6:7]
	v_mov_b32_e32 v9, 0
	s_and_saveexec_b32 s8, vcc_lo
	s_cbranch_execz .LBB177_160
; %bb.159:                              ;   in Loop: Header=BB177_158 Depth=2
	ds_load_u16 v9, v8
.LBB177_160:                            ;   in Loop: Header=BB177_158 Depth=2
	s_or_b32 exec_lo, exec_lo, s8
	s_and_saveexec_b32 s8, vcc_lo
	s_cbranch_execz .LBB177_157
; %bb.161:                              ;   in Loop: Header=BB177_158 Depth=2
	s_waitcnt lgkmcnt(0)
	v_bfe_i32 v12, v9, 0, 16
	s_delay_alu instid0(VALU_DEP_1) | instskip(NEXT) | instid1(VALU_DEP_1)
	v_add_nc_u32_e32 v12, 0x8000, v12
	v_and_b32_e32 v12, v12, v29
	s_delay_alu instid0(VALU_DEP_1)
	v_cmp_eq_u32_e32 vcc_lo, v12, v28
	s_and_b32 exec_lo, exec_lo, vcc_lo
	s_cbranch_execz .LBB177_157
; %bb.162:                              ;   in Loop: Header=BB177_158 Depth=2
	v_perm_b32 v9, v9, 1, 0x5040100
	ds_store_b32 v13, v9 offset:3072
	s_branch .LBB177_157
.LBB177_163:                            ;   in Loop: Header=BB177_31 Depth=1
                                        ; implicit-def: $vgpr2_vgpr3
	s_branch .LBB177_108
.LBB177_164:                            ;   in Loop: Header=BB177_31 Depth=1
                                        ; implicit-def: $vgpr2_vgpr3
	s_branch .LBB177_124
.LBB177_165:                            ;   in Loop: Header=BB177_31 Depth=1
	s_mov_b32 s25, -1
	s_mov_b32 s8, 0
                                        ; implicit-def: $sgpr72
                                        ; implicit-def: $vgpr30
	s_mov_b32 s73, s25
	s_cbranch_execnz .LBB177_168
	s_branch .LBB177_181
.LBB177_166:                            ;   in Loop: Header=BB177_31 Depth=1
	s_set_inst_prefetch_distance 0x2
	s_or_b32 exec_lo, exec_lo, s25
	v_lshrrev_b32_e32 v30, 16, v9
	s_and_b32 s8, s26, exec_lo
.LBB177_167:                            ;   in Loop: Header=BB177_31 Depth=1
	s_or_b32 exec_lo, exec_lo, s9
	s_mov_b32 s72, -1
	s_mov_b32 s25, 0
	s_delay_alu instid0(SALU_CYCLE_1)
	s_mov_b32 s73, s25
	s_branch .LBB177_181
.LBB177_168:                            ;   in Loop: Header=BB177_31 Depth=1
	s_mov_b32 s26, s61
	s_delay_alu instid0(SALU_CYCLE_1)
	s_cmp_lg_u64 s[26:27], 0
	s_cbranch_scc0 .LBB177_210
; %bb.169:                              ;   in Loop: Header=BB177_31 Depth=1
	v_cvt_f32_u32_e32 v4, s33
	s_sub_u32 s18, 0, s33
	s_subb_u32 s19, 0, 0
	s_delay_alu instid0(VALU_DEP_1) | instskip(NEXT) | instid1(VALU_DEP_1)
	v_fmac_f32_e64 v4, 0, 0x4f800000
	v_rcp_f32_e32 v4, v4
	s_waitcnt_depctr 0xfff
	v_mul_f32_e32 v4, 0x5f7ffffc, v4
	s_delay_alu instid0(VALU_DEP_1) | instskip(NEXT) | instid1(VALU_DEP_1)
	v_mul_f32_e32 v5, 0x2f800000, v4
	v_trunc_f32_e32 v5, v5
	s_delay_alu instid0(VALU_DEP_1) | instskip(SKIP_1) | instid1(VALU_DEP_2)
	v_fmac_f32_e32 v4, 0xcf800000, v5
	v_cvt_u32_f32_e32 v5, v5
	v_cvt_u32_f32_e32 v4, v4
	s_delay_alu instid0(VALU_DEP_2) | instskip(NEXT) | instid1(VALU_DEP_2)
	v_readfirstlane_b32 s8, v5
	v_readfirstlane_b32 s9, v4
	s_delay_alu instid0(VALU_DEP_2) | instskip(NEXT) | instid1(VALU_DEP_1)
	s_mul_i32 s25, s18, s8
	s_mul_hi_u32 s47, s18, s9
	s_mul_i32 s26, s19, s9
	s_add_i32 s25, s47, s25
	s_mul_i32 s59, s18, s9
	s_add_i32 s25, s25, s26
	s_mul_hi_u32 s47, s9, s59
	s_mul_hi_u32 s72, s8, s59
	s_mul_i32 s26, s8, s59
	s_mul_hi_u32 s59, s9, s25
	s_mul_i32 s9, s9, s25
	s_mul_hi_u32 s73, s8, s25
	s_add_u32 s9, s47, s9
	s_addc_u32 s47, 0, s59
	s_add_u32 s9, s9, s26
	s_mul_i32 s25, s8, s25
	s_addc_u32 s9, s47, s72
	s_addc_u32 s26, s73, 0
	s_add_u32 s9, s9, s25
	s_addc_u32 s25, 0, s26
	v_add_co_u32 v4, s9, v4, s9
	s_delay_alu instid0(VALU_DEP_1) | instskip(SKIP_1) | instid1(VALU_DEP_1)
	s_cmp_lg_u32 s9, 0
	s_addc_u32 s8, s8, s25
	v_readfirstlane_b32 s9, v4
	s_mul_i32 s25, s18, s8
	s_delay_alu instid0(VALU_DEP_1)
	s_mul_hi_u32 s26, s18, s9
	s_mul_i32 s19, s19, s9
	s_add_i32 s25, s26, s25
	s_mul_i32 s18, s18, s9
	s_add_i32 s25, s25, s19
	s_mul_hi_u32 s26, s8, s18
	s_mul_i32 s47, s8, s18
	s_mul_hi_u32 s18, s9, s18
	s_mul_hi_u32 s59, s9, s25
	s_mul_i32 s9, s9, s25
	s_mul_hi_u32 s19, s8, s25
	s_add_u32 s9, s18, s9
	s_addc_u32 s18, 0, s59
	s_add_u32 s9, s9, s47
	s_mul_i32 s25, s8, s25
	s_addc_u32 s9, s18, s26
	s_addc_u32 s18, s19, 0
	s_add_u32 s9, s9, s25
	s_addc_u32 s18, 0, s18
	v_add_co_u32 v4, s9, v4, s9
	s_delay_alu instid0(VALU_DEP_1) | instskip(SKIP_1) | instid1(VALU_DEP_1)
	s_cmp_lg_u32 s9, 0
	s_addc_u32 s8, s8, s18
	v_readfirstlane_b32 s9, v4
	s_mul_i32 s19, s87, s8
	s_mul_hi_u32 s18, s87, s8
	s_mul_hi_u32 s25, s27, s8
	s_mul_i32 s8, s27, s8
	s_mul_hi_u32 s26, s87, s9
	s_mul_hi_u32 s47, s27, s9
	s_mul_i32 s9, s27, s9
	s_add_u32 s19, s26, s19
	s_addc_u32 s18, 0, s18
	s_add_u32 s9, s19, s9
	s_addc_u32 s9, s18, s47
	s_addc_u32 s18, s25, 0
	s_add_u32 s8, s9, s8
	s_addc_u32 s9, 0, s18
	s_mul_hi_u32 s18, s33, s8
	s_mul_i32 s8, s33, s8
	s_mul_i32 s9, s33, s9
	v_sub_co_u32 v4, s8, s87, s8
	s_add_i32 s18, s18, s9
	s_cmp_lg_u32 s8, 0
	s_delay_alu instid0(VALU_DEP_1) | instskip(SKIP_2) | instid1(VALU_DEP_1)
	v_sub_co_u32 v5, s8, v4, s33
	s_subb_u32 s9, s27, s18
	s_cmp_lg_u32 s8, 0
	v_cmp_le_u32_e32 vcc_lo, s33, v5
	v_sub_co_u32 v6, s8, v5, s33
	s_subb_u32 s18, s9, 0
	s_cmp_lg_u32 s8, 0
	v_cndmask_b32_e64 v7, 0, -1, vcc_lo
	s_subb_u32 s8, s18, 0
	s_cmp_eq_u32 s18, 0
	v_mov_b32_e32 v9, s8
	s_cselect_b32 vcc_lo, -1, 0
	s_cmp_eq_u32 s9, 0
	v_cndmask_b32_e32 v7, -1, v7, vcc_lo
	v_cmp_le_u32_e32 vcc_lo, s33, v4
	s_cselect_b32 s8, -1, 0
	v_cndmask_b32_e64 v8, 0, -1, vcc_lo
	s_delay_alu instid0(VALU_DEP_3) | instskip(NEXT) | instid1(VALU_DEP_2)
	v_cmp_ne_u32_e32 vcc_lo, 0, v7
	v_cndmask_b32_e64 v7, -1, v8, s8
	v_cndmask_b32_e32 v8, s18, v9, vcc_lo
	v_cndmask_b32_e32 v6, v5, v6, vcc_lo
	s_delay_alu instid0(VALU_DEP_3) | instskip(NEXT) | instid1(VALU_DEP_3)
	v_cmp_ne_u32_e32 vcc_lo, 0, v7
	v_cndmask_b32_e32 v5, s9, v8, vcc_lo
	s_delay_alu instid0(VALU_DEP_3)
	v_cndmask_b32_e32 v4, v4, v6, vcc_lo
	s_cbranch_execnz .LBB177_171
.LBB177_170:                            ;   in Loop: Header=BB177_31 Depth=1
	v_cvt_f32_u32_e32 v4, s33
	s_sub_i32 s8, 0, s33
	s_delay_alu instid0(VALU_DEP_1) | instskip(SKIP_2) | instid1(VALU_DEP_1)
	v_rcp_iflag_f32_e32 v4, v4
	s_waitcnt_depctr 0xfff
	v_mul_f32_e32 v4, 0x4f7ffffe, v4
	v_cvt_u32_f32_e32 v4, v4
	s_delay_alu instid0(VALU_DEP_1) | instskip(NEXT) | instid1(VALU_DEP_1)
	v_mul_lo_u32 v5, s8, v4
	v_mul_hi_u32 v5, v4, v5
	s_delay_alu instid0(VALU_DEP_1) | instskip(NEXT) | instid1(VALU_DEP_1)
	v_add_nc_u32_e32 v4, v4, v5
	v_mul_hi_u32 v4, s87, v4
	s_delay_alu instid0(VALU_DEP_1) | instskip(NEXT) | instid1(VALU_DEP_1)
	v_mul_lo_u32 v4, v4, s33
	v_sub_nc_u32_e32 v4, s87, v4
	s_delay_alu instid0(VALU_DEP_1) | instskip(SKIP_1) | instid1(VALU_DEP_2)
	v_subrev_nc_u32_e32 v5, s33, v4
	v_cmp_le_u32_e32 vcc_lo, s33, v4
	v_cndmask_b32_e32 v4, v4, v5, vcc_lo
	s_delay_alu instid0(VALU_DEP_1) | instskip(SKIP_1) | instid1(VALU_DEP_2)
	v_subrev_nc_u32_e32 v5, s33, v4
	v_cmp_le_u32_e32 vcc_lo, s33, v4
	v_cndmask_b32_e32 v12, v4, v5, vcc_lo
	s_delay_alu instid0(VALU_DEP_1)
	v_dual_mov_b32 v4, v12 :: v_dual_mov_b32 v5, v13
.LBB177_171:                            ;   in Loop: Header=BB177_31 Depth=1
	s_delay_alu instid0(VALU_DEP_1) | instskip(NEXT) | instid1(VALU_DEP_2)
	v_sub_co_u32 v4, vcc_lo, s87, v4
	v_sub_co_ci_u32_e32 v5, vcc_lo, s27, v5, vcc_lo
	s_mov_b32 s8, 0
	s_mov_b32 s9, exec_lo
                                        ; implicit-def: $vgpr30
	s_delay_alu instid0(VALU_DEP_1)
	v_cmpx_gt_u64_e64 v[4:5], v[0:1]
	s_cbranch_execz .LBB177_180
; %bb.172:                              ;   in Loop: Header=BB177_31 Depth=1
	v_dual_mov_b32 v6, v24 :: v_dual_mov_b32 v7, v25
	v_dual_mov_b32 v9, v1 :: v_dual_mov_b32 v8, v0
	s_mov_b32 s18, 0
                                        ; implicit-def: $sgpr19
	s_set_inst_prefetch_distance 0x1
	s_branch .LBB177_174
	.p2align	6
.LBB177_173:                            ;   in Loop: Header=BB177_174 Depth=2
	s_or_b32 exec_lo, exec_lo, s8
	s_waitcnt vmcnt(0) lgkmcnt(0)
	s_barrier
	buffer_gl0_inv
	ds_load_b32 v12, v13 offset:3072
	v_add_co_u32 v8, vcc_lo, v8, s33
	v_add_co_ci_u32_e32 v9, vcc_lo, 0, v9, vcc_lo
	s_waitcnt lgkmcnt(0)
	s_barrier
	buffer_gl0_inv
	v_cmp_ge_u64_e32 vcc_lo, v[8:9], v[4:5]
	v_cmp_ne_u16_e64 s8, 0, v12
	s_delay_alu instid0(VALU_DEP_1)
	s_or_b32 s25, vcc_lo, s8
	v_add_co_u32 v6, vcc_lo, v6, s34
	s_and_b32 s25, exec_lo, s25
	v_add_co_ci_u32_e32 v7, vcc_lo, s35, v7, vcc_lo
	s_or_b32 s18, s25, s18
	s_and_not1_b32 s19, s19, exec_lo
	s_and_b32 s8, s8, exec_lo
	s_delay_alu instid0(SALU_CYCLE_1)
	s_or_b32 s19, s19, s8
	s_and_not1_b32 exec_lo, exec_lo, s18
	s_cbranch_execz .LBB177_179
.LBB177_174:                            ;   Parent Loop BB177_31 Depth=1
                                        ; =>  This Inner Loop Header: Depth=2
	s_delay_alu instid0(VALU_DEP_1)
	v_cmp_gt_u64_e32 vcc_lo, s[36:37], v[8:9]
	v_mov_b32_e32 v12, 0
	s_and_saveexec_b32 s8, vcc_lo
	s_cbranch_execz .LBB177_176
; %bb.175:                              ;   in Loop: Header=BB177_174 Depth=2
	global_load_u16 v12, v[6:7], off
.LBB177_176:                            ;   in Loop: Header=BB177_174 Depth=2
	s_or_b32 exec_lo, exec_lo, s8
	s_and_saveexec_b32 s8, vcc_lo
	s_cbranch_execz .LBB177_173
; %bb.177:                              ;   in Loop: Header=BB177_174 Depth=2
	s_waitcnt vmcnt(0)
	v_bfe_i32 v30, v12, 0, 16
	s_delay_alu instid0(VALU_DEP_1) | instskip(NEXT) | instid1(VALU_DEP_1)
	v_add_nc_u32_e32 v30, 0x8000, v30
	v_and_b32_e32 v30, v30, v29
	s_delay_alu instid0(VALU_DEP_1)
	v_cmp_eq_u32_e32 vcc_lo, v30, v28
	s_and_b32 exec_lo, exec_lo, vcc_lo
	s_cbranch_execz .LBB177_173
; %bb.178:                              ;   in Loop: Header=BB177_174 Depth=2
	v_perm_b32 v12, v12, 1, 0x5040100
	ds_store_b32 v13, v12 offset:3072
	s_branch .LBB177_173
.LBB177_179:                            ;   in Loop: Header=BB177_31 Depth=1
	s_set_inst_prefetch_distance 0x2
	s_or_b32 exec_lo, exec_lo, s18
	v_lshrrev_b32_e32 v30, 16, v12
	s_and_b32 s8, s19, exec_lo
.LBB177_180:                            ;   in Loop: Header=BB177_31 Depth=1
	s_or_b32 exec_lo, exec_lo, s9
	s_mov_b32 s73, -1
	s_mov_b32 s25, 0
	s_mov_b32 s72, 0
.LBB177_181:                            ;   in Loop: Header=BB177_31 Depth=1
	s_or_not1_b32 s8, s8, exec_lo
.LBB177_182:                            ;   in Loop: Header=BB177_31 Depth=1
	s_or_b32 exec_lo, exec_lo, s46
	s_mov_b32 s26, 0
                                        ; implicit-def: $vgpr6
	s_and_saveexec_b32 s74, s8
	s_cbranch_execz .LBB177_295
; %bb.183:                              ;   in Loop: Header=BB177_31 Depth=1
	v_mov_b32_e32 v4, 1
	v_dual_mov_b32 v5, 0 :: v_dual_mov_b32 v6, 1
	s_xor_b32 s9, s58, -1
	s_delay_alu instid0(SALU_CYCLE_1)
	s_and_saveexec_b32 s8, s9
	s_cbranch_execz .LBB177_193
; %bb.184:                              ;   in Loop: Header=BB177_31 Depth=1
	s_mov_b32 s18, exec_lo
                                        ; implicit-def: $sgpr19
                                        ; implicit-def: $sgpr9
	v_cmpx_ge_u64_e64 s[12:13], v[2:3]
	s_xor_b32 s18, exec_lo, s18
	s_cbranch_execz .LBB177_190
; %bb.185:                              ;   in Loop: Header=BB177_31 Depth=1
	ds_load_b64 v[4:5], v13 offset:5120
	s_waitcnt lgkmcnt(0)
	v_cmp_ne_u64_e32 vcc_lo, 0, v[4:5]
	s_cbranch_vccnz .LBB177_189
; %bb.186:                              ;   in Loop: Header=BB177_31 Depth=1
	s_and_saveexec_b32 s9, s5
	s_cbranch_execz .LBB177_188
; %bb.187:                              ;   in Loop: Header=BB177_31 Depth=1
	v_dual_mov_b32 v4, s12 :: v_dual_mov_b32 v5, s13
	ds_store_b64 v13, v[4:5] offset:5128
.LBB177_188:                            ;   in Loop: Header=BB177_31 Depth=1
	s_or_b32 exec_lo, exec_lo, s9
	s_waitcnt lgkmcnt(0)
	s_barrier
	buffer_gl0_inv
.LBB177_189:                            ;   in Loop: Header=BB177_31 Depth=1
	s_lshl_b32 s9, 1, s22
	v_or_b32_e32 v29, s20, v29
	v_and_or_b32 v28, v28, s21, s9
	s_mov_b32 s9, 0
	s_mov_b32 s19, 8
.LBB177_190:                            ;   in Loop: Header=BB177_31 Depth=1
	s_or_saveexec_b32 s18, s18
	v_mov_b32_e32 v6, s19
	s_xor_b32 exec_lo, exec_lo, s18
; %bb.191:                              ;   in Loop: Header=BB177_31 Depth=1
	v_sub_co_u32 v2, vcc_lo, v2, s12
	v_subrev_co_ci_u32_e32 v3, vcc_lo, s13, v3, vcc_lo
	v_mov_b32_e32 v6, 0
	s_or_b32 s9, s9, exec_lo
; %bb.192:                              ;   in Loop: Header=BB177_31 Depth=1
	s_or_b32 exec_lo, exec_lo, s18
	s_delay_alu instid0(VALU_DEP_2)
	v_dual_mov_b32 v5, v3 :: v_dual_mov_b32 v4, v2
	s_and_b32 s26, s9, exec_lo
.LBB177_193:                            ;   in Loop: Header=BB177_31 Depth=1
	s_or_b32 exec_lo, exec_lo, s8
	s_mov_b32 s8, -1
                                        ; implicit-def: $sgpr9
                                        ; implicit-def: $sgpr18
                                        ; implicit-def: $sgpr19
	s_and_saveexec_b32 s75, s26
	s_cbranch_execz .LBB177_294
; %bb.194:                              ;   in Loop: Header=BB177_31 Depth=1
	v_cmp_eq_u64_e32 vcc_lo, 1, v[4:5]
	s_cmp_eq_u64 s[14:15], 1
                                        ; implicit-def: $sgpr76
                                        ; implicit-def: $sgpr78
                                        ; implicit-def: $sgpr77
	s_cselect_b32 s8, -1, 0
	s_delay_alu instid0(SALU_CYCLE_1)
	s_and_b32 s58, s8, vcc_lo
	s_mov_b32 s8, -1
	s_and_saveexec_b32 s59, s58
	s_cbranch_execz .LBB177_228
; %bb.195:                              ;   in Loop: Header=BB177_31 Depth=1
	ds_load_b64 v[2:3], v13 offset:5120
	s_waitcnt lgkmcnt(0)
	s_barrier
	buffer_gl0_inv
	v_readfirstlane_b32 s18, v2
	v_readfirstlane_b32 s19, v3
	s_and_saveexec_b32 s8, s6
	s_cbranch_execz .LBB177_197
; %bb.196:                              ;   in Loop: Header=BB177_31 Depth=1
	ds_store_b16 v44, v13
.LBB177_197:                            ;   in Loop: Header=BB177_31 Depth=1
	s_or_b32 exec_lo, exec_lo, s8
	s_lshl_b32 s8, 2, s22
	v_or_b32_e32 v29, s20, v29
	v_and_or_b32 v28, v28, s21, s8
	s_cmp_eq_u64 s[18:19], 0
	s_waitcnt lgkmcnt(0)
	s_barrier
	buffer_gl0_inv
	s_cbranch_scc1 .LBB177_211
; %bb.198:                              ;   in Loop: Header=BB177_31 Depth=1
	s_add_u32 s26, s85, s18
	s_addc_u32 s9, s86, s19
	s_mov_b32 s8, s61
	s_delay_alu instid0(SALU_CYCLE_1)
	s_cmp_lg_u64 s[8:9], 0
	s_cbranch_scc0 .LBB177_246
; %bb.199:                              ;   in Loop: Header=BB177_31 Depth=1
	v_cvt_f32_u32_e32 v2, s33
	s_sub_u32 s47, 0, s33
	s_subb_u32 s76, 0, 0
	s_delay_alu instid0(VALU_DEP_1) | instskip(NEXT) | instid1(VALU_DEP_1)
	v_fmac_f32_e64 v2, 0, 0x4f800000
	v_rcp_f32_e32 v2, v2
	s_waitcnt_depctr 0xfff
	v_mul_f32_e32 v2, 0x5f7ffffc, v2
	s_delay_alu instid0(VALU_DEP_1) | instskip(NEXT) | instid1(VALU_DEP_1)
	v_mul_f32_e32 v3, 0x2f800000, v2
	v_trunc_f32_e32 v3, v3
	s_delay_alu instid0(VALU_DEP_1) | instskip(SKIP_1) | instid1(VALU_DEP_2)
	v_fmac_f32_e32 v2, 0xcf800000, v3
	v_cvt_u32_f32_e32 v3, v3
	v_cvt_u32_f32_e32 v2, v2
	s_delay_alu instid0(VALU_DEP_2) | instskip(NEXT) | instid1(VALU_DEP_2)
	v_readfirstlane_b32 s8, v3
	v_readfirstlane_b32 s46, v2
	s_delay_alu instid0(VALU_DEP_2) | instskip(NEXT) | instid1(VALU_DEP_1)
	s_mul_i32 s77, s47, s8
	s_mul_hi_u32 s79, s47, s46
	s_mul_i32 s78, s76, s46
	s_add_i32 s77, s79, s77
	s_mul_i32 vcc_lo, s47, s46
	s_add_i32 s77, s77, s78
	s_mul_hi_u32 s79, s46, vcc_lo
	s_mul_hi_u32 s78, s46, s77
	s_mul_i32 s46, s46, s77
	s_mul_i32 s57, s8, vcc_lo
	s_add_u32 s46, s79, s46
	s_mul_hi_u32 s56, s8, vcc_lo
	s_addc_u32 s78, 0, s78
	s_mul_hi_u32 vcc_lo, s8, s77
	s_add_u32 s46, s46, s57
	s_mul_i32 s77, s8, s77
	s_addc_u32 s46, s78, s56
	s_addc_u32 s56, vcc_lo, 0
	s_add_u32 s46, s46, s77
	s_addc_u32 s56, 0, s56
	v_add_co_u32 v2, s46, v2, s46
	s_delay_alu instid0(VALU_DEP_1) | instskip(SKIP_1) | instid1(VALU_DEP_1)
	s_cmp_lg_u32 s46, 0
	s_addc_u32 s8, s8, s56
	v_readfirstlane_b32 s46, v2
	s_mul_i32 s56, s47, s8
	s_delay_alu instid0(VALU_DEP_1)
	s_mul_hi_u32 s57, s47, s46
	s_mul_i32 s76, s76, s46
	s_add_i32 s56, s57, s56
	s_mul_i32 s47, s47, s46
	s_add_i32 s56, s56, s76
	s_mul_hi_u32 s57, s8, s47
	s_mul_i32 s77, s8, s47
	s_mul_hi_u32 s47, s46, s47
	s_mul_hi_u32 s78, s46, s56
	s_mul_i32 s46, s46, s56
	s_mul_hi_u32 s76, s8, s56
	s_add_u32 s46, s47, s46
	s_addc_u32 s47, 0, s78
	s_add_u32 s46, s46, s77
	s_mul_i32 s56, s8, s56
	s_addc_u32 s46, s47, s57
	s_addc_u32 s47, s76, 0
	s_add_u32 s46, s46, s56
	s_addc_u32 s47, 0, s47
	v_add_co_u32 v2, s46, v2, s46
	s_delay_alu instid0(VALU_DEP_1) | instskip(SKIP_1) | instid1(VALU_DEP_1)
	s_cmp_lg_u32 s46, 0
	s_addc_u32 s8, s8, s47
	v_readfirstlane_b32 s46, v2
	s_mul_i32 s56, s26, s8
	s_mul_hi_u32 s47, s26, s8
	s_mul_hi_u32 s57, s9, s8
	s_mul_i32 s8, s9, s8
	s_mul_hi_u32 s76, s26, s46
	s_mul_hi_u32 s77, s9, s46
	s_mul_i32 s46, s9, s46
	s_add_u32 s56, s76, s56
	s_addc_u32 s47, 0, s47
	s_add_u32 s46, s56, s46
	s_addc_u32 s46, s47, s77
	s_addc_u32 s47, s57, 0
	s_add_u32 s8, s46, s8
	s_addc_u32 s46, 0, s47
	s_mul_hi_u32 s47, s33, s8
	s_mul_i32 s8, s33, s8
	s_mul_i32 s46, s33, s46
	v_sub_co_u32 v2, s8, s26, s8
	s_add_i32 s47, s47, s46
	s_cmp_lg_u32 s8, 0
	s_delay_alu instid0(VALU_DEP_1) | instskip(SKIP_3) | instid1(VALU_DEP_2)
	v_sub_co_u32 v3, s8, v2, s33
	s_subb_u32 s46, s9, s47
	s_cmp_lg_u32 s8, 0
	v_cmp_le_u32_e32 vcc_lo, s33, v2
	v_cmp_le_u32_e64 s8, s33, v3
	v_sub_co_u32 v6, s47, v3, s33
	s_subb_u32 s56, s46, 0
	s_cmp_lg_u32 s47, 0
	s_delay_alu instid0(VALU_DEP_2)
	v_cndmask_b32_e64 v7, 0, -1, s8
	s_subb_u32 s47, s56, 0
	s_cmp_eq_u32 s56, 0
	v_mov_b32_e32 v9, s47
	v_cndmask_b32_e64 v8, 0, -1, vcc_lo
	s_cselect_b32 vcc_lo, -1, 0
	s_cmp_eq_u32 s46, 0
	v_cndmask_b32_e32 v7, -1, v7, vcc_lo
	s_cselect_b32 vcc_lo, -1, 0
	v_cndmask_b32_e32 v8, -1, v8, vcc_lo
	s_delay_alu instid0(VALU_DEP_2) | instskip(NEXT) | instid1(VALU_DEP_2)
	v_cmp_ne_u32_e32 vcc_lo, 0, v7
	v_cmp_ne_u32_e64 s8, 0, v8
	v_cndmask_b32_e32 v7, s56, v9, vcc_lo
	v_cndmask_b32_e32 v6, v3, v6, vcc_lo
	s_delay_alu instid0(VALU_DEP_2) | instskip(NEXT) | instid1(VALU_DEP_2)
	v_cndmask_b32_e64 v3, s46, v7, s8
	v_cndmask_b32_e64 v2, v2, v6, s8
	s_cbranch_execnz .LBB177_201
.LBB177_200:                            ;   in Loop: Header=BB177_31 Depth=1
	v_cvt_f32_u32_e32 v2, s33
	s_sub_i32 s8, 0, s33
	s_delay_alu instid0(VALU_DEP_1) | instskip(SKIP_2) | instid1(VALU_DEP_1)
	v_rcp_iflag_f32_e32 v2, v2
	s_waitcnt_depctr 0xfff
	v_mul_f32_e32 v2, 0x4f7ffffe, v2
	v_cvt_u32_f32_e32 v2, v2
	s_delay_alu instid0(VALU_DEP_1) | instskip(NEXT) | instid1(VALU_DEP_1)
	v_mul_lo_u32 v3, s8, v2
	v_mul_hi_u32 v3, v2, v3
	s_delay_alu instid0(VALU_DEP_1) | instskip(NEXT) | instid1(VALU_DEP_1)
	v_add_nc_u32_e32 v2, v2, v3
	v_mul_hi_u32 v2, s26, v2
	s_delay_alu instid0(VALU_DEP_1) | instskip(NEXT) | instid1(VALU_DEP_1)
	v_mul_lo_u32 v2, v2, s33
	v_sub_nc_u32_e32 v2, s26, v2
	s_delay_alu instid0(VALU_DEP_1) | instskip(SKIP_1) | instid1(VALU_DEP_2)
	v_subrev_nc_u32_e32 v3, s33, v2
	v_cmp_le_u32_e32 vcc_lo, s33, v2
	v_cndmask_b32_e32 v2, v2, v3, vcc_lo
	s_delay_alu instid0(VALU_DEP_1) | instskip(SKIP_1) | instid1(VALU_DEP_2)
	v_subrev_nc_u32_e32 v3, s33, v2
	v_cmp_le_u32_e32 vcc_lo, s33, v2
	v_cndmask_b32_e32 v12, v2, v3, vcc_lo
	s_delay_alu instid0(VALU_DEP_1)
	v_dual_mov_b32 v2, v12 :: v_dual_mov_b32 v3, v13
.LBB177_201:                            ;   in Loop: Header=BB177_31 Depth=1
	s_delay_alu instid0(VALU_DEP_1) | instskip(NEXT) | instid1(VALU_DEP_2)
	v_sub_co_u32 v2, vcc_lo, s26, v2
	v_sub_co_ci_u32_e32 v3, vcc_lo, s9, v3, vcc_lo
	s_mov_b32 s8, 0
	s_mov_b32 s9, exec_lo
                                        ; implicit-def: $vgpr30
	s_delay_alu instid0(VALU_DEP_1)
	v_cmpx_gt_u64_e64 v[2:3], v[0:1]
	s_cbranch_execz .LBB177_213
; %bb.202:                              ;   in Loop: Header=BB177_31 Depth=1
	v_dual_mov_b32 v8, v43 :: v_dual_mov_b32 v7, v1
	v_mov_b32_e32 v6, v0
	s_mov_b32 s26, 0
                                        ; implicit-def: $sgpr46
	s_set_inst_prefetch_distance 0x1
	s_branch .LBB177_204
	.p2align	6
.LBB177_203:                            ;   in Loop: Header=BB177_204 Depth=2
	s_or_b32 exec_lo, exec_lo, s8
	s_waitcnt lgkmcnt(0)
	s_barrier
	buffer_gl0_inv
	ds_load_b32 v9, v13 offset:3072
	v_add_co_u32 v6, vcc_lo, v6, s33
	v_add_co_ci_u32_e32 v7, vcc_lo, 0, v7, vcc_lo
	v_add_nc_u32_e32 v8, s93, v8
	s_waitcnt lgkmcnt(0)
	s_barrier
	s_delay_alu instid0(VALU_DEP_2) | instskip(SKIP_2) | instid1(VALU_DEP_1)
	v_cmp_ge_u64_e32 vcc_lo, v[6:7], v[2:3]
	buffer_gl0_inv
	v_cmp_ne_u16_e64 s8, 0, v9
	s_or_b32 s47, vcc_lo, s8
	s_delay_alu instid0(SALU_CYCLE_1) | instskip(NEXT) | instid1(SALU_CYCLE_1)
	s_and_b32 s47, exec_lo, s47
	s_or_b32 s26, s47, s26
	s_and_not1_b32 s46, s46, exec_lo
	s_and_b32 s8, s8, exec_lo
	s_delay_alu instid0(SALU_CYCLE_1)
	s_or_b32 s46, s46, s8
	s_and_not1_b32 exec_lo, exec_lo, s26
	s_cbranch_execz .LBB177_212
.LBB177_204:                            ;   Parent Loop BB177_31 Depth=1
                                        ; =>  This Inner Loop Header: Depth=2
	s_delay_alu instid0(VALU_DEP_1)
	v_cmp_gt_u64_e32 vcc_lo, s[18:19], v[6:7]
	v_mov_b32_e32 v9, 0
	s_and_saveexec_b32 s8, vcc_lo
	s_cbranch_execz .LBB177_206
; %bb.205:                              ;   in Loop: Header=BB177_204 Depth=2
	ds_load_u16 v9, v8
.LBB177_206:                            ;   in Loop: Header=BB177_204 Depth=2
	s_or_b32 exec_lo, exec_lo, s8
	s_and_saveexec_b32 s8, vcc_lo
	s_cbranch_execz .LBB177_203
; %bb.207:                              ;   in Loop: Header=BB177_204 Depth=2
	s_waitcnt lgkmcnt(0)
	v_bfe_i32 v12, v9, 0, 16
	s_delay_alu instid0(VALU_DEP_1) | instskip(NEXT) | instid1(VALU_DEP_1)
	v_add_nc_u32_e32 v12, 0x8000, v12
	v_and_b32_e32 v12, v12, v29
	s_delay_alu instid0(VALU_DEP_1)
	v_cmp_eq_u32_e32 vcc_lo, v12, v28
	s_and_b32 exec_lo, exec_lo, vcc_lo
	s_cbranch_execz .LBB177_203
; %bb.208:                              ;   in Loop: Header=BB177_204 Depth=2
	v_perm_b32 v9, v9, 1, 0x5040100
	ds_store_b32 v13, v9 offset:3072
	s_branch .LBB177_203
.LBB177_209:                            ;   in Loop: Header=BB177_31 Depth=1
                                        ; implicit-def: $vgpr4_vgpr5
	s_branch .LBB177_154
.LBB177_210:                            ;   in Loop: Header=BB177_31 Depth=1
                                        ; implicit-def: $vgpr4_vgpr5
	s_branch .LBB177_170
.LBB177_211:                            ;   in Loop: Header=BB177_31 Depth=1
	s_mov_b32 s76, -1
	s_mov_b32 s8, 0
                                        ; implicit-def: $sgpr77
                                        ; implicit-def: $vgpr30
	s_mov_b32 s78, s76
	s_cbranch_execnz .LBB177_214
	s_branch .LBB177_227
.LBB177_212:                            ;   in Loop: Header=BB177_31 Depth=1
	s_set_inst_prefetch_distance 0x2
	s_or_b32 exec_lo, exec_lo, s26
	v_lshrrev_b32_e32 v30, 16, v9
	s_and_b32 s8, s46, exec_lo
.LBB177_213:                            ;   in Loop: Header=BB177_31 Depth=1
	s_or_b32 exec_lo, exec_lo, s9
	s_mov_b32 s77, -1
	s_mov_b32 s76, 0
	s_delay_alu instid0(SALU_CYCLE_1)
	s_mov_b32 s78, s76
	s_branch .LBB177_227
.LBB177_214:                            ;   in Loop: Header=BB177_31 Depth=1
	s_mov_b32 s26, s61
	s_delay_alu instid0(SALU_CYCLE_1)
	s_cmp_lg_u64 s[26:27], 0
	s_cbranch_scc0 .LBB177_247
; %bb.215:                              ;   in Loop: Header=BB177_31 Depth=1
	v_cvt_f32_u32_e32 v2, s33
	s_sub_u32 s18, 0, s33
	s_subb_u32 s19, 0, 0
	s_delay_alu instid0(VALU_DEP_1) | instskip(NEXT) | instid1(VALU_DEP_1)
	v_fmac_f32_e64 v2, 0, 0x4f800000
	v_rcp_f32_e32 v2, v2
	s_waitcnt_depctr 0xfff
	v_mul_f32_e32 v2, 0x5f7ffffc, v2
	s_delay_alu instid0(VALU_DEP_1) | instskip(NEXT) | instid1(VALU_DEP_1)
	v_mul_f32_e32 v3, 0x2f800000, v2
	v_trunc_f32_e32 v3, v3
	s_delay_alu instid0(VALU_DEP_1) | instskip(SKIP_1) | instid1(VALU_DEP_2)
	v_fmac_f32_e32 v2, 0xcf800000, v3
	v_cvt_u32_f32_e32 v3, v3
	v_cvt_u32_f32_e32 v2, v2
	s_delay_alu instid0(VALU_DEP_2) | instskip(NEXT) | instid1(VALU_DEP_2)
	v_readfirstlane_b32 s8, v3
	v_readfirstlane_b32 s9, v2
	s_delay_alu instid0(VALU_DEP_2) | instskip(NEXT) | instid1(VALU_DEP_1)
	s_mul_i32 s26, s18, s8
	s_mul_hi_u32 s47, s18, s9
	s_mul_i32 s46, s19, s9
	s_add_i32 s26, s47, s26
	s_mul_i32 s56, s18, s9
	s_add_i32 s26, s26, s46
	s_mul_hi_u32 s47, s9, s56
	s_mul_hi_u32 s57, s8, s56
	s_mul_i32 s46, s8, s56
	s_mul_hi_u32 s56, s9, s26
	s_mul_i32 s9, s9, s26
	s_mul_hi_u32 s76, s8, s26
	s_add_u32 s9, s47, s9
	s_addc_u32 s47, 0, s56
	s_add_u32 s9, s9, s46
	s_mul_i32 s26, s8, s26
	s_addc_u32 s9, s47, s57
	s_addc_u32 s46, s76, 0
	s_add_u32 s9, s9, s26
	s_addc_u32 s26, 0, s46
	v_add_co_u32 v2, s9, v2, s9
	s_delay_alu instid0(VALU_DEP_1) | instskip(SKIP_1) | instid1(VALU_DEP_1)
	s_cmp_lg_u32 s9, 0
	s_addc_u32 s8, s8, s26
	v_readfirstlane_b32 s9, v2
	s_mul_i32 s26, s18, s8
	s_delay_alu instid0(VALU_DEP_1)
	s_mul_hi_u32 s46, s18, s9
	s_mul_i32 s19, s19, s9
	s_add_i32 s26, s46, s26
	s_mul_i32 s18, s18, s9
	s_add_i32 s26, s26, s19
	s_mul_hi_u32 s46, s8, s18
	s_mul_i32 s47, s8, s18
	s_mul_hi_u32 s18, s9, s18
	s_mul_hi_u32 s56, s9, s26
	s_mul_i32 s9, s9, s26
	s_mul_hi_u32 s19, s8, s26
	s_add_u32 s9, s18, s9
	s_addc_u32 s18, 0, s56
	s_add_u32 s9, s9, s47
	s_mul_i32 s26, s8, s26
	s_addc_u32 s9, s18, s46
	s_addc_u32 s18, s19, 0
	s_add_u32 s9, s9, s26
	s_addc_u32 s18, 0, s18
	v_add_co_u32 v2, s9, v2, s9
	s_delay_alu instid0(VALU_DEP_1) | instskip(SKIP_1) | instid1(VALU_DEP_1)
	s_cmp_lg_u32 s9, 0
	s_addc_u32 s8, s8, s18
	v_readfirstlane_b32 s9, v2
	s_mul_i32 s19, s87, s8
	s_mul_hi_u32 s18, s87, s8
	s_mul_hi_u32 s26, s27, s8
	s_mul_i32 s8, s27, s8
	s_mul_hi_u32 s46, s87, s9
	s_mul_hi_u32 s47, s27, s9
	s_mul_i32 s9, s27, s9
	s_add_u32 s19, s46, s19
	s_addc_u32 s18, 0, s18
	s_add_u32 s9, s19, s9
	s_addc_u32 s9, s18, s47
	s_addc_u32 s18, s26, 0
	s_add_u32 s8, s9, s8
	s_addc_u32 s9, 0, s18
	s_mul_hi_u32 s18, s33, s8
	s_mul_i32 s8, s33, s8
	s_mul_i32 s9, s33, s9
	v_sub_co_u32 v2, s8, s87, s8
	s_add_i32 s18, s18, s9
	s_cmp_lg_u32 s8, 0
	s_delay_alu instid0(VALU_DEP_1) | instskip(SKIP_3) | instid1(VALU_DEP_2)
	v_sub_co_u32 v3, s8, v2, s33
	s_subb_u32 s9, s27, s18
	s_cmp_lg_u32 s8, 0
	v_cmp_le_u32_e32 vcc_lo, s33, v2
	v_cmp_le_u32_e64 s8, s33, v3
	v_sub_co_u32 v6, s18, v3, s33
	s_subb_u32 s19, s9, 0
	s_cmp_lg_u32 s18, 0
	s_delay_alu instid0(VALU_DEP_2)
	v_cndmask_b32_e64 v7, 0, -1, s8
	s_subb_u32 s18, s19, 0
	s_cmp_eq_u32 s19, 0
	v_mov_b32_e32 v9, s18
	v_cndmask_b32_e64 v8, 0, -1, vcc_lo
	s_cselect_b32 vcc_lo, -1, 0
	s_cmp_eq_u32 s9, 0
	v_cndmask_b32_e32 v7, -1, v7, vcc_lo
	s_cselect_b32 vcc_lo, -1, 0
	v_cndmask_b32_e32 v8, -1, v8, vcc_lo
	s_delay_alu instid0(VALU_DEP_2) | instskip(NEXT) | instid1(VALU_DEP_2)
	v_cmp_ne_u32_e32 vcc_lo, 0, v7
	v_cmp_ne_u32_e64 s8, 0, v8
	v_cndmask_b32_e32 v7, s19, v9, vcc_lo
	v_cndmask_b32_e32 v6, v3, v6, vcc_lo
	s_delay_alu instid0(VALU_DEP_2) | instskip(NEXT) | instid1(VALU_DEP_2)
	v_cndmask_b32_e64 v3, s9, v7, s8
	v_cndmask_b32_e64 v2, v2, v6, s8
	s_cbranch_execnz .LBB177_217
.LBB177_216:                            ;   in Loop: Header=BB177_31 Depth=1
	v_cvt_f32_u32_e32 v2, s33
	s_sub_i32 s8, 0, s33
	s_delay_alu instid0(VALU_DEP_1) | instskip(SKIP_2) | instid1(VALU_DEP_1)
	v_rcp_iflag_f32_e32 v2, v2
	s_waitcnt_depctr 0xfff
	v_mul_f32_e32 v2, 0x4f7ffffe, v2
	v_cvt_u32_f32_e32 v2, v2
	s_delay_alu instid0(VALU_DEP_1) | instskip(NEXT) | instid1(VALU_DEP_1)
	v_mul_lo_u32 v3, s8, v2
	v_mul_hi_u32 v3, v2, v3
	s_delay_alu instid0(VALU_DEP_1) | instskip(NEXT) | instid1(VALU_DEP_1)
	v_add_nc_u32_e32 v2, v2, v3
	v_mul_hi_u32 v2, s87, v2
	s_delay_alu instid0(VALU_DEP_1) | instskip(NEXT) | instid1(VALU_DEP_1)
	v_mul_lo_u32 v2, v2, s33
	v_sub_nc_u32_e32 v2, s87, v2
	s_delay_alu instid0(VALU_DEP_1) | instskip(SKIP_1) | instid1(VALU_DEP_2)
	v_subrev_nc_u32_e32 v3, s33, v2
	v_cmp_le_u32_e32 vcc_lo, s33, v2
	v_cndmask_b32_e32 v2, v2, v3, vcc_lo
	s_delay_alu instid0(VALU_DEP_1) | instskip(SKIP_1) | instid1(VALU_DEP_2)
	v_subrev_nc_u32_e32 v3, s33, v2
	v_cmp_le_u32_e32 vcc_lo, s33, v2
	v_cndmask_b32_e32 v12, v2, v3, vcc_lo
	s_delay_alu instid0(VALU_DEP_1)
	v_dual_mov_b32 v2, v12 :: v_dual_mov_b32 v3, v13
.LBB177_217:                            ;   in Loop: Header=BB177_31 Depth=1
	s_delay_alu instid0(VALU_DEP_1) | instskip(NEXT) | instid1(VALU_DEP_2)
	v_sub_co_u32 v2, vcc_lo, s87, v2
	v_sub_co_ci_u32_e32 v3, vcc_lo, s27, v3, vcc_lo
	s_mov_b32 s8, 0
	s_mov_b32 s9, exec_lo
                                        ; implicit-def: $vgpr30
	s_delay_alu instid0(VALU_DEP_1)
	v_cmpx_gt_u64_e64 v[2:3], v[0:1]
	s_cbranch_execz .LBB177_226
; %bb.218:                              ;   in Loop: Header=BB177_31 Depth=1
	v_dual_mov_b32 v6, v24 :: v_dual_mov_b32 v7, v25
	v_dual_mov_b32 v9, v1 :: v_dual_mov_b32 v8, v0
	s_mov_b32 s18, 0
                                        ; implicit-def: $sgpr19
	s_set_inst_prefetch_distance 0x1
	s_branch .LBB177_220
	.p2align	6
.LBB177_219:                            ;   in Loop: Header=BB177_220 Depth=2
	s_or_b32 exec_lo, exec_lo, s8
	s_waitcnt vmcnt(0) lgkmcnt(0)
	s_barrier
	buffer_gl0_inv
	ds_load_b32 v12, v13 offset:3072
	v_add_co_u32 v8, vcc_lo, v8, s33
	v_add_co_ci_u32_e32 v9, vcc_lo, 0, v9, vcc_lo
	s_waitcnt lgkmcnt(0)
	s_barrier
	buffer_gl0_inv
	v_cmp_ge_u64_e32 vcc_lo, v[8:9], v[2:3]
	v_cmp_ne_u16_e64 s8, 0, v12
	s_delay_alu instid0(VALU_DEP_1)
	s_or_b32 s26, vcc_lo, s8
	v_add_co_u32 v6, vcc_lo, v6, s34
	s_and_b32 s26, exec_lo, s26
	v_add_co_ci_u32_e32 v7, vcc_lo, s35, v7, vcc_lo
	s_or_b32 s18, s26, s18
	s_and_not1_b32 s19, s19, exec_lo
	s_and_b32 s8, s8, exec_lo
	s_delay_alu instid0(SALU_CYCLE_1)
	s_or_b32 s19, s19, s8
	s_and_not1_b32 exec_lo, exec_lo, s18
	s_cbranch_execz .LBB177_225
.LBB177_220:                            ;   Parent Loop BB177_31 Depth=1
                                        ; =>  This Inner Loop Header: Depth=2
	s_delay_alu instid0(VALU_DEP_1)
	v_cmp_gt_u64_e32 vcc_lo, s[36:37], v[8:9]
	v_mov_b32_e32 v12, 0
	s_and_saveexec_b32 s8, vcc_lo
	s_cbranch_execz .LBB177_222
; %bb.221:                              ;   in Loop: Header=BB177_220 Depth=2
	global_load_u16 v12, v[6:7], off
.LBB177_222:                            ;   in Loop: Header=BB177_220 Depth=2
	s_or_b32 exec_lo, exec_lo, s8
	s_and_saveexec_b32 s8, vcc_lo
	s_cbranch_execz .LBB177_219
; %bb.223:                              ;   in Loop: Header=BB177_220 Depth=2
	s_waitcnt vmcnt(0)
	v_bfe_i32 v30, v12, 0, 16
	s_delay_alu instid0(VALU_DEP_1) | instskip(NEXT) | instid1(VALU_DEP_1)
	v_add_nc_u32_e32 v30, 0x8000, v30
	v_and_b32_e32 v30, v30, v29
	s_delay_alu instid0(VALU_DEP_1)
	v_cmp_eq_u32_e32 vcc_lo, v30, v28
	s_and_b32 exec_lo, exec_lo, vcc_lo
	s_cbranch_execz .LBB177_219
; %bb.224:                              ;   in Loop: Header=BB177_220 Depth=2
	v_perm_b32 v12, v12, 1, 0x5040100
	ds_store_b32 v13, v12 offset:3072
	s_branch .LBB177_219
.LBB177_225:                            ;   in Loop: Header=BB177_31 Depth=1
	s_set_inst_prefetch_distance 0x2
	s_or_b32 exec_lo, exec_lo, s18
	v_lshrrev_b32_e32 v30, 16, v12
	s_and_b32 s8, s19, exec_lo
.LBB177_226:                            ;   in Loop: Header=BB177_31 Depth=1
	s_or_b32 exec_lo, exec_lo, s9
	s_mov_b32 s78, -1
	s_mov_b32 s76, 0
	s_mov_b32 s77, 0
.LBB177_227:                            ;   in Loop: Header=BB177_31 Depth=1
	s_or_not1_b32 s8, s8, exec_lo
.LBB177_228:                            ;   in Loop: Header=BB177_31 Depth=1
	s_or_b32 exec_lo, exec_lo, s59
	s_mov_b32 s26, 0
                                        ; implicit-def: $vgpr6
	s_and_saveexec_b32 s79, s8
	s_cbranch_execz .LBB177_293
; %bb.229:                              ;   in Loop: Header=BB177_31 Depth=1
	v_mov_b32_e32 v2, 1
	v_dual_mov_b32 v3, 0 :: v_dual_mov_b32 v6, 1
	s_xor_b32 s9, s58, -1
	s_delay_alu instid0(SALU_CYCLE_1)
	s_and_saveexec_b32 s8, s9
	s_cbranch_execz .LBB177_239
; %bb.230:                              ;   in Loop: Header=BB177_31 Depth=1
	s_mov_b32 s18, exec_lo
                                        ; implicit-def: $sgpr19
                                        ; implicit-def: $sgpr9
	v_cmpx_ge_u64_e64 s[14:15], v[4:5]
	s_xor_b32 s18, exec_lo, s18
	s_cbranch_execz .LBB177_236
; %bb.231:                              ;   in Loop: Header=BB177_31 Depth=1
	ds_load_b64 v[2:3], v13 offset:5120
	s_waitcnt lgkmcnt(0)
	v_cmp_ne_u64_e32 vcc_lo, 0, v[2:3]
	s_cbranch_vccnz .LBB177_235
; %bb.232:                              ;   in Loop: Header=BB177_31 Depth=1
	s_and_saveexec_b32 s9, s5
	s_cbranch_execz .LBB177_234
; %bb.233:                              ;   in Loop: Header=BB177_31 Depth=1
	v_dual_mov_b32 v2, s14 :: v_dual_mov_b32 v3, s15
	ds_store_b64 v13, v[2:3] offset:5128
.LBB177_234:                            ;   in Loop: Header=BB177_31 Depth=1
	s_or_b32 exec_lo, exec_lo, s9
	s_waitcnt lgkmcnt(0)
	s_barrier
	buffer_gl0_inv
.LBB177_235:                            ;   in Loop: Header=BB177_31 Depth=1
	s_lshl_b32 s9, 2, s22
	v_or_b32_e32 v29, s20, v29
	v_and_or_b32 v28, v28, s21, s9
	s_mov_b32 s9, 0
	s_mov_b32 s19, 8
.LBB177_236:                            ;   in Loop: Header=BB177_31 Depth=1
	s_or_saveexec_b32 s18, s18
	v_mov_b32_e32 v6, s19
	s_xor_b32 exec_lo, exec_lo, s18
; %bb.237:                              ;   in Loop: Header=BB177_31 Depth=1
	v_sub_co_u32 v4, vcc_lo, v4, s14
	v_subrev_co_ci_u32_e32 v5, vcc_lo, s15, v5, vcc_lo
	v_mov_b32_e32 v6, 0
	s_or_b32 s9, s9, exec_lo
; %bb.238:                              ;   in Loop: Header=BB177_31 Depth=1
	s_or_b32 exec_lo, exec_lo, s18
	s_delay_alu instid0(VALU_DEP_2)
	v_dual_mov_b32 v2, v4 :: v_dual_mov_b32 v3, v5
	s_and_b32 s26, s9, exec_lo
.LBB177_239:                            ;   in Loop: Header=BB177_31 Depth=1
	s_or_b32 exec_lo, exec_lo, s8
	s_mov_b32 s19, -1
                                        ; implicit-def: $sgpr8
                                        ; implicit-def: $sgpr18
                                        ; implicit-def: $sgpr9
	s_and_saveexec_b32 s58, s26
	s_cbranch_execz .LBB177_292
; %bb.240:                              ;   in Loop: Header=BB177_31 Depth=1
	v_cmp_eq_u64_e32 vcc_lo, 1, v[2:3]
	s_cmp_eq_u64 s[16:17], 1
	s_mov_b32 s26, -1
	s_cselect_b32 s8, -1, 0
                                        ; implicit-def: $sgpr18
                                        ; implicit-def: $sgpr9
	s_delay_alu instid0(SALU_CYCLE_1) | instskip(NEXT) | instid1(SALU_CYCLE_1)
	s_and_b32 s59, s8, vcc_lo
                                        ; implicit-def: $sgpr8
	s_and_saveexec_b32 s46, s59
	s_cbranch_execz .LBB177_279
; %bb.241:                              ;   in Loop: Header=BB177_31 Depth=1
	ds_load_b64 v[4:5], v13 offset:5120
	s_waitcnt lgkmcnt(0)
	s_barrier
	buffer_gl0_inv
	v_readfirstlane_b32 s18, v4
	v_readfirstlane_b32 s19, v5
	s_and_saveexec_b32 s8, s6
	s_cbranch_execz .LBB177_243
; %bb.242:                              ;   in Loop: Header=BB177_31 Depth=1
	ds_store_b16 v44, v13
.LBB177_243:                            ;   in Loop: Header=BB177_31 Depth=1
	s_or_b32 exec_lo, exec_lo, s8
	v_or_b32_e32 v28, s20, v28
	v_or_b32_e32 v29, s20, v29
	s_cmp_eq_u64 s[18:19], 0
	s_waitcnt lgkmcnt(0)
	s_barrier
	buffer_gl0_inv
	s_cbranch_scc1 .LBB177_248
; %bb.244:                              ;   in Loop: Header=BB177_31 Depth=1
	s_add_u32 s26, s85, s18
	s_addc_u32 s9, s86, s19
	s_mov_b32 s8, s61
	s_delay_alu instid0(SALU_CYCLE_1)
	s_cmp_lg_u64 s[8:9], 0
	s_cbranch_scc0 .LBB177_249
; %bb.245:                              ;   in Loop: Header=BB177_31 Depth=1
	v_cvt_f32_u32_e32 v4, s33
	s_sub_u32 s56, 0, s33
	s_subb_u32 s57, 0, 0
	s_delay_alu instid0(VALU_DEP_1) | instskip(NEXT) | instid1(VALU_DEP_1)
	v_fmac_f32_e64 v4, 0, 0x4f800000
	v_rcp_f32_e32 v4, v4
	s_waitcnt_depctr 0xfff
	v_mul_f32_e32 v4, 0x5f7ffffc, v4
	s_delay_alu instid0(VALU_DEP_1) | instskip(NEXT) | instid1(VALU_DEP_1)
	v_mul_f32_e32 v5, 0x2f800000, v4
	v_trunc_f32_e32 v5, v5
	s_delay_alu instid0(VALU_DEP_1) | instskip(SKIP_1) | instid1(VALU_DEP_2)
	v_fmac_f32_e32 v4, 0xcf800000, v5
	v_cvt_u32_f32_e32 v5, v5
	v_cvt_u32_f32_e32 v4, v4
	s_delay_alu instid0(VALU_DEP_2) | instskip(NEXT) | instid1(VALU_DEP_2)
	v_readfirstlane_b32 s8, v5
	v_readfirstlane_b32 s47, v4
	s_delay_alu instid0(VALU_DEP_2) | instskip(NEXT) | instid1(VALU_DEP_1)
	s_mul_i32 vcc_lo, s56, s8
	s_mul_hi_u32 s42, s56, s47
	s_mul_i32 s3, s57, s47
	s_add_i32 s42, s42, vcc_lo
	s_mul_i32 s43, s56, s47
	s_add_i32 s42, s42, s3
	s_mul_hi_u32 vcc_lo, s47, s43
	s_mul_hi_u32 s50, s8, s43
	s_mul_i32 s3, s8, s43
	s_mul_hi_u32 s43, s47, s42
	s_mul_i32 s47, s47, s42
	s_mul_hi_u32 s51, s8, s42
	s_add_u32 s47, vcc_lo, s47
	s_addc_u32 s43, 0, s43
	s_add_u32 s3, s47, s3
	s_mul_i32 s42, s8, s42
	s_addc_u32 s3, s43, s50
	s_addc_u32 s43, s51, 0
	s_add_u32 s3, s3, s42
	s_addc_u32 s42, 0, s43
	v_add_co_u32 v4, s3, v4, s3
	s_delay_alu instid0(VALU_DEP_1) | instskip(SKIP_1) | instid1(VALU_DEP_1)
	s_cmp_lg_u32 s3, 0
	s_addc_u32 s8, s8, s42
	v_readfirstlane_b32 s3, v4
	s_mul_i32 s42, s56, s8
	s_delay_alu instid0(VALU_DEP_1)
	s_mul_hi_u32 s43, s56, s3
	s_mul_i32 s57, s57, s3
	s_add_i32 s42, s43, s42
	s_mul_i32 s56, s56, s3
	s_add_i32 s42, s42, s57
	s_mul_hi_u32 s43, s8, s56
	s_mul_i32 s47, s8, s56
	s_mul_hi_u32 s50, s3, s56
	s_mul_hi_u32 s56, s3, s42
	s_mul_i32 s3, s3, s42
	s_mul_hi_u32 s51, s8, s42
	s_add_u32 s3, s50, s3
	s_addc_u32 s50, 0, s56
	s_add_u32 s3, s3, s47
	s_mul_i32 s42, s8, s42
	s_addc_u32 s3, s50, s43
	s_addc_u32 s43, s51, 0
	s_add_u32 s3, s3, s42
	s_addc_u32 s42, 0, s43
	v_add_co_u32 v4, s3, v4, s3
	s_delay_alu instid0(VALU_DEP_1) | instskip(SKIP_1) | instid1(VALU_DEP_1)
	s_cmp_lg_u32 s3, 0
	s_addc_u32 s3, s8, s42
	v_readfirstlane_b32 s8, v4
	s_mul_i32 s43, s26, s3
	s_mul_hi_u32 s42, s26, s3
	s_mul_hi_u32 s47, s9, s3
	s_mul_i32 s3, s9, s3
	s_mul_hi_u32 s50, s26, s8
	s_mul_hi_u32 s51, s9, s8
	s_mul_i32 s8, s9, s8
	s_add_u32 s43, s50, s43
	s_addc_u32 s42, 0, s42
	s_add_u32 s8, s43, s8
	s_addc_u32 s8, s42, s51
	s_addc_u32 s42, s47, 0
	s_add_u32 s3, s8, s3
	s_addc_u32 s8, 0, s42
	s_mul_hi_u32 s42, s33, s3
	s_mul_i32 s3, s33, s3
	s_mul_i32 s8, s33, s8
	v_sub_co_u32 v4, s3, s26, s3
	s_add_i32 s42, s42, s8
	s_cmp_lg_u32 s3, 0
	s_delay_alu instid0(VALU_DEP_1) | instskip(SKIP_3) | instid1(VALU_DEP_2)
	v_sub_co_u32 v5, s3, v4, s33
	s_subb_u32 s42, s9, s42
	s_cmp_lg_u32 s3, 0
	v_cmp_le_u32_e32 vcc_lo, s33, v4
	v_cmp_le_u32_e64 s8, s33, v5
	v_sub_co_u32 v6, s3, v5, s33
	s_subb_u32 s43, s42, 0
	s_cmp_lg_u32 s3, 0
	s_delay_alu instid0(VALU_DEP_2)
	v_cndmask_b32_e64 v7, 0, -1, s8
	s_subb_u32 s3, s43, 0
	s_cmp_eq_u32 s43, 0
	v_mov_b32_e32 v9, s3
	v_cndmask_b32_e64 v8, 0, -1, vcc_lo
	s_cselect_b32 vcc_lo, -1, 0
	s_cmp_eq_u32 s42, 0
	v_cndmask_b32_e32 v7, -1, v7, vcc_lo
	s_cselect_b32 vcc_lo, -1, 0
	v_cndmask_b32_e32 v8, -1, v8, vcc_lo
	s_delay_alu instid0(VALU_DEP_2) | instskip(NEXT) | instid1(VALU_DEP_2)
	v_cmp_ne_u32_e32 vcc_lo, 0, v7
	v_cmp_ne_u32_e64 s8, 0, v8
	v_cndmask_b32_e32 v7, s43, v9, vcc_lo
	v_cndmask_b32_e32 v6, v5, v6, vcc_lo
	s_delay_alu instid0(VALU_DEP_2) | instskip(NEXT) | instid1(VALU_DEP_2)
	v_cndmask_b32_e64 v5, s42, v7, s8
	v_cndmask_b32_e64 v4, v4, v6, s8
	s_mov_b32 s8, 0
	s_branch .LBB177_250
.LBB177_246:                            ;   in Loop: Header=BB177_31 Depth=1
                                        ; implicit-def: $vgpr2_vgpr3
	s_branch .LBB177_200
.LBB177_247:                            ;   in Loop: Header=BB177_31 Depth=1
                                        ; implicit-def: $vgpr2_vgpr3
	s_branch .LBB177_216
.LBB177_248:                            ;   in Loop: Header=BB177_31 Depth=1
	s_mov_b32 s8, -1
	s_mov_b32 s26, 0
                                        ; implicit-def: $sgpr9
                                        ; implicit-def: $vgpr30
	s_branch .LBB177_262
.LBB177_249:                            ;   in Loop: Header=BB177_31 Depth=1
	s_mov_b32 s8, -1
                                        ; implicit-def: $vgpr4_vgpr5
.LBB177_250:                            ;   in Loop: Header=BB177_31 Depth=1
	s_delay_alu instid0(SALU_CYCLE_1)
	s_and_not1_b32 vcc_lo, exec_lo, s8
	s_cbranch_vccnz .LBB177_252
; %bb.251:                              ;   in Loop: Header=BB177_31 Depth=1
	v_cvt_f32_u32_e32 v4, s33
	s_sub_i32 s8, 0, s33
	s_delay_alu instid0(VALU_DEP_1) | instskip(SKIP_2) | instid1(VALU_DEP_1)
	v_rcp_iflag_f32_e32 v4, v4
	s_waitcnt_depctr 0xfff
	v_mul_f32_e32 v4, 0x4f7ffffe, v4
	v_cvt_u32_f32_e32 v4, v4
	s_delay_alu instid0(VALU_DEP_1) | instskip(NEXT) | instid1(VALU_DEP_1)
	v_mul_lo_u32 v5, s8, v4
	v_mul_hi_u32 v5, v4, v5
	s_delay_alu instid0(VALU_DEP_1) | instskip(NEXT) | instid1(VALU_DEP_1)
	v_add_nc_u32_e32 v4, v4, v5
	v_mul_hi_u32 v4, s26, v4
	s_delay_alu instid0(VALU_DEP_1) | instskip(NEXT) | instid1(VALU_DEP_1)
	v_mul_lo_u32 v4, v4, s33
	v_sub_nc_u32_e32 v4, s26, v4
	s_delay_alu instid0(VALU_DEP_1) | instskip(SKIP_1) | instid1(VALU_DEP_2)
	v_subrev_nc_u32_e32 v5, s33, v4
	v_cmp_le_u32_e32 vcc_lo, s33, v4
	v_cndmask_b32_e32 v4, v4, v5, vcc_lo
	s_delay_alu instid0(VALU_DEP_1) | instskip(SKIP_1) | instid1(VALU_DEP_2)
	v_subrev_nc_u32_e32 v5, s33, v4
	v_cmp_le_u32_e32 vcc_lo, s33, v4
	v_cndmask_b32_e32 v12, v4, v5, vcc_lo
	s_delay_alu instid0(VALU_DEP_1)
	v_dual_mov_b32 v4, v12 :: v_dual_mov_b32 v5, v13
.LBB177_252:                            ;   in Loop: Header=BB177_31 Depth=1
	s_delay_alu instid0(VALU_DEP_1) | instskip(NEXT) | instid1(VALU_DEP_2)
	v_sub_co_u32 v4, vcc_lo, s26, v4
	v_sub_co_ci_u32_e32 v5, vcc_lo, s9, v5, vcc_lo
	s_mov_b32 s26, 0
	s_mov_b32 s9, exec_lo
                                        ; implicit-def: $vgpr30
	s_delay_alu instid0(VALU_DEP_1)
	v_cmpx_gt_u64_e64 v[4:5], v[0:1]
	s_cbranch_execz .LBB177_261
; %bb.253:                              ;   in Loop: Header=BB177_31 Depth=1
	v_dual_mov_b32 v8, v43 :: v_dual_mov_b32 v7, v1
	v_mov_b32_e32 v6, v0
                                        ; implicit-def: $sgpr47
	s_set_inst_prefetch_distance 0x1
	s_branch .LBB177_255
	.p2align	6
.LBB177_254:                            ;   in Loop: Header=BB177_255 Depth=2
	s_or_b32 exec_lo, exec_lo, s8
	s_waitcnt lgkmcnt(0)
	s_barrier
	buffer_gl0_inv
	ds_load_b32 v9, v13 offset:3072
	v_add_co_u32 v6, vcc_lo, v6, s33
	v_add_co_ci_u32_e32 v7, vcc_lo, 0, v7, vcc_lo
	v_add_nc_u32_e32 v8, s93, v8
	s_waitcnt lgkmcnt(0)
	s_barrier
	s_delay_alu instid0(VALU_DEP_2) | instskip(SKIP_2) | instid1(VALU_DEP_1)
	v_cmp_ge_u64_e32 vcc_lo, v[6:7], v[4:5]
	buffer_gl0_inv
	v_cmp_ne_u16_e64 s8, 0, v9
	s_or_b32 s3, vcc_lo, s8
	s_delay_alu instid0(SALU_CYCLE_1) | instskip(NEXT) | instid1(SALU_CYCLE_1)
	s_and_b32 s3, exec_lo, s3
	s_or_b32 s26, s3, s26
	s_and_not1_b32 s3, s47, exec_lo
	s_and_b32 s8, s8, exec_lo
	s_delay_alu instid0(SALU_CYCLE_1)
	s_or_b32 s47, s3, s8
	s_and_not1_b32 exec_lo, exec_lo, s26
	s_cbranch_execz .LBB177_260
.LBB177_255:                            ;   Parent Loop BB177_31 Depth=1
                                        ; =>  This Inner Loop Header: Depth=2
	s_delay_alu instid0(VALU_DEP_1)
	v_cmp_gt_u64_e32 vcc_lo, s[18:19], v[6:7]
	v_mov_b32_e32 v9, 0
	s_and_saveexec_b32 s8, vcc_lo
	s_cbranch_execz .LBB177_257
; %bb.256:                              ;   in Loop: Header=BB177_255 Depth=2
	ds_load_u16 v9, v8
.LBB177_257:                            ;   in Loop: Header=BB177_255 Depth=2
	s_or_b32 exec_lo, exec_lo, s8
	s_and_saveexec_b32 s8, vcc_lo
	s_cbranch_execz .LBB177_254
; %bb.258:                              ;   in Loop: Header=BB177_255 Depth=2
	s_waitcnt lgkmcnt(0)
	v_bfe_i32 v12, v9, 0, 16
	s_delay_alu instid0(VALU_DEP_1) | instskip(NEXT) | instid1(VALU_DEP_1)
	v_add_nc_u32_e32 v12, 0x8000, v12
	v_and_b32_e32 v12, v12, v29
	s_delay_alu instid0(VALU_DEP_1)
	v_cmp_eq_u32_e32 vcc_lo, v12, v28
	s_and_b32 exec_lo, exec_lo, vcc_lo
	s_cbranch_execz .LBB177_254
; %bb.259:                              ;   in Loop: Header=BB177_255 Depth=2
	v_perm_b32 v9, v9, 1, 0x5040100
	ds_store_b32 v13, v9 offset:3072
	s_branch .LBB177_254
.LBB177_260:                            ;   in Loop: Header=BB177_31 Depth=1
	s_set_inst_prefetch_distance 0x2
	s_or_b32 exec_lo, exec_lo, s26
	v_lshrrev_b32_e32 v30, 16, v9
	s_and_b32 s26, s47, exec_lo
.LBB177_261:                            ;   in Loop: Header=BB177_31 Depth=1
	s_or_b32 exec_lo, exec_lo, s9
	s_mov_b32 s9, -1
	s_mov_b32 s8, 0
.LBB177_262:                            ;   in Loop: Header=BB177_31 Depth=1
	s_delay_alu instid0(SALU_CYCLE_1)
	s_and_b32 vcc_lo, exec_lo, s8
	s_mov_b32 s18, s8
	s_cbranch_vccz .LBB177_278
; %bb.263:                              ;   in Loop: Header=BB177_31 Depth=1
	s_mov_b32 s26, s61
	s_delay_alu instid0(SALU_CYCLE_1)
	s_cmp_lg_u64 s[26:27], 0
	s_cbranch_scc0 .LBB177_265
; %bb.264:                              ;   in Loop: Header=BB177_31 Depth=1
	v_cvt_f32_u32_e32 v4, s33
	s_sub_u32 s9, 0, s33
	s_subb_u32 s18, 0, 0
	s_delay_alu instid0(VALU_DEP_1) | instskip(NEXT) | instid1(VALU_DEP_1)
	v_fmac_f32_e64 v4, 0, 0x4f800000
	v_rcp_f32_e32 v4, v4
	s_waitcnt_depctr 0xfff
	v_mul_f32_e32 v4, 0x5f7ffffc, v4
	s_delay_alu instid0(VALU_DEP_1) | instskip(NEXT) | instid1(VALU_DEP_1)
	v_mul_f32_e32 v5, 0x2f800000, v4
	v_trunc_f32_e32 v5, v5
	s_delay_alu instid0(VALU_DEP_1) | instskip(SKIP_1) | instid1(VALU_DEP_2)
	v_fmac_f32_e32 v4, 0xcf800000, v5
	v_cvt_u32_f32_e32 v5, v5
	v_cvt_u32_f32_e32 v4, v4
	s_delay_alu instid0(VALU_DEP_2) | instskip(NEXT) | instid1(VALU_DEP_2)
	v_readfirstlane_b32 s3, v5
	v_readfirstlane_b32 s8, v4
	s_delay_alu instid0(VALU_DEP_2) | instskip(NEXT) | instid1(VALU_DEP_1)
	s_mul_i32 s19, s9, s3
	s_mul_hi_u32 s42, s9, s8
	s_mul_i32 s26, s18, s8
	s_add_i32 s19, s42, s19
	s_mul_i32 s43, s9, s8
	s_add_i32 s19, s19, s26
	s_mul_hi_u32 s42, s8, s43
	s_mul_hi_u32 s47, s3, s43
	s_mul_i32 s26, s3, s43
	s_mul_hi_u32 s43, s8, s19
	s_mul_i32 s8, s8, s19
	s_mul_hi_u32 s50, s3, s19
	s_add_u32 s8, s42, s8
	s_addc_u32 s42, 0, s43
	s_add_u32 s8, s8, s26
	s_mul_i32 s19, s3, s19
	s_addc_u32 s8, s42, s47
	s_addc_u32 s26, s50, 0
	s_add_u32 s8, s8, s19
	s_addc_u32 s19, 0, s26
	v_add_co_u32 v4, s8, v4, s8
	s_delay_alu instid0(VALU_DEP_1) | instskip(SKIP_1) | instid1(VALU_DEP_1)
	s_cmp_lg_u32 s8, 0
	s_addc_u32 s3, s3, s19
	v_readfirstlane_b32 s8, v4
	s_mul_i32 s19, s9, s3
	s_delay_alu instid0(VALU_DEP_1)
	s_mul_hi_u32 s26, s9, s8
	s_mul_i32 s18, s18, s8
	s_add_i32 s19, s26, s19
	s_mul_i32 s9, s9, s8
	s_add_i32 s19, s19, s18
	s_mul_hi_u32 s26, s3, s9
	s_mul_i32 s42, s3, s9
	s_mul_hi_u32 s9, s8, s9
	s_mul_hi_u32 s43, s8, s19
	s_mul_i32 s8, s8, s19
	s_mul_hi_u32 s18, s3, s19
	s_add_u32 s8, s9, s8
	s_addc_u32 s9, 0, s43
	s_add_u32 s8, s8, s42
	s_mul_i32 s19, s3, s19
	s_addc_u32 s8, s9, s26
	s_addc_u32 s9, s18, 0
	s_add_u32 s8, s8, s19
	s_addc_u32 s9, 0, s9
	v_add_co_u32 v4, s8, v4, s8
	s_delay_alu instid0(VALU_DEP_1) | instskip(SKIP_1) | instid1(VALU_DEP_1)
	s_cmp_lg_u32 s8, 0
	s_addc_u32 s3, s3, s9
	v_readfirstlane_b32 s8, v4
	s_mul_i32 s18, s87, s3
	s_mul_hi_u32 s9, s87, s3
	s_mul_hi_u32 s19, s27, s3
	s_mul_i32 s3, s27, s3
	s_mul_hi_u32 s26, s87, s8
	s_mul_hi_u32 s42, s27, s8
	s_mul_i32 s8, s27, s8
	s_add_u32 s18, s26, s18
	s_addc_u32 s9, 0, s9
	s_add_u32 s8, s18, s8
	s_addc_u32 s8, s9, s42
	s_addc_u32 s9, s19, 0
	s_add_u32 s3, s8, s3
	s_addc_u32 s8, 0, s9
	s_mul_hi_u32 s9, s33, s3
	s_mul_i32 s3, s33, s3
	s_mul_i32 s8, s33, s8
	v_sub_co_u32 v4, s3, s87, s3
	s_add_i32 s9, s9, s8
	s_cmp_lg_u32 s3, 0
	s_delay_alu instid0(VALU_DEP_1) | instskip(SKIP_3) | instid1(VALU_DEP_2)
	v_sub_co_u32 v5, s3, v4, s33
	s_subb_u32 s9, s27, s9
	s_cmp_lg_u32 s3, 0
	v_cmp_le_u32_e32 vcc_lo, s33, v4
	v_cmp_le_u32_e64 s8, s33, v5
	v_sub_co_u32 v6, s3, v5, s33
	s_subb_u32 s18, s9, 0
	s_cmp_lg_u32 s3, 0
	s_delay_alu instid0(VALU_DEP_2)
	v_cndmask_b32_e64 v7, 0, -1, s8
	s_subb_u32 s3, s18, 0
	s_cmp_eq_u32 s18, 0
	v_mov_b32_e32 v9, s3
	v_cndmask_b32_e64 v8, 0, -1, vcc_lo
	s_cselect_b32 vcc_lo, -1, 0
	s_cmp_eq_u32 s9, 0
	v_cndmask_b32_e32 v7, -1, v7, vcc_lo
	s_cselect_b32 vcc_lo, -1, 0
	v_cndmask_b32_e32 v8, -1, v8, vcc_lo
	s_delay_alu instid0(VALU_DEP_2) | instskip(NEXT) | instid1(VALU_DEP_2)
	v_cmp_ne_u32_e32 vcc_lo, 0, v7
	v_cmp_ne_u32_e64 s8, 0, v8
	v_cndmask_b32_e32 v7, s18, v9, vcc_lo
	v_cndmask_b32_e32 v6, v5, v6, vcc_lo
	s_delay_alu instid0(VALU_DEP_2) | instskip(NEXT) | instid1(VALU_DEP_2)
	v_cndmask_b32_e64 v5, s9, v7, s8
	v_cndmask_b32_e64 v4, v4, v6, s8
	s_mov_b32 s8, 0
	s_branch .LBB177_266
.LBB177_265:                            ;   in Loop: Header=BB177_31 Depth=1
	s_mov_b32 s8, -1
                                        ; implicit-def: $vgpr4_vgpr5
.LBB177_266:                            ;   in Loop: Header=BB177_31 Depth=1
	s_delay_alu instid0(SALU_CYCLE_1)
	s_and_not1_b32 vcc_lo, exec_lo, s8
	s_cbranch_vccnz .LBB177_268
; %bb.267:                              ;   in Loop: Header=BB177_31 Depth=1
	v_cvt_f32_u32_e32 v4, s33
	s_sub_i32 s3, 0, s33
	s_delay_alu instid0(VALU_DEP_1) | instskip(SKIP_2) | instid1(VALU_DEP_1)
	v_rcp_iflag_f32_e32 v4, v4
	s_waitcnt_depctr 0xfff
	v_mul_f32_e32 v4, 0x4f7ffffe, v4
	v_cvt_u32_f32_e32 v4, v4
	s_delay_alu instid0(VALU_DEP_1) | instskip(NEXT) | instid1(VALU_DEP_1)
	v_mul_lo_u32 v5, s3, v4
	v_mul_hi_u32 v5, v4, v5
	s_delay_alu instid0(VALU_DEP_1) | instskip(NEXT) | instid1(VALU_DEP_1)
	v_add_nc_u32_e32 v4, v4, v5
	v_mul_hi_u32 v4, s87, v4
	s_delay_alu instid0(VALU_DEP_1) | instskip(NEXT) | instid1(VALU_DEP_1)
	v_mul_lo_u32 v4, v4, s33
	v_sub_nc_u32_e32 v4, s87, v4
	s_delay_alu instid0(VALU_DEP_1) | instskip(SKIP_1) | instid1(VALU_DEP_2)
	v_subrev_nc_u32_e32 v5, s33, v4
	v_cmp_le_u32_e32 vcc_lo, s33, v4
	v_cndmask_b32_e32 v4, v4, v5, vcc_lo
	s_delay_alu instid0(VALU_DEP_1) | instskip(SKIP_1) | instid1(VALU_DEP_2)
	v_subrev_nc_u32_e32 v5, s33, v4
	v_cmp_le_u32_e32 vcc_lo, s33, v4
	v_cndmask_b32_e32 v12, v4, v5, vcc_lo
	s_delay_alu instid0(VALU_DEP_1)
	v_dual_mov_b32 v4, v12 :: v_dual_mov_b32 v5, v13
.LBB177_268:                            ;   in Loop: Header=BB177_31 Depth=1
	s_delay_alu instid0(VALU_DEP_1) | instskip(NEXT) | instid1(VALU_DEP_2)
	v_sub_co_u32 v4, vcc_lo, s87, v4
	v_sub_co_ci_u32_e32 v5, vcc_lo, s27, v5, vcc_lo
	s_mov_b32 s26, 0
	s_mov_b32 s9, exec_lo
                                        ; implicit-def: $vgpr30
	s_delay_alu instid0(VALU_DEP_1)
	v_cmpx_gt_u64_e64 v[4:5], v[0:1]
	s_cbranch_execz .LBB177_277
; %bb.269:                              ;   in Loop: Header=BB177_31 Depth=1
	v_dual_mov_b32 v6, v24 :: v_dual_mov_b32 v7, v25
	v_dual_mov_b32 v9, v1 :: v_dual_mov_b32 v8, v0
	s_mov_b32 s18, 0
                                        ; implicit-def: $sgpr19
	s_set_inst_prefetch_distance 0x1
	s_branch .LBB177_271
	.p2align	6
.LBB177_270:                            ;   in Loop: Header=BB177_271 Depth=2
	s_or_b32 exec_lo, exec_lo, s8
	s_waitcnt vmcnt(0) lgkmcnt(0)
	s_barrier
	buffer_gl0_inv
	ds_load_b32 v12, v13 offset:3072
	v_add_co_u32 v8, vcc_lo, v8, s33
	v_add_co_ci_u32_e32 v9, vcc_lo, 0, v9, vcc_lo
	s_waitcnt lgkmcnt(0)
	s_barrier
	buffer_gl0_inv
	v_cmp_ge_u64_e32 vcc_lo, v[8:9], v[4:5]
	v_cmp_ne_u16_e64 s8, 0, v12
	s_delay_alu instid0(VALU_DEP_1)
	s_or_b32 s3, vcc_lo, s8
	v_add_co_u32 v6, vcc_lo, v6, s34
	s_and_b32 s3, exec_lo, s3
	v_add_co_ci_u32_e32 v7, vcc_lo, s35, v7, vcc_lo
	s_or_b32 s18, s3, s18
	s_and_not1_b32 s3, s19, exec_lo
	s_and_b32 s8, s8, exec_lo
	s_delay_alu instid0(SALU_CYCLE_1)
	s_or_b32 s19, s3, s8
	s_and_not1_b32 exec_lo, exec_lo, s18
	s_cbranch_execz .LBB177_276
.LBB177_271:                            ;   Parent Loop BB177_31 Depth=1
                                        ; =>  This Inner Loop Header: Depth=2
	s_delay_alu instid0(VALU_DEP_1)
	v_cmp_gt_u64_e32 vcc_lo, s[36:37], v[8:9]
	v_mov_b32_e32 v12, 0
	s_and_saveexec_b32 s8, vcc_lo
	s_cbranch_execz .LBB177_273
; %bb.272:                              ;   in Loop: Header=BB177_271 Depth=2
	global_load_u16 v12, v[6:7], off
.LBB177_273:                            ;   in Loop: Header=BB177_271 Depth=2
	s_or_b32 exec_lo, exec_lo, s8
	s_and_saveexec_b32 s8, vcc_lo
	s_cbranch_execz .LBB177_270
; %bb.274:                              ;   in Loop: Header=BB177_271 Depth=2
	s_waitcnt vmcnt(0)
	v_bfe_i32 v30, v12, 0, 16
	s_delay_alu instid0(VALU_DEP_1) | instskip(NEXT) | instid1(VALU_DEP_1)
	v_add_nc_u32_e32 v30, 0x8000, v30
	v_and_b32_e32 v30, v30, v29
	s_delay_alu instid0(VALU_DEP_1)
	v_cmp_eq_u32_e32 vcc_lo, v30, v28
	s_and_b32 exec_lo, exec_lo, vcc_lo
	s_cbranch_execz .LBB177_270
; %bb.275:                              ;   in Loop: Header=BB177_271 Depth=2
	v_perm_b32 v12, v12, 1, 0x5040100
	ds_store_b32 v13, v12 offset:3072
	s_branch .LBB177_270
.LBB177_276:                            ;   in Loop: Header=BB177_31 Depth=1
	s_set_inst_prefetch_distance 0x2
	s_or_b32 exec_lo, exec_lo, s18
	v_lshrrev_b32_e32 v30, 16, v12
	s_and_b32 s26, s19, exec_lo
.LBB177_277:                            ;   in Loop: Header=BB177_31 Depth=1
	s_or_b32 exec_lo, exec_lo, s9
	s_mov_b32 s18, -1
	s_mov_b32 s8, 0
	s_mov_b32 s9, 0
.LBB177_278:                            ;   in Loop: Header=BB177_31 Depth=1
	s_or_not1_b32 s26, s26, exec_lo
.LBB177_279:                            ;   in Loop: Header=BB177_31 Depth=1
	s_or_b32 exec_lo, exec_lo, s46
	s_mov_b32 s46, 0
                                        ; implicit-def: $vgpr6
                                        ; implicit-def: $vgpr4_vgpr5
	s_and_saveexec_b32 s19, s26
	s_cbranch_execz .LBB177_291
; %bb.280:                              ;   in Loop: Header=BB177_31 Depth=1
	v_mov_b32_e32 v4, 1
	v_dual_mov_b32 v5, 0 :: v_dual_mov_b32 v6, 1
	s_xor_b32 s3, s59, -1
	s_delay_alu instid0(SALU_CYCLE_1)
	s_and_saveexec_b32 s26, s3
	s_cbranch_execz .LBB177_290
; %bb.281:                              ;   in Loop: Header=BB177_31 Depth=1
                                        ; implicit-def: $sgpr47
	s_mov_b32 s3, exec_lo
	v_cmpx_ge_u64_e64 s[16:17], v[2:3]
	s_xor_b32 s46, exec_lo, s3
	s_cbranch_execz .LBB177_287
; %bb.282:                              ;   in Loop: Header=BB177_31 Depth=1
	ds_load_b64 v[4:5], v13 offset:5120
	s_waitcnt lgkmcnt(0)
	v_cmp_ne_u64_e32 vcc_lo, 0, v[4:5]
	s_cbranch_vccnz .LBB177_286
; %bb.283:                              ;   in Loop: Header=BB177_31 Depth=1
	s_and_saveexec_b32 s47, s5
	s_cbranch_execz .LBB177_285
; %bb.284:                              ;   in Loop: Header=BB177_31 Depth=1
	v_dual_mov_b32 v4, s16 :: v_dual_mov_b32 v5, s17
	ds_store_b64 v13, v[4:5] offset:5128
.LBB177_285:                            ;   in Loop: Header=BB177_31 Depth=1
	s_or_b32 exec_lo, exec_lo, s47
	s_waitcnt lgkmcnt(0)
	s_barrier
	buffer_gl0_inv
.LBB177_286:                            ;   in Loop: Header=BB177_31 Depth=1
	v_or_b32_e32 v28, s20, v28
	v_or_b32_e32 v29, s20, v29
	s_mov_b32 s47, 8
.LBB177_287:                            ;   in Loop: Header=BB177_31 Depth=1
	s_or_saveexec_b32 s46, s46
	v_mov_b32_e32 v6, s47
	s_xor_b32 exec_lo, exec_lo, s46
; %bb.288:                              ;   in Loop: Header=BB177_31 Depth=1
	v_sub_co_u32 v2, vcc_lo, v2, s16
	v_subrev_co_ci_u32_e32 v3, vcc_lo, s17, v3, vcc_lo
	v_mov_b32_e32 v6, 8
; %bb.289:                              ;   in Loop: Header=BB177_31 Depth=1
	s_or_b32 exec_lo, exec_lo, s46
	s_delay_alu instid0(VALU_DEP_2)
	v_dual_mov_b32 v5, v3 :: v_dual_mov_b32 v4, v2
.LBB177_290:                            ;   in Loop: Header=BB177_31 Depth=1
	s_or_b32 exec_lo, exec_lo, s26
	s_delay_alu instid0(SALU_CYCLE_1)
	s_mov_b32 s46, exec_lo
.LBB177_291:                            ;   in Loop: Header=BB177_31 Depth=1
	s_or_b32 exec_lo, exec_lo, s19
	s_delay_alu instid0(VALU_DEP_1)
	v_dual_mov_b32 v2, v4 :: v_dual_mov_b32 v3, v5
	s_or_not1_b32 s19, s46, exec_lo
.LBB177_292:                            ;   in Loop: Header=BB177_31 Depth=1
	s_or_b32 exec_lo, exec_lo, s58
	s_delay_alu instid0(SALU_CYCLE_1)
	s_and_not1_b32 s26, s76, exec_lo
	s_and_b32 s8, s8, exec_lo
	v_dual_mov_b32 v5, v3 :: v_dual_mov_b32 v4, v2
	s_or_b32 s76, s26, s8
	s_and_not1_b32 s8, s78, exec_lo
	s_and_b32 s18, s18, exec_lo
	s_and_not1_b32 s26, s77, exec_lo
	s_and_b32 s9, s9, exec_lo
	s_or_b32 s78, s8, s18
	s_or_b32 s77, s26, s9
	s_and_b32 s26, s19, exec_lo
.LBB177_293:                            ;   in Loop: Header=BB177_31 Depth=1
	s_or_b32 exec_lo, exec_lo, s79
	s_delay_alu instid0(SALU_CYCLE_1)
	s_and_b32 s19, s76, exec_lo
	s_and_b32 s18, s78, exec_lo
	;; [unrolled: 1-line block ×3, first 2 shown]
	s_or_not1_b32 s8, s26, exec_lo
.LBB177_294:                            ;   in Loop: Header=BB177_31 Depth=1
	s_or_b32 exec_lo, exec_lo, s75
	s_delay_alu instid0(SALU_CYCLE_1)
	s_and_not1_b32 s25, s25, exec_lo
	s_and_b32 s19, s19, exec_lo
	v_dual_mov_b32 v2, v4 :: v_dual_mov_b32 v3, v5
	s_or_b32 s25, s25, s19
	s_and_not1_b32 s19, s73, exec_lo
	s_and_b32 s18, s18, exec_lo
	s_and_not1_b32 s26, s72, exec_lo
	s_and_b32 s9, s9, exec_lo
	s_or_b32 s73, s19, s18
	s_or_b32 s72, s26, s9
	s_and_b32 s26, s8, exec_lo
.LBB177_295:                            ;   in Loop: Header=BB177_31 Depth=1
	s_or_b32 exec_lo, exec_lo, s74
	s_delay_alu instid0(SALU_CYCLE_1)
	s_and_b32 s19, s25, exec_lo
	s_and_b32 s18, s73, exec_lo
	s_and_b32 s9, s72, exec_lo
	s_or_not1_b32 s25, s26, exec_lo
.LBB177_296:                            ;   in Loop: Header=BB177_31 Depth=1
	s_or_b32 exec_lo, exec_lo, s24
	s_mov_b32 s8, 0
	s_mov_b32 s24, 0
	s_and_saveexec_b32 s26, s25
	s_delay_alu instid0(SALU_CYCLE_1)
	s_xor_b32 s25, exec_lo, s26
; %bb.297:                              ;   in Loop: Header=BB177_31 Depth=1
	v_cmp_ne_u32_e32 vcc_lo, 8, v6
	v_cmp_eq_u32_e64 s8, 8, v6
	s_and_not1_b32 s19, s19, exec_lo
	s_and_not1_b32 s18, s18, exec_lo
	;; [unrolled: 1-line block ×3, first 2 shown]
	s_and_b32 s24, vcc_lo, exec_lo
	s_and_b32 s8, s8, exec_lo
; %bb.298:                              ;   in Loop: Header=BB177_31 Depth=1
	s_or_b32 exec_lo, exec_lo, s25
	s_delay_alu instid0(SALU_CYCLE_1)
	s_and_not1_b32 s23, s23, exec_lo
	s_and_b32 s19, s19, exec_lo
	s_and_b32 s18, s18, exec_lo
	s_or_b32 s23, s23, s19
	s_and_not1_b32 s19, s60, exec_lo
	s_and_not1_b32 s25, s55, exec_lo
	s_and_b32 s9, s9, exec_lo
	s_or_b32 s60, s19, s18
	s_or_b32 s55, s25, s9
	s_and_b32 s24, s24, exec_lo
	s_and_b32 s25, s8, exec_lo
.LBB177_299:                            ;   in Loop: Header=BB177_31 Depth=1
	s_or_b32 exec_lo, exec_lo, s71
	s_delay_alu instid0(SALU_CYCLE_1)
	s_and_b32 vcc_lo, exec_lo, s70
	s_cbranch_vccz .LBB177_118
.LBB177_300:                            ;   in Loop: Header=BB177_31 Depth=1
	s_cmp_eq_u64 s[16:17], 1
                                        ; implicit-def: $sgpr18
                                        ; implicit-def: $sgpr19
                                        ; implicit-def: $sgpr23
	s_cselect_b32 s8, -1, 0
	s_delay_alu instid0(SALU_CYCLE_1)
	s_and_b32 s58, s8, s7
	s_mov_b32 s7, -1
	s_and_saveexec_b32 s46, s58
	s_cbranch_execz .LBB177_332
; %bb.301:                              ;   in Loop: Header=BB177_31 Depth=1
	ds_load_b64 v[2:3], v13 offset:5120
	s_waitcnt lgkmcnt(0)
	s_barrier
	buffer_gl0_inv
	v_readfirstlane_b32 s8, v2
	v_readfirstlane_b32 s9, v3
	s_and_saveexec_b32 s7, s6
	s_cbranch_execz .LBB177_303
; %bb.302:                              ;   in Loop: Header=BB177_31 Depth=1
	ds_store_b16 v44, v13
.LBB177_303:                            ;   in Loop: Header=BB177_31 Depth=1
	s_or_b32 exec_lo, exec_lo, s7
	v_or_b32_e32 v48, s20, v48
	v_or_b32_e32 v47, s20, v47
	s_cmp_eq_u64 s[8:9], 0
	s_waitcnt lgkmcnt(0)
	s_barrier
	buffer_gl0_inv
	s_cbranch_scc1 .LBB177_315
; %bb.304:                              ;   in Loop: Header=BB177_31 Depth=1
	s_add_u32 s23, s85, s8
	s_addc_u32 s19, s86, s9
	s_mov_b32 s18, s61
	s_delay_alu instid0(SALU_CYCLE_1)
	s_cmp_lg_u64 s[18:19], 0
	s_cbranch_scc0 .LBB177_359
; %bb.305:                              ;   in Loop: Header=BB177_31 Depth=1
	v_cvt_f32_u32_e32 v2, s33
	s_sub_u32 s26, 0, s33
	s_subb_u32 s47, 0, 0
	s_delay_alu instid0(VALU_DEP_1) | instskip(NEXT) | instid1(VALU_DEP_1)
	v_fmac_f32_e64 v2, 0, 0x4f800000
	v_rcp_f32_e32 v2, v2
	s_waitcnt_depctr 0xfff
	v_mul_f32_e32 v2, 0x5f7ffffc, v2
	s_delay_alu instid0(VALU_DEP_1) | instskip(NEXT) | instid1(VALU_DEP_1)
	v_mul_f32_e32 v3, 0x2f800000, v2
	v_trunc_f32_e32 v3, v3
	s_delay_alu instid0(VALU_DEP_1) | instskip(SKIP_1) | instid1(VALU_DEP_2)
	v_fmac_f32_e32 v2, 0xcf800000, v3
	v_cvt_u32_f32_e32 v3, v3
	v_cvt_u32_f32_e32 v2, v2
	s_delay_alu instid0(VALU_DEP_2) | instskip(NEXT) | instid1(VALU_DEP_2)
	v_readfirstlane_b32 s7, v3
	v_readfirstlane_b32 s18, v2
	s_delay_alu instid0(VALU_DEP_2) | instskip(NEXT) | instid1(VALU_DEP_1)
	s_mul_i32 s55, s26, s7
	s_mul_hi_u32 s60, s26, s18
	s_mul_i32 s59, s47, s18
	s_add_i32 s55, s60, s55
	s_mul_i32 s70, s26, s18
	s_add_i32 s55, s55, s59
	s_mul_hi_u32 s60, s18, s70
	s_mul_hi_u32 s71, s7, s70
	s_mul_i32 s59, s7, s70
	s_mul_hi_u32 s70, s18, s55
	s_mul_i32 s18, s18, s55
	s_mul_hi_u32 s72, s7, s55
	s_add_u32 s18, s60, s18
	s_addc_u32 s60, 0, s70
	s_add_u32 s18, s18, s59
	s_mul_i32 s55, s7, s55
	s_addc_u32 s18, s60, s71
	s_addc_u32 s59, s72, 0
	s_add_u32 s18, s18, s55
	s_addc_u32 s55, 0, s59
	v_add_co_u32 v2, s18, v2, s18
	s_delay_alu instid0(VALU_DEP_1) | instskip(SKIP_1) | instid1(VALU_DEP_1)
	s_cmp_lg_u32 s18, 0
	s_addc_u32 s7, s7, s55
	v_readfirstlane_b32 s18, v2
	s_mul_i32 s55, s26, s7
	s_delay_alu instid0(VALU_DEP_1)
	s_mul_hi_u32 s59, s26, s18
	s_mul_i32 s47, s47, s18
	s_add_i32 s55, s59, s55
	s_mul_i32 s26, s26, s18
	s_add_i32 s55, s55, s47
	s_mul_hi_u32 s59, s7, s26
	s_mul_i32 s60, s7, s26
	s_mul_hi_u32 s26, s18, s26
	s_mul_hi_u32 s70, s18, s55
	s_mul_i32 s18, s18, s55
	s_mul_hi_u32 s47, s7, s55
	s_add_u32 s18, s26, s18
	s_addc_u32 s26, 0, s70
	s_add_u32 s18, s18, s60
	s_mul_i32 s55, s7, s55
	s_addc_u32 s18, s26, s59
	s_addc_u32 s26, s47, 0
	s_add_u32 s18, s18, s55
	s_addc_u32 s26, 0, s26
	v_add_co_u32 v2, s18, v2, s18
	s_delay_alu instid0(VALU_DEP_1) | instskip(SKIP_1) | instid1(VALU_DEP_1)
	s_cmp_lg_u32 s18, 0
	s_addc_u32 s7, s7, s26
	v_readfirstlane_b32 s18, v2
	s_mul_i32 s47, s23, s7
	s_mul_hi_u32 s26, s23, s7
	s_mul_hi_u32 s55, s19, s7
	s_mul_i32 s7, s19, s7
	s_mul_hi_u32 s59, s23, s18
	s_mul_hi_u32 s60, s19, s18
	s_mul_i32 s18, s19, s18
	s_add_u32 s47, s59, s47
	s_addc_u32 s26, 0, s26
	s_add_u32 s18, s47, s18
	s_addc_u32 s18, s26, s60
	s_addc_u32 s26, s55, 0
	s_add_u32 s7, s18, s7
	s_addc_u32 s18, 0, s26
	s_mul_hi_u32 s26, s33, s7
	s_mul_i32 s7, s33, s7
	s_mul_i32 s18, s33, s18
	v_sub_co_u32 v2, s7, s23, s7
	s_add_i32 s26, s26, s18
	s_cmp_lg_u32 s7, 0
	s_delay_alu instid0(VALU_DEP_1) | instskip(SKIP_2) | instid1(VALU_DEP_1)
	v_sub_co_u32 v3, s7, v2, s33
	s_subb_u32 s18, s19, s26
	s_cmp_lg_u32 s7, 0
	v_cmp_le_u32_e32 vcc_lo, s33, v3
	v_sub_co_u32 v4, s7, v3, s33
	s_subb_u32 s26, s18, 0
	s_cmp_lg_u32 s7, 0
	v_cndmask_b32_e64 v5, 0, -1, vcc_lo
	s_subb_u32 s7, s26, 0
	s_cmp_eq_u32 s26, 0
	v_mov_b32_e32 v7, s7
	s_cselect_b32 vcc_lo, -1, 0
	s_cmp_eq_u32 s18, 0
	v_cndmask_b32_e32 v5, -1, v5, vcc_lo
	v_cmp_le_u32_e32 vcc_lo, s33, v2
	s_cselect_b32 s7, -1, 0
	v_cndmask_b32_e64 v6, 0, -1, vcc_lo
	s_delay_alu instid0(VALU_DEP_3) | instskip(NEXT) | instid1(VALU_DEP_2)
	v_cmp_ne_u32_e32 vcc_lo, 0, v5
	v_cndmask_b32_e64 v5, -1, v6, s7
	v_cndmask_b32_e32 v6, s26, v7, vcc_lo
	v_cndmask_b32_e32 v4, v3, v4, vcc_lo
	s_delay_alu instid0(VALU_DEP_3) | instskip(NEXT) | instid1(VALU_DEP_3)
	v_cmp_ne_u32_e32 vcc_lo, 0, v5
	v_cndmask_b32_e32 v3, s18, v6, vcc_lo
	s_delay_alu instid0(VALU_DEP_3)
	v_cndmask_b32_e32 v2, v2, v4, vcc_lo
	s_cbranch_execnz .LBB177_307
.LBB177_306:                            ;   in Loop: Header=BB177_31 Depth=1
	v_cvt_f32_u32_e32 v2, s33
	s_sub_i32 s7, 0, s33
	s_delay_alu instid0(VALU_DEP_1) | instskip(SKIP_2) | instid1(VALU_DEP_1)
	v_rcp_iflag_f32_e32 v2, v2
	s_waitcnt_depctr 0xfff
	v_mul_f32_e32 v2, 0x4f7ffffe, v2
	v_cvt_u32_f32_e32 v2, v2
	s_delay_alu instid0(VALU_DEP_1) | instskip(NEXT) | instid1(VALU_DEP_1)
	v_mul_lo_u32 v3, s7, v2
	v_mul_hi_u32 v3, v2, v3
	s_delay_alu instid0(VALU_DEP_1) | instskip(NEXT) | instid1(VALU_DEP_1)
	v_add_nc_u32_e32 v2, v2, v3
	v_mul_hi_u32 v2, s23, v2
	s_delay_alu instid0(VALU_DEP_1) | instskip(NEXT) | instid1(VALU_DEP_1)
	v_mul_lo_u32 v2, v2, s33
	v_sub_nc_u32_e32 v2, s23, v2
	s_delay_alu instid0(VALU_DEP_1) | instskip(SKIP_1) | instid1(VALU_DEP_2)
	v_subrev_nc_u32_e32 v3, s33, v2
	v_cmp_le_u32_e32 vcc_lo, s33, v2
	v_cndmask_b32_e32 v2, v2, v3, vcc_lo
	s_delay_alu instid0(VALU_DEP_1) | instskip(SKIP_1) | instid1(VALU_DEP_2)
	v_subrev_nc_u32_e32 v3, s33, v2
	v_cmp_le_u32_e32 vcc_lo, s33, v2
	v_cndmask_b32_e32 v12, v2, v3, vcc_lo
	s_delay_alu instid0(VALU_DEP_1)
	v_dual_mov_b32 v2, v12 :: v_dual_mov_b32 v3, v13
.LBB177_307:                            ;   in Loop: Header=BB177_31 Depth=1
	s_delay_alu instid0(VALU_DEP_1) | instskip(NEXT) | instid1(VALU_DEP_2)
	v_sub_co_u32 v2, vcc_lo, s23, v2
	v_sub_co_ci_u32_e32 v3, vcc_lo, s19, v3, vcc_lo
	s_mov_b32 s7, 0
	s_mov_b32 s18, exec_lo
                                        ; implicit-def: $vgpr49
	s_delay_alu instid0(VALU_DEP_1)
	v_cmpx_gt_u64_e64 v[2:3], v[0:1]
	s_cbranch_execz .LBB177_317
; %bb.308:                              ;   in Loop: Header=BB177_31 Depth=1
	v_dual_mov_b32 v6, v43 :: v_dual_mov_b32 v5, v1
	v_mov_b32_e32 v4, v0
	s_mov_b32 s19, 0
                                        ; implicit-def: $sgpr23
	s_set_inst_prefetch_distance 0x1
	s_branch .LBB177_310
	.p2align	6
.LBB177_309:                            ;   in Loop: Header=BB177_310 Depth=2
	s_or_b32 exec_lo, exec_lo, s7
	s_waitcnt lgkmcnt(0)
	s_barrier
	buffer_gl0_inv
	ds_load_b32 v7, v13 offset:3072
	v_add_co_u32 v4, vcc_lo, v4, s33
	v_add_co_ci_u32_e32 v5, vcc_lo, 0, v5, vcc_lo
	v_add_nc_u32_e32 v6, s93, v6
	s_waitcnt lgkmcnt(0)
	s_barrier
	s_delay_alu instid0(VALU_DEP_2) | instskip(SKIP_2) | instid1(VALU_DEP_1)
	v_cmp_ge_u64_e32 vcc_lo, v[4:5], v[2:3]
	buffer_gl0_inv
	v_cmp_ne_u16_e64 s7, 0, v7
	s_or_b32 s26, vcc_lo, s7
	s_delay_alu instid0(SALU_CYCLE_1) | instskip(NEXT) | instid1(SALU_CYCLE_1)
	s_and_b32 s26, exec_lo, s26
	s_or_b32 s19, s26, s19
	s_and_not1_b32 s23, s23, exec_lo
	s_and_b32 s7, s7, exec_lo
	s_delay_alu instid0(SALU_CYCLE_1)
	s_or_b32 s23, s23, s7
	s_and_not1_b32 exec_lo, exec_lo, s19
	s_cbranch_execz .LBB177_316
.LBB177_310:                            ;   Parent Loop BB177_31 Depth=1
                                        ; =>  This Inner Loop Header: Depth=2
	s_delay_alu instid0(VALU_DEP_1)
	v_cmp_gt_u64_e32 vcc_lo, s[8:9], v[4:5]
	v_mov_b32_e32 v7, 0
	s_and_saveexec_b32 s7, vcc_lo
	s_cbranch_execz .LBB177_312
; %bb.311:                              ;   in Loop: Header=BB177_310 Depth=2
	ds_load_u16 v7, v6
.LBB177_312:                            ;   in Loop: Header=BB177_310 Depth=2
	s_or_b32 exec_lo, exec_lo, s7
	s_and_saveexec_b32 s7, vcc_lo
	s_cbranch_execz .LBB177_309
; %bb.313:                              ;   in Loop: Header=BB177_310 Depth=2
	s_waitcnt lgkmcnt(0)
	v_bfe_i32 v8, v7, 0, 16
	s_delay_alu instid0(VALU_DEP_1) | instskip(NEXT) | instid1(VALU_DEP_1)
	v_add_nc_u32_e32 v8, 0x8000, v8
	v_and_b32_e32 v8, v8, v47
	s_delay_alu instid0(VALU_DEP_1)
	v_cmp_eq_u32_e32 vcc_lo, v8, v48
	s_and_b32 exec_lo, exec_lo, vcc_lo
	s_cbranch_execz .LBB177_309
; %bb.314:                              ;   in Loop: Header=BB177_310 Depth=2
	v_perm_b32 v7, v7, 1, 0x5040100
	ds_store_b32 v13, v7 offset:3072
	s_branch .LBB177_309
.LBB177_315:                            ;   in Loop: Header=BB177_31 Depth=1
	s_mov_b32 s18, -1
	s_mov_b32 s7, 0
                                        ; implicit-def: $sgpr19
                                        ; implicit-def: $vgpr49
	s_mov_b32 s23, s18
	s_cbranch_execnz .LBB177_318
	s_branch .LBB177_331
.LBB177_316:                            ;   in Loop: Header=BB177_31 Depth=1
	s_set_inst_prefetch_distance 0x2
	s_or_b32 exec_lo, exec_lo, s19
	v_lshrrev_b32_e32 v49, 16, v7
	s_and_b32 s7, s23, exec_lo
.LBB177_317:                            ;   in Loop: Header=BB177_31 Depth=1
	s_or_b32 exec_lo, exec_lo, s18
	s_mov_b32 s18, 0
	s_mov_b32 s19, -1
	s_mov_b32 s23, s18
	s_branch .LBB177_331
.LBB177_318:                            ;   in Loop: Header=BB177_31 Depth=1
	s_mov_b32 s26, s61
	s_delay_alu instid0(SALU_CYCLE_1)
	s_cmp_lg_u64 s[26:27], 0
	s_cbranch_scc0 .LBB177_360
; %bb.319:                              ;   in Loop: Header=BB177_31 Depth=1
	v_cvt_f32_u32_e32 v2, s33
	s_sub_u32 s9, 0, s33
	s_subb_u32 s18, 0, 0
	s_delay_alu instid0(VALU_DEP_1) | instskip(NEXT) | instid1(VALU_DEP_1)
	v_fmac_f32_e64 v2, 0, 0x4f800000
	v_rcp_f32_e32 v2, v2
	s_waitcnt_depctr 0xfff
	v_mul_f32_e32 v2, 0x5f7ffffc, v2
	s_delay_alu instid0(VALU_DEP_1) | instskip(NEXT) | instid1(VALU_DEP_1)
	v_mul_f32_e32 v3, 0x2f800000, v2
	v_trunc_f32_e32 v3, v3
	s_delay_alu instid0(VALU_DEP_1) | instskip(SKIP_1) | instid1(VALU_DEP_2)
	v_fmac_f32_e32 v2, 0xcf800000, v3
	v_cvt_u32_f32_e32 v3, v3
	v_cvt_u32_f32_e32 v2, v2
	s_delay_alu instid0(VALU_DEP_2) | instskip(NEXT) | instid1(VALU_DEP_2)
	v_readfirstlane_b32 s7, v3
	v_readfirstlane_b32 s8, v2
	s_delay_alu instid0(VALU_DEP_2) | instskip(NEXT) | instid1(VALU_DEP_1)
	s_mul_i32 s19, s9, s7
	s_mul_hi_u32 s26, s9, s8
	s_mul_i32 s23, s18, s8
	s_add_i32 s19, s26, s19
	s_mul_i32 s47, s9, s8
	s_add_i32 s19, s19, s23
	s_mul_hi_u32 s26, s8, s47
	s_mul_hi_u32 s55, s7, s47
	s_mul_i32 s23, s7, s47
	s_mul_hi_u32 s47, s8, s19
	s_mul_i32 s8, s8, s19
	s_mul_hi_u32 s59, s7, s19
	s_add_u32 s8, s26, s8
	s_addc_u32 s26, 0, s47
	s_add_u32 s8, s8, s23
	s_mul_i32 s19, s7, s19
	s_addc_u32 s8, s26, s55
	s_addc_u32 s23, s59, 0
	s_add_u32 s8, s8, s19
	s_addc_u32 s19, 0, s23
	v_add_co_u32 v2, s8, v2, s8
	s_delay_alu instid0(VALU_DEP_1) | instskip(SKIP_1) | instid1(VALU_DEP_1)
	s_cmp_lg_u32 s8, 0
	s_addc_u32 s7, s7, s19
	v_readfirstlane_b32 s8, v2
	s_mul_i32 s19, s9, s7
	s_delay_alu instid0(VALU_DEP_1)
	s_mul_hi_u32 s23, s9, s8
	s_mul_i32 s18, s18, s8
	s_add_i32 s19, s23, s19
	s_mul_i32 s9, s9, s8
	s_add_i32 s19, s19, s18
	s_mul_hi_u32 s23, s7, s9
	s_mul_i32 s26, s7, s9
	s_mul_hi_u32 s9, s8, s9
	s_mul_hi_u32 s47, s8, s19
	s_mul_i32 s8, s8, s19
	s_mul_hi_u32 s18, s7, s19
	s_add_u32 s8, s9, s8
	s_addc_u32 s9, 0, s47
	s_add_u32 s8, s8, s26
	s_mul_i32 s19, s7, s19
	s_addc_u32 s8, s9, s23
	s_addc_u32 s9, s18, 0
	s_add_u32 s8, s8, s19
	s_addc_u32 s9, 0, s9
	v_add_co_u32 v2, s8, v2, s8
	s_delay_alu instid0(VALU_DEP_1) | instskip(SKIP_1) | instid1(VALU_DEP_1)
	s_cmp_lg_u32 s8, 0
	s_addc_u32 s7, s7, s9
	v_readfirstlane_b32 s8, v2
	s_mul_i32 s18, s87, s7
	s_mul_hi_u32 s9, s87, s7
	s_mul_hi_u32 s19, s27, s7
	s_mul_i32 s7, s27, s7
	s_mul_hi_u32 s23, s87, s8
	s_mul_hi_u32 s26, s27, s8
	s_mul_i32 s8, s27, s8
	s_add_u32 s18, s23, s18
	s_addc_u32 s9, 0, s9
	s_add_u32 s8, s18, s8
	s_addc_u32 s8, s9, s26
	s_addc_u32 s9, s19, 0
	s_add_u32 s7, s8, s7
	s_addc_u32 s8, 0, s9
	s_mul_hi_u32 s9, s33, s7
	s_mul_i32 s7, s33, s7
	s_mul_i32 s8, s33, s8
	v_sub_co_u32 v2, s7, s87, s7
	s_add_i32 s9, s9, s8
	s_cmp_lg_u32 s7, 0
	s_delay_alu instid0(VALU_DEP_1) | instskip(SKIP_2) | instid1(VALU_DEP_1)
	v_sub_co_u32 v3, s7, v2, s33
	s_subb_u32 s8, s27, s9
	s_cmp_lg_u32 s7, 0
	v_cmp_le_u32_e32 vcc_lo, s33, v3
	v_sub_co_u32 v4, s7, v3, s33
	s_subb_u32 s9, s8, 0
	s_cmp_lg_u32 s7, 0
	v_cndmask_b32_e64 v5, 0, -1, vcc_lo
	s_subb_u32 s7, s9, 0
	s_cmp_eq_u32 s9, 0
	v_mov_b32_e32 v7, s7
	s_cselect_b32 vcc_lo, -1, 0
	s_cmp_eq_u32 s8, 0
	v_cndmask_b32_e32 v5, -1, v5, vcc_lo
	v_cmp_le_u32_e32 vcc_lo, s33, v2
	s_cselect_b32 s7, -1, 0
	v_cndmask_b32_e64 v6, 0, -1, vcc_lo
	s_delay_alu instid0(VALU_DEP_3) | instskip(NEXT) | instid1(VALU_DEP_2)
	v_cmp_ne_u32_e32 vcc_lo, 0, v5
	v_cndmask_b32_e64 v5, -1, v6, s7
	v_cndmask_b32_e32 v6, s9, v7, vcc_lo
	v_cndmask_b32_e32 v4, v3, v4, vcc_lo
	s_delay_alu instid0(VALU_DEP_3) | instskip(NEXT) | instid1(VALU_DEP_3)
	v_cmp_ne_u32_e32 vcc_lo, 0, v5
	v_cndmask_b32_e32 v3, s8, v6, vcc_lo
	s_delay_alu instid0(VALU_DEP_3)
	v_cndmask_b32_e32 v2, v2, v4, vcc_lo
	s_cbranch_execnz .LBB177_321
.LBB177_320:                            ;   in Loop: Header=BB177_31 Depth=1
	v_cvt_f32_u32_e32 v2, s33
	s_sub_i32 s7, 0, s33
	s_delay_alu instid0(VALU_DEP_1) | instskip(SKIP_2) | instid1(VALU_DEP_1)
	v_rcp_iflag_f32_e32 v2, v2
	s_waitcnt_depctr 0xfff
	v_mul_f32_e32 v2, 0x4f7ffffe, v2
	v_cvt_u32_f32_e32 v2, v2
	s_delay_alu instid0(VALU_DEP_1) | instskip(NEXT) | instid1(VALU_DEP_1)
	v_mul_lo_u32 v3, s7, v2
	v_mul_hi_u32 v3, v2, v3
	s_delay_alu instid0(VALU_DEP_1) | instskip(NEXT) | instid1(VALU_DEP_1)
	v_add_nc_u32_e32 v2, v2, v3
	v_mul_hi_u32 v2, s87, v2
	s_delay_alu instid0(VALU_DEP_1) | instskip(NEXT) | instid1(VALU_DEP_1)
	v_mul_lo_u32 v2, v2, s33
	v_sub_nc_u32_e32 v2, s87, v2
	s_delay_alu instid0(VALU_DEP_1) | instskip(SKIP_1) | instid1(VALU_DEP_2)
	v_subrev_nc_u32_e32 v3, s33, v2
	v_cmp_le_u32_e32 vcc_lo, s33, v2
	v_cndmask_b32_e32 v2, v2, v3, vcc_lo
	s_delay_alu instid0(VALU_DEP_1) | instskip(SKIP_1) | instid1(VALU_DEP_2)
	v_subrev_nc_u32_e32 v3, s33, v2
	v_cmp_le_u32_e32 vcc_lo, s33, v2
	v_cndmask_b32_e32 v12, v2, v3, vcc_lo
	s_delay_alu instid0(VALU_DEP_1)
	v_dual_mov_b32 v2, v12 :: v_dual_mov_b32 v3, v13
.LBB177_321:                            ;   in Loop: Header=BB177_31 Depth=1
	s_delay_alu instid0(VALU_DEP_1) | instskip(NEXT) | instid1(VALU_DEP_2)
	v_sub_co_u32 v2, vcc_lo, s87, v2
	v_sub_co_ci_u32_e32 v3, vcc_lo, s27, v3, vcc_lo
	s_mov_b32 s7, 0
	s_mov_b32 s8, exec_lo
                                        ; implicit-def: $vgpr49
	s_delay_alu instid0(VALU_DEP_1)
	v_cmpx_gt_u64_e64 v[2:3], v[0:1]
	s_cbranch_execz .LBB177_330
; %bb.322:                              ;   in Loop: Header=BB177_31 Depth=1
	v_dual_mov_b32 v4, v24 :: v_dual_mov_b32 v5, v25
	v_dual_mov_b32 v7, v1 :: v_dual_mov_b32 v6, v0
	s_mov_b32 s9, 0
                                        ; implicit-def: $sgpr18
	s_set_inst_prefetch_distance 0x1
	s_branch .LBB177_324
	.p2align	6
.LBB177_323:                            ;   in Loop: Header=BB177_324 Depth=2
	s_or_b32 exec_lo, exec_lo, s7
	s_waitcnt vmcnt(0) lgkmcnt(0)
	s_barrier
	buffer_gl0_inv
	ds_load_b32 v8, v13 offset:3072
	v_add_co_u32 v6, vcc_lo, v6, s33
	v_add_co_ci_u32_e32 v7, vcc_lo, 0, v7, vcc_lo
	s_waitcnt lgkmcnt(0)
	s_barrier
	buffer_gl0_inv
	v_cmp_ge_u64_e32 vcc_lo, v[6:7], v[2:3]
	v_cmp_ne_u16_e64 s7, 0, v8
	s_delay_alu instid0(VALU_DEP_1)
	s_or_b32 s19, vcc_lo, s7
	v_add_co_u32 v4, vcc_lo, v4, s34
	s_and_b32 s19, exec_lo, s19
	v_add_co_ci_u32_e32 v5, vcc_lo, s35, v5, vcc_lo
	s_or_b32 s9, s19, s9
	s_and_not1_b32 s18, s18, exec_lo
	s_and_b32 s7, s7, exec_lo
	s_delay_alu instid0(SALU_CYCLE_1)
	s_or_b32 s18, s18, s7
	s_and_not1_b32 exec_lo, exec_lo, s9
	s_cbranch_execz .LBB177_329
.LBB177_324:                            ;   Parent Loop BB177_31 Depth=1
                                        ; =>  This Inner Loop Header: Depth=2
	s_delay_alu instid0(VALU_DEP_1)
	v_cmp_gt_u64_e32 vcc_lo, s[36:37], v[6:7]
	v_mov_b32_e32 v8, 0
	s_and_saveexec_b32 s7, vcc_lo
	s_cbranch_execz .LBB177_326
; %bb.325:                              ;   in Loop: Header=BB177_324 Depth=2
	global_load_u16 v8, v[4:5], off
.LBB177_326:                            ;   in Loop: Header=BB177_324 Depth=2
	s_or_b32 exec_lo, exec_lo, s7
	s_and_saveexec_b32 s7, vcc_lo
	s_cbranch_execz .LBB177_323
; %bb.327:                              ;   in Loop: Header=BB177_324 Depth=2
	s_waitcnt vmcnt(0)
	v_bfe_i32 v9, v8, 0, 16
	s_delay_alu instid0(VALU_DEP_1) | instskip(NEXT) | instid1(VALU_DEP_1)
	v_add_nc_u32_e32 v9, 0x8000, v9
	v_and_b32_e32 v9, v9, v47
	s_delay_alu instid0(VALU_DEP_1)
	v_cmp_eq_u32_e32 vcc_lo, v9, v48
	s_and_b32 exec_lo, exec_lo, vcc_lo
	s_cbranch_execz .LBB177_323
; %bb.328:                              ;   in Loop: Header=BB177_324 Depth=2
	v_perm_b32 v8, v8, 1, 0x5040100
	ds_store_b32 v13, v8 offset:3072
	s_branch .LBB177_323
.LBB177_329:                            ;   in Loop: Header=BB177_31 Depth=1
	s_set_inst_prefetch_distance 0x2
	s_or_b32 exec_lo, exec_lo, s9
	v_lshrrev_b32_e32 v49, 16, v8
	s_and_b32 s7, s18, exec_lo
.LBB177_330:                            ;   in Loop: Header=BB177_31 Depth=1
	s_or_b32 exec_lo, exec_lo, s8
	s_mov_b32 s19, 0
	s_mov_b32 s18, -1
	s_mov_b32 s23, 0
.LBB177_331:                            ;   in Loop: Header=BB177_31 Depth=1
	s_or_not1_b32 s7, s7, exec_lo
.LBB177_332:                            ;   in Loop: Header=BB177_31 Depth=1
	s_or_b32 exec_lo, exec_lo, s46
                                        ; implicit-def: $vgpr6
                                        ; implicit-def: $vgpr2_vgpr3
                                        ; implicit-def: $vgpr28
                                        ; implicit-def: $vgpr29
                                        ; implicit-def: $vgpr30
	s_and_saveexec_b32 s55, s7
	s_cbranch_execz .LBB177_495
; %bb.333:                              ;   in Loop: Header=BB177_31 Depth=1
	v_mov_b32_e32 v2, 1
	v_dual_mov_b32 v3, 0 :: v_dual_mov_b32 v6, 1
	s_xor_b32 s8, s58, -1
	s_mov_b32 s26, 0
	s_and_saveexec_b32 s7, s8
	s_cbranch_execz .LBB177_343
; %bb.334:                              ;   in Loop: Header=BB177_31 Depth=1
	s_mov_b32 s9, exec_lo
                                        ; implicit-def: $sgpr26
                                        ; implicit-def: $sgpr8
	v_cmpx_ge_u64_e64 s[16:17], v[26:27]
	s_xor_b32 s9, exec_lo, s9
	s_cbranch_execz .LBB177_340
; %bb.335:                              ;   in Loop: Header=BB177_31 Depth=1
	ds_load_b64 v[2:3], v13 offset:5120
	s_waitcnt lgkmcnt(0)
	v_cmp_ne_u64_e32 vcc_lo, 0, v[2:3]
	s_cbranch_vccnz .LBB177_339
; %bb.336:                              ;   in Loop: Header=BB177_31 Depth=1
	s_and_saveexec_b32 s8, s5
	s_cbranch_execz .LBB177_338
; %bb.337:                              ;   in Loop: Header=BB177_31 Depth=1
	v_dual_mov_b32 v2, s16 :: v_dual_mov_b32 v3, s17
	ds_store_b64 v13, v[2:3] offset:5128
.LBB177_338:                            ;   in Loop: Header=BB177_31 Depth=1
	s_or_b32 exec_lo, exec_lo, s8
	s_waitcnt lgkmcnt(0)
	s_barrier
	buffer_gl0_inv
.LBB177_339:                            ;   in Loop: Header=BB177_31 Depth=1
	v_or_b32_e32 v48, s20, v48
	v_or_b32_e32 v47, s20, v47
	s_mov_b32 s8, 0
	s_mov_b32 s26, 5
.LBB177_340:                            ;   in Loop: Header=BB177_31 Depth=1
	s_or_saveexec_b32 s9, s9
	v_mov_b32_e32 v6, s26
	s_xor_b32 exec_lo, exec_lo, s9
; %bb.341:                              ;   in Loop: Header=BB177_31 Depth=1
	v_sub_co_u32 v26, vcc_lo, v26, s16
	v_subrev_co_ci_u32_e32 v27, vcc_lo, s17, v27, vcc_lo
	v_mov_b32_e32 v6, 0
	s_or_b32 s8, s8, exec_lo
; %bb.342:                              ;   in Loop: Header=BB177_31 Depth=1
	s_or_b32 exec_lo, exec_lo, s9
	s_delay_alu instid0(VALU_DEP_2)
	v_dual_mov_b32 v2, v26 :: v_dual_mov_b32 v3, v27
	s_and_b32 s26, s8, exec_lo
.LBB177_343:                            ;   in Loop: Header=BB177_31 Depth=1
	s_or_b32 exec_lo, exec_lo, s7
	s_mov_b32 s17, -1
                                        ; implicit-def: $sgpr8
                                        ; implicit-def: $sgpr9
                                        ; implicit-def: $sgpr16
	s_and_saveexec_b32 s7, s26
	s_delay_alu instid0(SALU_CYCLE_1)
	s_xor_b32 s60, exec_lo, s7
	s_cbranch_execz .LBB177_492
; %bb.344:                              ;   in Loop: Header=BB177_31 Depth=1
	v_cmp_eq_u64_e32 vcc_lo, 1, v[2:3]
	s_cmp_eq_u64 s[14:15], 1
                                        ; implicit-def: $sgpr16
                                        ; implicit-def: $sgpr17
                                        ; implicit-def: $sgpr70
	s_cselect_b32 s7, -1, 0
	s_delay_alu instid0(SALU_CYCLE_1)
	s_and_b32 s58, s7, vcc_lo
	s_mov_b32 s7, -1
	s_and_saveexec_b32 s46, s58
	s_cbranch_execz .LBB177_378
; %bb.345:                              ;   in Loop: Header=BB177_31 Depth=1
	ds_load_b64 v[4:5], v13 offset:5120
	s_waitcnt lgkmcnt(0)
	s_barrier
	buffer_gl0_inv
	v_readfirstlane_b32 s8, v4
	v_readfirstlane_b32 s9, v5
	s_and_saveexec_b32 s7, s6
	s_cbranch_execz .LBB177_347
; %bb.346:                              ;   in Loop: Header=BB177_31 Depth=1
	ds_store_b16 v44, v13
.LBB177_347:                            ;   in Loop: Header=BB177_31 Depth=1
	s_or_b32 exec_lo, exec_lo, s7
	s_lshl_b32 s7, 2, s22
	v_or_b32_e32 v47, s20, v47
	v_and_or_b32 v48, v48, s21, s7
	s_cmp_eq_u64 s[8:9], 0
	s_waitcnt lgkmcnt(0)
	s_barrier
	buffer_gl0_inv
	s_cbranch_scc1 .LBB177_361
; %bb.348:                              ;   in Loop: Header=BB177_31 Depth=1
	s_add_u32 s26, s85, s8
	s_addc_u32 s17, s86, s9
	s_mov_b32 s16, s61
	s_delay_alu instid0(SALU_CYCLE_1)
	s_cmp_lg_u64 s[16:17], 0
	s_cbranch_scc0 .LBB177_405
; %bb.349:                              ;   in Loop: Header=BB177_31 Depth=1
	v_cvt_f32_u32_e32 v4, s33
	s_sub_u32 s47, 0, s33
	s_subb_u32 s59, 0, 0
	s_delay_alu instid0(VALU_DEP_1) | instskip(NEXT) | instid1(VALU_DEP_1)
	v_fmac_f32_e64 v4, 0, 0x4f800000
	v_rcp_f32_e32 v4, v4
	s_waitcnt_depctr 0xfff
	v_mul_f32_e32 v4, 0x5f7ffffc, v4
	s_delay_alu instid0(VALU_DEP_1) | instskip(NEXT) | instid1(VALU_DEP_1)
	v_mul_f32_e32 v5, 0x2f800000, v4
	v_trunc_f32_e32 v5, v5
	s_delay_alu instid0(VALU_DEP_1) | instskip(SKIP_1) | instid1(VALU_DEP_2)
	v_fmac_f32_e32 v4, 0xcf800000, v5
	v_cvt_u32_f32_e32 v5, v5
	v_cvt_u32_f32_e32 v4, v4
	s_delay_alu instid0(VALU_DEP_2) | instskip(NEXT) | instid1(VALU_DEP_2)
	v_readfirstlane_b32 s7, v5
	v_readfirstlane_b32 s16, v4
	s_delay_alu instid0(VALU_DEP_2) | instskip(NEXT) | instid1(VALU_DEP_1)
	s_mul_i32 s70, s47, s7
	s_mul_hi_u32 s72, s47, s16
	s_mul_i32 s71, s59, s16
	s_add_i32 s70, s72, s70
	s_mul_i32 s73, s47, s16
	s_add_i32 s70, s70, s71
	s_mul_hi_u32 s72, s16, s73
	s_mul_hi_u32 s74, s7, s73
	s_mul_i32 s71, s7, s73
	s_mul_hi_u32 s73, s16, s70
	s_mul_i32 s16, s16, s70
	s_mul_hi_u32 s75, s7, s70
	s_add_u32 s16, s72, s16
	s_addc_u32 s72, 0, s73
	s_add_u32 s16, s16, s71
	s_mul_i32 s70, s7, s70
	s_addc_u32 s16, s72, s74
	s_addc_u32 s71, s75, 0
	s_add_u32 s16, s16, s70
	s_addc_u32 s70, 0, s71
	v_add_co_u32 v4, s16, v4, s16
	s_delay_alu instid0(VALU_DEP_1) | instskip(SKIP_1) | instid1(VALU_DEP_1)
	s_cmp_lg_u32 s16, 0
	s_addc_u32 s7, s7, s70
	v_readfirstlane_b32 s16, v4
	s_mul_i32 s70, s47, s7
	s_delay_alu instid0(VALU_DEP_1)
	s_mul_hi_u32 s71, s47, s16
	s_mul_i32 s59, s59, s16
	s_add_i32 s70, s71, s70
	s_mul_i32 s47, s47, s16
	s_add_i32 s70, s70, s59
	s_mul_hi_u32 s71, s7, s47
	s_mul_i32 s72, s7, s47
	s_mul_hi_u32 s47, s16, s47
	s_mul_hi_u32 s73, s16, s70
	s_mul_i32 s16, s16, s70
	s_mul_hi_u32 s59, s7, s70
	s_add_u32 s16, s47, s16
	s_addc_u32 s47, 0, s73
	s_add_u32 s16, s16, s72
	s_mul_i32 s70, s7, s70
	s_addc_u32 s16, s47, s71
	s_addc_u32 s47, s59, 0
	s_add_u32 s16, s16, s70
	s_addc_u32 s47, 0, s47
	v_add_co_u32 v4, s16, v4, s16
	s_delay_alu instid0(VALU_DEP_1) | instskip(SKIP_1) | instid1(VALU_DEP_1)
	s_cmp_lg_u32 s16, 0
	s_addc_u32 s7, s7, s47
	v_readfirstlane_b32 s16, v4
	s_mul_i32 s59, s26, s7
	s_mul_hi_u32 s47, s26, s7
	s_mul_hi_u32 s70, s17, s7
	s_mul_i32 s7, s17, s7
	s_mul_hi_u32 s71, s26, s16
	s_mul_hi_u32 s72, s17, s16
	s_mul_i32 s16, s17, s16
	s_add_u32 s59, s71, s59
	s_addc_u32 s47, 0, s47
	s_add_u32 s16, s59, s16
	s_addc_u32 s16, s47, s72
	s_addc_u32 s47, s70, 0
	s_add_u32 s7, s16, s7
	s_addc_u32 s16, 0, s47
	s_mul_hi_u32 s47, s33, s7
	s_mul_i32 s7, s33, s7
	s_mul_i32 s16, s33, s16
	v_sub_co_u32 v4, s7, s26, s7
	s_add_i32 s47, s47, s16
	s_cmp_lg_u32 s7, 0
	s_delay_alu instid0(VALU_DEP_1) | instskip(SKIP_3) | instid1(VALU_DEP_2)
	v_sub_co_u32 v5, s7, v4, s33
	s_subb_u32 s16, s17, s47
	s_cmp_lg_u32 s7, 0
	v_cmp_le_u32_e32 vcc_lo, s33, v4
	v_cmp_le_u32_e64 s7, s33, v5
	v_sub_co_u32 v6, s47, v5, s33
	s_subb_u32 s59, s16, 0
	s_cmp_lg_u32 s47, 0
	s_delay_alu instid0(VALU_DEP_2)
	v_cndmask_b32_e64 v7, 0, -1, s7
	s_subb_u32 s47, s59, 0
	s_cmp_eq_u32 s59, 0
	v_mov_b32_e32 v9, s47
	v_cndmask_b32_e64 v8, 0, -1, vcc_lo
	s_cselect_b32 vcc_lo, -1, 0
	s_cmp_eq_u32 s16, 0
	v_cndmask_b32_e32 v7, -1, v7, vcc_lo
	s_cselect_b32 vcc_lo, -1, 0
	v_cndmask_b32_e32 v8, -1, v8, vcc_lo
	s_delay_alu instid0(VALU_DEP_2) | instskip(NEXT) | instid1(VALU_DEP_2)
	v_cmp_ne_u32_e32 vcc_lo, 0, v7
	v_cmp_ne_u32_e64 s7, 0, v8
	v_cndmask_b32_e32 v7, s59, v9, vcc_lo
	v_cndmask_b32_e32 v6, v5, v6, vcc_lo
	s_delay_alu instid0(VALU_DEP_2) | instskip(NEXT) | instid1(VALU_DEP_2)
	v_cndmask_b32_e64 v5, s16, v7, s7
	v_cndmask_b32_e64 v4, v4, v6, s7
	s_cbranch_execnz .LBB177_351
.LBB177_350:                            ;   in Loop: Header=BB177_31 Depth=1
	v_cvt_f32_u32_e32 v4, s33
	s_sub_i32 s7, 0, s33
	s_delay_alu instid0(VALU_DEP_1) | instskip(SKIP_2) | instid1(VALU_DEP_1)
	v_rcp_iflag_f32_e32 v4, v4
	s_waitcnt_depctr 0xfff
	v_mul_f32_e32 v4, 0x4f7ffffe, v4
	v_cvt_u32_f32_e32 v4, v4
	s_delay_alu instid0(VALU_DEP_1) | instskip(NEXT) | instid1(VALU_DEP_1)
	v_mul_lo_u32 v5, s7, v4
	v_mul_hi_u32 v5, v4, v5
	s_delay_alu instid0(VALU_DEP_1) | instskip(NEXT) | instid1(VALU_DEP_1)
	v_add_nc_u32_e32 v4, v4, v5
	v_mul_hi_u32 v4, s26, v4
	s_delay_alu instid0(VALU_DEP_1) | instskip(NEXT) | instid1(VALU_DEP_1)
	v_mul_lo_u32 v4, v4, s33
	v_sub_nc_u32_e32 v4, s26, v4
	s_delay_alu instid0(VALU_DEP_1) | instskip(SKIP_1) | instid1(VALU_DEP_2)
	v_subrev_nc_u32_e32 v5, s33, v4
	v_cmp_le_u32_e32 vcc_lo, s33, v4
	v_cndmask_b32_e32 v4, v4, v5, vcc_lo
	s_delay_alu instid0(VALU_DEP_1) | instskip(SKIP_1) | instid1(VALU_DEP_2)
	v_subrev_nc_u32_e32 v5, s33, v4
	v_cmp_le_u32_e32 vcc_lo, s33, v4
	v_cndmask_b32_e32 v12, v4, v5, vcc_lo
	s_delay_alu instid0(VALU_DEP_1)
	v_dual_mov_b32 v4, v12 :: v_dual_mov_b32 v5, v13
.LBB177_351:                            ;   in Loop: Header=BB177_31 Depth=1
	s_delay_alu instid0(VALU_DEP_1) | instskip(NEXT) | instid1(VALU_DEP_2)
	v_sub_co_u32 v4, vcc_lo, s26, v4
	v_sub_co_ci_u32_e32 v5, vcc_lo, s17, v5, vcc_lo
	s_mov_b32 s7, 0
	s_mov_b32 s16, exec_lo
                                        ; implicit-def: $vgpr49
	s_delay_alu instid0(VALU_DEP_1)
	v_cmpx_gt_u64_e64 v[4:5], v[0:1]
	s_cbranch_execz .LBB177_363
; %bb.352:                              ;   in Loop: Header=BB177_31 Depth=1
	v_dual_mov_b32 v8, v43 :: v_dual_mov_b32 v7, v1
	v_mov_b32_e32 v6, v0
	s_mov_b32 s17, 0
                                        ; implicit-def: $sgpr26
	s_set_inst_prefetch_distance 0x1
	s_branch .LBB177_354
	.p2align	6
.LBB177_353:                            ;   in Loop: Header=BB177_354 Depth=2
	s_or_b32 exec_lo, exec_lo, s7
	s_waitcnt lgkmcnt(0)
	s_barrier
	buffer_gl0_inv
	ds_load_b32 v9, v13 offset:3072
	v_add_co_u32 v6, vcc_lo, v6, s33
	v_add_co_ci_u32_e32 v7, vcc_lo, 0, v7, vcc_lo
	v_add_nc_u32_e32 v8, s93, v8
	s_waitcnt lgkmcnt(0)
	s_barrier
	s_delay_alu instid0(VALU_DEP_2) | instskip(SKIP_2) | instid1(VALU_DEP_1)
	v_cmp_ge_u64_e32 vcc_lo, v[6:7], v[4:5]
	buffer_gl0_inv
	v_cmp_ne_u16_e64 s7, 0, v9
	s_or_b32 s47, vcc_lo, s7
	s_delay_alu instid0(SALU_CYCLE_1) | instskip(NEXT) | instid1(SALU_CYCLE_1)
	s_and_b32 s47, exec_lo, s47
	s_or_b32 s17, s47, s17
	s_and_not1_b32 s26, s26, exec_lo
	s_and_b32 s7, s7, exec_lo
	s_delay_alu instid0(SALU_CYCLE_1)
	s_or_b32 s26, s26, s7
	s_and_not1_b32 exec_lo, exec_lo, s17
	s_cbranch_execz .LBB177_362
.LBB177_354:                            ;   Parent Loop BB177_31 Depth=1
                                        ; =>  This Inner Loop Header: Depth=2
	s_delay_alu instid0(VALU_DEP_1)
	v_cmp_gt_u64_e32 vcc_lo, s[8:9], v[6:7]
	v_mov_b32_e32 v9, 0
	s_and_saveexec_b32 s7, vcc_lo
	s_cbranch_execz .LBB177_356
; %bb.355:                              ;   in Loop: Header=BB177_354 Depth=2
	ds_load_u16 v9, v8
.LBB177_356:                            ;   in Loop: Header=BB177_354 Depth=2
	s_or_b32 exec_lo, exec_lo, s7
	s_and_saveexec_b32 s7, vcc_lo
	s_cbranch_execz .LBB177_353
; %bb.357:                              ;   in Loop: Header=BB177_354 Depth=2
	s_waitcnt lgkmcnt(0)
	v_bfe_i32 v12, v9, 0, 16
	s_delay_alu instid0(VALU_DEP_1) | instskip(NEXT) | instid1(VALU_DEP_1)
	v_add_nc_u32_e32 v12, 0x8000, v12
	v_and_b32_e32 v12, v12, v47
	s_delay_alu instid0(VALU_DEP_1)
	v_cmp_eq_u32_e32 vcc_lo, v12, v48
	s_and_b32 exec_lo, exec_lo, vcc_lo
	s_cbranch_execz .LBB177_353
; %bb.358:                              ;   in Loop: Header=BB177_354 Depth=2
	v_perm_b32 v9, v9, 1, 0x5040100
	ds_store_b32 v13, v9 offset:3072
	s_branch .LBB177_353
.LBB177_359:                            ;   in Loop: Header=BB177_31 Depth=1
                                        ; implicit-def: $vgpr2_vgpr3
	s_branch .LBB177_306
.LBB177_360:                            ;   in Loop: Header=BB177_31 Depth=1
                                        ; implicit-def: $vgpr2_vgpr3
	s_branch .LBB177_320
.LBB177_361:                            ;   in Loop: Header=BB177_31 Depth=1
	s_mov_b32 s16, -1
	s_mov_b32 s7, 0
                                        ; implicit-def: $sgpr17
                                        ; implicit-def: $vgpr49
	s_mov_b32 s70, s16
	s_cbranch_execnz .LBB177_364
	s_branch .LBB177_377
.LBB177_362:                            ;   in Loop: Header=BB177_31 Depth=1
	s_set_inst_prefetch_distance 0x2
	s_or_b32 exec_lo, exec_lo, s17
	v_lshrrev_b32_e32 v49, 16, v9
	s_and_b32 s7, s26, exec_lo
.LBB177_363:                            ;   in Loop: Header=BB177_31 Depth=1
	s_or_b32 exec_lo, exec_lo, s16
	s_mov_b32 s16, 0
	s_mov_b32 s17, -1
	s_mov_b32 s70, s16
	s_branch .LBB177_377
.LBB177_364:                            ;   in Loop: Header=BB177_31 Depth=1
	s_mov_b32 s26, s61
	s_delay_alu instid0(SALU_CYCLE_1)
	s_cmp_lg_u64 s[26:27], 0
	s_cbranch_scc0 .LBB177_406
; %bb.365:                              ;   in Loop: Header=BB177_31 Depth=1
	v_cvt_f32_u32_e32 v4, s33
	s_sub_u32 s9, 0, s33
	s_subb_u32 s16, 0, 0
	s_delay_alu instid0(VALU_DEP_1) | instskip(NEXT) | instid1(VALU_DEP_1)
	v_fmac_f32_e64 v4, 0, 0x4f800000
	v_rcp_f32_e32 v4, v4
	s_waitcnt_depctr 0xfff
	v_mul_f32_e32 v4, 0x5f7ffffc, v4
	s_delay_alu instid0(VALU_DEP_1) | instskip(NEXT) | instid1(VALU_DEP_1)
	v_mul_f32_e32 v5, 0x2f800000, v4
	v_trunc_f32_e32 v5, v5
	s_delay_alu instid0(VALU_DEP_1) | instskip(SKIP_1) | instid1(VALU_DEP_2)
	v_fmac_f32_e32 v4, 0xcf800000, v5
	v_cvt_u32_f32_e32 v5, v5
	v_cvt_u32_f32_e32 v4, v4
	s_delay_alu instid0(VALU_DEP_2) | instskip(NEXT) | instid1(VALU_DEP_2)
	v_readfirstlane_b32 s7, v5
	v_readfirstlane_b32 s8, v4
	s_delay_alu instid0(VALU_DEP_2) | instskip(NEXT) | instid1(VALU_DEP_1)
	s_mul_i32 s17, s9, s7
	s_mul_hi_u32 s47, s9, s8
	s_mul_i32 s26, s16, s8
	s_add_i32 s17, s47, s17
	s_mul_i32 s59, s9, s8
	s_add_i32 s17, s17, s26
	s_mul_hi_u32 s47, s8, s59
	s_mul_hi_u32 s70, s7, s59
	s_mul_i32 s26, s7, s59
	s_mul_hi_u32 s59, s8, s17
	s_mul_i32 s8, s8, s17
	s_mul_hi_u32 s71, s7, s17
	s_add_u32 s8, s47, s8
	s_addc_u32 s47, 0, s59
	s_add_u32 s8, s8, s26
	s_mul_i32 s17, s7, s17
	s_addc_u32 s8, s47, s70
	s_addc_u32 s26, s71, 0
	s_add_u32 s8, s8, s17
	s_addc_u32 s17, 0, s26
	v_add_co_u32 v4, s8, v4, s8
	s_delay_alu instid0(VALU_DEP_1) | instskip(SKIP_1) | instid1(VALU_DEP_1)
	s_cmp_lg_u32 s8, 0
	s_addc_u32 s7, s7, s17
	v_readfirstlane_b32 s8, v4
	s_mul_i32 s17, s9, s7
	s_delay_alu instid0(VALU_DEP_1)
	s_mul_hi_u32 s26, s9, s8
	s_mul_i32 s16, s16, s8
	s_add_i32 s17, s26, s17
	s_mul_i32 s9, s9, s8
	s_add_i32 s17, s17, s16
	s_mul_hi_u32 s26, s7, s9
	s_mul_i32 s47, s7, s9
	s_mul_hi_u32 s9, s8, s9
	s_mul_hi_u32 s59, s8, s17
	s_mul_i32 s8, s8, s17
	s_mul_hi_u32 s16, s7, s17
	s_add_u32 s8, s9, s8
	s_addc_u32 s9, 0, s59
	s_add_u32 s8, s8, s47
	s_mul_i32 s17, s7, s17
	s_addc_u32 s8, s9, s26
	s_addc_u32 s9, s16, 0
	s_add_u32 s8, s8, s17
	s_addc_u32 s9, 0, s9
	v_add_co_u32 v4, s8, v4, s8
	s_delay_alu instid0(VALU_DEP_1) | instskip(SKIP_1) | instid1(VALU_DEP_1)
	s_cmp_lg_u32 s8, 0
	s_addc_u32 s7, s7, s9
	v_readfirstlane_b32 s8, v4
	s_mul_i32 s16, s87, s7
	s_mul_hi_u32 s9, s87, s7
	s_mul_hi_u32 s17, s27, s7
	s_mul_i32 s7, s27, s7
	s_mul_hi_u32 s26, s87, s8
	s_mul_hi_u32 s47, s27, s8
	s_mul_i32 s8, s27, s8
	s_add_u32 s16, s26, s16
	s_addc_u32 s9, 0, s9
	s_add_u32 s8, s16, s8
	s_addc_u32 s8, s9, s47
	s_addc_u32 s9, s17, 0
	s_add_u32 s7, s8, s7
	s_addc_u32 s8, 0, s9
	s_mul_hi_u32 s9, s33, s7
	s_mul_i32 s7, s33, s7
	s_mul_i32 s8, s33, s8
	v_sub_co_u32 v4, s7, s87, s7
	s_add_i32 s9, s9, s8
	s_cmp_lg_u32 s7, 0
	s_delay_alu instid0(VALU_DEP_1) | instskip(SKIP_2) | instid1(VALU_DEP_1)
	v_sub_co_u32 v5, s7, v4, s33
	s_subb_u32 s8, s27, s9
	s_cmp_lg_u32 s7, 0
	v_cmp_le_u32_e32 vcc_lo, s33, v5
	v_sub_co_u32 v6, s7, v5, s33
	s_subb_u32 s9, s8, 0
	s_cmp_lg_u32 s7, 0
	v_cndmask_b32_e64 v7, 0, -1, vcc_lo
	s_subb_u32 s7, s9, 0
	s_cmp_eq_u32 s9, 0
	v_mov_b32_e32 v9, s7
	s_cselect_b32 vcc_lo, -1, 0
	s_cmp_eq_u32 s8, 0
	v_cndmask_b32_e32 v7, -1, v7, vcc_lo
	v_cmp_le_u32_e32 vcc_lo, s33, v4
	s_cselect_b32 s7, -1, 0
	v_cndmask_b32_e64 v8, 0, -1, vcc_lo
	s_delay_alu instid0(VALU_DEP_3) | instskip(NEXT) | instid1(VALU_DEP_2)
	v_cmp_ne_u32_e32 vcc_lo, 0, v7
	v_cndmask_b32_e64 v7, -1, v8, s7
	v_cndmask_b32_e32 v8, s9, v9, vcc_lo
	v_cndmask_b32_e32 v6, v5, v6, vcc_lo
	s_delay_alu instid0(VALU_DEP_3) | instskip(NEXT) | instid1(VALU_DEP_3)
	v_cmp_ne_u32_e32 vcc_lo, 0, v7
	v_cndmask_b32_e32 v5, s8, v8, vcc_lo
	s_delay_alu instid0(VALU_DEP_3)
	v_cndmask_b32_e32 v4, v4, v6, vcc_lo
	s_cbranch_execnz .LBB177_367
.LBB177_366:                            ;   in Loop: Header=BB177_31 Depth=1
	v_cvt_f32_u32_e32 v4, s33
	s_sub_i32 s7, 0, s33
	s_delay_alu instid0(VALU_DEP_1) | instskip(SKIP_2) | instid1(VALU_DEP_1)
	v_rcp_iflag_f32_e32 v4, v4
	s_waitcnt_depctr 0xfff
	v_mul_f32_e32 v4, 0x4f7ffffe, v4
	v_cvt_u32_f32_e32 v4, v4
	s_delay_alu instid0(VALU_DEP_1) | instskip(NEXT) | instid1(VALU_DEP_1)
	v_mul_lo_u32 v5, s7, v4
	v_mul_hi_u32 v5, v4, v5
	s_delay_alu instid0(VALU_DEP_1) | instskip(NEXT) | instid1(VALU_DEP_1)
	v_add_nc_u32_e32 v4, v4, v5
	v_mul_hi_u32 v4, s87, v4
	s_delay_alu instid0(VALU_DEP_1) | instskip(NEXT) | instid1(VALU_DEP_1)
	v_mul_lo_u32 v4, v4, s33
	v_sub_nc_u32_e32 v4, s87, v4
	s_delay_alu instid0(VALU_DEP_1) | instskip(SKIP_1) | instid1(VALU_DEP_2)
	v_subrev_nc_u32_e32 v5, s33, v4
	v_cmp_le_u32_e32 vcc_lo, s33, v4
	v_cndmask_b32_e32 v4, v4, v5, vcc_lo
	s_delay_alu instid0(VALU_DEP_1) | instskip(SKIP_1) | instid1(VALU_DEP_2)
	v_subrev_nc_u32_e32 v5, s33, v4
	v_cmp_le_u32_e32 vcc_lo, s33, v4
	v_cndmask_b32_e32 v12, v4, v5, vcc_lo
	s_delay_alu instid0(VALU_DEP_1)
	v_dual_mov_b32 v4, v12 :: v_dual_mov_b32 v5, v13
.LBB177_367:                            ;   in Loop: Header=BB177_31 Depth=1
	s_delay_alu instid0(VALU_DEP_1) | instskip(NEXT) | instid1(VALU_DEP_2)
	v_sub_co_u32 v4, vcc_lo, s87, v4
	v_sub_co_ci_u32_e32 v5, vcc_lo, s27, v5, vcc_lo
	s_mov_b32 s7, 0
	s_mov_b32 s8, exec_lo
                                        ; implicit-def: $vgpr49
	s_delay_alu instid0(VALU_DEP_1)
	v_cmpx_gt_u64_e64 v[4:5], v[0:1]
	s_cbranch_execz .LBB177_376
; %bb.368:                              ;   in Loop: Header=BB177_31 Depth=1
	v_dual_mov_b32 v6, v24 :: v_dual_mov_b32 v7, v25
	v_dual_mov_b32 v9, v1 :: v_dual_mov_b32 v8, v0
	s_mov_b32 s9, 0
                                        ; implicit-def: $sgpr16
	s_set_inst_prefetch_distance 0x1
	s_branch .LBB177_370
	.p2align	6
.LBB177_369:                            ;   in Loop: Header=BB177_370 Depth=2
	s_or_b32 exec_lo, exec_lo, s7
	s_waitcnt vmcnt(0) lgkmcnt(0)
	s_barrier
	buffer_gl0_inv
	ds_load_b32 v12, v13 offset:3072
	v_add_co_u32 v8, vcc_lo, v8, s33
	v_add_co_ci_u32_e32 v9, vcc_lo, 0, v9, vcc_lo
	s_waitcnt lgkmcnt(0)
	s_barrier
	buffer_gl0_inv
	v_cmp_ge_u64_e32 vcc_lo, v[8:9], v[4:5]
	v_cmp_ne_u16_e64 s7, 0, v12
	s_delay_alu instid0(VALU_DEP_1)
	s_or_b32 s17, vcc_lo, s7
	v_add_co_u32 v6, vcc_lo, v6, s34
	s_and_b32 s17, exec_lo, s17
	v_add_co_ci_u32_e32 v7, vcc_lo, s35, v7, vcc_lo
	s_or_b32 s9, s17, s9
	s_and_not1_b32 s16, s16, exec_lo
	s_and_b32 s7, s7, exec_lo
	s_delay_alu instid0(SALU_CYCLE_1)
	s_or_b32 s16, s16, s7
	s_and_not1_b32 exec_lo, exec_lo, s9
	s_cbranch_execz .LBB177_375
.LBB177_370:                            ;   Parent Loop BB177_31 Depth=1
                                        ; =>  This Inner Loop Header: Depth=2
	s_delay_alu instid0(VALU_DEP_1)
	v_cmp_gt_u64_e32 vcc_lo, s[36:37], v[8:9]
	v_mov_b32_e32 v12, 0
	s_and_saveexec_b32 s7, vcc_lo
	s_cbranch_execz .LBB177_372
; %bb.371:                              ;   in Loop: Header=BB177_370 Depth=2
	global_load_u16 v12, v[6:7], off
.LBB177_372:                            ;   in Loop: Header=BB177_370 Depth=2
	s_or_b32 exec_lo, exec_lo, s7
	s_and_saveexec_b32 s7, vcc_lo
	s_cbranch_execz .LBB177_369
; %bb.373:                              ;   in Loop: Header=BB177_370 Depth=2
	s_waitcnt vmcnt(0)
	v_bfe_i32 v26, v12, 0, 16
	s_delay_alu instid0(VALU_DEP_1) | instskip(NEXT) | instid1(VALU_DEP_1)
	v_add_nc_u32_e32 v26, 0x8000, v26
	v_and_b32_e32 v26, v26, v47
	s_delay_alu instid0(VALU_DEP_1)
	v_cmp_eq_u32_e32 vcc_lo, v26, v48
	s_and_b32 exec_lo, exec_lo, vcc_lo
	s_cbranch_execz .LBB177_369
; %bb.374:                              ;   in Loop: Header=BB177_370 Depth=2
	v_perm_b32 v12, v12, 1, 0x5040100
	ds_store_b32 v13, v12 offset:3072
	s_branch .LBB177_369
.LBB177_375:                            ;   in Loop: Header=BB177_31 Depth=1
	s_set_inst_prefetch_distance 0x2
	s_or_b32 exec_lo, exec_lo, s9
	v_lshrrev_b32_e32 v49, 16, v12
	s_and_b32 s7, s16, exec_lo
.LBB177_376:                            ;   in Loop: Header=BB177_31 Depth=1
	s_or_b32 exec_lo, exec_lo, s8
	s_mov_b32 s17, 0
	s_mov_b32 s16, -1
	s_mov_b32 s70, 0
.LBB177_377:                            ;   in Loop: Header=BB177_31 Depth=1
	s_or_not1_b32 s7, s7, exec_lo
.LBB177_378:                            ;   in Loop: Header=BB177_31 Depth=1
	s_or_b32 exec_lo, exec_lo, s46
	s_mov_b32 s26, 0
                                        ; implicit-def: $vgpr6
	s_and_saveexec_b32 s71, s7
	s_cbranch_execz .LBB177_491
; %bb.379:                              ;   in Loop: Header=BB177_31 Depth=1
	v_mov_b32_e32 v4, 1
	v_dual_mov_b32 v5, 0 :: v_dual_mov_b32 v6, 1
	s_xor_b32 s8, s58, -1
	s_delay_alu instid0(SALU_CYCLE_1)
	s_and_saveexec_b32 s7, s8
	s_cbranch_execz .LBB177_389
; %bb.380:                              ;   in Loop: Header=BB177_31 Depth=1
	s_mov_b32 s9, exec_lo
                                        ; implicit-def: $sgpr26
                                        ; implicit-def: $sgpr8
	v_cmpx_ge_u64_e64 s[14:15], v[2:3]
	s_xor_b32 s9, exec_lo, s9
	s_cbranch_execz .LBB177_386
; %bb.381:                              ;   in Loop: Header=BB177_31 Depth=1
	ds_load_b64 v[4:5], v13 offset:5120
	s_waitcnt lgkmcnt(0)
	v_cmp_ne_u64_e32 vcc_lo, 0, v[4:5]
	s_cbranch_vccnz .LBB177_385
; %bb.382:                              ;   in Loop: Header=BB177_31 Depth=1
	s_and_saveexec_b32 s8, s5
	s_cbranch_execz .LBB177_384
; %bb.383:                              ;   in Loop: Header=BB177_31 Depth=1
	v_dual_mov_b32 v4, s14 :: v_dual_mov_b32 v5, s15
	ds_store_b64 v13, v[4:5] offset:5128
.LBB177_384:                            ;   in Loop: Header=BB177_31 Depth=1
	s_or_b32 exec_lo, exec_lo, s8
	s_waitcnt lgkmcnt(0)
	s_barrier
	buffer_gl0_inv
.LBB177_385:                            ;   in Loop: Header=BB177_31 Depth=1
	s_lshl_b32 s8, 2, s22
	v_or_b32_e32 v47, s20, v47
	v_and_or_b32 v48, v48, s21, s8
	s_mov_b32 s8, 0
	s_mov_b32 s26, 5
.LBB177_386:                            ;   in Loop: Header=BB177_31 Depth=1
	s_or_saveexec_b32 s9, s9
	v_mov_b32_e32 v6, s26
	s_xor_b32 exec_lo, exec_lo, s9
; %bb.387:                              ;   in Loop: Header=BB177_31 Depth=1
	v_sub_co_u32 v2, vcc_lo, v2, s14
	v_subrev_co_ci_u32_e32 v3, vcc_lo, s15, v3, vcc_lo
	v_mov_b32_e32 v6, 0
	s_or_b32 s8, s8, exec_lo
; %bb.388:                              ;   in Loop: Header=BB177_31 Depth=1
	s_or_b32 exec_lo, exec_lo, s9
	s_delay_alu instid0(VALU_DEP_2)
	v_dual_mov_b32 v5, v3 :: v_dual_mov_b32 v4, v2
	s_and_b32 s26, s8, exec_lo
.LBB177_389:                            ;   in Loop: Header=BB177_31 Depth=1
	s_or_b32 exec_lo, exec_lo, s7
	s_mov_b32 s7, -1
                                        ; implicit-def: $sgpr8
                                        ; implicit-def: $sgpr9
                                        ; implicit-def: $sgpr14
	s_and_saveexec_b32 s72, s26
	s_cbranch_execz .LBB177_490
; %bb.390:                              ;   in Loop: Header=BB177_31 Depth=1
	v_cmp_eq_u64_e32 vcc_lo, 1, v[4:5]
	s_cmp_eq_u64 s[12:13], 1
                                        ; implicit-def: $sgpr14
                                        ; implicit-def: $sgpr15
                                        ; implicit-def: $sgpr73
	s_cselect_b32 s7, -1, 0
	s_delay_alu instid0(SALU_CYCLE_1)
	s_and_b32 s58, s7, vcc_lo
	s_mov_b32 s7, -1
	s_and_saveexec_b32 s46, s58
	s_cbranch_execz .LBB177_424
; %bb.391:                              ;   in Loop: Header=BB177_31 Depth=1
	ds_load_b64 v[2:3], v13 offset:5120
	s_waitcnt lgkmcnt(0)
	s_barrier
	buffer_gl0_inv
	v_readfirstlane_b32 s8, v2
	v_readfirstlane_b32 s9, v3
	s_and_saveexec_b32 s7, s6
	s_cbranch_execz .LBB177_393
; %bb.392:                              ;   in Loop: Header=BB177_31 Depth=1
	ds_store_b16 v44, v13
.LBB177_393:                            ;   in Loop: Header=BB177_31 Depth=1
	s_or_b32 exec_lo, exec_lo, s7
	s_lshl_b32 s7, 1, s22
	v_or_b32_e32 v47, s20, v47
	v_and_or_b32 v48, v48, s21, s7
	s_cmp_eq_u64 s[8:9], 0
	s_waitcnt lgkmcnt(0)
	s_barrier
	buffer_gl0_inv
	s_cbranch_scc1 .LBB177_407
; %bb.394:                              ;   in Loop: Header=BB177_31 Depth=1
	s_add_u32 s26, s85, s8
	s_addc_u32 s15, s86, s9
	s_mov_b32 s14, s61
	s_delay_alu instid0(SALU_CYCLE_1)
	s_cmp_lg_u64 s[14:15], 0
	s_cbranch_scc0 .LBB177_442
; %bb.395:                              ;   in Loop: Header=BB177_31 Depth=1
	v_cvt_f32_u32_e32 v2, s33
	s_sub_u32 s47, 0, s33
	s_subb_u32 s59, 0, 0
	s_delay_alu instid0(VALU_DEP_1) | instskip(NEXT) | instid1(VALU_DEP_1)
	v_fmac_f32_e64 v2, 0, 0x4f800000
	v_rcp_f32_e32 v2, v2
	s_waitcnt_depctr 0xfff
	v_mul_f32_e32 v2, 0x5f7ffffc, v2
	s_delay_alu instid0(VALU_DEP_1) | instskip(NEXT) | instid1(VALU_DEP_1)
	v_mul_f32_e32 v3, 0x2f800000, v2
	v_trunc_f32_e32 v3, v3
	s_delay_alu instid0(VALU_DEP_1) | instskip(SKIP_1) | instid1(VALU_DEP_2)
	v_fmac_f32_e32 v2, 0xcf800000, v3
	v_cvt_u32_f32_e32 v3, v3
	v_cvt_u32_f32_e32 v2, v2
	s_delay_alu instid0(VALU_DEP_2) | instskip(NEXT) | instid1(VALU_DEP_2)
	v_readfirstlane_b32 s7, v3
	v_readfirstlane_b32 s14, v2
	s_delay_alu instid0(VALU_DEP_2) | instskip(NEXT) | instid1(VALU_DEP_1)
	s_mul_i32 s73, s47, s7
	s_mul_hi_u32 s75, s47, s14
	s_mul_i32 s74, s59, s14
	s_add_i32 s73, s75, s73
	s_mul_i32 s76, s47, s14
	s_add_i32 s73, s73, s74
	s_mul_hi_u32 s75, s14, s76
	s_mul_hi_u32 s77, s7, s76
	s_mul_i32 s74, s7, s76
	s_mul_hi_u32 s76, s14, s73
	s_mul_i32 s14, s14, s73
	s_mul_hi_u32 s78, s7, s73
	s_add_u32 s14, s75, s14
	s_addc_u32 s75, 0, s76
	s_add_u32 s14, s14, s74
	s_mul_i32 s73, s7, s73
	s_addc_u32 s14, s75, s77
	s_addc_u32 s74, s78, 0
	s_add_u32 s14, s14, s73
	s_addc_u32 s73, 0, s74
	v_add_co_u32 v2, s14, v2, s14
	s_delay_alu instid0(VALU_DEP_1) | instskip(SKIP_1) | instid1(VALU_DEP_1)
	s_cmp_lg_u32 s14, 0
	s_addc_u32 s7, s7, s73
	v_readfirstlane_b32 s14, v2
	s_mul_i32 s73, s47, s7
	s_delay_alu instid0(VALU_DEP_1)
	s_mul_hi_u32 s74, s47, s14
	s_mul_i32 s59, s59, s14
	s_add_i32 s73, s74, s73
	s_mul_i32 s47, s47, s14
	s_add_i32 s73, s73, s59
	s_mul_hi_u32 s74, s7, s47
	s_mul_i32 s75, s7, s47
	s_mul_hi_u32 s47, s14, s47
	s_mul_hi_u32 s76, s14, s73
	s_mul_i32 s14, s14, s73
	s_mul_hi_u32 s59, s7, s73
	s_add_u32 s14, s47, s14
	s_addc_u32 s47, 0, s76
	s_add_u32 s14, s14, s75
	s_mul_i32 s73, s7, s73
	s_addc_u32 s14, s47, s74
	s_addc_u32 s47, s59, 0
	s_add_u32 s14, s14, s73
	s_addc_u32 s47, 0, s47
	v_add_co_u32 v2, s14, v2, s14
	s_delay_alu instid0(VALU_DEP_1) | instskip(SKIP_1) | instid1(VALU_DEP_1)
	s_cmp_lg_u32 s14, 0
	s_addc_u32 s7, s7, s47
	v_readfirstlane_b32 s14, v2
	s_mul_i32 s59, s26, s7
	s_mul_hi_u32 s47, s26, s7
	s_mul_hi_u32 s73, s15, s7
	s_mul_i32 s7, s15, s7
	s_mul_hi_u32 s74, s26, s14
	s_mul_hi_u32 s75, s15, s14
	s_mul_i32 s14, s15, s14
	s_add_u32 s59, s74, s59
	s_addc_u32 s47, 0, s47
	s_add_u32 s14, s59, s14
	s_addc_u32 s14, s47, s75
	s_addc_u32 s47, s73, 0
	s_add_u32 s7, s14, s7
	s_addc_u32 s14, 0, s47
	s_mul_hi_u32 s47, s33, s7
	s_mul_i32 s7, s33, s7
	s_mul_i32 s14, s33, s14
	v_sub_co_u32 v2, s7, s26, s7
	s_add_i32 s47, s47, s14
	s_cmp_lg_u32 s7, 0
	s_delay_alu instid0(VALU_DEP_1) | instskip(SKIP_3) | instid1(VALU_DEP_2)
	v_sub_co_u32 v3, s7, v2, s33
	s_subb_u32 s14, s15, s47
	s_cmp_lg_u32 s7, 0
	v_cmp_le_u32_e32 vcc_lo, s33, v2
	v_cmp_le_u32_e64 s7, s33, v3
	v_sub_co_u32 v6, s47, v3, s33
	s_subb_u32 s59, s14, 0
	s_cmp_lg_u32 s47, 0
	s_delay_alu instid0(VALU_DEP_2)
	v_cndmask_b32_e64 v7, 0, -1, s7
	s_subb_u32 s47, s59, 0
	s_cmp_eq_u32 s59, 0
	v_mov_b32_e32 v9, s47
	v_cndmask_b32_e64 v8, 0, -1, vcc_lo
	s_cselect_b32 vcc_lo, -1, 0
	s_cmp_eq_u32 s14, 0
	v_cndmask_b32_e32 v7, -1, v7, vcc_lo
	s_cselect_b32 vcc_lo, -1, 0
	v_cndmask_b32_e32 v8, -1, v8, vcc_lo
	s_delay_alu instid0(VALU_DEP_2) | instskip(NEXT) | instid1(VALU_DEP_2)
	v_cmp_ne_u32_e32 vcc_lo, 0, v7
	v_cmp_ne_u32_e64 s7, 0, v8
	v_cndmask_b32_e32 v7, s59, v9, vcc_lo
	v_cndmask_b32_e32 v6, v3, v6, vcc_lo
	s_delay_alu instid0(VALU_DEP_2) | instskip(NEXT) | instid1(VALU_DEP_2)
	v_cndmask_b32_e64 v3, s14, v7, s7
	v_cndmask_b32_e64 v2, v2, v6, s7
	s_cbranch_execnz .LBB177_397
.LBB177_396:                            ;   in Loop: Header=BB177_31 Depth=1
	v_cvt_f32_u32_e32 v2, s33
	s_sub_i32 s7, 0, s33
	s_delay_alu instid0(VALU_DEP_1) | instskip(SKIP_2) | instid1(VALU_DEP_1)
	v_rcp_iflag_f32_e32 v2, v2
	s_waitcnt_depctr 0xfff
	v_mul_f32_e32 v2, 0x4f7ffffe, v2
	v_cvt_u32_f32_e32 v2, v2
	s_delay_alu instid0(VALU_DEP_1) | instskip(NEXT) | instid1(VALU_DEP_1)
	v_mul_lo_u32 v3, s7, v2
	v_mul_hi_u32 v3, v2, v3
	s_delay_alu instid0(VALU_DEP_1) | instskip(NEXT) | instid1(VALU_DEP_1)
	v_add_nc_u32_e32 v2, v2, v3
	v_mul_hi_u32 v2, s26, v2
	s_delay_alu instid0(VALU_DEP_1) | instskip(NEXT) | instid1(VALU_DEP_1)
	v_mul_lo_u32 v2, v2, s33
	v_sub_nc_u32_e32 v2, s26, v2
	s_delay_alu instid0(VALU_DEP_1) | instskip(SKIP_1) | instid1(VALU_DEP_2)
	v_subrev_nc_u32_e32 v3, s33, v2
	v_cmp_le_u32_e32 vcc_lo, s33, v2
	v_cndmask_b32_e32 v2, v2, v3, vcc_lo
	s_delay_alu instid0(VALU_DEP_1) | instskip(SKIP_1) | instid1(VALU_DEP_2)
	v_subrev_nc_u32_e32 v3, s33, v2
	v_cmp_le_u32_e32 vcc_lo, s33, v2
	v_cndmask_b32_e32 v12, v2, v3, vcc_lo
	s_delay_alu instid0(VALU_DEP_1)
	v_dual_mov_b32 v2, v12 :: v_dual_mov_b32 v3, v13
.LBB177_397:                            ;   in Loop: Header=BB177_31 Depth=1
	s_delay_alu instid0(VALU_DEP_1) | instskip(NEXT) | instid1(VALU_DEP_2)
	v_sub_co_u32 v2, vcc_lo, s26, v2
	v_sub_co_ci_u32_e32 v3, vcc_lo, s15, v3, vcc_lo
	s_mov_b32 s7, 0
	s_mov_b32 s14, exec_lo
                                        ; implicit-def: $vgpr49
	s_delay_alu instid0(VALU_DEP_1)
	v_cmpx_gt_u64_e64 v[2:3], v[0:1]
	s_cbranch_execz .LBB177_409
; %bb.398:                              ;   in Loop: Header=BB177_31 Depth=1
	v_dual_mov_b32 v8, v43 :: v_dual_mov_b32 v7, v1
	v_mov_b32_e32 v6, v0
	s_mov_b32 s15, 0
                                        ; implicit-def: $sgpr26
	s_set_inst_prefetch_distance 0x1
	s_branch .LBB177_400
	.p2align	6
.LBB177_399:                            ;   in Loop: Header=BB177_400 Depth=2
	s_or_b32 exec_lo, exec_lo, s7
	s_waitcnt lgkmcnt(0)
	s_barrier
	buffer_gl0_inv
	ds_load_b32 v9, v13 offset:3072
	v_add_co_u32 v6, vcc_lo, v6, s33
	v_add_co_ci_u32_e32 v7, vcc_lo, 0, v7, vcc_lo
	v_add_nc_u32_e32 v8, s93, v8
	s_waitcnt lgkmcnt(0)
	s_barrier
	s_delay_alu instid0(VALU_DEP_2) | instskip(SKIP_2) | instid1(VALU_DEP_1)
	v_cmp_ge_u64_e32 vcc_lo, v[6:7], v[2:3]
	buffer_gl0_inv
	v_cmp_ne_u16_e64 s7, 0, v9
	s_or_b32 s47, vcc_lo, s7
	s_delay_alu instid0(SALU_CYCLE_1) | instskip(NEXT) | instid1(SALU_CYCLE_1)
	s_and_b32 s47, exec_lo, s47
	s_or_b32 s15, s47, s15
	s_and_not1_b32 s26, s26, exec_lo
	s_and_b32 s7, s7, exec_lo
	s_delay_alu instid0(SALU_CYCLE_1)
	s_or_b32 s26, s26, s7
	s_and_not1_b32 exec_lo, exec_lo, s15
	s_cbranch_execz .LBB177_408
.LBB177_400:                            ;   Parent Loop BB177_31 Depth=1
                                        ; =>  This Inner Loop Header: Depth=2
	s_delay_alu instid0(VALU_DEP_1)
	v_cmp_gt_u64_e32 vcc_lo, s[8:9], v[6:7]
	v_mov_b32_e32 v9, 0
	s_and_saveexec_b32 s7, vcc_lo
	s_cbranch_execz .LBB177_402
; %bb.401:                              ;   in Loop: Header=BB177_400 Depth=2
	ds_load_u16 v9, v8
.LBB177_402:                            ;   in Loop: Header=BB177_400 Depth=2
	s_or_b32 exec_lo, exec_lo, s7
	s_and_saveexec_b32 s7, vcc_lo
	s_cbranch_execz .LBB177_399
; %bb.403:                              ;   in Loop: Header=BB177_400 Depth=2
	s_waitcnt lgkmcnt(0)
	v_bfe_i32 v12, v9, 0, 16
	s_delay_alu instid0(VALU_DEP_1) | instskip(NEXT) | instid1(VALU_DEP_1)
	v_add_nc_u32_e32 v12, 0x8000, v12
	v_and_b32_e32 v12, v12, v47
	s_delay_alu instid0(VALU_DEP_1)
	v_cmp_eq_u32_e32 vcc_lo, v12, v48
	s_and_b32 exec_lo, exec_lo, vcc_lo
	s_cbranch_execz .LBB177_399
; %bb.404:                              ;   in Loop: Header=BB177_400 Depth=2
	v_perm_b32 v9, v9, 1, 0x5040100
	ds_store_b32 v13, v9 offset:3072
	s_branch .LBB177_399
.LBB177_405:                            ;   in Loop: Header=BB177_31 Depth=1
                                        ; implicit-def: $vgpr4_vgpr5
	s_branch .LBB177_350
.LBB177_406:                            ;   in Loop: Header=BB177_31 Depth=1
                                        ; implicit-def: $vgpr4_vgpr5
	s_branch .LBB177_366
.LBB177_407:                            ;   in Loop: Header=BB177_31 Depth=1
	s_mov_b32 s14, -1
	s_mov_b32 s7, 0
                                        ; implicit-def: $sgpr15
                                        ; implicit-def: $vgpr49
	s_mov_b32 s73, s14
	s_cbranch_execnz .LBB177_410
	s_branch .LBB177_423
.LBB177_408:                            ;   in Loop: Header=BB177_31 Depth=1
	s_set_inst_prefetch_distance 0x2
	s_or_b32 exec_lo, exec_lo, s15
	v_lshrrev_b32_e32 v49, 16, v9
	s_and_b32 s7, s26, exec_lo
.LBB177_409:                            ;   in Loop: Header=BB177_31 Depth=1
	s_or_b32 exec_lo, exec_lo, s14
	s_mov_b32 s14, 0
	s_mov_b32 s15, -1
	s_mov_b32 s73, s14
	s_branch .LBB177_423
.LBB177_410:                            ;   in Loop: Header=BB177_31 Depth=1
	s_mov_b32 s26, s61
	s_delay_alu instid0(SALU_CYCLE_1)
	s_cmp_lg_u64 s[26:27], 0
	s_cbranch_scc0 .LBB177_443
; %bb.411:                              ;   in Loop: Header=BB177_31 Depth=1
	v_cvt_f32_u32_e32 v2, s33
	s_sub_u32 s9, 0, s33
	s_subb_u32 s14, 0, 0
	s_delay_alu instid0(VALU_DEP_1) | instskip(NEXT) | instid1(VALU_DEP_1)
	v_fmac_f32_e64 v2, 0, 0x4f800000
	v_rcp_f32_e32 v2, v2
	s_waitcnt_depctr 0xfff
	v_mul_f32_e32 v2, 0x5f7ffffc, v2
	s_delay_alu instid0(VALU_DEP_1) | instskip(NEXT) | instid1(VALU_DEP_1)
	v_mul_f32_e32 v3, 0x2f800000, v2
	v_trunc_f32_e32 v3, v3
	s_delay_alu instid0(VALU_DEP_1) | instskip(SKIP_1) | instid1(VALU_DEP_2)
	v_fmac_f32_e32 v2, 0xcf800000, v3
	v_cvt_u32_f32_e32 v3, v3
	v_cvt_u32_f32_e32 v2, v2
	s_delay_alu instid0(VALU_DEP_2) | instskip(NEXT) | instid1(VALU_DEP_2)
	v_readfirstlane_b32 s7, v3
	v_readfirstlane_b32 s8, v2
	s_delay_alu instid0(VALU_DEP_2) | instskip(NEXT) | instid1(VALU_DEP_1)
	s_mul_i32 s15, s9, s7
	s_mul_hi_u32 s47, s9, s8
	s_mul_i32 s26, s14, s8
	s_add_i32 s15, s47, s15
	s_mul_i32 s59, s9, s8
	s_add_i32 s15, s15, s26
	s_mul_hi_u32 s47, s8, s59
	s_mul_hi_u32 s73, s7, s59
	s_mul_i32 s26, s7, s59
	s_mul_hi_u32 s59, s8, s15
	s_mul_i32 s8, s8, s15
	s_mul_hi_u32 s74, s7, s15
	s_add_u32 s8, s47, s8
	s_addc_u32 s47, 0, s59
	s_add_u32 s8, s8, s26
	s_mul_i32 s15, s7, s15
	s_addc_u32 s8, s47, s73
	s_addc_u32 s26, s74, 0
	s_add_u32 s8, s8, s15
	s_addc_u32 s15, 0, s26
	v_add_co_u32 v2, s8, v2, s8
	s_delay_alu instid0(VALU_DEP_1) | instskip(SKIP_1) | instid1(VALU_DEP_1)
	s_cmp_lg_u32 s8, 0
	s_addc_u32 s7, s7, s15
	v_readfirstlane_b32 s8, v2
	s_mul_i32 s15, s9, s7
	s_delay_alu instid0(VALU_DEP_1)
	s_mul_hi_u32 s26, s9, s8
	s_mul_i32 s14, s14, s8
	s_add_i32 s15, s26, s15
	s_mul_i32 s9, s9, s8
	s_add_i32 s15, s15, s14
	s_mul_hi_u32 s26, s7, s9
	s_mul_i32 s47, s7, s9
	s_mul_hi_u32 s9, s8, s9
	s_mul_hi_u32 s59, s8, s15
	s_mul_i32 s8, s8, s15
	s_mul_hi_u32 s14, s7, s15
	s_add_u32 s8, s9, s8
	s_addc_u32 s9, 0, s59
	s_add_u32 s8, s8, s47
	s_mul_i32 s15, s7, s15
	s_addc_u32 s8, s9, s26
	s_addc_u32 s9, s14, 0
	s_add_u32 s8, s8, s15
	s_addc_u32 s9, 0, s9
	v_add_co_u32 v2, s8, v2, s8
	s_delay_alu instid0(VALU_DEP_1) | instskip(SKIP_1) | instid1(VALU_DEP_1)
	s_cmp_lg_u32 s8, 0
	s_addc_u32 s7, s7, s9
	v_readfirstlane_b32 s8, v2
	s_mul_i32 s14, s87, s7
	s_mul_hi_u32 s9, s87, s7
	s_mul_hi_u32 s15, s27, s7
	s_mul_i32 s7, s27, s7
	s_mul_hi_u32 s26, s87, s8
	s_mul_hi_u32 s47, s27, s8
	s_mul_i32 s8, s27, s8
	s_add_u32 s14, s26, s14
	s_addc_u32 s9, 0, s9
	s_add_u32 s8, s14, s8
	s_addc_u32 s8, s9, s47
	s_addc_u32 s9, s15, 0
	s_add_u32 s7, s8, s7
	s_addc_u32 s8, 0, s9
	s_mul_hi_u32 s9, s33, s7
	s_mul_i32 s7, s33, s7
	s_mul_i32 s8, s33, s8
	v_sub_co_u32 v2, s7, s87, s7
	s_add_i32 s9, s9, s8
	s_cmp_lg_u32 s7, 0
	s_delay_alu instid0(VALU_DEP_1) | instskip(SKIP_3) | instid1(VALU_DEP_2)
	v_sub_co_u32 v3, s7, v2, s33
	s_subb_u32 s8, s27, s9
	s_cmp_lg_u32 s7, 0
	v_cmp_le_u32_e32 vcc_lo, s33, v2
	v_cmp_le_u32_e64 s7, s33, v3
	v_sub_co_u32 v6, s9, v3, s33
	s_subb_u32 s14, s8, 0
	s_cmp_lg_u32 s9, 0
	s_delay_alu instid0(VALU_DEP_2)
	v_cndmask_b32_e64 v7, 0, -1, s7
	s_subb_u32 s9, s14, 0
	s_cmp_eq_u32 s14, 0
	v_mov_b32_e32 v9, s9
	v_cndmask_b32_e64 v8, 0, -1, vcc_lo
	s_cselect_b32 vcc_lo, -1, 0
	s_cmp_eq_u32 s8, 0
	v_cndmask_b32_e32 v7, -1, v7, vcc_lo
	s_cselect_b32 vcc_lo, -1, 0
	v_cndmask_b32_e32 v8, -1, v8, vcc_lo
	s_delay_alu instid0(VALU_DEP_2) | instskip(NEXT) | instid1(VALU_DEP_2)
	v_cmp_ne_u32_e32 vcc_lo, 0, v7
	v_cmp_ne_u32_e64 s7, 0, v8
	v_cndmask_b32_e32 v7, s14, v9, vcc_lo
	v_cndmask_b32_e32 v6, v3, v6, vcc_lo
	s_delay_alu instid0(VALU_DEP_2) | instskip(NEXT) | instid1(VALU_DEP_2)
	v_cndmask_b32_e64 v3, s8, v7, s7
	v_cndmask_b32_e64 v2, v2, v6, s7
	s_cbranch_execnz .LBB177_413
.LBB177_412:                            ;   in Loop: Header=BB177_31 Depth=1
	v_cvt_f32_u32_e32 v2, s33
	s_sub_i32 s7, 0, s33
	s_delay_alu instid0(VALU_DEP_1) | instskip(SKIP_2) | instid1(VALU_DEP_1)
	v_rcp_iflag_f32_e32 v2, v2
	s_waitcnt_depctr 0xfff
	v_mul_f32_e32 v2, 0x4f7ffffe, v2
	v_cvt_u32_f32_e32 v2, v2
	s_delay_alu instid0(VALU_DEP_1) | instskip(NEXT) | instid1(VALU_DEP_1)
	v_mul_lo_u32 v3, s7, v2
	v_mul_hi_u32 v3, v2, v3
	s_delay_alu instid0(VALU_DEP_1) | instskip(NEXT) | instid1(VALU_DEP_1)
	v_add_nc_u32_e32 v2, v2, v3
	v_mul_hi_u32 v2, s87, v2
	s_delay_alu instid0(VALU_DEP_1) | instskip(NEXT) | instid1(VALU_DEP_1)
	v_mul_lo_u32 v2, v2, s33
	v_sub_nc_u32_e32 v2, s87, v2
	s_delay_alu instid0(VALU_DEP_1) | instskip(SKIP_1) | instid1(VALU_DEP_2)
	v_subrev_nc_u32_e32 v3, s33, v2
	v_cmp_le_u32_e32 vcc_lo, s33, v2
	v_cndmask_b32_e32 v2, v2, v3, vcc_lo
	s_delay_alu instid0(VALU_DEP_1) | instskip(SKIP_1) | instid1(VALU_DEP_2)
	v_subrev_nc_u32_e32 v3, s33, v2
	v_cmp_le_u32_e32 vcc_lo, s33, v2
	v_cndmask_b32_e32 v12, v2, v3, vcc_lo
	s_delay_alu instid0(VALU_DEP_1)
	v_dual_mov_b32 v2, v12 :: v_dual_mov_b32 v3, v13
.LBB177_413:                            ;   in Loop: Header=BB177_31 Depth=1
	s_delay_alu instid0(VALU_DEP_1) | instskip(NEXT) | instid1(VALU_DEP_2)
	v_sub_co_u32 v2, vcc_lo, s87, v2
	v_sub_co_ci_u32_e32 v3, vcc_lo, s27, v3, vcc_lo
	s_mov_b32 s7, 0
	s_mov_b32 s8, exec_lo
                                        ; implicit-def: $vgpr49
	s_delay_alu instid0(VALU_DEP_1)
	v_cmpx_gt_u64_e64 v[2:3], v[0:1]
	s_cbranch_execz .LBB177_422
; %bb.414:                              ;   in Loop: Header=BB177_31 Depth=1
	v_dual_mov_b32 v6, v24 :: v_dual_mov_b32 v7, v25
	v_dual_mov_b32 v9, v1 :: v_dual_mov_b32 v8, v0
	s_mov_b32 s9, 0
                                        ; implicit-def: $sgpr14
	s_set_inst_prefetch_distance 0x1
	s_branch .LBB177_416
	.p2align	6
.LBB177_415:                            ;   in Loop: Header=BB177_416 Depth=2
	s_or_b32 exec_lo, exec_lo, s7
	s_waitcnt vmcnt(0) lgkmcnt(0)
	s_barrier
	buffer_gl0_inv
	ds_load_b32 v12, v13 offset:3072
	v_add_co_u32 v8, vcc_lo, v8, s33
	v_add_co_ci_u32_e32 v9, vcc_lo, 0, v9, vcc_lo
	s_waitcnt lgkmcnt(0)
	s_barrier
	buffer_gl0_inv
	v_cmp_ge_u64_e32 vcc_lo, v[8:9], v[2:3]
	v_cmp_ne_u16_e64 s7, 0, v12
	s_delay_alu instid0(VALU_DEP_1)
	s_or_b32 s15, vcc_lo, s7
	v_add_co_u32 v6, vcc_lo, v6, s34
	s_and_b32 s15, exec_lo, s15
	v_add_co_ci_u32_e32 v7, vcc_lo, s35, v7, vcc_lo
	s_or_b32 s9, s15, s9
	s_and_not1_b32 s14, s14, exec_lo
	s_and_b32 s7, s7, exec_lo
	s_delay_alu instid0(SALU_CYCLE_1)
	s_or_b32 s14, s14, s7
	s_and_not1_b32 exec_lo, exec_lo, s9
	s_cbranch_execz .LBB177_421
.LBB177_416:                            ;   Parent Loop BB177_31 Depth=1
                                        ; =>  This Inner Loop Header: Depth=2
	s_delay_alu instid0(VALU_DEP_1)
	v_cmp_gt_u64_e32 vcc_lo, s[36:37], v[8:9]
	v_mov_b32_e32 v12, 0
	s_and_saveexec_b32 s7, vcc_lo
	s_cbranch_execz .LBB177_418
; %bb.417:                              ;   in Loop: Header=BB177_416 Depth=2
	global_load_u16 v12, v[6:7], off
.LBB177_418:                            ;   in Loop: Header=BB177_416 Depth=2
	s_or_b32 exec_lo, exec_lo, s7
	s_and_saveexec_b32 s7, vcc_lo
	s_cbranch_execz .LBB177_415
; %bb.419:                              ;   in Loop: Header=BB177_416 Depth=2
	s_waitcnt vmcnt(0)
	v_bfe_i32 v26, v12, 0, 16
	s_delay_alu instid0(VALU_DEP_1) | instskip(NEXT) | instid1(VALU_DEP_1)
	v_add_nc_u32_e32 v26, 0x8000, v26
	v_and_b32_e32 v26, v26, v47
	s_delay_alu instid0(VALU_DEP_1)
	v_cmp_eq_u32_e32 vcc_lo, v26, v48
	s_and_b32 exec_lo, exec_lo, vcc_lo
	s_cbranch_execz .LBB177_415
; %bb.420:                              ;   in Loop: Header=BB177_416 Depth=2
	v_perm_b32 v12, v12, 1, 0x5040100
	ds_store_b32 v13, v12 offset:3072
	s_branch .LBB177_415
.LBB177_421:                            ;   in Loop: Header=BB177_31 Depth=1
	s_set_inst_prefetch_distance 0x2
	s_or_b32 exec_lo, exec_lo, s9
	v_lshrrev_b32_e32 v49, 16, v12
	s_and_b32 s7, s14, exec_lo
.LBB177_422:                            ;   in Loop: Header=BB177_31 Depth=1
	s_or_b32 exec_lo, exec_lo, s8
	s_mov_b32 s15, 0
	s_mov_b32 s14, -1
	s_mov_b32 s73, 0
.LBB177_423:                            ;   in Loop: Header=BB177_31 Depth=1
	s_or_not1_b32 s7, s7, exec_lo
.LBB177_424:                            ;   in Loop: Header=BB177_31 Depth=1
	s_or_b32 exec_lo, exec_lo, s46
	s_mov_b32 s26, 0
                                        ; implicit-def: $vgpr6
	s_and_saveexec_b32 s74, s7
	s_cbranch_execz .LBB177_489
; %bb.425:                              ;   in Loop: Header=BB177_31 Depth=1
	v_mov_b32_e32 v2, 1
	v_dual_mov_b32 v3, 0 :: v_dual_mov_b32 v6, 1
	s_xor_b32 s8, s58, -1
	s_delay_alu instid0(SALU_CYCLE_1)
	s_and_saveexec_b32 s7, s8
	s_cbranch_execz .LBB177_435
; %bb.426:                              ;   in Loop: Header=BB177_31 Depth=1
	s_mov_b32 s9, exec_lo
                                        ; implicit-def: $sgpr26
                                        ; implicit-def: $sgpr8
	v_cmpx_ge_u64_e64 s[12:13], v[4:5]
	s_xor_b32 s9, exec_lo, s9
	s_cbranch_execz .LBB177_432
; %bb.427:                              ;   in Loop: Header=BB177_31 Depth=1
	ds_load_b64 v[2:3], v13 offset:5120
	s_waitcnt lgkmcnt(0)
	v_cmp_ne_u64_e32 vcc_lo, 0, v[2:3]
	s_cbranch_vccnz .LBB177_431
; %bb.428:                              ;   in Loop: Header=BB177_31 Depth=1
	s_and_saveexec_b32 s8, s5
	s_cbranch_execz .LBB177_430
; %bb.429:                              ;   in Loop: Header=BB177_31 Depth=1
	v_dual_mov_b32 v2, s12 :: v_dual_mov_b32 v3, s13
	ds_store_b64 v13, v[2:3] offset:5128
.LBB177_430:                            ;   in Loop: Header=BB177_31 Depth=1
	s_or_b32 exec_lo, exec_lo, s8
	s_waitcnt lgkmcnt(0)
	s_barrier
	buffer_gl0_inv
.LBB177_431:                            ;   in Loop: Header=BB177_31 Depth=1
	s_lshl_b32 s8, 1, s22
	v_or_b32_e32 v47, s20, v47
	v_and_or_b32 v48, v48, s21, s8
	s_mov_b32 s8, 0
	s_mov_b32 s26, 5
.LBB177_432:                            ;   in Loop: Header=BB177_31 Depth=1
	s_or_saveexec_b32 s9, s9
	v_mov_b32_e32 v6, s26
	s_xor_b32 exec_lo, exec_lo, s9
; %bb.433:                              ;   in Loop: Header=BB177_31 Depth=1
	v_sub_co_u32 v4, vcc_lo, v4, s12
	v_subrev_co_ci_u32_e32 v5, vcc_lo, s13, v5, vcc_lo
	v_mov_b32_e32 v6, 0
	s_or_b32 s8, s8, exec_lo
; %bb.434:                              ;   in Loop: Header=BB177_31 Depth=1
	s_or_b32 exec_lo, exec_lo, s9
	s_delay_alu instid0(VALU_DEP_2)
	v_dual_mov_b32 v2, v4 :: v_dual_mov_b32 v3, v5
	s_and_b32 s26, s8, exec_lo
.LBB177_435:                            ;   in Loop: Header=BB177_31 Depth=1
	s_or_b32 exec_lo, exec_lo, s7
	s_mov_b32 s12, -1
                                        ; implicit-def: $sgpr7
                                        ; implicit-def: $sgpr8
                                        ; implicit-def: $sgpr9
	s_and_saveexec_b32 s22, s26
	s_cbranch_execz .LBB177_488
; %bb.436:                              ;   in Loop: Header=BB177_31 Depth=1
	v_cmp_eq_u64_e32 vcc_lo, 1, v[2:3]
	s_cmp_eq_u64 s[10:11], 1
	s_mov_b32 s13, -1
	s_cselect_b32 s7, -1, 0
                                        ; implicit-def: $sgpr8
                                        ; implicit-def: $sgpr9
	s_delay_alu instid0(SALU_CYCLE_1) | instskip(NEXT) | instid1(SALU_CYCLE_1)
	s_and_b32 s58, s7, vcc_lo
                                        ; implicit-def: $sgpr7
	s_and_saveexec_b32 s46, s58
	s_cbranch_execz .LBB177_475
; %bb.437:                              ;   in Loop: Header=BB177_31 Depth=1
	ds_load_b64 v[4:5], v13 offset:5120
	s_waitcnt lgkmcnt(0)
	s_barrier
	buffer_gl0_inv
	v_readfirstlane_b32 s8, v4
	v_readfirstlane_b32 s9, v5
	s_and_saveexec_b32 s7, s6
	s_cbranch_execz .LBB177_439
; %bb.438:                              ;   in Loop: Header=BB177_31 Depth=1
	ds_store_b16 v44, v13
.LBB177_439:                            ;   in Loop: Header=BB177_31 Depth=1
	s_or_b32 exec_lo, exec_lo, s7
	v_and_b32_e32 v48, s21, v48
	v_or_b32_e32 v47, s20, v47
	s_cmp_eq_u64 s[8:9], 0
	s_waitcnt lgkmcnt(0)
	s_barrier
	buffer_gl0_inv
	s_cbranch_scc1 .LBB177_444
; %bb.440:                              ;   in Loop: Header=BB177_31 Depth=1
	s_add_u32 s26, s85, s8
	s_addc_u32 s13, s86, s9
	s_mov_b32 s12, s61
	s_delay_alu instid0(SALU_CYCLE_1)
	s_cmp_lg_u64 s[12:13], 0
	s_cbranch_scc0 .LBB177_445
; %bb.441:                              ;   in Loop: Header=BB177_31 Depth=1
	v_cvt_f32_u32_e32 v4, s33
	s_sub_u32 s47, 0, s33
	s_subb_u32 s59, 0, 0
	s_delay_alu instid0(VALU_DEP_1) | instskip(NEXT) | instid1(VALU_DEP_1)
	v_fmac_f32_e64 v4, 0, 0x4f800000
	v_rcp_f32_e32 v4, v4
	s_waitcnt_depctr 0xfff
	v_mul_f32_e32 v4, 0x5f7ffffc, v4
	s_delay_alu instid0(VALU_DEP_1) | instskip(NEXT) | instid1(VALU_DEP_1)
	v_mul_f32_e32 v5, 0x2f800000, v4
	v_trunc_f32_e32 v5, v5
	s_delay_alu instid0(VALU_DEP_1) | instskip(SKIP_1) | instid1(VALU_DEP_2)
	v_fmac_f32_e32 v4, 0xcf800000, v5
	v_cvt_u32_f32_e32 v5, v5
	v_cvt_u32_f32_e32 v4, v4
	s_delay_alu instid0(VALU_DEP_2) | instskip(NEXT) | instid1(VALU_DEP_2)
	v_readfirstlane_b32 s7, v5
	v_readfirstlane_b32 s12, v4
	s_delay_alu instid0(VALU_DEP_2) | instskip(NEXT) | instid1(VALU_DEP_1)
	s_mul_i32 s75, s47, s7
	s_mul_hi_u32 s77, s47, s12
	s_mul_i32 s76, s59, s12
	s_add_i32 s75, s77, s75
	s_mul_i32 s78, s47, s12
	s_add_i32 s75, s75, s76
	s_mul_hi_u32 s77, s12, s78
	s_mul_hi_u32 s79, s7, s78
	s_mul_i32 s76, s7, s78
	s_mul_hi_u32 s78, s12, s75
	s_mul_i32 s12, s12, s75
	s_mul_hi_u32 vcc_lo, s7, s75
	s_add_u32 s12, s77, s12
	s_addc_u32 s77, 0, s78
	s_add_u32 s12, s12, s76
	s_mul_i32 s75, s7, s75
	s_addc_u32 s12, s77, s79
	s_addc_u32 s76, vcc_lo, 0
	s_add_u32 s12, s12, s75
	s_addc_u32 s75, 0, s76
	v_add_co_u32 v4, s12, v4, s12
	s_delay_alu instid0(VALU_DEP_1) | instskip(SKIP_1) | instid1(VALU_DEP_1)
	s_cmp_lg_u32 s12, 0
	s_addc_u32 s7, s7, s75
	v_readfirstlane_b32 s12, v4
	s_mul_i32 s75, s47, s7
	s_delay_alu instid0(VALU_DEP_1)
	s_mul_hi_u32 s76, s47, s12
	s_mul_i32 s59, s59, s12
	s_add_i32 s75, s76, s75
	s_mul_i32 s47, s47, s12
	s_add_i32 s75, s75, s59
	s_mul_hi_u32 s76, s7, s47
	s_mul_i32 s77, s7, s47
	s_mul_hi_u32 s47, s12, s47
	s_mul_hi_u32 s78, s12, s75
	s_mul_i32 s12, s12, s75
	s_mul_hi_u32 s59, s7, s75
	s_add_u32 s12, s47, s12
	s_addc_u32 s47, 0, s78
	s_add_u32 s12, s12, s77
	s_mul_i32 s75, s7, s75
	s_addc_u32 s12, s47, s76
	s_addc_u32 s47, s59, 0
	s_add_u32 s12, s12, s75
	s_addc_u32 s47, 0, s47
	v_add_co_u32 v4, s12, v4, s12
	s_delay_alu instid0(VALU_DEP_1) | instskip(SKIP_1) | instid1(VALU_DEP_1)
	s_cmp_lg_u32 s12, 0
	s_addc_u32 s7, s7, s47
	v_readfirstlane_b32 s12, v4
	s_mul_i32 s59, s26, s7
	s_mul_hi_u32 s47, s26, s7
	s_mul_hi_u32 s75, s13, s7
	s_mul_i32 s7, s13, s7
	s_mul_hi_u32 s76, s26, s12
	s_mul_hi_u32 s77, s13, s12
	s_mul_i32 s12, s13, s12
	s_add_u32 s59, s76, s59
	s_addc_u32 s47, 0, s47
	s_add_u32 s12, s59, s12
	s_addc_u32 s12, s47, s77
	s_addc_u32 s47, s75, 0
	s_add_u32 s7, s12, s7
	s_addc_u32 s12, 0, s47
	s_mul_hi_u32 s47, s33, s7
	s_mul_i32 s7, s33, s7
	s_mul_i32 s12, s33, s12
	v_sub_co_u32 v4, s7, s26, s7
	s_add_i32 s47, s47, s12
	s_cmp_lg_u32 s7, 0
	s_delay_alu instid0(VALU_DEP_1) | instskip(SKIP_3) | instid1(VALU_DEP_2)
	v_sub_co_u32 v5, s7, v4, s33
	s_subb_u32 s12, s13, s47
	s_cmp_lg_u32 s7, 0
	v_cmp_le_u32_e32 vcc_lo, s33, v4
	v_cmp_le_u32_e64 s7, s33, v5
	v_sub_co_u32 v6, s47, v5, s33
	s_subb_u32 s59, s12, 0
	s_cmp_lg_u32 s47, 0
	s_delay_alu instid0(VALU_DEP_2)
	v_cndmask_b32_e64 v7, 0, -1, s7
	s_subb_u32 s47, s59, 0
	s_cmp_eq_u32 s59, 0
	v_mov_b32_e32 v9, s47
	v_cndmask_b32_e64 v8, 0, -1, vcc_lo
	s_cselect_b32 vcc_lo, -1, 0
	s_cmp_eq_u32 s12, 0
	v_cndmask_b32_e32 v7, -1, v7, vcc_lo
	s_cselect_b32 vcc_lo, -1, 0
	v_cndmask_b32_e32 v8, -1, v8, vcc_lo
	s_delay_alu instid0(VALU_DEP_2) | instskip(NEXT) | instid1(VALU_DEP_2)
	v_cmp_ne_u32_e32 vcc_lo, 0, v7
	v_cmp_ne_u32_e64 s7, 0, v8
	v_cndmask_b32_e32 v7, s59, v9, vcc_lo
	v_cndmask_b32_e32 v6, v5, v6, vcc_lo
	s_delay_alu instid0(VALU_DEP_2) | instskip(NEXT) | instid1(VALU_DEP_2)
	v_cndmask_b32_e64 v5, s12, v7, s7
	v_cndmask_b32_e64 v4, v4, v6, s7
	s_mov_b32 s7, 0
	s_branch .LBB177_446
.LBB177_442:                            ;   in Loop: Header=BB177_31 Depth=1
                                        ; implicit-def: $vgpr2_vgpr3
	s_branch .LBB177_396
.LBB177_443:                            ;   in Loop: Header=BB177_31 Depth=1
                                        ; implicit-def: $vgpr2_vgpr3
	s_branch .LBB177_412
.LBB177_444:                            ;   in Loop: Header=BB177_31 Depth=1
	s_mov_b32 s7, -1
	s_mov_b32 s12, 0
                                        ; implicit-def: $sgpr8
                                        ; implicit-def: $vgpr49
	s_branch .LBB177_458
.LBB177_445:                            ;   in Loop: Header=BB177_31 Depth=1
	s_mov_b32 s7, -1
                                        ; implicit-def: $vgpr4_vgpr5
.LBB177_446:                            ;   in Loop: Header=BB177_31 Depth=1
	s_delay_alu instid0(SALU_CYCLE_1)
	s_and_not1_b32 vcc_lo, exec_lo, s7
	s_cbranch_vccnz .LBB177_448
; %bb.447:                              ;   in Loop: Header=BB177_31 Depth=1
	v_cvt_f32_u32_e32 v4, s33
	s_sub_i32 s7, 0, s33
	s_delay_alu instid0(VALU_DEP_1) | instskip(SKIP_2) | instid1(VALU_DEP_1)
	v_rcp_iflag_f32_e32 v4, v4
	s_waitcnt_depctr 0xfff
	v_mul_f32_e32 v4, 0x4f7ffffe, v4
	v_cvt_u32_f32_e32 v4, v4
	s_delay_alu instid0(VALU_DEP_1) | instskip(NEXT) | instid1(VALU_DEP_1)
	v_mul_lo_u32 v5, s7, v4
	v_mul_hi_u32 v5, v4, v5
	s_delay_alu instid0(VALU_DEP_1) | instskip(NEXT) | instid1(VALU_DEP_1)
	v_add_nc_u32_e32 v4, v4, v5
	v_mul_hi_u32 v4, s26, v4
	s_delay_alu instid0(VALU_DEP_1) | instskip(NEXT) | instid1(VALU_DEP_1)
	v_mul_lo_u32 v4, v4, s33
	v_sub_nc_u32_e32 v4, s26, v4
	s_delay_alu instid0(VALU_DEP_1) | instskip(SKIP_1) | instid1(VALU_DEP_2)
	v_subrev_nc_u32_e32 v5, s33, v4
	v_cmp_le_u32_e32 vcc_lo, s33, v4
	v_cndmask_b32_e32 v4, v4, v5, vcc_lo
	s_delay_alu instid0(VALU_DEP_1) | instskip(SKIP_1) | instid1(VALU_DEP_2)
	v_subrev_nc_u32_e32 v5, s33, v4
	v_cmp_le_u32_e32 vcc_lo, s33, v4
	v_cndmask_b32_e32 v12, v4, v5, vcc_lo
	s_delay_alu instid0(VALU_DEP_1)
	v_dual_mov_b32 v4, v12 :: v_dual_mov_b32 v5, v13
.LBB177_448:                            ;   in Loop: Header=BB177_31 Depth=1
	s_delay_alu instid0(VALU_DEP_1) | instskip(NEXT) | instid1(VALU_DEP_2)
	v_sub_co_u32 v4, vcc_lo, s26, v4
	v_sub_co_ci_u32_e32 v5, vcc_lo, s13, v5, vcc_lo
	s_mov_b32 s12, 0
	s_mov_b32 s13, exec_lo
                                        ; implicit-def: $vgpr49
	s_delay_alu instid0(VALU_DEP_1)
	v_cmpx_gt_u64_e64 v[4:5], v[0:1]
	s_cbranch_execz .LBB177_457
; %bb.449:                              ;   in Loop: Header=BB177_31 Depth=1
	v_dual_mov_b32 v8, v43 :: v_dual_mov_b32 v7, v1
	v_mov_b32_e32 v6, v0
                                        ; implicit-def: $sgpr26
	s_set_inst_prefetch_distance 0x1
	s_branch .LBB177_451
	.p2align	6
.LBB177_450:                            ;   in Loop: Header=BB177_451 Depth=2
	s_or_b32 exec_lo, exec_lo, s7
	s_waitcnt lgkmcnt(0)
	s_barrier
	buffer_gl0_inv
	ds_load_b32 v9, v13 offset:3072
	v_add_co_u32 v6, vcc_lo, v6, s33
	v_add_co_ci_u32_e32 v7, vcc_lo, 0, v7, vcc_lo
	v_add_nc_u32_e32 v8, s93, v8
	s_waitcnt lgkmcnt(0)
	s_barrier
	s_delay_alu instid0(VALU_DEP_2) | instskip(SKIP_2) | instid1(VALU_DEP_1)
	v_cmp_ge_u64_e32 vcc_lo, v[6:7], v[4:5]
	buffer_gl0_inv
	v_cmp_ne_u16_e64 s7, 0, v9
	s_or_b32 s47, vcc_lo, s7
	s_delay_alu instid0(SALU_CYCLE_1) | instskip(NEXT) | instid1(SALU_CYCLE_1)
	s_and_b32 s47, exec_lo, s47
	s_or_b32 s12, s47, s12
	s_and_not1_b32 s26, s26, exec_lo
	s_and_b32 s7, s7, exec_lo
	s_delay_alu instid0(SALU_CYCLE_1)
	s_or_b32 s26, s26, s7
	s_and_not1_b32 exec_lo, exec_lo, s12
	s_cbranch_execz .LBB177_456
.LBB177_451:                            ;   Parent Loop BB177_31 Depth=1
                                        ; =>  This Inner Loop Header: Depth=2
	s_delay_alu instid0(VALU_DEP_1)
	v_cmp_gt_u64_e32 vcc_lo, s[8:9], v[6:7]
	v_mov_b32_e32 v9, 0
	s_and_saveexec_b32 s7, vcc_lo
	s_cbranch_execz .LBB177_453
; %bb.452:                              ;   in Loop: Header=BB177_451 Depth=2
	ds_load_u16 v9, v8
.LBB177_453:                            ;   in Loop: Header=BB177_451 Depth=2
	s_or_b32 exec_lo, exec_lo, s7
	s_and_saveexec_b32 s7, vcc_lo
	s_cbranch_execz .LBB177_450
; %bb.454:                              ;   in Loop: Header=BB177_451 Depth=2
	s_waitcnt lgkmcnt(0)
	v_bfe_i32 v12, v9, 0, 16
	s_delay_alu instid0(VALU_DEP_1) | instskip(NEXT) | instid1(VALU_DEP_1)
	v_add_nc_u32_e32 v12, 0x8000, v12
	v_and_b32_e32 v12, v12, v47
	s_delay_alu instid0(VALU_DEP_1)
	v_cmp_eq_u32_e32 vcc_lo, v12, v48
	s_and_b32 exec_lo, exec_lo, vcc_lo
	s_cbranch_execz .LBB177_450
; %bb.455:                              ;   in Loop: Header=BB177_451 Depth=2
	v_perm_b32 v9, v9, 1, 0x5040100
	ds_store_b32 v13, v9 offset:3072
	s_branch .LBB177_450
.LBB177_456:                            ;   in Loop: Header=BB177_31 Depth=1
	s_set_inst_prefetch_distance 0x2
	s_or_b32 exec_lo, exec_lo, s12
	v_lshrrev_b32_e32 v49, 16, v9
	s_and_b32 s12, s26, exec_lo
.LBB177_457:                            ;   in Loop: Header=BB177_31 Depth=1
	s_or_b32 exec_lo, exec_lo, s13
	s_mov_b32 s7, 0
	s_mov_b32 s8, -1
.LBB177_458:                            ;   in Loop: Header=BB177_31 Depth=1
	s_and_b32 vcc_lo, exec_lo, s7
	s_mov_b32 s9, s7
	s_cbranch_vccz .LBB177_474
; %bb.459:                              ;   in Loop: Header=BB177_31 Depth=1
	s_mov_b32 s26, s61
	s_delay_alu instid0(SALU_CYCLE_1)
	s_cmp_lg_u64 s[26:27], 0
	s_cbranch_scc0 .LBB177_461
; %bb.460:                              ;   in Loop: Header=BB177_31 Depth=1
	v_cvt_f32_u32_e32 v4, s33
	s_sub_u32 s9, 0, s33
	s_subb_u32 s12, 0, 0
	s_delay_alu instid0(VALU_DEP_1) | instskip(NEXT) | instid1(VALU_DEP_1)
	v_fmac_f32_e64 v4, 0, 0x4f800000
	v_rcp_f32_e32 v4, v4
	s_waitcnt_depctr 0xfff
	v_mul_f32_e32 v4, 0x5f7ffffc, v4
	s_delay_alu instid0(VALU_DEP_1) | instskip(NEXT) | instid1(VALU_DEP_1)
	v_mul_f32_e32 v5, 0x2f800000, v4
	v_trunc_f32_e32 v5, v5
	s_delay_alu instid0(VALU_DEP_1) | instskip(SKIP_1) | instid1(VALU_DEP_2)
	v_fmac_f32_e32 v4, 0xcf800000, v5
	v_cvt_u32_f32_e32 v5, v5
	v_cvt_u32_f32_e32 v4, v4
	s_delay_alu instid0(VALU_DEP_2) | instskip(NEXT) | instid1(VALU_DEP_2)
	v_readfirstlane_b32 s7, v5
	v_readfirstlane_b32 s8, v4
	s_delay_alu instid0(VALU_DEP_2) | instskip(NEXT) | instid1(VALU_DEP_1)
	s_mul_i32 s13, s9, s7
	s_mul_hi_u32 s47, s9, s8
	s_mul_i32 s26, s12, s8
	s_add_i32 s13, s47, s13
	s_mul_i32 s59, s9, s8
	s_add_i32 s13, s13, s26
	s_mul_hi_u32 s47, s8, s59
	s_mul_hi_u32 s75, s7, s59
	s_mul_i32 s26, s7, s59
	s_mul_hi_u32 s59, s8, s13
	s_mul_i32 s8, s8, s13
	s_mul_hi_u32 s76, s7, s13
	s_add_u32 s8, s47, s8
	s_addc_u32 s47, 0, s59
	s_add_u32 s8, s8, s26
	s_mul_i32 s13, s7, s13
	s_addc_u32 s8, s47, s75
	s_addc_u32 s26, s76, 0
	s_add_u32 s8, s8, s13
	s_addc_u32 s13, 0, s26
	v_add_co_u32 v4, s8, v4, s8
	s_delay_alu instid0(VALU_DEP_1) | instskip(SKIP_1) | instid1(VALU_DEP_1)
	s_cmp_lg_u32 s8, 0
	s_addc_u32 s7, s7, s13
	v_readfirstlane_b32 s8, v4
	s_mul_i32 s13, s9, s7
	s_delay_alu instid0(VALU_DEP_1)
	s_mul_hi_u32 s26, s9, s8
	s_mul_i32 s12, s12, s8
	s_add_i32 s13, s26, s13
	s_mul_i32 s9, s9, s8
	s_add_i32 s13, s13, s12
	s_mul_hi_u32 s26, s7, s9
	s_mul_i32 s47, s7, s9
	s_mul_hi_u32 s9, s8, s9
	s_mul_hi_u32 s59, s8, s13
	s_mul_i32 s8, s8, s13
	s_mul_hi_u32 s12, s7, s13
	s_add_u32 s8, s9, s8
	s_addc_u32 s9, 0, s59
	s_add_u32 s8, s8, s47
	s_mul_i32 s13, s7, s13
	s_addc_u32 s8, s9, s26
	s_addc_u32 s9, s12, 0
	s_add_u32 s8, s8, s13
	s_addc_u32 s9, 0, s9
	v_add_co_u32 v4, s8, v4, s8
	s_delay_alu instid0(VALU_DEP_1) | instskip(SKIP_1) | instid1(VALU_DEP_1)
	s_cmp_lg_u32 s8, 0
	s_addc_u32 s7, s7, s9
	v_readfirstlane_b32 s8, v4
	s_mul_i32 s12, s87, s7
	s_mul_hi_u32 s9, s87, s7
	s_mul_hi_u32 s13, s27, s7
	s_mul_i32 s7, s27, s7
	s_mul_hi_u32 s26, s87, s8
	s_mul_hi_u32 s47, s27, s8
	s_mul_i32 s8, s27, s8
	s_add_u32 s12, s26, s12
	s_addc_u32 s9, 0, s9
	s_add_u32 s8, s12, s8
	s_addc_u32 s8, s9, s47
	s_addc_u32 s9, s13, 0
	s_add_u32 s7, s8, s7
	s_addc_u32 s8, 0, s9
	s_mul_hi_u32 s9, s33, s7
	s_mul_i32 s7, s33, s7
	s_mul_i32 s8, s33, s8
	v_sub_co_u32 v4, s7, s87, s7
	s_add_i32 s9, s9, s8
	s_cmp_lg_u32 s7, 0
	s_delay_alu instid0(VALU_DEP_1) | instskip(SKIP_3) | instid1(VALU_DEP_2)
	v_sub_co_u32 v5, s7, v4, s33
	s_subb_u32 s8, s27, s9
	s_cmp_lg_u32 s7, 0
	v_cmp_le_u32_e32 vcc_lo, s33, v4
	v_cmp_le_u32_e64 s7, s33, v5
	v_sub_co_u32 v6, s9, v5, s33
	s_subb_u32 s12, s8, 0
	s_cmp_lg_u32 s9, 0
	s_delay_alu instid0(VALU_DEP_2)
	v_cndmask_b32_e64 v7, 0, -1, s7
	s_subb_u32 s9, s12, 0
	s_cmp_eq_u32 s12, 0
	v_mov_b32_e32 v9, s9
	v_cndmask_b32_e64 v8, 0, -1, vcc_lo
	s_cselect_b32 vcc_lo, -1, 0
	s_cmp_eq_u32 s8, 0
	v_cndmask_b32_e32 v7, -1, v7, vcc_lo
	s_cselect_b32 vcc_lo, -1, 0
	v_cndmask_b32_e32 v8, -1, v8, vcc_lo
	s_delay_alu instid0(VALU_DEP_2) | instskip(NEXT) | instid1(VALU_DEP_2)
	v_cmp_ne_u32_e32 vcc_lo, 0, v7
	v_cmp_ne_u32_e64 s7, 0, v8
	v_cndmask_b32_e32 v7, s12, v9, vcc_lo
	v_cndmask_b32_e32 v6, v5, v6, vcc_lo
	s_delay_alu instid0(VALU_DEP_2) | instskip(NEXT) | instid1(VALU_DEP_2)
	v_cndmask_b32_e64 v5, s8, v7, s7
	v_cndmask_b32_e64 v4, v4, v6, s7
	s_mov_b32 s7, 0
	s_branch .LBB177_462
.LBB177_461:                            ;   in Loop: Header=BB177_31 Depth=1
	s_mov_b32 s7, -1
                                        ; implicit-def: $vgpr4_vgpr5
.LBB177_462:                            ;   in Loop: Header=BB177_31 Depth=1
	s_delay_alu instid0(SALU_CYCLE_1)
	s_and_not1_b32 vcc_lo, exec_lo, s7
	s_cbranch_vccnz .LBB177_464
; %bb.463:                              ;   in Loop: Header=BB177_31 Depth=1
	v_cvt_f32_u32_e32 v4, s33
	s_sub_i32 s7, 0, s33
	s_delay_alu instid0(VALU_DEP_1) | instskip(SKIP_2) | instid1(VALU_DEP_1)
	v_rcp_iflag_f32_e32 v4, v4
	s_waitcnt_depctr 0xfff
	v_mul_f32_e32 v4, 0x4f7ffffe, v4
	v_cvt_u32_f32_e32 v4, v4
	s_delay_alu instid0(VALU_DEP_1) | instskip(NEXT) | instid1(VALU_DEP_1)
	v_mul_lo_u32 v5, s7, v4
	v_mul_hi_u32 v5, v4, v5
	s_delay_alu instid0(VALU_DEP_1) | instskip(NEXT) | instid1(VALU_DEP_1)
	v_add_nc_u32_e32 v4, v4, v5
	v_mul_hi_u32 v4, s87, v4
	s_delay_alu instid0(VALU_DEP_1) | instskip(NEXT) | instid1(VALU_DEP_1)
	v_mul_lo_u32 v4, v4, s33
	v_sub_nc_u32_e32 v4, s87, v4
	s_delay_alu instid0(VALU_DEP_1) | instskip(SKIP_1) | instid1(VALU_DEP_2)
	v_subrev_nc_u32_e32 v5, s33, v4
	v_cmp_le_u32_e32 vcc_lo, s33, v4
	v_cndmask_b32_e32 v4, v4, v5, vcc_lo
	s_delay_alu instid0(VALU_DEP_1) | instskip(SKIP_1) | instid1(VALU_DEP_2)
	v_subrev_nc_u32_e32 v5, s33, v4
	v_cmp_le_u32_e32 vcc_lo, s33, v4
	v_cndmask_b32_e32 v12, v4, v5, vcc_lo
	s_delay_alu instid0(VALU_DEP_1)
	v_dual_mov_b32 v4, v12 :: v_dual_mov_b32 v5, v13
.LBB177_464:                            ;   in Loop: Header=BB177_31 Depth=1
	s_delay_alu instid0(VALU_DEP_1) | instskip(NEXT) | instid1(VALU_DEP_2)
	v_sub_co_u32 v4, vcc_lo, s87, v4
	v_sub_co_ci_u32_e32 v5, vcc_lo, s27, v5, vcc_lo
	s_mov_b32 s12, 0
	s_mov_b32 s8, exec_lo
                                        ; implicit-def: $vgpr49
	s_delay_alu instid0(VALU_DEP_1)
	v_cmpx_gt_u64_e64 v[4:5], v[0:1]
	s_cbranch_execz .LBB177_473
; %bb.465:                              ;   in Loop: Header=BB177_31 Depth=1
	v_dual_mov_b32 v6, v24 :: v_dual_mov_b32 v7, v25
	v_dual_mov_b32 v9, v1 :: v_dual_mov_b32 v8, v0
	s_mov_b32 s9, 0
                                        ; implicit-def: $sgpr12
	s_set_inst_prefetch_distance 0x1
	s_branch .LBB177_467
	.p2align	6
.LBB177_466:                            ;   in Loop: Header=BB177_467 Depth=2
	s_or_b32 exec_lo, exec_lo, s7
	s_waitcnt vmcnt(0) lgkmcnt(0)
	s_barrier
	buffer_gl0_inv
	ds_load_b32 v12, v13 offset:3072
	v_add_co_u32 v8, vcc_lo, v8, s33
	v_add_co_ci_u32_e32 v9, vcc_lo, 0, v9, vcc_lo
	s_waitcnt lgkmcnt(0)
	s_barrier
	buffer_gl0_inv
	v_cmp_ge_u64_e32 vcc_lo, v[8:9], v[4:5]
	v_cmp_ne_u16_e64 s7, 0, v12
	s_delay_alu instid0(VALU_DEP_1)
	s_or_b32 s13, vcc_lo, s7
	v_add_co_u32 v6, vcc_lo, v6, s34
	s_and_b32 s13, exec_lo, s13
	v_add_co_ci_u32_e32 v7, vcc_lo, s35, v7, vcc_lo
	s_or_b32 s9, s13, s9
	s_and_not1_b32 s12, s12, exec_lo
	s_and_b32 s7, s7, exec_lo
	s_delay_alu instid0(SALU_CYCLE_1)
	s_or_b32 s12, s12, s7
	s_and_not1_b32 exec_lo, exec_lo, s9
	s_cbranch_execz .LBB177_472
.LBB177_467:                            ;   Parent Loop BB177_31 Depth=1
                                        ; =>  This Inner Loop Header: Depth=2
	s_delay_alu instid0(VALU_DEP_1)
	v_cmp_gt_u64_e32 vcc_lo, s[36:37], v[8:9]
	v_mov_b32_e32 v12, 0
	s_and_saveexec_b32 s7, vcc_lo
	s_cbranch_execz .LBB177_469
; %bb.468:                              ;   in Loop: Header=BB177_467 Depth=2
	global_load_u16 v12, v[6:7], off
.LBB177_469:                            ;   in Loop: Header=BB177_467 Depth=2
	s_or_b32 exec_lo, exec_lo, s7
	s_and_saveexec_b32 s7, vcc_lo
	s_cbranch_execz .LBB177_466
; %bb.470:                              ;   in Loop: Header=BB177_467 Depth=2
	s_waitcnt vmcnt(0)
	v_bfe_i32 v26, v12, 0, 16
	s_delay_alu instid0(VALU_DEP_1) | instskip(NEXT) | instid1(VALU_DEP_1)
	v_add_nc_u32_e32 v26, 0x8000, v26
	v_and_b32_e32 v26, v26, v47
	s_delay_alu instid0(VALU_DEP_1)
	v_cmp_eq_u32_e32 vcc_lo, v26, v48
	s_and_b32 exec_lo, exec_lo, vcc_lo
	s_cbranch_execz .LBB177_466
; %bb.471:                              ;   in Loop: Header=BB177_467 Depth=2
	v_perm_b32 v12, v12, 1, 0x5040100
	ds_store_b32 v13, v12 offset:3072
	s_branch .LBB177_466
.LBB177_472:                            ;   in Loop: Header=BB177_31 Depth=1
	s_set_inst_prefetch_distance 0x2
	s_or_b32 exec_lo, exec_lo, s9
	v_lshrrev_b32_e32 v49, 16, v12
	s_and_b32 s12, s12, exec_lo
.LBB177_473:                            ;   in Loop: Header=BB177_31 Depth=1
	s_or_b32 exec_lo, exec_lo, s8
	s_mov_b32 s8, 0
	s_mov_b32 s7, -1
	s_mov_b32 s9, 0
.LBB177_474:                            ;   in Loop: Header=BB177_31 Depth=1
	s_or_not1_b32 s13, s12, exec_lo
.LBB177_475:                            ;   in Loop: Header=BB177_31 Depth=1
	s_or_b32 exec_lo, exec_lo, s46
	s_mov_b32 s26, 0
                                        ; implicit-def: $vgpr6
                                        ; implicit-def: $vgpr4_vgpr5
	s_and_saveexec_b32 s12, s13
	s_cbranch_execz .LBB177_487
; %bb.476:                              ;   in Loop: Header=BB177_31 Depth=1
	v_mov_b32_e32 v4, 1
	v_dual_mov_b32 v5, 0 :: v_dual_mov_b32 v6, 1
	s_xor_b32 s26, s58, -1
	s_delay_alu instid0(SALU_CYCLE_1)
	s_and_saveexec_b32 s13, s26
	s_cbranch_execz .LBB177_486
; %bb.477:                              ;   in Loop: Header=BB177_31 Depth=1
	s_mov_b32 s26, exec_lo
                                        ; implicit-def: $sgpr46
	v_cmpx_ge_u64_e64 s[10:11], v[2:3]
	s_xor_b32 s26, exec_lo, s26
	s_cbranch_execz .LBB177_483
; %bb.478:                              ;   in Loop: Header=BB177_31 Depth=1
	ds_load_b64 v[4:5], v13 offset:5120
	s_waitcnt lgkmcnt(0)
	v_cmp_ne_u64_e32 vcc_lo, 0, v[4:5]
	s_cbranch_vccnz .LBB177_482
; %bb.479:                              ;   in Loop: Header=BB177_31 Depth=1
	s_and_saveexec_b32 s46, s5
	s_cbranch_execz .LBB177_481
; %bb.480:                              ;   in Loop: Header=BB177_31 Depth=1
	v_dual_mov_b32 v4, s10 :: v_dual_mov_b32 v5, s11
	ds_store_b64 v13, v[4:5] offset:5128
.LBB177_481:                            ;   in Loop: Header=BB177_31 Depth=1
	s_or_b32 exec_lo, exec_lo, s46
	s_waitcnt lgkmcnt(0)
	s_barrier
	buffer_gl0_inv
.LBB177_482:                            ;   in Loop: Header=BB177_31 Depth=1
	v_and_b32_e32 v48, s21, v48
	v_or_b32_e32 v47, s20, v47
	s_mov_b32 s46, 5
.LBB177_483:                            ;   in Loop: Header=BB177_31 Depth=1
	s_or_saveexec_b32 s20, s26
	v_mov_b32_e32 v6, s46
	s_xor_b32 exec_lo, exec_lo, s20
; %bb.484:                              ;   in Loop: Header=BB177_31 Depth=1
	v_sub_co_u32 v2, vcc_lo, v2, s10
	v_subrev_co_ci_u32_e32 v3, vcc_lo, s11, v3, vcc_lo
	v_mov_b32_e32 v6, 5
; %bb.485:                              ;   in Loop: Header=BB177_31 Depth=1
	s_or_b32 exec_lo, exec_lo, s20
	s_delay_alu instid0(VALU_DEP_2)
	v_dual_mov_b32 v5, v3 :: v_dual_mov_b32 v4, v2
.LBB177_486:                            ;   in Loop: Header=BB177_31 Depth=1
	s_or_b32 exec_lo, exec_lo, s13
	s_delay_alu instid0(SALU_CYCLE_1)
	s_mov_b32 s26, exec_lo
.LBB177_487:                            ;   in Loop: Header=BB177_31 Depth=1
	s_or_b32 exec_lo, exec_lo, s12
	s_delay_alu instid0(VALU_DEP_1)
	v_dual_mov_b32 v2, v4 :: v_dual_mov_b32 v3, v5
	s_or_not1_b32 s12, s26, exec_lo
.LBB177_488:                            ;   in Loop: Header=BB177_31 Depth=1
	s_or_b32 exec_lo, exec_lo, s22
	s_delay_alu instid0(SALU_CYCLE_1)
	s_and_not1_b32 s10, s14, exec_lo
	s_and_b32 s7, s7, exec_lo
	s_and_b32 s8, s8, exec_lo
	s_or_b32 s14, s10, s7
	s_and_not1_b32 s7, s15, exec_lo
	s_and_not1_b32 s10, s73, exec_lo
	s_and_b32 s9, s9, exec_lo
	v_dual_mov_b32 v5, v3 :: v_dual_mov_b32 v4, v2
	s_or_b32 s15, s7, s8
	s_or_b32 s73, s10, s9
	s_and_b32 s26, s12, exec_lo
.LBB177_489:                            ;   in Loop: Header=BB177_31 Depth=1
	s_or_b32 exec_lo, exec_lo, s74
	s_delay_alu instid0(SALU_CYCLE_1)
	s_and_b32 s14, s14, exec_lo
	s_and_b32 s9, s15, exec_lo
	s_and_b32 s8, s73, exec_lo
	s_or_not1_b32 s7, s26, exec_lo
.LBB177_490:                            ;   in Loop: Header=BB177_31 Depth=1
	s_or_b32 exec_lo, exec_lo, s72
	s_delay_alu instid0(SALU_CYCLE_1)
	s_and_not1_b32 s10, s16, exec_lo
	s_and_b32 s11, s14, exec_lo
	s_and_b32 s9, s9, exec_lo
	s_or_b32 s16, s10, s11
	s_and_not1_b32 s10, s17, exec_lo
	s_and_not1_b32 s11, s70, exec_lo
	s_and_b32 s8, s8, exec_lo
	v_dual_mov_b32 v2, v4 :: v_dual_mov_b32 v3, v5
	s_or_b32 s17, s10, s9
	s_or_b32 s70, s11, s8
	s_and_b32 s26, s7, exec_lo
.LBB177_491:                            ;   in Loop: Header=BB177_31 Depth=1
	s_or_b32 exec_lo, exec_lo, s71
	s_delay_alu instid0(SALU_CYCLE_1)
	s_and_b32 s16, s16, exec_lo
	s_and_b32 s9, s17, exec_lo
	;; [unrolled: 1-line block ×3, first 2 shown]
	s_or_not1_b32 s17, s26, exec_lo
.LBB177_492:                            ;   in Loop: Header=BB177_31 Depth=1
	s_or_b32 exec_lo, exec_lo, s60
	s_mov_b32 s7, s25
	s_mov_b32 s10, s24
	s_and_saveexec_b32 s11, s17
; %bb.493:                              ;   in Loop: Header=BB177_31 Depth=1
	v_cmp_eq_u32_e32 vcc_lo, 5, v6
	v_cmp_ne_u32_e64 s7, 5, v6
	s_and_not1_b32 s10, s24, exec_lo
	s_and_not1_b32 s12, s25, exec_lo
	;; [unrolled: 1-line block ×3, first 2 shown]
	s_and_b32 s13, vcc_lo, exec_lo
	s_and_b32 s7, s7, exec_lo
	s_and_not1_b32 s9, s9, exec_lo
	s_and_not1_b32 s8, s8, exec_lo
	s_or_b32 s10, s10, s7
	s_or_b32 s7, s12, s13
; %bb.494:                              ;   in Loop: Header=BB177_31 Depth=1
	s_or_b32 exec_lo, exec_lo, s11
	s_delay_alu instid0(SALU_CYCLE_1)
	s_and_not1_b32 s3, s18, exec_lo
	s_and_b32 s11, s16, exec_lo
	s_and_b32 s9, s9, exec_lo
	s_or_b32 s18, s3, s11
	s_and_not1_b32 s3, s19, exec_lo
	s_and_not1_b32 s11, s23, exec_lo
	s_and_b32 s8, s8, exec_lo
	v_dual_mov_b32 v28, v48 :: v_dual_mov_b32 v29, v47
	v_mov_b32_e32 v30, v49
	s_or_b32 s19, s3, s9
	s_or_b32 s23, s11, s8
	s_and_not1_b32 s3, s24, exec_lo
	s_and_b32 s8, s10, exec_lo
	s_and_not1_b32 s9, s25, exec_lo
	s_and_b32 s7, s7, exec_lo
	s_or_b32 s24, s3, s8
	s_or_b32 s25, s9, s7
.LBB177_495:                            ;   in Loop: Header=BB177_31 Depth=1
	s_or_b32 exec_lo, exec_lo, s55
	s_mov_b32 s60, s23
	s_mov_b32 s55, s23
	s_and_saveexec_b32 s7, s25
.LBB177_496:                            ;   in Loop: Header=BB177_31 Depth=1
	v_mov_b32_e32 v6, 0
	s_and_not1_b32 s23, s23, exec_lo
	s_and_not1_b32 s18, s18, exec_lo
	s_and_not1_b32 s19, s19, exec_lo
	s_and_not1_b32 s60, s60, exec_lo
	s_and_not1_b32 s55, s55, exec_lo
	s_or_b32 s24, s24, exec_lo
.LBB177_497:                            ;   in Loop: Header=BB177_31 Depth=1
	s_or_b32 exec_lo, exec_lo, s7
	s_delay_alu instid0(SALU_CYCLE_1)
	s_and_not1_b32 s3, s54, exec_lo
	s_and_b32 s7, s23, exec_lo
	s_and_not1_b32 s9, s103, exec_lo
	s_or_b32 s54, s3, s7
	s_and_not1_b32 s3, vcc_hi, exec_lo
	s_and_b32 s7, s18, exec_lo
	s_and_b32 s10, s19, exec_lo
	s_or_b32 vcc_hi, s3, s7
	s_or_b32 s103, s9, s10
	s_and_not1_b32 s3, s104, exec_lo
	s_and_b32 s7, s60, exec_lo
	s_and_not1_b32 s9, s102, exec_lo
	s_and_b32 s10, s55, exec_lo
	s_mov_b32 s8, -1
	s_or_b32 s104, s3, s7
	s_or_b32 s102, s9, s10
                                        ; implicit-def: $vgpr47
                                        ; implicit-def: $vgpr48
                                        ; implicit-def: $vgpr26_vgpr27
                                        ; implicit-def: $vgpr49
	s_and_saveexec_b32 s3, s24
	s_delay_alu instid0(SALU_CYCLE_1)
	s_xor_b32 s7, exec_lo, s3
	s_cbranch_execz .LBB177_30
; %bb.498:                              ;   in Loop: Header=BB177_31 Depth=1
	s_mov_b32 s9, -1
	s_mov_b32 s10, exec_lo
	v_cmpx_eq_u32_e32 0, v6
	s_cbranch_execz .LBB177_29
; %bb.499:                              ;   in Loop: Header=BB177_31 Depth=1
	s_xor_b32 s96, s96, 1
	s_add_i32 s11, s100, -2
	s_cmp_eq_u32 s100, 0
	s_mov_b32 s100, s11
	s_cselect_b32 s8, -1, 0
	s_xor_b32 s9, exec_lo, -1
	s_or_not1_b32 s8, s8, exec_lo
	s_branch .LBB177_29
.LBB177_500:
	s_or_b32 exec_lo, exec_lo, s94
	s_xor_b32 s7, s101, -1
	s_xor_b32 s9, s98, -1
	;; [unrolled: 1-line block ×5, first 2 shown]
	s_mov_b32 s8, 0
	s_and_saveexec_b32 s11, s3
	s_delay_alu instid0(SALU_CYCLE_1)
	s_xor_b32 s12, exec_lo, s11
	s_cbranch_execz .LBB177_557
; %bb.501:
	s_and_saveexec_b32 s3, s10
	s_delay_alu instid0(SALU_CYCLE_1)
	s_xor_b32 s13, exec_lo, s3
	s_cbranch_execz .LBB177_555
; %bb.502:
	;; [unrolled: 5-line block ×4, first 2 shown]
	s_and_saveexec_b32 s3, s6
	s_delay_alu instid0(SALU_CYCLE_1)
	s_xor_b32 s6, exec_lo, s3
; %bb.505:
	v_xor_b32_e32 v30, 0xffff8000, v28
; %bb.506:
	s_or_b32 exec_lo, exec_lo, s6
	s_and_saveexec_b32 s6, s5
	s_load_b64 s[42:43], s[0:1], 0x0
	v_readlane_b32 s46, v50, 4
	s_cbranch_execz .LBB177_508
; %bb.507:
	v_mov_b32_e32 v2, 0
	s_delay_alu instid0(VALU_DEP_1)
	v_mov_b32_e32 v3, v2
	ds_store_b64 v2, v[2:3] offset:5136
.LBB177_508:
	s_or_b32 exec_lo, exec_lo, s6
	v_mov_b32_e32 v17, 0
	s_waitcnt lgkmcnt(0)
	s_barrier
	buffer_gl0_inv
	s_and_saveexec_b32 s5, s4
	s_cbranch_execz .LBB177_510
; %bb.509:
	global_load_u16 v17, v[10:11], off
.LBB177_510:
	s_or_b32 exec_lo, exec_lo, s5
	s_clause 0x1
	s_load_b64 s[18:19], s[0:1], 0x440
	s_load_b64 s[20:21], s[0:1], 0x1c8
	v_readlane_b32 s10, v50, 0
	v_readlane_b32 s11, v50, 1
	s_add_u32 s3, s36, 31
	s_addc_u32 s7, s37, 0
	v_add_nc_u32_e32 v16, s33, v0
	s_mul_i32 s5, s10, s41
	s_mul_hi_u32 s6, s10, s40
	s_mul_i32 s8, s11, s40
	s_add_i32 s5, s6, s5
	s_and_b32 s6, s3, 0xffffffe0
	s_add_i32 s9, s5, s8
	s_mul_i32 s8, s10, s40
	s_delay_alu instid0(SALU_CYCLE_1)
	s_lshl_b64 s[16:17], s[8:9], 1
	s_clause 0x1
	s_load_b64 s[8:9], s[0:1], 0x368
	s_load_b64 s[10:11], s[0:1], 0x510
	s_waitcnt lgkmcnt(0)
	s_mul_i32 s3, s18, s53
	s_mul_hi_u32 s5, s18, s52
	s_mul_i32 s18, s18, s52
	s_add_i32 s3, s5, s3
	s_mul_i32 s5, s19, s52
	s_delay_alu instid0(SALU_CYCLE_1)
	s_add_i32 s19, s3, s5
	s_add_u32 s3, s20, s16
	s_addc_u32 s0, s21, s17
	s_lshl_b64 s[16:17], s[28:29], 1
	s_mov_b32 s20, exec_lo
	s_add_u32 s1, s3, s16
	s_addc_u32 s5, s0, s17
	s_lshl_b64 s[16:17], s[18:19], 3
	v_readlane_b32 s18, v50, 2
	v_readlane_b32 s19, v50, 3
	s_delay_alu instid0(VALU_DEP_2) | instskip(NEXT) | instid1(VALU_DEP_1)
	s_add_u32 s0, s18, s16
	s_addc_u32 s3, s19, s17
	s_lshl_b64 s[16:17], s[44:45], 3
	s_mov_b32 s19, 0
	s_add_u32 s16, s0, s16
	s_addc_u32 s17, s3, s17
	s_mov_b32 s0, -1
	s_mov_b32 s18, 0
	v_cmpx_gt_u64_e64 s[6:7], v[0:1]
	s_cbranch_execz .LBB177_526
; %bb.511:
	v_mad_u64_u32 v[4:5], null, s30, v16, 0
	v_readlane_b32 s22, v50, 5
	v_readlane_b32 s23, v50, 6
	s_add_u32 s0, s42, s48
	s_addc_u32 s3, s43, s49
                                        ; implicit-def: $sgpr21
                                        ; implicit-def: $vgpr8_vgpr9
	v_mov_b32_e32 v13, v1
	s_add_u32 s0, s0, s22
	s_delay_alu instid0(VALU_DEP_4) | instskip(SKIP_2) | instid1(VALU_DEP_2)
	v_mov_b32_e32 v2, v5
	s_addc_u32 s3, s3, s23
	v_mov_b32_e32 v12, v0
	v_mad_u64_u32 v[5:6], null, s31, v16, v[2:3]
	v_mov_b32_e32 v3, 0
	v_bfe_i32 v2, v30, 0, 16
	s_delay_alu instid0(VALU_DEP_1) | instskip(NEXT) | instid1(VALU_DEP_4)
	v_add_nc_u32_e32 v18, 0x8000, v2
	v_lshlrev_b64 v[4:5], 1, v[4:5]
	s_delay_alu instid0(VALU_DEP_1) | instskip(NEXT) | instid1(VALU_DEP_2)
	v_add_co_u32 v4, vcc_lo, s0, v4
	v_add_co_ci_u32_e32 v5, vcc_lo, s3, v5, vcc_lo
	s_branch .LBB177_513
.LBB177_512:                            ;   in Loop: Header=BB177_513 Depth=1
	s_or_b32 exec_lo, exec_lo, s22
	s_xor_b32 s3, s24, -1
	s_and_b32 s0, exec_lo, s0
	v_mov_b32_e32 v13, v7
	v_dual_mov_b32 v17, v19 :: v_dual_mov_b32 v12, v6
	s_or_b32 s18, s0, s18
	s_and_not1_b32 s0, s21, exec_lo
	s_and_b32 s3, s3, exec_lo
	s_delay_alu instid0(SALU_CYCLE_1)
	s_or_b32 s21, s0, s3
	s_and_not1_b32 exec_lo, exec_lo, s18
	s_cbranch_execz .LBB177_525
.LBB177_513:                            ; =>This Inner Loop Header: Depth=1
	v_add_co_u32 v6, vcc_lo, v12, s33
	v_add_co_ci_u32_e32 v7, vcc_lo, 0, v13, vcc_lo
	v_mov_b32_e32 v19, 0
	s_mov_b32 s0, exec_lo
	s_delay_alu instid0(VALU_DEP_2)
	v_cmpx_gt_u64_e64 s[36:37], v[6:7]
	s_cbranch_execz .LBB177_515
; %bb.514:                              ;   in Loop: Header=BB177_513 Depth=1
	global_load_u16 v19, v[4:5], off
.LBB177_515:                            ;   in Loop: Header=BB177_513 Depth=1
	s_or_b32 exec_lo, exec_lo, s0
	s_waitcnt vmcnt(0)
	v_bfe_i32 v2, v17, 0, 16
	s_delay_alu instid0(VALU_DEP_1) | instskip(NEXT) | instid1(VALU_DEP_1)
	v_add_nc_u32_e32 v2, 0x8000, v2
	v_cmp_gt_u32_e32 vcc_lo, v2, v18
	v_cndmask_b32_e64 v14, 0, 1, vcc_lo
	v_cmp_lt_u32_e32 vcc_lo, v2, v18
	v_cndmask_b32_e64 v2, 0, 1, vcc_lo
	v_cmp_gt_u64_e32 vcc_lo, s[36:37], v[12:13]
	s_delay_alu instid0(VALU_DEP_2) | instskip(NEXT) | instid1(VALU_DEP_1)
	v_cndmask_b32_e64 v2, v2, v14, s46
	v_and_b32_e32 v2, 1, v2
	s_delay_alu instid0(VALU_DEP_1) | instskip(NEXT) | instid1(VALU_DEP_1)
	v_cmp_eq_u32_e64 s0, 1, v2
	s_and_b32 s23, vcc_lo, s0
	s_delay_alu instid0(SALU_CYCLE_1) | instskip(NEXT) | instid1(VALU_DEP_1)
	v_cndmask_b32_e64 v2, 0, 1, s23
	v_cmp_ne_u32_e32 vcc_lo, 0, v2
	s_cmp_lg_u32 vcc_lo, 0
	s_cselect_b32 s0, -1, 0
	s_delay_alu instid0(SALU_CYCLE_1) | instskip(NEXT) | instid1(SALU_CYCLE_1)
	s_and_b32 s0, s2, s0
	s_and_saveexec_b32 s22, s0
	s_cbranch_execz .LBB177_519
; %bb.516:                              ;   in Loop: Header=BB177_513 Depth=1
	s_mov_b32 s26, exec_lo
	s_bcnt1_i32_b32 s24, vcc_lo
	v_mbcnt_lo_u32_b32 v14, s26, 0
	s_mov_b32 s25, exec_lo
                                        ; implicit-def: $vgpr8_vgpr9
	s_delay_alu instid0(VALU_DEP_1)
	v_cmpx_eq_u32_e32 0, v14
	s_cbranch_execz .LBB177_518
; %bb.517:                              ;   in Loop: Header=BB177_513 Depth=1
	s_bcnt1_i32_b32 s0, s26
	s_delay_alu instid0(SALU_CYCLE_1) | instskip(NEXT) | instid1(SALU_CYCLE_1)
	s_mul_i32 s0, s24, s0
	v_mov_b32_e32 v2, s0
	s_waitcnt lgkmcnt(0)
	ds_add_rtn_u64 v[8:9], v3, v[2:3] offset:5136
.LBB177_518:                            ;   in Loop: Header=BB177_513 Depth=1
	s_or_b32 exec_lo, exec_lo, s25
	s_waitcnt lgkmcnt(0)
	v_readfirstlane_b32 s27, v9
	v_readfirstlane_b32 s26, v8
	s_delay_alu instid0(VALU_DEP_1)
	v_mad_u64_u32 v[8:9], null, s24, v14, s[26:27]
.LBB177_519:                            ;   in Loop: Header=BB177_513 Depth=1
	s_or_b32 exec_lo, exec_lo, s22
	s_waitcnt lgkmcnt(1)
	ds_bpermute_b32 v8, v3, v8
	s_waitcnt lgkmcnt(1)
	ds_bpermute_b32 v9, v3, v9
	s_mov_b32 s0, -1
	s_mov_b32 s25, -1
                                        ; implicit-def: $sgpr24
	s_and_saveexec_b32 s22, s23
	s_cbranch_execz .LBB177_523
; %bb.520:                              ;   in Loop: Header=BB177_513 Depth=1
	v_and_b32_e32 v2, vcc_lo, v40
	s_mov_b32 s23, 0
	s_mov_b32 s24, exec_lo
	s_delay_alu instid0(VALU_DEP_1) | instskip(SKIP_1) | instid1(VALU_DEP_1)
	v_bcnt_u32_b32 v2, v2, 0
	s_waitcnt lgkmcnt(1)
	v_add_co_u32 v14, vcc_lo, v8, v2
	s_waitcnt lgkmcnt(0)
	v_add_co_ci_u32_e32 v15, vcc_lo, 0, v9, vcc_lo
	s_delay_alu instid0(VALU_DEP_1)
	v_cmpx_gt_u64_e64 s[38:39], v[14:15]
	s_cbranch_execz .LBB177_522
; %bb.521:                              ;   in Loop: Header=BB177_513 Depth=1
	v_mul_lo_u32 v2, v15, s8
	v_mul_lo_u32 v24, v14, s9
	v_mad_u64_u32 v[20:21], null, v14, s8, 0
	v_mul_lo_u32 v15, v15, s10
	v_mul_lo_u32 v25, v14, s11
	v_mad_u64_u32 v[22:23], null, v14, s10, 0
	s_mov_b32 s23, exec_lo
	s_delay_alu instid0(VALU_DEP_4) | instskip(NEXT) | instid1(VALU_DEP_2)
	v_add3_u32 v21, v21, v24, v2
	v_add3_u32 v23, v23, v25, v15
	s_delay_alu instid0(VALU_DEP_2) | instskip(NEXT) | instid1(VALU_DEP_2)
	v_lshlrev_b64 v[14:15], 1, v[20:21]
	v_lshlrev_b64 v[20:21], 3, v[22:23]
	s_delay_alu instid0(VALU_DEP_2) | instskip(NEXT) | instid1(VALU_DEP_3)
	v_add_co_u32 v14, vcc_lo, s1, v14
	v_add_co_ci_u32_e32 v15, vcc_lo, s5, v15, vcc_lo
	s_delay_alu instid0(VALU_DEP_3) | instskip(NEXT) | instid1(VALU_DEP_4)
	v_add_co_u32 v20, vcc_lo, s16, v20
	v_add_co_ci_u32_e32 v21, vcc_lo, s17, v21, vcc_lo
	global_store_b16 v[14:15], v17, off
	global_store_b64 v[20:21], v[12:13], off
.LBB177_522:                            ;   in Loop: Header=BB177_513 Depth=1
	s_or_b32 exec_lo, exec_lo, s24
	s_mov_b32 s24, -1
	s_or_not1_b32 s25, s23, exec_lo
.LBB177_523:                            ;   in Loop: Header=BB177_513 Depth=1
	s_or_b32 exec_lo, exec_lo, s22
	s_and_saveexec_b32 s22, s25
	s_cbranch_execz .LBB177_512
; %bb.524:                              ;   in Loop: Header=BB177_513 Depth=1
	v_cmp_le_u64_e32 vcc_lo, s[6:7], v[6:7]
	v_add_co_u32 v4, s0, v4, s34
	s_delay_alu instid0(VALU_DEP_1)
	v_add_co_ci_u32_e64 v5, s0, s35, v5, s0
	s_and_not1_b32 s24, s24, exec_lo
	s_or_not1_b32 s0, vcc_lo, exec_lo
	s_branch .LBB177_512
.LBB177_525:
	s_or_b32 exec_lo, exec_lo, s18
	s_delay_alu instid0(SALU_CYCLE_1)
	s_mov_b32 s18, exec_lo
	s_or_not1_b32 s0, s21, exec_lo
.LBB177_526:
	s_or_b32 exec_lo, exec_lo, s20
	s_and_saveexec_b32 s3, s0
	s_cbranch_execz .LBB177_549
; %bb.527:
	v_dual_mov_b32 v3, 0 :: v_dual_mov_b32 v12, 0
	s_waitcnt vmcnt(0) lgkmcnt(0)
	s_waitcnt_vscnt null, 0x0
	s_barrier
	buffer_gl0_inv
	s_and_saveexec_b32 s0, s4
	s_cbranch_execz .LBB177_529
; %bb.528:
	global_load_u16 v12, v[10:11], off
.LBB177_529:
	s_or_b32 exec_lo, exec_lo, s0
	v_mad_u64_u32 v[4:5], null, s30, v16, 0
	v_readlane_b32 s20, v50, 5
	v_readlane_b32 s21, v50, 6
	s_add_u32 s0, s42, s48
	s_addc_u32 s4, s43, s49
	s_mov_b32 s19, 0
	s_add_u32 s0, s0, s20
	s_delay_alu instid0(VALU_DEP_3) | instskip(SKIP_1) | instid1(VALU_DEP_1)
	v_mov_b32_e32 v2, v5
	s_addc_u32 s4, s4, s21
                                        ; implicit-def: $sgpr20
                                        ; implicit-def: $sgpr21
	v_mad_u64_u32 v[5:6], null, s31, v16, v[2:3]
                                        ; implicit-def: $vgpr6_vgpr7
	s_delay_alu instid0(VALU_DEP_1) | instskip(NEXT) | instid1(VALU_DEP_1)
	v_lshlrev_b64 v[4:5], 1, v[4:5]
	v_add_co_u32 v4, vcc_lo, s0, v4
	s_delay_alu instid0(VALU_DEP_2)
	v_add_co_ci_u32_e32 v5, vcc_lo, s4, v5, vcc_lo
                                        ; implicit-def: $sgpr4
	s_branch .LBB177_532
.LBB177_530:                            ;   in Loop: Header=BB177_532 Depth=1
	s_or_b32 exec_lo, exec_lo, s24
	v_dual_mov_b32 v0, v8 :: v_dual_mov_b32 v1, v9
	s_and_not1_b32 s0, s21, exec_lo
	s_and_b32 s21, s26, exec_lo
	s_and_not1_b32 s20, s20, exec_lo
	s_and_b32 s23, s23, exec_lo
	s_or_b32 s21, s0, s21
	s_or_b32 s20, s20, s23
.LBB177_531:                            ;   in Loop: Header=BB177_532 Depth=1
	s_or_b32 exec_lo, exec_lo, s22
	s_xor_b32 s0, s21, -1
	s_and_b32 s22, exec_lo, s20
	s_delay_alu instid0(SALU_CYCLE_1) | instskip(SKIP_2) | instid1(SALU_CYCLE_1)
	s_or_b32 s19, s22, s19
	s_and_not1_b32 s4, s4, exec_lo
	s_and_b32 s0, s0, exec_lo
	s_or_b32 s4, s4, s0
	s_and_not1_b32 exec_lo, exec_lo, s19
	s_cbranch_execz .LBB177_547
.LBB177_532:                            ; =>This Inner Loop Header: Depth=1
	s_or_b32 s21, s21, exec_lo
	s_or_b32 s20, s20, exec_lo
	s_mov_b32 s22, exec_lo
	v_cmpx_gt_u64_e64 s[6:7], v[0:1]
	s_cbranch_execz .LBB177_531
; %bb.533:                              ;   in Loop: Header=BB177_532 Depth=1
	v_add_co_u32 v8, vcc_lo, v0, s33
	v_add_co_ci_u32_e32 v9, vcc_lo, 0, v1, vcc_lo
	v_mov_b32_e32 v13, 0
	s_mov_b32 s0, exec_lo
	s_delay_alu instid0(VALU_DEP_2)
	v_cmpx_gt_u64_e64 s[36:37], v[8:9]
	s_cbranch_execz .LBB177_535
; %bb.534:                              ;   in Loop: Header=BB177_532 Depth=1
	global_load_u16 v13, v[4:5], off
.LBB177_535:                            ;   in Loop: Header=BB177_532 Depth=1
	s_or_b32 exec_lo, exec_lo, s0
	v_cmp_gt_u64_e32 vcc_lo, s[36:37], v[0:1]
	s_waitcnt vmcnt(0)
	v_cmp_eq_u16_e64 s0, v12, v30
	s_delay_alu instid0(VALU_DEP_1) | instskip(NEXT) | instid1(SALU_CYCLE_1)
	s_and_b32 s24, vcc_lo, s0
	v_cndmask_b32_e64 v2, 0, 1, s24
	s_delay_alu instid0(VALU_DEP_1) | instskip(SKIP_2) | instid1(SALU_CYCLE_1)
	v_cmp_ne_u32_e32 vcc_lo, 0, v2
	s_cmp_lg_u32 vcc_lo, 0
	s_cselect_b32 s0, -1, 0
	s_and_b32 s0, s2, s0
	s_delay_alu instid0(SALU_CYCLE_1)
	s_and_saveexec_b32 s23, s0
	s_cbranch_execz .LBB177_539
; %bb.536:                              ;   in Loop: Header=BB177_532 Depth=1
	s_mov_b32 s27, exec_lo
	s_bcnt1_i32_b32 s25, vcc_lo
	v_mbcnt_lo_u32_b32 v10, s27, 0
	s_mov_b32 s26, exec_lo
                                        ; implicit-def: $vgpr6_vgpr7
	s_delay_alu instid0(VALU_DEP_1)
	v_cmpx_eq_u32_e32 0, v10
	s_cbranch_execz .LBB177_538
; %bb.537:                              ;   in Loop: Header=BB177_532 Depth=1
	s_bcnt1_i32_b32 s0, s27
	s_delay_alu instid0(SALU_CYCLE_1) | instskip(NEXT) | instid1(SALU_CYCLE_1)
	s_mul_i32 s0, s25, s0
	v_mov_b32_e32 v2, s0
	ds_add_rtn_u64 v[6:7], v3, v[2:3] offset:5136
.LBB177_538:                            ;   in Loop: Header=BB177_532 Depth=1
	s_or_b32 exec_lo, exec_lo, s26
	s_waitcnt lgkmcnt(0)
	v_readfirstlane_b32 s27, v7
	v_readfirstlane_b32 s26, v6
	s_delay_alu instid0(VALU_DEP_1)
	v_mad_u64_u32 v[6:7], null, s25, v10, s[26:27]
.LBB177_539:                            ;   in Loop: Header=BB177_532 Depth=1
	s_or_b32 exec_lo, exec_lo, s23
	ds_bpermute_b32 v6, v3, v6
	ds_bpermute_b32 v7, v3, v7
	s_cmp_eq_u32 vcc_lo, 0
	s_mov_b32 s23, -1
	s_cselect_b32 s25, -1, 0
	s_mov_b32 s26, -1
	s_waitcnt lgkmcnt(0)
	v_cmp_gt_u64_e64 s0, s[38:39], v[6:7]
	s_delay_alu instid0(VALU_DEP_1) | instskip(SKIP_3) | instid1(SALU_CYCLE_1)
	s_or_b32 s0, s25, s0
	s_mov_b32 s25, -1
	v_cndmask_b32_e64 v12, v12, v13, s0
	s_and_b32 s27, s24, s0
	s_and_saveexec_b32 s24, s27
	s_cbranch_execz .LBB177_545
; %bb.540:                              ;   in Loop: Header=BB177_532 Depth=1
	v_and_b32_e32 v2, vcc_lo, v40
	v_sub_co_u32 v10, vcc_lo, s38, v6
	v_sub_co_ci_u32_e32 v11, vcc_lo, s39, v7, vcc_lo
	s_delay_alu instid0(VALU_DEP_3) | instskip(SKIP_2) | instid1(VALU_DEP_1)
	v_bcnt_u32_b32 v2, v2, 0
	s_mov_b32 s27, -1
	s_mov_b32 s26, exec_lo
	v_cmp_le_u64_e64 s25, v[10:11], v[2:3]
	v_cmpx_gt_u64_e64 v[10:11], v[2:3]
	s_cbranch_execz .LBB177_544
; %bb.541:                              ;   in Loop: Header=BB177_532 Depth=1
	v_add_co_u32 v10, vcc_lo, v6, v2
	v_add_co_ci_u32_e32 v11, vcc_lo, 0, v7, vcc_lo
	s_delay_alu instid0(VALU_DEP_4) | instskip(SKIP_1) | instid1(VALU_DEP_1)
	s_mov_b32 s28, s25
	s_mov_b32 s27, exec_lo
	v_cmpx_gt_u64_e64 s[38:39], v[10:11]
	s_cbranch_execz .LBB177_543
; %bb.542:                              ;   in Loop: Header=BB177_532 Depth=1
	v_mul_lo_u32 v2, v11, s8
	v_mul_lo_u32 v16, v10, s9
	v_mad_u64_u32 v[14:15], null, v10, s8, 0
	v_mul_lo_u32 v17, v11, s10
	v_mul_lo_u32 v18, v10, s11
	v_mad_u64_u32 v[11:12], null, v10, s10, 0
	s_or_b32 s28, s25, exec_lo
	s_delay_alu instid0(VALU_DEP_4) | instskip(NEXT) | instid1(VALU_DEP_2)
	v_add3_u32 v15, v15, v16, v2
	v_add3_u32 v12, v12, v18, v17
	s_delay_alu instid0(VALU_DEP_2) | instskip(NEXT) | instid1(VALU_DEP_2)
	v_lshlrev_b64 v[14:15], 1, v[14:15]
	v_lshlrev_b64 v[10:11], 3, v[11:12]
	s_delay_alu instid0(VALU_DEP_2) | instskip(NEXT) | instid1(VALU_DEP_3)
	v_add_co_u32 v14, vcc_lo, s1, v14
	v_add_co_ci_u32_e32 v15, vcc_lo, s5, v15, vcc_lo
	s_delay_alu instid0(VALU_DEP_3) | instskip(NEXT) | instid1(VALU_DEP_4)
	v_add_co_u32 v10, vcc_lo, s16, v10
	v_add_co_ci_u32_e32 v11, vcc_lo, s17, v11, vcc_lo
	global_store_b16 v[14:15], v30, off
	global_store_b64 v[10:11], v[0:1], off
.LBB177_543:                            ;   in Loop: Header=BB177_532 Depth=1
	s_or_b32 exec_lo, exec_lo, s27
	s_delay_alu instid0(SALU_CYCLE_1)
	s_and_not1_b32 s25, s25, exec_lo
	s_and_b32 s28, s28, exec_lo
	s_xor_b32 s27, exec_lo, -1
	s_or_b32 s25, s25, s28
.LBB177_544:                            ;   in Loop: Header=BB177_532 Depth=1
	s_or_b32 exec_lo, exec_lo, s26
	v_mov_b32_e32 v12, v13
	s_or_not1_b32 s26, s27, exec_lo
	s_or_b32 s0, s0, exec_lo
	s_or_not1_b32 s25, s25, exec_lo
.LBB177_545:                            ;   in Loop: Header=BB177_532 Depth=1
	s_or_b32 exec_lo, exec_lo, s24
	s_and_saveexec_b32 s24, s25
	s_cbranch_execz .LBB177_530
; %bb.546:                              ;   in Loop: Header=BB177_532 Depth=1
	v_add_co_u32 v4, vcc_lo, v4, s34
	v_add_co_ci_u32_e32 v5, vcc_lo, s35, v5, vcc_lo
	s_xor_b32 s0, s0, -1
	s_or_b32 s26, s26, exec_lo
	s_or_not1_b32 s23, s0, exec_lo
	s_branch .LBB177_530
.LBB177_547:
	s_or_b32 exec_lo, exec_lo, s19
	s_mov_b32 s0, 0
	s_and_saveexec_b32 s1, s4
	s_delay_alu instid0(SALU_CYCLE_1)
	s_xor_b32 s1, exec_lo, s1
	s_cbranch_execnz .LBB177_579
.LBB177_548:
	s_or_b32 exec_lo, exec_lo, s1
	s_delay_alu instid0(SALU_CYCLE_1)
	s_and_b32 s19, s0, exec_lo
	s_and_not1_b32 s18, s18, exec_lo
.LBB177_549:
	s_or_b32 exec_lo, exec_lo, s3
	s_and_saveexec_b32 s0, s18
	s_delay_alu instid0(SALU_CYCLE_1)
	s_xor_b32 s0, exec_lo, s0
	s_cbranch_execnz .LBB177_575
.LBB177_550:
	s_or_b32 exec_lo, exec_lo, s0
	s_delay_alu instid0(SALU_CYCLE_1)
	s_and_b32 s8, s19, exec_lo
.LBB177_551:
	s_and_not1_saveexec_b32 s0, s15
	s_cbranch_execnz .LBB177_571
.LBB177_552:
	s_or_b32 exec_lo, exec_lo, s0
	s_delay_alu instid0(SALU_CYCLE_1)
	s_and_b32 s8, s8, exec_lo
.LBB177_553:
	s_and_not1_saveexec_b32 s0, s14
	s_cbranch_execnz .LBB177_567
.LBB177_554:
	s_or_b32 exec_lo, exec_lo, s0
	s_delay_alu instid0(SALU_CYCLE_1)
	s_and_b32 s8, s8, exec_lo
.LBB177_555:
	s_and_not1_saveexec_b32 s0, s13
	s_cbranch_execnz .LBB177_563
.LBB177_556:
	s_or_b32 exec_lo, exec_lo, s0
	s_delay_alu instid0(SALU_CYCLE_1)
	s_and_b32 s8, s8, exec_lo
.LBB177_557:
	s_and_not1_saveexec_b32 s0, s12
	s_cbranch_execnz .LBB177_561
; %bb.558:
	s_or_b32 exec_lo, exec_lo, s0
	s_and_saveexec_b32 s0, s8
.LBB177_559:
	; divergent unreachable
.LBB177_560:
	s_nop 0
	s_sendmsg sendmsg(MSG_DEALLOC_VGPRS)
	s_endpgm
.LBB177_561:
	s_cbranch_execnz .LBB177_565
; %bb.562:
	s_or_b32 s8, s8, exec_lo
	s_or_b32 exec_lo, exec_lo, s0
	s_and_saveexec_b32 s0, s8
	s_cbranch_execnz .LBB177_559
	s_branch .LBB177_560
.LBB177_563:
	s_cbranch_execnz .LBB177_569
; %bb.564:
	s_or_b32 s8, s8, exec_lo
	s_branch .LBB177_556
.LBB177_565:
	s_trap 2
	s_sendmsg_rtn_b32 s0, sendmsg(MSG_RTN_GET_DOORBELL)
	s_mov_b32 ttmp2, m0
	s_waitcnt lgkmcnt(0)
	s_and_b32 s0, s0, 0x3ff
	s_delay_alu instid0(SALU_CYCLE_1) | instskip(NEXT) | instid1(SALU_CYCLE_1)
	s_bitset1_b32 s0, 10
	s_mov_b32 m0, s0
	s_sendmsg sendmsg(MSG_INTERRUPT)
	s_mov_b32 m0, ttmp2
.LBB177_566:                            ; =>This Inner Loop Header: Depth=1
	s_sethalt 5
	s_branch .LBB177_566
.LBB177_567:
	s_cbranch_execnz .LBB177_573
; %bb.568:
	s_or_b32 s8, s8, exec_lo
	s_branch .LBB177_554
.LBB177_569:
	s_trap 2
	s_sendmsg_rtn_b32 s0, sendmsg(MSG_RTN_GET_DOORBELL)
	s_mov_b32 ttmp2, m0
	s_waitcnt lgkmcnt(0)
	s_and_b32 s0, s0, 0x3ff
	s_delay_alu instid0(SALU_CYCLE_1) | instskip(NEXT) | instid1(SALU_CYCLE_1)
	s_bitset1_b32 s0, 10
	s_mov_b32 m0, s0
	s_sendmsg sendmsg(MSG_INTERRUPT)
	s_mov_b32 m0, ttmp2
.LBB177_570:                            ; =>This Inner Loop Header: Depth=1
	s_sethalt 5
	s_branch .LBB177_570
.LBB177_571:
	s_cbranch_execnz .LBB177_577
; %bb.572:
	s_or_b32 s8, s8, exec_lo
	s_branch .LBB177_552
.LBB177_573:
	s_trap 2
	s_sendmsg_rtn_b32 s0, sendmsg(MSG_RTN_GET_DOORBELL)
	s_mov_b32 ttmp2, m0
	s_waitcnt lgkmcnt(0)
	s_and_b32 s0, s0, 0x3ff
	s_delay_alu instid0(SALU_CYCLE_1) | instskip(NEXT) | instid1(SALU_CYCLE_1)
	s_bitset1_b32 s0, 10
	s_mov_b32 m0, s0
	s_sendmsg sendmsg(MSG_INTERRUPT)
	s_mov_b32 m0, ttmp2
.LBB177_574:                            ; =>This Inner Loop Header: Depth=1
	s_sethalt 5
	s_branch .LBB177_574
.LBB177_575:
	s_cbranch_execnz .LBB177_581
; %bb.576:
	s_or_b32 s19, s19, exec_lo
	s_branch .LBB177_550
.LBB177_577:
	s_trap 2
	s_sendmsg_rtn_b32 s0, sendmsg(MSG_RTN_GET_DOORBELL)
	s_mov_b32 ttmp2, m0
	s_waitcnt lgkmcnt(0)
	s_and_b32 s0, s0, 0x3ff
	s_delay_alu instid0(SALU_CYCLE_1) | instskip(NEXT) | instid1(SALU_CYCLE_1)
	s_bitset1_b32 s0, 10
	s_mov_b32 m0, s0
	s_sendmsg sendmsg(MSG_INTERRUPT)
	s_mov_b32 m0, ttmp2
.LBB177_578:                            ; =>This Inner Loop Header: Depth=1
	s_sethalt 5
	s_branch .LBB177_578
.LBB177_579:
	s_cbranch_execnz .LBB177_583
; %bb.580:
	s_mov_b32 s0, exec_lo
	s_branch .LBB177_548
.LBB177_581:
	s_trap 2
	s_sendmsg_rtn_b32 s0, sendmsg(MSG_RTN_GET_DOORBELL)
	s_mov_b32 ttmp2, m0
	s_waitcnt lgkmcnt(0)
	s_and_b32 s0, s0, 0x3ff
	s_delay_alu instid0(SALU_CYCLE_1) | instskip(NEXT) | instid1(SALU_CYCLE_1)
	s_bitset1_b32 s0, 10
	s_mov_b32 m0, s0
	s_sendmsg sendmsg(MSG_INTERRUPT)
	s_mov_b32 m0, ttmp2
.LBB177_582:                            ; =>This Inner Loop Header: Depth=1
	s_sethalt 5
	s_branch .LBB177_582
.LBB177_583:
	s_trap 2
	s_sendmsg_rtn_b32 s0, sendmsg(MSG_RTN_GET_DOORBELL)
	s_mov_b32 ttmp2, m0
	s_waitcnt lgkmcnt(0)
	s_and_b32 s0, s0, 0x3ff
	s_delay_alu instid0(SALU_CYCLE_1) | instskip(NEXT) | instid1(SALU_CYCLE_1)
	s_bitset1_b32 s0, 10
	s_mov_b32 m0, s0
	s_sendmsg sendmsg(MSG_INTERRUPT)
	s_mov_b32 m0, ttmp2
.LBB177_584:                            ; =>This Inner Loop Header: Depth=1
	s_sethalt 5
	s_branch .LBB177_584
	.section	.rodata,"a",@progbits
	.p2align	6, 0x0
	.amdhsa_kernel _ZN2at6native6sbtopk10gatherTopKIsmLin1ELb0EEEvNS_4cuda6detail10TensorInfoIKT_T0_EES8_S8_bS8_S8_NS5_IS6_S8_EES8_NS5_IlS8_EES8_PS6_
		.amdhsa_group_segment_fixed_size 5152
		.amdhsa_private_segment_fixed_size 0
		.amdhsa_kernarg_size 1568
		.amdhsa_user_sgpr_count 13
		.amdhsa_user_sgpr_dispatch_ptr 0
		.amdhsa_user_sgpr_queue_ptr 0
		.amdhsa_user_sgpr_kernarg_segment_ptr 1
		.amdhsa_user_sgpr_dispatch_id 0
		.amdhsa_user_sgpr_private_segment_size 0
		.amdhsa_wavefront_size32 1
		.amdhsa_uses_dynamic_stack 0
		.amdhsa_enable_private_segment 0
		.amdhsa_system_sgpr_workgroup_id_x 1
		.amdhsa_system_sgpr_workgroup_id_y 1
		.amdhsa_system_sgpr_workgroup_id_z 1
		.amdhsa_system_sgpr_workgroup_info 0
		.amdhsa_system_vgpr_workitem_id 0
		.amdhsa_next_free_vgpr 51
		.amdhsa_next_free_sgpr 105
		.amdhsa_reserve_vcc 1
		.amdhsa_float_round_mode_32 0
		.amdhsa_float_round_mode_16_64 0
		.amdhsa_float_denorm_mode_32 3
		.amdhsa_float_denorm_mode_16_64 3
		.amdhsa_dx10_clamp 1
		.amdhsa_ieee_mode 1
		.amdhsa_fp16_overflow 0
		.amdhsa_workgroup_processor_mode 1
		.amdhsa_memory_ordered 1
		.amdhsa_forward_progress 0
		.amdhsa_shared_vgpr_count 0
		.amdhsa_exception_fp_ieee_invalid_op 0
		.amdhsa_exception_fp_denorm_src 0
		.amdhsa_exception_fp_ieee_div_zero 0
		.amdhsa_exception_fp_ieee_overflow 0
		.amdhsa_exception_fp_ieee_underflow 0
		.amdhsa_exception_fp_ieee_inexact 0
		.amdhsa_exception_int_div_zero 0
	.end_amdhsa_kernel
	.section	.text._ZN2at6native6sbtopk10gatherTopKIsmLin1ELb0EEEvNS_4cuda6detail10TensorInfoIKT_T0_EES8_S8_bS8_S8_NS5_IS6_S8_EES8_NS5_IlS8_EES8_PS6_,"axG",@progbits,_ZN2at6native6sbtopk10gatherTopKIsmLin1ELb0EEEvNS_4cuda6detail10TensorInfoIKT_T0_EES8_S8_bS8_S8_NS5_IS6_S8_EES8_NS5_IlS8_EES8_PS6_,comdat
.Lfunc_end177:
	.size	_ZN2at6native6sbtopk10gatherTopKIsmLin1ELb0EEEvNS_4cuda6detail10TensorInfoIKT_T0_EES8_S8_bS8_S8_NS5_IS6_S8_EES8_NS5_IlS8_EES8_PS6_, .Lfunc_end177-_ZN2at6native6sbtopk10gatherTopKIsmLin1ELb0EEEvNS_4cuda6detail10TensorInfoIKT_T0_EES8_S8_bS8_S8_NS5_IS6_S8_EES8_NS5_IlS8_EES8_PS6_
                                        ; -- End function
	.section	.AMDGPU.csdata,"",@progbits
; Kernel info:
; codeLenInByte = 31604
; NumSgprs: 107
; NumVgprs: 51
; ScratchSize: 0
; MemoryBound: 0
; FloatMode: 240
; IeeeMode: 1
; LDSByteSize: 5152 bytes/workgroup (compile time only)
; SGPRBlocks: 13
; VGPRBlocks: 6
; NumSGPRsForWavesPerEU: 107
; NumVGPRsForWavesPerEU: 51
; Occupancy: 16
; WaveLimiterHint : 1
; COMPUTE_PGM_RSRC2:SCRATCH_EN: 0
; COMPUTE_PGM_RSRC2:USER_SGPR: 13
; COMPUTE_PGM_RSRC2:TRAP_HANDLER: 0
; COMPUTE_PGM_RSRC2:TGID_X_EN: 1
; COMPUTE_PGM_RSRC2:TGID_Y_EN: 1
; COMPUTE_PGM_RSRC2:TGID_Z_EN: 1
; COMPUTE_PGM_RSRC2:TIDIG_COMP_CNT: 0
	.section	.text._ZN2at6native6mbtopk23computeBlockDigitCountsIdmmLi1EEEvNS_4cuda6detail10TensorInfoIKT_T0_EEjPjjS8_iijT1_PSB_Ps,"axG",@progbits,_ZN2at6native6mbtopk23computeBlockDigitCountsIdmmLi1EEEvNS_4cuda6detail10TensorInfoIKT_T0_EEjPjjS8_iijT1_PSB_Ps,comdat
	.protected	_ZN2at6native6mbtopk23computeBlockDigitCountsIdmmLi1EEEvNS_4cuda6detail10TensorInfoIKT_T0_EEjPjjS8_iijT1_PSB_Ps ; -- Begin function _ZN2at6native6mbtopk23computeBlockDigitCountsIdmmLi1EEEvNS_4cuda6detail10TensorInfoIKT_T0_EEjPjjS8_iijT1_PSB_Ps
	.globl	_ZN2at6native6mbtopk23computeBlockDigitCountsIdmmLi1EEEvNS_4cuda6detail10TensorInfoIKT_T0_EEjPjjS8_iijT1_PSB_Ps
	.p2align	8
	.type	_ZN2at6native6mbtopk23computeBlockDigitCountsIdmmLi1EEEvNS_4cuda6detail10TensorInfoIKT_T0_EEjPjjS8_iijT1_PSB_Ps,@function
_ZN2at6native6mbtopk23computeBlockDigitCountsIdmmLi1EEEvNS_4cuda6detail10TensorInfoIKT_T0_EEjPjjS8_iijT1_PSB_Ps: ; @_ZN2at6native6mbtopk23computeBlockDigitCountsIdmmLi1EEEvNS_4cuda6detail10TensorInfoIKT_T0_EEjPjjS8_iijT1_PSB_Ps
; %bb.0:
	s_clause 0x2
	s_load_b128 s[8:11], s[0:1], 0x1c0
	s_load_b32 s5, s[0:1], 0x1b0
	s_load_b64 s[2:3], s[0:1], 0x1e8
	s_waitcnt lgkmcnt(0)
	v_cvt_f32_u32_e32 v1, s10
	s_sub_i32 s6, 0, s10
	s_mul_i32 s3, s3, s15
	s_delay_alu instid0(SALU_CYCLE_1) | instskip(NEXT) | instid1(VALU_DEP_1)
	s_add_i32 s3, s3, s14
	v_rcp_iflag_f32_e32 v1, v1
	s_mul_i32 s14, s3, s2
	s_delay_alu instid0(SALU_CYCLE_1) | instskip(SKIP_3) | instid1(VALU_DEP_1)
	s_add_i32 s14, s14, s13
	s_mov_b32 s13, 0
	s_waitcnt_depctr 0xfff
	v_mul_f32_e32 v1, 0x4f7ffffe, v1
	v_cvt_u32_f32_e32 v1, v1
	s_delay_alu instid0(VALU_DEP_1) | instskip(NEXT) | instid1(VALU_DEP_1)
	v_readfirstlane_b32 s4, v1
	s_mul_i32 s6, s6, s4
	s_delay_alu instid0(SALU_CYCLE_1) | instskip(NEXT) | instid1(SALU_CYCLE_1)
	s_mul_hi_u32 s2, s4, s6
	s_add_i32 s4, s4, s2
	s_delay_alu instid0(SALU_CYCLE_1) | instskip(NEXT) | instid1(SALU_CYCLE_1)
	s_mul_hi_u32 s2, s14, s4
	s_mul_i32 s3, s2, s10
	s_add_i32 s4, s2, 1
	s_sub_i32 s3, s14, s3
	s_delay_alu instid0(SALU_CYCLE_1)
	s_sub_i32 s6, s3, s10
	s_cmp_ge_u32 s3, s10
	s_cselect_b32 s2, s4, s2
	s_cselect_b32 s3, s6, s3
	s_add_i32 s4, s2, 1
	s_cmp_ge_u32 s3, s10
	s_cselect_b32 s12, s4, s2
	s_delay_alu instid0(SALU_CYCLE_1)
	s_cmp_ge_u32 s12, s5
	s_cbranch_scc1 .LBB178_23
; %bb.1:
	s_clause 0x1
	s_load_b128 s[4:7], s[0:1], 0x1d0
	s_load_b64 s[2:3], s[0:1], 0x1e0
	s_lshl_b64 s[16:17], s[12:13], 3
	v_cmp_gt_u32_e32 vcc_lo, 0x100, v0
	v_lshlrev_b32_e32 v3, 2, v0
	s_waitcnt lgkmcnt(0)
	s_add_u32 s6, s6, s16
	s_addc_u32 s7, s7, s17
	s_and_saveexec_b32 s11, vcc_lo
	s_cbranch_execz .LBB178_3
; %bb.2:
	v_mov_b32_e32 v1, 0
	ds_store_b32 v3, v1
.LBB178_3:
	s_or_b32 exec_lo, exec_lo, s11
	s_load_b32 s13, s[0:1], 0x1a0
	s_mul_i32 s11, s12, s10
	s_waitcnt lgkmcnt(0)
	s_sub_i32 s11, s14, s11
	s_barrier
	s_mul_i32 s15, s9, s11
	s_add_i32 s11, s11, 1
	s_lshl_b32 s15, s15, 8
	buffer_gl0_inv
	s_sub_i32 s16, s13, s15
	s_delay_alu instid0(SALU_CYCLE_1) | instskip(SKIP_3) | instid1(VALU_DEP_1)
	s_add_u32 s16, s16, 0xff
	s_addc_u32 s17, 0, 0
	s_cmp_lt_u32 s11, s10
	v_alignbit_b32 v1, s17, s16, 8
	v_readfirstlane_b32 s16, v1
	s_delay_alu instid0(VALU_DEP_1)
	s_cselect_b32 s9, s9, s16
	s_mov_b32 s16, 0
	s_cmp_lt_i32 s9, 1
	s_cbranch_scc1 .LBB178_19
; %bb.4:
	s_clause 0x2
	s_load_b64 s[18:19], s[0:1], 0xd0
	s_load_b64 s[10:11], s[0:1], 0x1b8
	;; [unrolled: 1-line block ×4, first 2 shown]
	v_add_nc_u32_e32 v4, s15, v0
	s_waitcnt lgkmcnt(0)
	s_mul_i32 s17, s19, s12
	s_mul_hi_u32 s19, s18, s12
	s_mul_i32 s18, s18, s12
	s_add_i32 s19, s19, s17
	s_delay_alu instid0(SALU_CYCLE_1) | instskip(NEXT) | instid1(SALU_CYCLE_1)
	s_lshl_b64 s[18:19], s[18:19], 3
	s_add_u32 s12, s0, s18
	s_addc_u32 s15, s1, s19
	s_and_b32 s1, s8, 0xff
	s_cmp_eq_u32 s9, 1
	s_cbranch_scc1 .LBB178_14
; %bb.5:
	v_dual_mov_b32 v5, 1 :: v_dual_mov_b32 v6, v4
	s_and_b32 s8, s9, 0x7ffffffe
	s_branch .LBB178_7
.LBB178_6:                              ;   in Loop: Header=BB178_7 Depth=1
	s_or_b32 exec_lo, exec_lo, s17
	v_add_nc_u32_e32 v6, 0x200, v6
	s_add_i32 s16, s16, 2
	s_delay_alu instid0(SALU_CYCLE_1)
	s_cmp_eq_u32 s8, s16
	s_cbranch_scc1 .LBB178_13
.LBB178_7:                              ; =>This Inner Loop Header: Depth=1
	s_mov_b32 s17, exec_lo
	s_delay_alu instid0(VALU_DEP_1)
	v_cmpx_gt_u32_e64 s13, v6
	s_cbranch_execz .LBB178_10
; %bb.8:                                ;   in Loop: Header=BB178_7 Depth=1
	v_mad_u64_u32 v[1:2], null, v6, s10, 0
	s_delay_alu instid0(VALU_DEP_1) | instskip(NEXT) | instid1(VALU_DEP_1)
	v_mad_u64_u32 v[7:8], null, v6, s11, v[2:3]
	v_mov_b32_e32 v2, v7
	s_delay_alu instid0(VALU_DEP_1) | instskip(NEXT) | instid1(VALU_DEP_1)
	v_lshlrev_b64 v[1:2], 3, v[1:2]
	v_add_co_u32 v1, s0, s12, v1
	s_delay_alu instid0(VALU_DEP_1) | instskip(SKIP_4) | instid1(VALU_DEP_1)
	v_add_co_ci_u32_e64 v2, s0, s15, v2, s0
	global_load_b64 v[1:2], v[1:2], off
	s_waitcnt vmcnt(0)
	v_cmp_o_f64_e64 s0, v[1:2], v[1:2]
	v_ashrrev_i32_e32 v7, 31, v2
	v_or_b32_e32 v8, 0x80000000, v7
	v_xor_b32_e32 v1, v7, v1
	s_delay_alu instid0(VALU_DEP_2) | instskip(NEXT) | instid1(VALU_DEP_1)
	v_xor_b32_e32 v8, v8, v2
	v_cndmask_b32_e64 v2, -1, v8, s0
	s_delay_alu instid0(VALU_DEP_3) | instskip(NEXT) | instid1(VALU_DEP_2)
	v_cndmask_b32_e64 v1, -1, v1, s0
	v_xor_b32_e32 v7, s7, v2
	s_delay_alu instid0(VALU_DEP_2) | instskip(NEXT) | instid1(VALU_DEP_2)
	v_xor_b32_e32 v9, s6, v1
	v_and_b32_e32 v8, s5, v7
	s_delay_alu instid0(VALU_DEP_2) | instskip(NEXT) | instid1(VALU_DEP_1)
	v_and_b32_e32 v7, s4, v9
	v_cmp_eq_u64_e64 s0, 0, v[7:8]
	s_delay_alu instid0(VALU_DEP_1)
	s_and_b32 exec_lo, exec_lo, s0
	s_cbranch_execz .LBB178_10
; %bb.9:                                ;   in Loop: Header=BB178_7 Depth=1
	v_lshrrev_b64 v[1:2], s1, v[1:2]
	s_delay_alu instid0(VALU_DEP_1) | instskip(NEXT) | instid1(VALU_DEP_1)
	v_and_b32_e32 v1, 0xff, v1
	v_lshlrev_b32_e32 v1, 2, v1
	ds_add_u32 v1, v5
.LBB178_10:                             ;   in Loop: Header=BB178_7 Depth=1
	s_or_b32 exec_lo, exec_lo, s17
	v_add_nc_u32_e32 v1, 0x100, v6
	s_mov_b32 s17, exec_lo
	s_delay_alu instid0(VALU_DEP_1)
	v_cmpx_gt_u32_e64 s13, v1
	s_cbranch_execz .LBB178_6
; %bb.11:                               ;   in Loop: Header=BB178_7 Depth=1
	v_mad_u64_u32 v[7:8], null, v1, s10, 0
	s_delay_alu instid0(VALU_DEP_1) | instskip(NEXT) | instid1(VALU_DEP_1)
	v_mov_b32_e32 v2, v8
	v_mad_u64_u32 v[8:9], null, v1, s11, v[2:3]
	s_delay_alu instid0(VALU_DEP_1) | instskip(NEXT) | instid1(VALU_DEP_1)
	v_lshlrev_b64 v[1:2], 3, v[7:8]
	v_add_co_u32 v1, s0, s12, v1
	s_delay_alu instid0(VALU_DEP_1) | instskip(SKIP_4) | instid1(VALU_DEP_1)
	v_add_co_ci_u32_e64 v2, s0, s15, v2, s0
	global_load_b64 v[1:2], v[1:2], off
	s_waitcnt vmcnt(0)
	v_cmp_o_f64_e64 s0, v[1:2], v[1:2]
	v_ashrrev_i32_e32 v7, 31, v2
	v_or_b32_e32 v8, 0x80000000, v7
	v_xor_b32_e32 v1, v7, v1
	s_delay_alu instid0(VALU_DEP_2) | instskip(NEXT) | instid1(VALU_DEP_1)
	v_xor_b32_e32 v8, v8, v2
	v_cndmask_b32_e64 v2, -1, v8, s0
	s_delay_alu instid0(VALU_DEP_3) | instskip(NEXT) | instid1(VALU_DEP_2)
	v_cndmask_b32_e64 v1, -1, v1, s0
	v_xor_b32_e32 v7, s7, v2
	s_delay_alu instid0(VALU_DEP_2) | instskip(NEXT) | instid1(VALU_DEP_2)
	v_xor_b32_e32 v9, s6, v1
	v_and_b32_e32 v8, s5, v7
	s_delay_alu instid0(VALU_DEP_2) | instskip(NEXT) | instid1(VALU_DEP_1)
	v_and_b32_e32 v7, s4, v9
	v_cmp_eq_u64_e64 s0, 0, v[7:8]
	s_delay_alu instid0(VALU_DEP_1)
	s_and_b32 exec_lo, exec_lo, s0
	s_cbranch_execz .LBB178_6
; %bb.12:                               ;   in Loop: Header=BB178_7 Depth=1
	v_lshrrev_b64 v[1:2], s1, v[1:2]
	s_delay_alu instid0(VALU_DEP_1) | instskip(NEXT) | instid1(VALU_DEP_1)
	v_and_b32_e32 v1, 0xff, v1
	v_lshlrev_b32_e32 v1, 2, v1
	ds_add_u32 v1, v5
	s_branch .LBB178_6
.LBB178_13:
	s_lshl_b32 s16, s8, 8
.LBB178_14:
	s_bitcmp0_b32 s9, 0
	s_cbranch_scc1 .LBB178_19
; %bb.15:
	v_add_nc_u32_e32 v1, s16, v4
	s_mov_b32 s8, exec_lo
	s_delay_alu instid0(VALU_DEP_1)
	v_cmpx_gt_u32_e64 s13, v1
	s_cbranch_execz .LBB178_18
; %bb.16:
	v_mad_u64_u32 v[4:5], null, v1, s10, 0
	s_delay_alu instid0(VALU_DEP_1) | instskip(NEXT) | instid1(VALU_DEP_1)
	v_mov_b32_e32 v2, v5
	v_mad_u64_u32 v[5:6], null, v1, s11, v[2:3]
	s_delay_alu instid0(VALU_DEP_1) | instskip(NEXT) | instid1(VALU_DEP_1)
	v_lshlrev_b64 v[1:2], 3, v[4:5]
	v_add_co_u32 v1, s0, s12, v1
	s_delay_alu instid0(VALU_DEP_1) | instskip(SKIP_4) | instid1(VALU_DEP_1)
	v_add_co_ci_u32_e64 v2, s0, s15, v2, s0
	global_load_b64 v[1:2], v[1:2], off
	s_waitcnt vmcnt(0)
	v_cmp_o_f64_e64 s0, v[1:2], v[1:2]
	v_ashrrev_i32_e32 v4, 31, v2
	v_or_b32_e32 v5, 0x80000000, v4
	v_xor_b32_e32 v1, v4, v1
	s_delay_alu instid0(VALU_DEP_2) | instskip(NEXT) | instid1(VALU_DEP_1)
	v_xor_b32_e32 v5, v5, v2
	v_cndmask_b32_e64 v2, -1, v5, s0
	s_delay_alu instid0(VALU_DEP_3) | instskip(NEXT) | instid1(VALU_DEP_2)
	v_cndmask_b32_e64 v1, -1, v1, s0
	v_xor_b32_e32 v4, s7, v2
	s_delay_alu instid0(VALU_DEP_2) | instskip(NEXT) | instid1(VALU_DEP_2)
	v_xor_b32_e32 v6, s6, v1
	v_and_b32_e32 v5, s5, v4
	s_delay_alu instid0(VALU_DEP_2) | instskip(NEXT) | instid1(VALU_DEP_1)
	v_and_b32_e32 v4, s4, v6
	v_cmp_eq_u64_e64 s0, 0, v[4:5]
	s_delay_alu instid0(VALU_DEP_1)
	s_and_b32 exec_lo, exec_lo, s0
	s_cbranch_execz .LBB178_18
; %bb.17:
	v_lshrrev_b64 v[1:2], s1, v[1:2]
	s_delay_alu instid0(VALU_DEP_1) | instskip(NEXT) | instid1(VALU_DEP_1)
	v_dual_mov_b32 v2, 1 :: v_dual_and_b32 v1, 0xff, v1
	v_lshlrev_b32_e32 v1, 2, v1
	ds_add_u32 v1, v2
.LBB178_18:
	s_or_b32 exec_lo, exec_lo, s8
.LBB178_19:
	v_mov_b32_e32 v1, 0
	s_waitcnt lgkmcnt(0)
	s_barrier
	buffer_gl0_inv
	s_and_saveexec_b32 s0, vcc_lo
	s_cbranch_execz .LBB178_21
; %bb.20:
	ds_load_b32 v1, v3
.LBB178_21:
	s_or_b32 exec_lo, exec_lo, s0
	s_and_saveexec_b32 s0, vcc_lo
	s_cbranch_execz .LBB178_23
; %bb.22:
	v_lshl_or_b32 v2, s14, 8, v0
	v_mov_b32_e32 v3, 0
	s_delay_alu instid0(VALU_DEP_1) | instskip(NEXT) | instid1(VALU_DEP_1)
	v_lshlrev_b64 v[2:3], 1, v[2:3]
	v_add_co_u32 v2, vcc_lo, s2, v2
	s_delay_alu instid0(VALU_DEP_2)
	v_add_co_ci_u32_e32 v3, vcc_lo, s3, v3, vcc_lo
	s_waitcnt lgkmcnt(0)
	global_store_b16 v[2:3], v1, off
.LBB178_23:
	s_nop 0
	s_sendmsg sendmsg(MSG_DEALLOC_VGPRS)
	s_endpgm
	.section	.rodata,"a",@progbits
	.p2align	6, 0x0
	.amdhsa_kernel _ZN2at6native6mbtopk23computeBlockDigitCountsIdmmLi1EEEvNS_4cuda6detail10TensorInfoIKT_T0_EEjPjjS8_iijT1_PSB_Ps
		.amdhsa_group_segment_fixed_size 1024
		.amdhsa_private_segment_fixed_size 0
		.amdhsa_kernarg_size 744
		.amdhsa_user_sgpr_count 13
		.amdhsa_user_sgpr_dispatch_ptr 0
		.amdhsa_user_sgpr_queue_ptr 0
		.amdhsa_user_sgpr_kernarg_segment_ptr 1
		.amdhsa_user_sgpr_dispatch_id 0
		.amdhsa_user_sgpr_private_segment_size 0
		.amdhsa_wavefront_size32 1
		.amdhsa_uses_dynamic_stack 0
		.amdhsa_enable_private_segment 0
		.amdhsa_system_sgpr_workgroup_id_x 1
		.amdhsa_system_sgpr_workgroup_id_y 1
		.amdhsa_system_sgpr_workgroup_id_z 1
		.amdhsa_system_sgpr_workgroup_info 0
		.amdhsa_system_vgpr_workitem_id 0
		.amdhsa_next_free_vgpr 10
		.amdhsa_next_free_sgpr 20
		.amdhsa_reserve_vcc 1
		.amdhsa_float_round_mode_32 0
		.amdhsa_float_round_mode_16_64 0
		.amdhsa_float_denorm_mode_32 3
		.amdhsa_float_denorm_mode_16_64 3
		.amdhsa_dx10_clamp 1
		.amdhsa_ieee_mode 1
		.amdhsa_fp16_overflow 0
		.amdhsa_workgroup_processor_mode 1
		.amdhsa_memory_ordered 1
		.amdhsa_forward_progress 0
		.amdhsa_shared_vgpr_count 0
		.amdhsa_exception_fp_ieee_invalid_op 0
		.amdhsa_exception_fp_denorm_src 0
		.amdhsa_exception_fp_ieee_div_zero 0
		.amdhsa_exception_fp_ieee_overflow 0
		.amdhsa_exception_fp_ieee_underflow 0
		.amdhsa_exception_fp_ieee_inexact 0
		.amdhsa_exception_int_div_zero 0
	.end_amdhsa_kernel
	.section	.text._ZN2at6native6mbtopk23computeBlockDigitCountsIdmmLi1EEEvNS_4cuda6detail10TensorInfoIKT_T0_EEjPjjS8_iijT1_PSB_Ps,"axG",@progbits,_ZN2at6native6mbtopk23computeBlockDigitCountsIdmmLi1EEEvNS_4cuda6detail10TensorInfoIKT_T0_EEjPjjS8_iijT1_PSB_Ps,comdat
.Lfunc_end178:
	.size	_ZN2at6native6mbtopk23computeBlockDigitCountsIdmmLi1EEEvNS_4cuda6detail10TensorInfoIKT_T0_EEjPjjS8_iijT1_PSB_Ps, .Lfunc_end178-_ZN2at6native6mbtopk23computeBlockDigitCountsIdmmLi1EEEvNS_4cuda6detail10TensorInfoIKT_T0_EEjPjjS8_iijT1_PSB_Ps
                                        ; -- End function
	.section	.AMDGPU.csdata,"",@progbits
; Kernel info:
; codeLenInByte = 1288
; NumSgprs: 22
; NumVgprs: 10
; ScratchSize: 0
; MemoryBound: 0
; FloatMode: 240
; IeeeMode: 1
; LDSByteSize: 1024 bytes/workgroup (compile time only)
; SGPRBlocks: 2
; VGPRBlocks: 1
; NumSGPRsForWavesPerEU: 22
; NumVGPRsForWavesPerEU: 10
; Occupancy: 16
; WaveLimiterHint : 1
; COMPUTE_PGM_RSRC2:SCRATCH_EN: 0
; COMPUTE_PGM_RSRC2:USER_SGPR: 13
; COMPUTE_PGM_RSRC2:TRAP_HANDLER: 0
; COMPUTE_PGM_RSRC2:TGID_X_EN: 1
; COMPUTE_PGM_RSRC2:TGID_Y_EN: 1
; COMPUTE_PGM_RSRC2:TGID_Z_EN: 1
; COMPUTE_PGM_RSRC2:TIDIG_COMP_CNT: 0
	.section	.text._ZN2at6native6mbtopk10gatherTopKIdmLi1EEEvNS_4cuda6detail10TensorInfoIKT_T0_EES8_S8_bjS8_NS5_IS6_S8_EES8_NS5_IlS8_EES8_jjPS6_PjSD_j,"axG",@progbits,_ZN2at6native6mbtopk10gatherTopKIdmLi1EEEvNS_4cuda6detail10TensorInfoIKT_T0_EES8_S8_bjS8_NS5_IS6_S8_EES8_NS5_IlS8_EES8_jjPS6_PjSD_j,comdat
	.protected	_ZN2at6native6mbtopk10gatherTopKIdmLi1EEEvNS_4cuda6detail10TensorInfoIKT_T0_EES8_S8_bjS8_NS5_IS6_S8_EES8_NS5_IlS8_EES8_jjPS6_PjSD_j ; -- Begin function _ZN2at6native6mbtopk10gatherTopKIdmLi1EEEvNS_4cuda6detail10TensorInfoIKT_T0_EES8_S8_bjS8_NS5_IS6_S8_EES8_NS5_IlS8_EES8_jjPS6_PjSD_j
	.globl	_ZN2at6native6mbtopk10gatherTopKIdmLi1EEEvNS_4cuda6detail10TensorInfoIKT_T0_EES8_S8_bjS8_NS5_IS6_S8_EES8_NS5_IlS8_EES8_jjPS6_PjSD_j
	.p2align	8
	.type	_ZN2at6native6mbtopk10gatherTopKIdmLi1EEEvNS_4cuda6detail10TensorInfoIKT_T0_EES8_S8_bjS8_NS5_IS6_S8_EES8_NS5_IlS8_EES8_jjPS6_PjSD_j,@function
_ZN2at6native6mbtopk10gatherTopKIdmLi1EEEvNS_4cuda6detail10TensorInfoIKT_T0_EES8_S8_bjS8_NS5_IS6_S8_EES8_NS5_IlS8_EES8_jjPS6_PjSD_j: ; @_ZN2at6native6mbtopk10gatherTopKIdmLi1EEEvNS_4cuda6detail10TensorInfoIKT_T0_EES8_S8_bjS8_NS5_IS6_S8_EES8_NS5_IlS8_EES8_jjPS6_PjSD_j
; %bb.0:
	s_clause 0x1
	s_load_b64 s[2:3], s[0:1], 0x538
	s_load_b32 s4, s[0:1], 0x530
	s_waitcnt lgkmcnt(0)
	s_mul_i32 s3, s3, s15
	s_delay_alu instid0(SALU_CYCLE_1) | instskip(NEXT) | instid1(SALU_CYCLE_1)
	s_add_i32 s3, s3, s14
	s_mul_i32 s2, s3, s2
	s_delay_alu instid0(SALU_CYCLE_1) | instskip(NEXT) | instid1(SALU_CYCLE_1)
	s_add_i32 s2, s2, s13
	s_cmp_ge_u32 s2, s4
	s_cbranch_scc1 .LBB179_42
; %bb.1:
	s_load_b64 s[16:17], s[0:1], 0x510
	s_mov_b32 s19, 0
	s_waitcnt lgkmcnt(0)
	v_cvt_f32_u32_e32 v1, s17
	s_sub_i32 s4, 0, s17
	s_lshl_b32 s33, s16, 8
	s_delay_alu instid0(VALU_DEP_1) | instskip(SKIP_2) | instid1(VALU_DEP_1)
	v_rcp_iflag_f32_e32 v1, v1
	s_waitcnt_depctr 0xfff
	v_mul_f32_e32 v1, 0x4f7ffffe, v1
	v_cvt_u32_f32_e32 v1, v1
	s_delay_alu instid0(VALU_DEP_1) | instskip(NEXT) | instid1(VALU_DEP_1)
	v_readfirstlane_b32 s3, v1
	s_mul_i32 s4, s4, s3
	s_delay_alu instid0(SALU_CYCLE_1) | instskip(NEXT) | instid1(SALU_CYCLE_1)
	s_mul_hi_u32 s4, s3, s4
	s_add_i32 s3, s3, s4
	s_load_b128 s[4:7], s[0:1], 0x1a0
	s_mul_hi_u32 s3, s2, s3
	s_delay_alu instid0(SALU_CYCLE_1) | instskip(SKIP_2) | instid1(SALU_CYCLE_1)
	s_mul_i32 s8, s3, s17
	s_add_i32 s9, s3, 1
	s_sub_i32 s8, s2, s8
	s_sub_i32 s10, s8, s17
	s_cmp_ge_u32 s8, s17
	s_cselect_b32 s3, s9, s3
	s_cselect_b32 s8, s10, s8
	s_add_i32 s9, s3, 1
	s_cmp_ge_u32 s8, s17
	s_cselect_b32 s18, s9, s3
	s_delay_alu instid0(SALU_CYCLE_1) | instskip(NEXT) | instid1(SALU_CYCLE_1)
	s_mul_i32 s30, s18, s17
	s_sub_i32 s38, s2, s30
	s_delay_alu instid0(SALU_CYCLE_1) | instskip(NEXT) | instid1(SALU_CYCLE_1)
	s_add_i32 s2, s38, 1
	s_cmp_lt_u32 s2, s17
	s_cbranch_scc1 .LBB179_3
; %bb.2:
	s_mul_i32 s2, s38, s33
	s_waitcnt lgkmcnt(0)
	s_sub_u32 s2, s4, s2
	s_subb_u32 s3, s5, 0
	s_add_u32 s2, s2, 0xff
	s_addc_u32 s3, s3, 0
	s_delay_alu instid0(SALU_CYCLE_1) | instskip(NEXT) | instid1(SALU_CYCLE_1)
	s_ashr_i32 s8, s3, 31
	s_lshr_b32 s8, s8, 24
	s_delay_alu instid0(SALU_CYCLE_1) | instskip(SKIP_1) | instid1(SALU_CYCLE_1)
	s_add_u32 s2, s2, s8
	s_addc_u32 s3, s3, 0
	v_alignbit_b32 v1, s3, s2, 8
	s_delay_alu instid0(VALU_DEP_1)
	v_readfirstlane_b32 s16, v1
.LBB179_3:
	s_load_b128 s[8:11], s[0:1], 0x518
	s_lshl_b64 s[2:3], s[18:19], 3
	s_waitcnt lgkmcnt(0)
	s_add_u32 s2, s8, s2
	s_addc_u32 s3, s9, s3
	s_clause 0x3
	s_load_b64 s[22:23], s[0:1], 0x0
	s_load_b64 s[28:29], s[0:1], 0xd0
	;; [unrolled: 1-line block ×5, first 2 shown]
	v_cmp_ne_u32_e64 s2, 0, v0
	v_cmp_eq_u32_e64 s3, 0, v0
	s_delay_alu instid0(VALU_DEP_1)
	s_and_saveexec_b32 s19, s3
	s_cbranch_execz .LBB179_19
; %bb.4:
	s_load_b64 s[8:9], s[0:1], 0x528
	s_mov_b32 s31, 0
	s_mov_b32 s39, 0
	s_lshl_b64 s[34:35], s[30:31], 2
	s_mov_b32 s30, 0
	s_add_u32 s12, s10, s34
	s_addc_u32 s13, s11, s35
	s_waitcnt lgkmcnt(0)
	s_add_u32 s14, s8, s34
	s_addc_u32 s15, s9, s35
	s_cmp_lt_u32 s17, 4
	s_cbranch_scc1 .LBB179_16
; %bb.5:
	s_mov_b32 s40, 0
.LBB179_6:                              ; =>This Inner Loop Header: Depth=1
	s_add_u32 s12, s10, s34
	s_addc_u32 s13, s11, s35
	s_add_u32 s36, s8, s34
	s_load_b128 s[12:15], s[12:13], 0x0
	s_addc_u32 s37, s9, s35
	s_cmp_ge_u32 s40, s38
	s_cbranch_scc0 .LBB179_13
; %bb.7:                                ;   in Loop: Header=BB179_6 Depth=1
	s_add_i32 s41, s40, 1
	s_delay_alu instid0(SALU_CYCLE_1)
	s_cmp_ge_u32 s41, s38
	s_cbranch_scc0 .LBB179_14
.LBB179_8:                              ;   in Loop: Header=BB179_6 Depth=1
	s_add_i32 s41, s41, 1
	s_delay_alu instid0(SALU_CYCLE_1)
	s_cmp_ge_u32 s41, s38
	s_cbranch_scc0 .LBB179_15
.LBB179_9:                              ;   in Loop: Header=BB179_6 Depth=1
	s_add_i32 s41, s41, 1
	s_delay_alu instid0(SALU_CYCLE_1)
	s_cmp_ge_u32 s41, s38
	s_cbranch_scc1 .LBB179_11
.LBB179_10:                             ;   in Loop: Header=BB179_6 Depth=1
	s_load_b32 s36, s[36:37], 0xc
	s_waitcnt lgkmcnt(0)
	s_add_i32 s31, s31, s15
	s_add_i32 s30, s36, s30
.LBB179_11:                             ;   in Loop: Header=BB179_6 Depth=1
	s_waitcnt lgkmcnt(0)
	s_add_i32 s12, s12, s39
	s_delay_alu instid0(SALU_CYCLE_1) | instskip(NEXT) | instid1(SALU_CYCLE_1)
	s_add_i32 s12, s12, s13
	s_add_i32 s12, s12, s14
	s_delay_alu instid0(SALU_CYCLE_1)
	s_add_i32 s39, s12, s15
	s_add_u32 s10, s10, 16
	s_addc_u32 s11, s11, 0
	s_add_u32 s8, s8, 16
	s_addc_u32 s9, s9, 0
	s_add_i32 s37, s41, 4
	s_add_u32 s14, s8, s34
	s_addc_u32 s15, s9, s35
	s_add_u32 s12, s10, s34
	s_addc_u32 s13, s11, s35
	s_add_i32 s36, s41, 1
	s_cmp_ge_u32 s37, s17
	s_cbranch_scc1 .LBB179_17
; %bb.12:                               ;   in Loop: Header=BB179_6 Depth=1
	s_mov_b32 s40, s36
	s_branch .LBB179_6
.LBB179_13:                             ;   in Loop: Header=BB179_6 Depth=1
	s_load_b32 s41, s[36:37], 0x0
	s_waitcnt lgkmcnt(0)
	s_add_i32 s31, s12, s31
	s_add_i32 s30, s41, s30
	s_add_i32 s41, s40, 1
	s_delay_alu instid0(SALU_CYCLE_1)
	s_cmp_ge_u32 s41, s38
	s_cbranch_scc1 .LBB179_8
.LBB179_14:                             ;   in Loop: Header=BB179_6 Depth=1
	s_load_b32 s42, s[36:37], 0x4
	s_waitcnt lgkmcnt(0)
	s_add_i32 s31, s31, s13
	s_add_i32 s30, s42, s30
	;; [unrolled: 1-line block ×3, first 2 shown]
	s_delay_alu instid0(SALU_CYCLE_1)
	s_cmp_ge_u32 s41, s38
	s_cbranch_scc1 .LBB179_9
.LBB179_15:                             ;   in Loop: Header=BB179_6 Depth=1
	s_load_b32 s42, s[36:37], 0x8
	s_waitcnt lgkmcnt(0)
	s_add_i32 s31, s31, s14
	s_add_i32 s30, s42, s30
	;; [unrolled: 1-line block ×3, first 2 shown]
	s_delay_alu instid0(SALU_CYCLE_1)
	s_cmp_ge_u32 s41, s38
	s_cbranch_scc0 .LBB179_10
	s_branch .LBB179_11
.LBB179_16:
	s_mov_b32 s8, 0
	s_delay_alu instid0(SALU_CYCLE_1)
	s_cmp_ge_u32 s8, s17
	s_cbranch_scc0 .LBB179_40
	s_branch .LBB179_18
.LBB179_17:
	s_add_i32 s8, s40, 4
	s_delay_alu instid0(SALU_CYCLE_1)
	s_cmp_ge_u32 s8, s17
	s_cbranch_scc0 .LBB179_40
.LBB179_18:
	v_dual_mov_b32 v1, s30 :: v_dual_mov_b32 v2, s39
	v_dual_mov_b32 v3, s31 :: v_dual_mov_b32 v4, 0
	ds_store_b96 v4, v[1:3] offset:1056
.LBB179_19:
	s_or_b32 exec_lo, exec_lo, s19
	s_clause 0x1
	s_load_b128 s[8:11], s[0:1], 0x1b8
	s_load_b128 s[12:15], s[0:1], 0x360
	s_cmp_eq_u32 s16, 0
	s_waitcnt lgkmcnt(0)
	s_barrier
	buffer_gl0_inv
	s_cbranch_scc1 .LBB179_42
; %bb.20:
	v_cmp_o_f64_e64 s34, s[20:21], s[20:21]
	v_dual_mov_b32 v5, 0 :: v_dual_lshlrev_b32 v8, 3, v0
	s_mul_i32 s17, s29, s18
	s_mul_hi_u32 s29, s28, s18
	s_mul_i32 s28, s28, s18
	s_mul_i32 s27, s27, s18
	s_mul_hi_u32 s31, s26, s18
	s_mul_i32 s26, s26, s18
	;; [unrolled: 3-line block ×3, first 2 shown]
	s_clause 0x1
	s_load_b32 s36, s[0:1], 0x1b0
	s_load_b64 s[18:19], s[0:1], 0x508
	ds_load_b96 v[1:3], v5 offset:1056
	s_add_i32 s29, s29, s17
	s_add_i32 s27, s31, s27
	s_lshl_b64 s[0:1], s[28:29], 3
	s_add_i32 s31, s35, s25
	s_add_u32 s17, s22, s0
	s_addc_u32 s22, s23, s1
	s_lshl_b64 s[0:1], s[26:27], 3
	v_add_nc_u32_e32 v12, -1, v0
	s_add_u32 s23, s10, s0
	s_addc_u32 s24, s11, s1
	s_lshl_b64 s[0:1], s[30:31], 3
	v_lshrrev_b32_e32 v4, 5, v0
	s_add_u32 s14, s14, s0
	s_addc_u32 s15, s15, s1
	s_ashr_i32 s0, s21, 31
	v_lshrrev_b32_e32 v9, 2, v0
	v_mbcnt_lo_u32_b32 v10, -1, 0
	s_or_b32 s1, s0, 0x80000000
	v_add_lshl_u32 v11, v4, v0, 2
	s_waitcnt lgkmcnt(0)
	v_mad_u64_u32 v[6:7], null, s38, s33, v[0:1]
	v_lshrrev_b32_e32 v7, 5, v12
	s_xor_b64 s[0:1], s[0:1], s[20:21]
	v_add_nc_u32_e32 v1, v1, v2
	s_and_b32 s10, s34, exec_lo
	s_cselect_b32 s10, s0, -1
	v_cmp_gt_u32_e64 s0, 32, v0
	s_delay_alu instid0(VALU_DEP_4)
	v_mov_b32_e32 v4, v6
	v_add_lshl_u32 v0, v9, v8, 2
	v_add_lshl_u32 v12, v7, v12, 2
	v_and_b32_e32 v13, 15, v10
	v_bfe_i32 v14, v10, 4, 1
	v_add_nc_u32_e32 v15, -1, v10
	s_cselect_b32 s11, s1, -1
	s_bitcmp1_b32 s36, 0
                                        ; implicit-def: $vgpr6_vgpr7
	s_cselect_b32 s1, -1, 0
	s_branch .LBB179_23
.LBB179_21:                             ;   in Loop: Header=BB179_23 Depth=1
	s_or_b32 exec_lo, exec_lo, s20
	v_add_nc_u32_e32 v1, v2, v1
.LBB179_22:                             ;   in Loop: Header=BB179_23 Depth=1
	v_add_nc_u32_e32 v3, v16, v3
	v_add_nc_u32_e32 v4, 0x100, v4
	s_add_i32 s16, s16, -1
	s_delay_alu instid0(SALU_CYCLE_1)
	s_cmp_lg_u32 s16, 0
	s_cbranch_scc0 .LBB179_42
.LBB179_23:                             ; =>This Inner Loop Header: Depth=1
	v_mov_b32_e32 v2, v5
	v_mov_b32_e32 v8, v5
	s_mov_b32 s20, exec_lo
	v_cmpx_gt_u64_e64 s[4:5], v[4:5]
	s_cbranch_execz .LBB179_25
; %bb.24:                               ;   in Loop: Header=BB179_23 Depth=1
	v_mad_u64_u32 v[6:7], null, v4, s8, 0
	s_delay_alu instid0(VALU_DEP_1) | instskip(NEXT) | instid1(VALU_DEP_1)
	v_mov_b32_e32 v2, v7
	v_mad_u64_u32 v[7:8], null, v4, s9, v[2:3]
	s_delay_alu instid0(VALU_DEP_1) | instskip(NEXT) | instid1(VALU_DEP_1)
	v_lshlrev_b64 v[6:7], 3, v[6:7]
	v_add_co_u32 v6, vcc_lo, s17, v6
	s_delay_alu instid0(VALU_DEP_2) | instskip(SKIP_4) | instid1(VALU_DEP_1)
	v_add_co_ci_u32_e32 v7, vcc_lo, s22, v7, vcc_lo
	global_load_b64 v[6:7], v[6:7], off
	s_waitcnt vmcnt(0)
	v_cmp_o_f64_e32 vcc_lo, v[6:7], v[6:7]
	v_ashrrev_i32_e32 v2, 31, v7
	v_or_b32_e32 v8, 0x80000000, v2
	v_xor_b32_e32 v2, v2, v6
	s_delay_alu instid0(VALU_DEP_2) | instskip(NEXT) | instid1(VALU_DEP_1)
	v_xor_b32_e32 v8, v8, v7
	v_dual_cndmask_b32 v9, -1, v8 :: v_dual_cndmask_b32 v8, -1, v2
	s_delay_alu instid0(VALU_DEP_1) | instskip(SKIP_4) | instid1(VALU_DEP_2)
	v_cmp_lt_u64_e32 vcc_lo, s[10:11], v[8:9]
	v_cndmask_b32_e64 v2, 0, 1, vcc_lo
	v_cmp_gt_u64_e32 vcc_lo, s[10:11], v[8:9]
	v_cndmask_b32_e64 v16, 0, 1, vcc_lo
	v_cmp_eq_u64_e32 vcc_lo, s[10:11], v[8:9]
	v_cndmask_b32_e64 v2, v16, v2, s1
	v_cndmask_b32_e64 v8, 0, 1, vcc_lo
	s_delay_alu instid0(VALU_DEP_2)
	v_and_b32_e32 v2, 1, v2
.LBB179_25:                             ;   in Loop: Header=BB179_23 Depth=1
	s_or_b32 exec_lo, exec_lo, s20
	ds_store_b32 v11, v2
	s_waitcnt lgkmcnt(0)
	s_waitcnt_vscnt null, 0x0
	s_barrier
	buffer_gl0_inv
	s_and_saveexec_b32 s20, s0
	s_cbranch_execz .LBB179_27
; %bb.26:                               ;   in Loop: Header=BB179_23 Depth=1
	ds_load_2addr_b32 v[16:17], v0 offset1:1
	ds_load_2addr_b32 v[18:19], v0 offset0:2 offset1:3
	ds_load_2addr_b32 v[20:21], v0 offset0:4 offset1:5
	;; [unrolled: 1-line block ×3, first 2 shown]
	v_cmp_ne_u32_e32 vcc_lo, 0, v13
	; wave barrier
	s_waitcnt lgkmcnt(3)
	v_add_nc_u32_e32 v9, v17, v16
	s_waitcnt lgkmcnt(2)
	s_delay_alu instid0(VALU_DEP_1) | instskip(SKIP_1) | instid1(VALU_DEP_1)
	v_add3_u32 v9, v9, v18, v19
	s_waitcnt lgkmcnt(1)
	v_add3_u32 v9, v9, v20, v21
	s_waitcnt lgkmcnt(0)
	s_delay_alu instid0(VALU_DEP_1) | instskip(NEXT) | instid1(VALU_DEP_1)
	v_add3_u32 v9, v9, v22, v23
	v_mov_b32_dpp v17, v9 row_shr:1 row_mask:0xf bank_mask:0xf
	s_delay_alu instid0(VALU_DEP_1) | instskip(SKIP_1) | instid1(VALU_DEP_2)
	v_cndmask_b32_e32 v17, 0, v17, vcc_lo
	v_cmp_lt_u32_e32 vcc_lo, 1, v13
	v_add_nc_u32_e32 v9, v17, v9
	s_delay_alu instid0(VALU_DEP_1) | instskip(NEXT) | instid1(VALU_DEP_1)
	v_mov_b32_dpp v17, v9 row_shr:2 row_mask:0xf bank_mask:0xf
	v_cndmask_b32_e32 v17, 0, v17, vcc_lo
	v_cmp_lt_u32_e32 vcc_lo, 3, v13
	s_delay_alu instid0(VALU_DEP_2) | instskip(NEXT) | instid1(VALU_DEP_1)
	v_add_nc_u32_e32 v9, v9, v17
	v_mov_b32_dpp v17, v9 row_shr:4 row_mask:0xf bank_mask:0xf
	s_delay_alu instid0(VALU_DEP_1) | instskip(SKIP_1) | instid1(VALU_DEP_2)
	v_cndmask_b32_e32 v17, 0, v17, vcc_lo
	v_cmp_lt_u32_e32 vcc_lo, 7, v13
	v_add_nc_u32_e32 v9, v9, v17
	s_delay_alu instid0(VALU_DEP_1) | instskip(NEXT) | instid1(VALU_DEP_1)
	v_mov_b32_dpp v17, v9 row_shr:8 row_mask:0xf bank_mask:0xf
	v_cndmask_b32_e32 v17, 0, v17, vcc_lo
	v_cmp_gt_i32_e32 vcc_lo, 0, v15
	s_delay_alu instid0(VALU_DEP_2) | instskip(SKIP_4) | instid1(VALU_DEP_1)
	v_dual_cndmask_b32 v18, v15, v10 :: v_dual_add_nc_u32 v9, v9, v17
	ds_swizzle_b32 v17, v9 offset:swizzle(BROADCAST,32,15)
	v_lshlrev_b32_e32 v18, 2, v18
	s_waitcnt lgkmcnt(0)
	v_and_b32_e32 v17, v14, v17
	v_add_nc_u32_e32 v9, v9, v17
	ds_bpermute_b32 v9, v18, v9
	s_waitcnt lgkmcnt(0)
	v_add_nc_u32_e32 v9, v9, v16
	s_delay_alu instid0(VALU_DEP_1)
	v_cndmask_b32_e64 v9, v9, v2, s3
	ds_store_b32 v0, v9
	; wave barrier
	ds_load_2addr_b32 v[16:17], v0 offset0:1 offset1:2
	ds_load_2addr_b32 v[18:19], v0 offset0:3 offset1:4
	;; [unrolled: 1-line block ×3, first 2 shown]
	ds_load_b32 v22, v0 offset:28
	s_waitcnt lgkmcnt(3)
	v_add_nc_u32_e32 v9, v16, v9
	s_delay_alu instid0(VALU_DEP_1) | instskip(SKIP_1) | instid1(VALU_DEP_1)
	v_add_nc_u32_e32 v16, v17, v9
	s_waitcnt lgkmcnt(2)
	v_add_nc_u32_e32 v17, v18, v16
	s_delay_alu instid0(VALU_DEP_1) | instskip(SKIP_1) | instid1(VALU_DEP_1)
	v_add_nc_u32_e32 v18, v19, v17
	;; [unrolled: 4-line block ×3, first 2 shown]
	s_waitcnt lgkmcnt(0)
	v_add_nc_u32_e32 v21, v22, v20
	ds_store_2addr_b32 v0, v9, v16 offset0:1 offset1:2
	ds_store_2addr_b32 v0, v17, v18 offset0:3 offset1:4
	;; [unrolled: 1-line block ×3, first 2 shown]
	ds_store_b32 v0, v21 offset:28
.LBB179_27:                             ;   in Loop: Header=BB179_23 Depth=1
	s_or_b32 exec_lo, exec_lo, s20
	v_mov_b32_e32 v9, 0
	s_waitcnt lgkmcnt(0)
	s_barrier
	buffer_gl0_inv
	s_and_saveexec_b32 s20, s2
	s_cbranch_execz .LBB179_29
; %bb.28:                               ;   in Loop: Header=BB179_23 Depth=1
	ds_load_b32 v9, v12
.LBB179_29:                             ;   in Loop: Header=BB179_23 Depth=1
	s_or_b32 exec_lo, exec_lo, s20
	ds_load_b32 v16, v5 offset:1048
	s_mov_b32 s20, exec_lo
	s_waitcnt lgkmcnt(0)
	s_barrier
	buffer_gl0_inv
	v_cmpx_ne_u32_e32 0, v2
	s_cbranch_execz .LBB179_31
; %bb.30:                               ;   in Loop: Header=BB179_23 Depth=1
	v_add_nc_u32_e32 v23, v9, v3
	s_delay_alu instid0(VALU_DEP_1) | instskip(NEXT) | instid1(VALU_DEP_1)
	v_mad_u64_u32 v[17:18], null, v23, s12, 0
	v_mov_b32_e32 v2, v18
	v_mad_u64_u32 v[19:20], null, v23, s18, 0
	s_delay_alu instid0(VALU_DEP_1) | instskip(NEXT) | instid1(VALU_DEP_3)
	v_mov_b32_e32 v9, v20
	v_mad_u64_u32 v[20:21], null, v23, s13, v[2:3]
	s_delay_alu instid0(VALU_DEP_2) | instskip(NEXT) | instid1(VALU_DEP_2)
	v_mad_u64_u32 v[21:22], null, v23, s19, v[9:10]
	v_mov_b32_e32 v18, v20
	s_delay_alu instid0(VALU_DEP_2) | instskip(NEXT) | instid1(VALU_DEP_2)
	v_mov_b32_e32 v20, v21
	v_lshlrev_b64 v[17:18], 3, v[17:18]
	s_delay_alu instid0(VALU_DEP_2) | instskip(NEXT) | instid1(VALU_DEP_2)
	v_lshlrev_b64 v[19:20], 3, v[19:20]
	v_add_co_u32 v17, vcc_lo, s23, v17
	s_delay_alu instid0(VALU_DEP_3) | instskip(NEXT) | instid1(VALU_DEP_3)
	v_add_co_ci_u32_e32 v18, vcc_lo, s24, v18, vcc_lo
	v_add_co_u32 v19, vcc_lo, s14, v19
	s_delay_alu instid0(VALU_DEP_4)
	v_add_co_ci_u32_e32 v20, vcc_lo, s15, v20, vcc_lo
	global_store_b64 v[17:18], v[6:7], off
	global_store_b64 v[19:20], v[4:5], off
.LBB179_31:                             ;   in Loop: Header=BB179_23 Depth=1
	s_or_b32 exec_lo, exec_lo, s20
	v_mov_b32_e32 v2, v5
	s_delay_alu instid0(VALU_DEP_1)
	v_cmp_le_u64_e32 vcc_lo, s[6:7], v[1:2]
	s_cbranch_vccnz .LBB179_22
; %bb.32:                               ;   in Loop: Header=BB179_23 Depth=1
	ds_store_b32 v11, v8
	s_waitcnt lgkmcnt(0)
	s_waitcnt_vscnt null, 0x0
	s_barrier
	buffer_gl0_inv
	s_and_saveexec_b32 s20, s0
	s_cbranch_execz .LBB179_34
; %bb.33:                               ;   in Loop: Header=BB179_23 Depth=1
	ds_load_2addr_b32 v[17:18], v0 offset1:1
	ds_load_2addr_b32 v[19:20], v0 offset0:2 offset1:3
	ds_load_2addr_b32 v[21:22], v0 offset0:4 offset1:5
	;; [unrolled: 1-line block ×3, first 2 shown]
	v_cmp_ne_u32_e32 vcc_lo, 0, v13
	; wave barrier
	s_waitcnt lgkmcnt(3)
	v_add_nc_u32_e32 v2, v18, v17
	s_waitcnt lgkmcnt(2)
	s_delay_alu instid0(VALU_DEP_1) | instskip(SKIP_1) | instid1(VALU_DEP_1)
	v_add3_u32 v2, v2, v19, v20
	s_waitcnt lgkmcnt(1)
	v_add3_u32 v2, v2, v21, v22
	s_waitcnt lgkmcnt(0)
	s_delay_alu instid0(VALU_DEP_1) | instskip(NEXT) | instid1(VALU_DEP_1)
	v_add3_u32 v2, v2, v23, v24
	v_mov_b32_dpp v9, v2 row_shr:1 row_mask:0xf bank_mask:0xf
	s_delay_alu instid0(VALU_DEP_1) | instskip(SKIP_1) | instid1(VALU_DEP_2)
	v_cndmask_b32_e32 v9, 0, v9, vcc_lo
	v_cmp_lt_u32_e32 vcc_lo, 1, v13
	v_add_nc_u32_e32 v2, v9, v2
	s_delay_alu instid0(VALU_DEP_1) | instskip(NEXT) | instid1(VALU_DEP_1)
	v_mov_b32_dpp v9, v2 row_shr:2 row_mask:0xf bank_mask:0xf
	v_cndmask_b32_e32 v9, 0, v9, vcc_lo
	v_cmp_lt_u32_e32 vcc_lo, 3, v13
	s_delay_alu instid0(VALU_DEP_2) | instskip(NEXT) | instid1(VALU_DEP_1)
	v_add_nc_u32_e32 v2, v2, v9
	v_mov_b32_dpp v9, v2 row_shr:4 row_mask:0xf bank_mask:0xf
	s_delay_alu instid0(VALU_DEP_1) | instskip(SKIP_1) | instid1(VALU_DEP_2)
	v_cndmask_b32_e32 v9, 0, v9, vcc_lo
	v_cmp_lt_u32_e32 vcc_lo, 7, v13
	v_add_nc_u32_e32 v2, v2, v9
	s_delay_alu instid0(VALU_DEP_1) | instskip(NEXT) | instid1(VALU_DEP_1)
	v_mov_b32_dpp v9, v2 row_shr:8 row_mask:0xf bank_mask:0xf
	v_cndmask_b32_e32 v9, 0, v9, vcc_lo
	v_cmp_gt_i32_e32 vcc_lo, 0, v15
	s_delay_alu instid0(VALU_DEP_2)
	v_add_nc_u32_e32 v2, v2, v9
	v_cndmask_b32_e32 v18, v15, v10, vcc_lo
	ds_swizzle_b32 v9, v2 offset:swizzle(BROADCAST,32,15)
	v_lshlrev_b32_e32 v18, 2, v18
	s_waitcnt lgkmcnt(0)
	v_and_b32_e32 v9, v14, v9
	s_delay_alu instid0(VALU_DEP_1) | instskip(SKIP_3) | instid1(VALU_DEP_1)
	v_add_nc_u32_e32 v2, v2, v9
	ds_bpermute_b32 v2, v18, v2
	s_waitcnt lgkmcnt(0)
	v_add_nc_u32_e32 v2, v2, v17
	v_cndmask_b32_e64 v2, v2, v8, s3
	ds_store_b32 v0, v2
	; wave barrier
	ds_load_2addr_b32 v[17:18], v0 offset0:1 offset1:2
	ds_load_2addr_b32 v[19:20], v0 offset0:3 offset1:4
	ds_load_2addr_b32 v[21:22], v0 offset0:5 offset1:6
	ds_load_b32 v9, v0 offset:28
	s_waitcnt lgkmcnt(3)
	v_add_nc_u32_e32 v2, v17, v2
	s_delay_alu instid0(VALU_DEP_1) | instskip(SKIP_1) | instid1(VALU_DEP_1)
	v_add_nc_u32_e32 v17, v18, v2
	s_waitcnt lgkmcnt(2)
	v_add_nc_u32_e32 v18, v19, v17
	s_delay_alu instid0(VALU_DEP_1) | instskip(SKIP_1) | instid1(VALU_DEP_1)
	v_add_nc_u32_e32 v19, v20, v18
	;; [unrolled: 4-line block ×3, first 2 shown]
	s_waitcnt lgkmcnt(0)
	v_add_nc_u32_e32 v9, v9, v21
	ds_store_2addr_b32 v0, v2, v17 offset0:1 offset1:2
	ds_store_2addr_b32 v0, v18, v19 offset0:3 offset1:4
	ds_store_2addr_b32 v0, v20, v21 offset0:5 offset1:6
	ds_store_b32 v0, v9 offset:28
.LBB179_34:                             ;   in Loop: Header=BB179_23 Depth=1
	s_or_b32 exec_lo, exec_lo, s20
	v_mov_b32_e32 v9, 0
	s_waitcnt lgkmcnt(0)
	s_barrier
	buffer_gl0_inv
	s_and_saveexec_b32 s20, s2
	s_cbranch_execz .LBB179_36
; %bb.35:                               ;   in Loop: Header=BB179_23 Depth=1
	ds_load_b32 v9, v12
.LBB179_36:                             ;   in Loop: Header=BB179_23 Depth=1
	s_or_b32 exec_lo, exec_lo, s20
	ds_load_b32 v2, v5 offset:1048
	s_mov_b32 s20, exec_lo
	s_waitcnt lgkmcnt(0)
	s_barrier
	buffer_gl0_inv
	v_cmpx_ne_u32_e32 0, v8
	s_cbranch_execz .LBB179_21
; %bb.37:                               ;   in Loop: Header=BB179_23 Depth=1
	v_add_nc_u32_e32 v8, v9, v1
	v_mov_b32_e32 v9, v5
	s_delay_alu instid0(VALU_DEP_1)
	v_cmp_gt_u64_e32 vcc_lo, s[6:7], v[8:9]
	s_and_b32 exec_lo, exec_lo, vcc_lo
	s_cbranch_execz .LBB179_21
; %bb.38:                               ;   in Loop: Header=BB179_23 Depth=1
	v_mad_u64_u32 v[17:18], null, v8, s12, 0
	v_mad_u64_u32 v[19:20], null, v8, s18, 0
	s_delay_alu instid0(VALU_DEP_1) | instskip(NEXT) | instid1(VALU_DEP_1)
	v_dual_mov_b32 v9, v18 :: v_dual_mov_b32 v18, v20
	v_mad_u64_u32 v[20:21], null, v8, s13, v[9:10]
	s_delay_alu instid0(VALU_DEP_2) | instskip(NEXT) | instid1(VALU_DEP_2)
	v_mad_u64_u32 v[21:22], null, v8, s19, v[18:19]
	v_mov_b32_e32 v18, v20
	s_delay_alu instid0(VALU_DEP_2) | instskip(NEXT) | instid1(VALU_DEP_2)
	v_mov_b32_e32 v20, v21
	v_lshlrev_b64 v[8:9], 3, v[17:18]
	s_delay_alu instid0(VALU_DEP_2) | instskip(NEXT) | instid1(VALU_DEP_2)
	v_lshlrev_b64 v[17:18], 3, v[19:20]
	v_add_co_u32 v8, vcc_lo, s23, v8
	s_delay_alu instid0(VALU_DEP_3) | instskip(NEXT) | instid1(VALU_DEP_3)
	v_add_co_ci_u32_e32 v9, vcc_lo, s24, v9, vcc_lo
	v_add_co_u32 v17, vcc_lo, s14, v17
	s_delay_alu instid0(VALU_DEP_4)
	v_add_co_ci_u32_e32 v18, vcc_lo, s15, v18, vcc_lo
	global_store_b64 v[8:9], v[6:7], off
	global_store_b64 v[17:18], v[4:5], off
	s_branch .LBB179_21
	.p2align	6
.LBB179_39:                             ;   in Loop: Header=BB179_40 Depth=1
	s_add_u32 s12, s12, 4
	s_addc_u32 s13, s13, 0
	s_waitcnt lgkmcnt(0)
	s_add_i32 s39, s9, s39
	s_add_u32 s14, s14, 4
	s_addc_u32 s15, s15, 0
	s_add_i32 s8, s8, 1
	s_delay_alu instid0(SALU_CYCLE_1)
	s_cmp_lt_u32 s8, s17
	s_cbranch_scc0 .LBB179_18
.LBB179_40:                             ; =>This Inner Loop Header: Depth=1
	s_load_b32 s9, s[12:13], 0x0
	s_cmp_ge_u32 s8, s38
	s_cbranch_scc1 .LBB179_39
; %bb.41:                               ;   in Loop: Header=BB179_40 Depth=1
	s_load_b32 s10, s[14:15], 0x0
	s_waitcnt lgkmcnt(0)
	s_add_i32 s31, s9, s31
	s_add_i32 s30, s10, s30
	s_branch .LBB179_39
.LBB179_42:
	s_nop 0
	s_sendmsg sendmsg(MSG_DEALLOC_VGPRS)
	s_endpgm
	.section	.rodata,"a",@progbits
	.p2align	6, 0x0
	.amdhsa_kernel _ZN2at6native6mbtopk10gatherTopKIdmLi1EEEvNS_4cuda6detail10TensorInfoIKT_T0_EES8_S8_bjS8_NS5_IS6_S8_EES8_NS5_IlS8_EES8_jjPS6_PjSD_j
		.amdhsa_group_segment_fixed_size 1068
		.amdhsa_private_segment_fixed_size 0
		.amdhsa_kernarg_size 1592
		.amdhsa_user_sgpr_count 13
		.amdhsa_user_sgpr_dispatch_ptr 0
		.amdhsa_user_sgpr_queue_ptr 0
		.amdhsa_user_sgpr_kernarg_segment_ptr 1
		.amdhsa_user_sgpr_dispatch_id 0
		.amdhsa_user_sgpr_private_segment_size 0
		.amdhsa_wavefront_size32 1
		.amdhsa_uses_dynamic_stack 0
		.amdhsa_enable_private_segment 0
		.amdhsa_system_sgpr_workgroup_id_x 1
		.amdhsa_system_sgpr_workgroup_id_y 1
		.amdhsa_system_sgpr_workgroup_id_z 1
		.amdhsa_system_sgpr_workgroup_info 0
		.amdhsa_system_vgpr_workitem_id 0
		.amdhsa_next_free_vgpr 25
		.amdhsa_next_free_sgpr 43
		.amdhsa_reserve_vcc 1
		.amdhsa_float_round_mode_32 0
		.amdhsa_float_round_mode_16_64 0
		.amdhsa_float_denorm_mode_32 3
		.amdhsa_float_denorm_mode_16_64 3
		.amdhsa_dx10_clamp 1
		.amdhsa_ieee_mode 1
		.amdhsa_fp16_overflow 0
		.amdhsa_workgroup_processor_mode 1
		.amdhsa_memory_ordered 1
		.amdhsa_forward_progress 0
		.amdhsa_shared_vgpr_count 0
		.amdhsa_exception_fp_ieee_invalid_op 0
		.amdhsa_exception_fp_denorm_src 0
		.amdhsa_exception_fp_ieee_div_zero 0
		.amdhsa_exception_fp_ieee_overflow 0
		.amdhsa_exception_fp_ieee_underflow 0
		.amdhsa_exception_fp_ieee_inexact 0
		.amdhsa_exception_int_div_zero 0
	.end_amdhsa_kernel
	.section	.text._ZN2at6native6mbtopk10gatherTopKIdmLi1EEEvNS_4cuda6detail10TensorInfoIKT_T0_EES8_S8_bjS8_NS5_IS6_S8_EES8_NS5_IlS8_EES8_jjPS6_PjSD_j,"axG",@progbits,_ZN2at6native6mbtopk10gatherTopKIdmLi1EEEvNS_4cuda6detail10TensorInfoIKT_T0_EES8_S8_bjS8_NS5_IS6_S8_EES8_NS5_IlS8_EES8_jjPS6_PjSD_j,comdat
.Lfunc_end179:
	.size	_ZN2at6native6mbtopk10gatherTopKIdmLi1EEEvNS_4cuda6detail10TensorInfoIKT_T0_EES8_S8_bjS8_NS5_IS6_S8_EES8_NS5_IlS8_EES8_jjPS6_PjSD_j, .Lfunc_end179-_ZN2at6native6mbtopk10gatherTopKIdmLi1EEEvNS_4cuda6detail10TensorInfoIKT_T0_EES8_S8_bjS8_NS5_IS6_S8_EES8_NS5_IlS8_EES8_jjPS6_PjSD_j
                                        ; -- End function
	.section	.AMDGPU.csdata,"",@progbits
; Kernel info:
; codeLenInByte = 2712
; NumSgprs: 45
; NumVgprs: 25
; ScratchSize: 0
; MemoryBound: 0
; FloatMode: 240
; IeeeMode: 1
; LDSByteSize: 1068 bytes/workgroup (compile time only)
; SGPRBlocks: 5
; VGPRBlocks: 3
; NumSGPRsForWavesPerEU: 45
; NumVGPRsForWavesPerEU: 25
; Occupancy: 16
; WaveLimiterHint : 1
; COMPUTE_PGM_RSRC2:SCRATCH_EN: 0
; COMPUTE_PGM_RSRC2:USER_SGPR: 13
; COMPUTE_PGM_RSRC2:TRAP_HANDLER: 0
; COMPUTE_PGM_RSRC2:TGID_X_EN: 1
; COMPUTE_PGM_RSRC2:TGID_Y_EN: 1
; COMPUTE_PGM_RSRC2:TGID_Z_EN: 1
; COMPUTE_PGM_RSRC2:TIDIG_COMP_CNT: 0
	.section	.text._ZN2at6native6sbtopk10gatherTopKIdmLi1ELb0EEEvNS_4cuda6detail10TensorInfoIKT_T0_EES8_S8_bS8_S8_NS5_IS6_S8_EES8_NS5_IlS8_EES8_PS6_,"axG",@progbits,_ZN2at6native6sbtopk10gatherTopKIdmLi1ELb0EEEvNS_4cuda6detail10TensorInfoIKT_T0_EES8_S8_bS8_S8_NS5_IS6_S8_EES8_NS5_IlS8_EES8_PS6_,comdat
	.protected	_ZN2at6native6sbtopk10gatherTopKIdmLi1ELb0EEEvNS_4cuda6detail10TensorInfoIKT_T0_EES8_S8_bS8_S8_NS5_IS6_S8_EES8_NS5_IlS8_EES8_PS6_ ; -- Begin function _ZN2at6native6sbtopk10gatherTopKIdmLi1ELb0EEEvNS_4cuda6detail10TensorInfoIKT_T0_EES8_S8_bS8_S8_NS5_IS6_S8_EES8_NS5_IlS8_EES8_PS6_
	.globl	_ZN2at6native6sbtopk10gatherTopKIdmLi1ELb0EEEvNS_4cuda6detail10TensorInfoIKT_T0_EES8_S8_bS8_S8_NS5_IS6_S8_EES8_NS5_IlS8_EES8_PS6_
	.p2align	8
	.type	_ZN2at6native6sbtopk10gatherTopKIdmLi1ELb0EEEvNS_4cuda6detail10TensorInfoIKT_T0_EES8_S8_bS8_S8_NS5_IS6_S8_EES8_NS5_IlS8_EES8_PS6_,@function
_ZN2at6native6sbtopk10gatherTopKIdmLi1ELb0EEEvNS_4cuda6detail10TensorInfoIKT_T0_EES8_S8_bS8_S8_NS5_IS6_S8_EES8_NS5_IlS8_EES8_PS6_: ; @_ZN2at6native6sbtopk10gatherTopKIdmLi1ELb0EEEvNS_4cuda6detail10TensorInfoIKT_T0_EES8_S8_bS8_S8_NS5_IS6_S8_EES8_NS5_IlS8_EES8_PS6_
; %bb.0:
	s_clause 0x1
	s_load_b64 s[10:11], s[0:1], 0x520
	s_load_b128 s[36:39], s[0:1], 0x1b8
	s_add_u32 s8, s0, 0x520
	s_addc_u32 s9, s1, 0
	s_mov_b32 s43, 0
	s_waitcnt lgkmcnt(0)
	s_mul_i32 s2, s11, s15
	s_delay_alu instid0(SALU_CYCLE_1) | instskip(NEXT) | instid1(SALU_CYCLE_1)
	s_add_i32 s2, s2, s14
	s_mul_i32 s2, s2, s10
	s_delay_alu instid0(SALU_CYCLE_1) | instskip(NEXT) | instid1(SALU_CYCLE_1)
	s_add_i32 s42, s2, s13
	v_cmp_ge_u64_e64 s2, s[42:43], s[36:37]
	s_delay_alu instid0(VALU_DEP_1)
	s_and_b32 vcc_lo, exec_lo, s2
	s_cbranch_vccnz .LBB180_542
; %bb.1:
	s_clause 0x1
	s_load_b64 s[48:49], s[0:1], 0x440
	s_load_b64 s[2:3], s[0:1], 0x370
                                        ; implicit-def: $vgpr59 : SGPR spill to VGPR lane
	v_cmp_eq_u32_e64 s5, 0, v0
	s_waitcnt lgkmcnt(0)
	v_writelane_b32 v59, s2, 0
	v_writelane_b32 v59, s3, 1
	s_clause 0x2
	s_load_b64 s[50:51], s[0:1], 0x298
	s_load_b128 s[28:31], s[0:1], 0x1a0
	s_load_b64 s[2:3], s[0:1], 0x1c8
	s_waitcnt lgkmcnt(0)
	v_writelane_b32 v59, s2, 2
	v_writelane_b32 v59, s3, 3
	s_clause 0x1
	s_load_b64 s[2:3], s[0:1], 0xd0
	s_load_b64 s[36:37], s[0:1], 0x0
	s_and_saveexec_b32 s4, s5
	s_cbranch_execz .LBB180_3
; %bb.2:
	v_dual_mov_b32 v1, 0 :: v_dual_mov_b32 v4, s29
	s_delay_alu instid0(VALU_DEP_1)
	v_dual_mov_b32 v3, s28 :: v_dual_mov_b32 v2, v1
	ds_store_b32 v1, v1 offset:5144
	ds_store_b128 v1, v[1:4] offset:5120
.LBB180_3:
	s_or_b32 exec_lo, exec_lo, s4
	v_mad_u64_u32 v[2:3], null, v0, s38, 0
	s_load_b32 s4, s[0:1], 0x1b0
	v_lshrrev_b32_e32 v6, 3, v0
	v_mov_b32_e32 v19, 0
	s_waitcnt lgkmcnt(0)
	s_mul_i32 s3, s3, s42
	s_mul_hi_u32 s6, s2, s42
	v_mbcnt_lo_u32_b32 v44, -1, 0
	v_dual_mov_b32 v1, v3 :: v_dual_and_b32 v46, 0x7c, v6
	v_lshlrev_b32_e32 v20, 2, v0
	s_mul_i32 s2, s2, s42
	v_lshlrev_b32_e32 v48, 5, v0
	s_delay_alu instid0(VALU_DEP_3)
	v_mad_u64_u32 v[3:4], null, v0, s39, v[1:2]
	v_mov_b32_e32 v1, v19
	s_barrier
	buffer_gl0_inv
	s_add_i32 s3, s6, s3
	s_load_b32 s7, s[8:9], 0xc
	s_lshl_b64 s[40:41], s[2:3], 3
	v_lshlrev_b64 v[4:5], 3, v[2:3]
	v_cmp_gt_u32_e32 vcc_lo, 32, v0
	v_cmp_gt_i32_e64 s3, 4, v44
	v_or_b32_e32 v9, 24, v48
	v_or_b32_e32 v10, 16, v48
	s_add_u32 s52, s36, s40
	s_addc_u32 s53, s37, s41
	s_bitcmp1_b32 s4, 0
	v_mad_u64_u32 v[22:23], null, s38, v9, 0
	s_cselect_b32 s4, -1, 0
	s_and_b32 s74, vcc_lo, s3
	v_add_co_u32 v16, vcc_lo, s52, v4
	v_mad_u64_u32 v[24:25], null, s38, v10, 0
	v_add_co_ci_u32_e32 v17, vcc_lo, s53, v5, vcc_lo
	v_lshlrev_b64 v[4:5], v44, -1
	v_or_b32_e32 v11, 8, v48
	v_lshlrev_b32_e32 v45, 3, v0
	s_waitcnt lgkmcnt(0)
	s_and_b32 s33, s7, 0xffff
	v_mov_b32_e32 v5, v25
	s_xor_b32 s43, s4, -1
	v_mad_u64_u32 v[26:27], null, s38, v11, 0
	v_not_b32_e32 v43, v4
	v_mov_b32_e32 v4, v23
	s_bfe_u32 s11, s7, 0xb0005
	s_add_u32 s76, s33, -1
	s_addc_u32 s77, 0, -1
	s_delay_alu instid0(VALU_DEP_3)
	v_dual_mov_b32 v6, v27 :: v_dual_add_nc_u32 v47, 0xc00, v45
	v_mad_u64_u32 v[7:8], null, s39, v9, v[4:5]
	s_add_u32 s78, s76, s28
	s_addc_u32 s27, s77, s29
	s_cmp_lt_u32 s13, s10
	v_mad_u64_u32 v[8:9], null, s39, v10, v[5:6]
	s_cselect_b32 s10, 12, 18
	s_delay_alu instid0(VALU_DEP_2)
	v_mad_u64_u32 v[4:5], null, s39, v11, v[6:7]
	s_add_u32 s56, s8, s10
	s_addc_u32 s57, s9, 0
	s_add_i32 s8, s11, -1
	v_mov_b32_e32 v31, 0
	v_dual_mov_b32 v21, v19 :: v_dual_mov_b32 v32, 0
	s_bfe_u32 s79, s33, 0x30005
	s_cmp_gt_u32 s8, 6
	v_cmp_lt_u64_e64 s75, 0x180, s[28:29]
	s_cselect_b32 s80, -1, 0
	s_and_b32 s81, s11, 0x7f8
	v_cmp_gt_u64_e64 s3, s[28:29], v[0:1]
	s_cmp_lg_u32 s79, 0
	v_cmp_gt_u16_e64 s82, s7, 31
	v_dual_mov_b32 v23, v7 :: v_dual_mov_b32 v34, s31
	v_lshlrev_b64 v[27:28], 5, v[2:3]
	s_mul_i32 s7, s39, s33
	s_mul_hi_u32 s8, s38, s33
	v_dual_mov_b32 v6, 0 :: v_dual_mov_b32 v29, v31
	v_cmp_eq_u32_e64 s2, 0, v44
	v_cmp_gt_u32_e64 s6, 2, v0
	v_mov_b32_e32 v25, v8
	v_mov_b32_e32 v49, v4
	v_lshl_or_b32 v50, v44, 3, 0xc00
	v_dual_mov_b32 v7, 0 :: v_dual_mov_b32 v30, v32
	v_mov_b32_e32 v33, s30
	v_mov_b32_e32 v3, 0x3ff00000
	s_cselect_b32 s83, -1, 0
	s_add_i32 s9, s8, s7
	s_mul_i32 s8, s38, s33
	s_mov_b32 s55, 0
	s_lshl_b64 s[58:59], s[38:39], 3
	s_lshl_b64 s[60:61], s[38:39], 5
	s_lshl_b32 s84, s33, 3
	s_lshl_b64 s[34:35], s[8:9], 3
	s_mov_b32 s91, 62
	s_mov_b32 s85, 0
	;; [unrolled: 1-line block ×3, first 2 shown]
                                        ; implicit-def: $sgpr86
                                        ; implicit-def: $sgpr90
                                        ; implicit-def: $sgpr89
                                        ; implicit-def: $sgpr92
                                        ; implicit-def: $sgpr88
                                        ; implicit-def: $sgpr93
                                        ; implicit-def: $sgpr95
                                        ; implicit-def: $sgpr94
                                        ; implicit-def: $sgpr96
                                        ; implicit-def: $sgpr97
	s_branch .LBB180_6
.LBB180_4:                              ;   in Loop: Header=BB180_6 Depth=1
	s_or_b32 exec_lo, exec_lo, s10
	v_dual_mov_b32 v30, v15 :: v_dual_mov_b32 v29, v14
	v_dual_mov_b32 v32, v13 :: v_dual_mov_b32 v31, v12
	;; [unrolled: 1-line block ×4, first 2 shown]
	s_and_not1_b32 s10, s97, exec_lo
	s_and_b32 s9, s9, exec_lo
	s_and_not1_b32 s96, s96, exec_lo
	s_or_b32 s97, s10, s9
	s_and_not1_b32 s94, s94, exec_lo
	s_and_not1_b32 s95, s95, exec_lo
	;; [unrolled: 1-line block ×3, first 2 shown]
	s_or_not1_b32 s8, s8, exec_lo
.LBB180_5:                              ;   in Loop: Header=BB180_6 Depth=1
	s_or_b32 exec_lo, exec_lo, s7
	s_delay_alu instid0(SALU_CYCLE_1) | instskip(NEXT) | instid1(SALU_CYCLE_1)
	s_and_b32 s7, exec_lo, s8
	s_or_b32 s85, s7, s85
	s_and_not1_b32 s7, s88, exec_lo
	s_and_b32 s8, s97, exec_lo
	s_and_not1_b32 s9, s92, exec_lo
	s_or_b32 s88, s7, s8
	s_and_b32 s7, s96, exec_lo
	s_and_not1_b32 s8, s89, exec_lo
	s_and_b32 s10, s94, exec_lo
	s_or_b32 s92, s9, s7
	s_or_b32 s89, s8, s10
	s_and_not1_b32 s7, s90, exec_lo
	s_and_b32 s8, s95, exec_lo
	s_and_not1_b32 s9, s86, exec_lo
	s_and_b32 s10, s93, exec_lo
	s_or_b32 s90, s7, s8
	s_or_b32 s86, s9, s10
	s_and_not1_b32 exec_lo, exec_lo, s85
	s_cbranch_execz .LBB180_478
.LBB180_6:                              ; =>This Loop Header: Depth=1
                                        ;     Child Loop BB180_14 Depth 2
                                        ;     Child Loop BB180_32 Depth 2
	;; [unrolled: 1-line block ×24, first 2 shown]
	ds_load_b128 v[8:11], v19 offset:5120
	s_waitcnt lgkmcnt(0)
	v_readfirstlane_b32 s63, v9
	v_readfirstlane_b32 s62, v8
	s_delay_alu instid0(VALU_DEP_1)
	s_cmp_lg_u64 s[62:63], 0
	s_cbranch_scc1 .LBB180_39
; %bb.7:                                ;   in Loop: Header=BB180_6 Depth=1
	s_and_b32 vcc_lo, exec_lo, s75
	s_cbranch_vccz .LBB180_22
; %bb.8:                                ;   in Loop: Header=BB180_6 Depth=1
	v_cmp_gt_u64_e32 vcc_lo, 0x181, v[10:11]
	s_mov_b32 s9, 0
	s_mov_b32 s7, 0
	s_cbranch_vccz .LBB180_23
; %bb.9:                                ;   in Loop: Header=BB180_6 Depth=1
	v_mov_b32_e32 v4, 0
	v_mov_b32_e32 v5, 0
	s_and_saveexec_b32 s7, s3
	s_cbranch_execz .LBB180_11
; %bb.10:                               ;   in Loop: Header=BB180_6 Depth=1
	global_load_b64 v[4:5], v[16:17], off
.LBB180_11:                             ;   in Loop: Header=BB180_6 Depth=1
	s_or_b32 exec_lo, exec_lo, s7
	s_and_saveexec_b32 s10, s3
	s_cbranch_execz .LBB180_24
; %bb.12:                               ;   in Loop: Header=BB180_6 Depth=1
	global_load_u16 v11, v19, s[56:57]
	s_mov_b32 s13, 0
	s_waitcnt vmcnt(0)
	v_readfirstlane_b32 s7, v11
	s_delay_alu instid0(VALU_DEP_1) | instskip(NEXT) | instid1(SALU_CYCLE_1)
	s_and_b32 s7, 0xffff, s7
	v_add_nc_u32_e32 v12, s7, v0
	s_mul_i32 s8, s59, s7
	s_mul_hi_u32 s11, s58, s7
	s_mul_i32 s12, s58, s7
	s_add_i32 s11, s11, s8
	v_mad_u64_u32 v[8:9], null, s58, v12, s[52:53]
	s_delay_alu instid0(VALU_DEP_1) | instskip(NEXT) | instid1(VALU_DEP_1)
	v_mov_b32_e32 v2, v9
	v_mad_u64_u32 v[9:10], null, s59, v12, v[2:3]
	v_dual_mov_b32 v11, v1 :: v_dual_and_b32 v2, 0xffff, v11
	v_mov_b32_e32 v10, v0
	s_branch .LBB180_14
.LBB180_13:                             ;   in Loop: Header=BB180_14 Depth=2
	s_or_b32 exec_lo, exec_lo, s8
	v_add_co_u32 v8, vcc_lo, v8, s12
	v_add_co_ci_u32_e32 v9, vcc_lo, s11, v9, vcc_lo
	s_waitcnt vmcnt(0)
	v_dual_mov_b32 v4, v12 :: v_dual_mov_b32 v5, v13
	s_and_not1_b32 exec_lo, exec_lo, s13
	s_cbranch_execz .LBB180_24
.LBB180_14:                             ;   Parent Loop BB180_6 Depth=1
                                        ; =>  This Inner Loop Header: Depth=2
	s_delay_alu instid0(VALU_DEP_1) | instskip(NEXT) | instid1(VALU_DEP_3)
	v_add_co_u32 v10, vcc_lo, v10, v2
	v_add_co_ci_u32_e32 v11, vcc_lo, 0, v11, vcc_lo
	v_mov_b32_e32 v12, 0
	v_mov_b32_e32 v13, 0
	s_mov_b32 s8, exec_lo
	s_delay_alu instid0(VALU_DEP_3)
	v_cmp_le_u64_e32 vcc_lo, s[28:29], v[10:11]
	v_cmpx_gt_u64_e64 s[28:29], v[10:11]
	s_cbranch_execz .LBB180_16
; %bb.15:                               ;   in Loop: Header=BB180_14 Depth=2
	global_load_b64 v[12:13], v[8:9], off
.LBB180_16:                             ;   in Loop: Header=BB180_14 Depth=2
	s_or_b32 exec_lo, exec_lo, s8
	v_cmp_o_f64_e64 s7, v[4:5], v[4:5]
	s_waitcnt lgkmcnt(0)
	v_ashrrev_i32_e32 v14, 31, v5
	s_delay_alu instid0(VALU_DEP_1) | instskip(SKIP_1) | instid1(VALU_DEP_2)
	v_or_b32_e32 v15, 0x80000000, v14
	v_xor_b32_e32 v14, v14, v4
	v_xor_b32_e32 v15, v15, v5
	s_delay_alu instid0(VALU_DEP_1) | instskip(NEXT) | instid1(VALU_DEP_3)
	v_cndmask_b32_e64 v15, -1, v15, s7
	v_cndmask_b32_e64 v14, -1, v14, s7
	s_delay_alu instid0(VALU_DEP_2) | instskip(NEXT) | instid1(VALU_DEP_2)
	v_and_b32_e32 v15, v15, v30
	v_and_b32_e32 v14, v14, v29
	s_delay_alu instid0(VALU_DEP_1) | instskip(SKIP_1) | instid1(VALU_DEP_2)
	v_cmp_eq_u64_e64 s7, v[14:15], v[31:32]
	v_mov_b32_e32 v14, 0
	s_cmp_lg_u32 s7, 0
	s_cselect_b32 s8, -1, 0
	s_delay_alu instid0(SALU_CYCLE_1) | instskip(NEXT) | instid1(SALU_CYCLE_1)
	s_and_b32 s8, s2, s8
	s_and_saveexec_b32 s14, s8
	s_cbranch_execz .LBB180_20
; %bb.17:                               ;   in Loop: Header=BB180_14 Depth=2
	s_mov_b32 s17, exec_lo
	s_bcnt1_i32_b32 s15, s7
	v_mbcnt_lo_u32_b32 v14, s17, 0
	s_mov_b32 s16, exec_lo
                                        ; implicit-def: $vgpr15
	s_delay_alu instid0(VALU_DEP_1)
	v_cmpx_eq_u32_e32 0, v14
	s_cbranch_execz .LBB180_19
; %bb.18:                               ;   in Loop: Header=BB180_14 Depth=2
	s_bcnt1_i32_b32 s8, s17
	s_delay_alu instid0(SALU_CYCLE_1) | instskip(NEXT) | instid1(SALU_CYCLE_1)
	s_mul_i32 s8, s15, s8
	v_mov_b32_e32 v15, s8
	ds_add_rtn_u32 v15, v19, v15 offset:5144
.LBB180_19:                             ;   in Loop: Header=BB180_14 Depth=2
	s_or_b32 exec_lo, exec_lo, s16
	s_waitcnt lgkmcnt(0)
	v_readfirstlane_b32 s8, v15
	s_delay_alu instid0(VALU_DEP_1)
	v_mad_u32_u24 v14, s15, v14, s8
.LBB180_20:                             ;   in Loop: Header=BB180_14 Depth=2
	s_or_b32 exec_lo, exec_lo, s14
	ds_bpermute_b32 v14, v19, v14
	s_and_b32 s8, exec_lo, vcc_lo
	s_delay_alu instid0(SALU_CYCLE_1)
	s_or_b32 s13, s8, s13
	s_and_saveexec_b32 s8, s7
	s_cbranch_execz .LBB180_13
; %bb.21:                               ;   in Loop: Header=BB180_14 Depth=2
	v_and_b32_e32 v15, s7, v43
	s_delay_alu instid0(VALU_DEP_1) | instskip(NEXT) | instid1(VALU_DEP_1)
	v_bcnt_u32_b32 v15, v15, 0
	v_lshlrev_b32_e32 v15, 3, v15
	s_waitcnt lgkmcnt(0)
	s_delay_alu instid0(VALU_DEP_1)
	v_lshl_add_u32 v14, v14, 3, v15
	ds_store_b64 v14, v[4:5]
	s_branch .LBB180_13
.LBB180_22:                             ;   in Loop: Header=BB180_6 Depth=1
	s_mov_b32 s7, 0
                                        ; implicit-def: $sgpr62_sgpr63
	s_cbranch_execnz .LBB180_27
	s_branch .LBB180_37
.LBB180_23:                             ;   in Loop: Header=BB180_6 Depth=1
	s_mov_b64 s[62:63], 0
	s_and_b32 vcc_lo, exec_lo, s9
	s_cbranch_vccnz .LBB180_27
	s_branch .LBB180_37
.LBB180_24:                             ;   in Loop: Header=BB180_6 Depth=1
	s_or_b32 exec_lo, exec_lo, s10
	s_waitcnt vmcnt(0) lgkmcnt(0)
	s_barrier
	buffer_gl0_inv
	s_and_saveexec_b32 s7, s5
	s_cbranch_execz .LBB180_26
; %bb.25:                               ;   in Loop: Header=BB180_6 Depth=1
	ds_load_b32 v4, v19 offset:5144
	s_waitcnt lgkmcnt(0)
	v_ashrrev_i32_e32 v5, 31, v4
	ds_store_b64 v19, v[4:5] offset:5120
.LBB180_26:                             ;   in Loop: Header=BB180_6 Depth=1
	s_or_b32 exec_lo, exec_lo, s7
	s_waitcnt lgkmcnt(0)
	s_mov_b32 s7, -1
	s_barrier
	s_mov_b64 s[62:63], 0
	s_and_b32 vcc_lo, exec_lo, s9
	s_cbranch_vccz .LBB180_37
.LBB180_27:                             ;   in Loop: Header=BB180_6 Depth=1
	v_mov_b32_e32 v4, 0
	v_mov_b32_e32 v5, 0
	s_and_saveexec_b32 s7, s3
	s_cbranch_execz .LBB180_29
; %bb.28:                               ;   in Loop: Header=BB180_6 Depth=1
	global_load_b64 v[4:5], v[16:17], off
.LBB180_29:                             ;   in Loop: Header=BB180_6 Depth=1
	s_or_b32 exec_lo, exec_lo, s7
	s_and_saveexec_b32 s8, s3
	s_cbranch_execz .LBB180_34
; %bb.30:                               ;   in Loop: Header=BB180_6 Depth=1
	global_load_u16 v11, v19, s[56:57]
	s_mov_b32 s12, 0
	s_waitcnt vmcnt(0)
	v_readfirstlane_b32 s7, v11
	v_and_b32_e32 v14, 0xffff, v11
	s_delay_alu instid0(VALU_DEP_2) | instskip(NEXT) | instid1(SALU_CYCLE_1)
	s_and_b32 s7, 0xffff, s7
	v_add_nc_u32_e32 v12, s7, v0
	s_mul_i32 s10, s59, s7
	s_mul_hi_u32 s11, s58, s7
	s_lshl_b32 s9, s7, 3
	s_add_i32 s10, s11, s10
	v_mad_u64_u32 v[8:9], null, s58, v12, s[52:53]
	s_mul_i32 s11, s58, s7
	s_delay_alu instid0(VALU_DEP_1) | instskip(NEXT) | instid1(VALU_DEP_1)
	v_mov_b32_e32 v2, v9
	v_mad_u64_u32 v[9:10], null, s59, v12, v[2:3]
	v_mov_b32_e32 v11, v1
	v_mov_b32_e32 v2, v45
	;; [unrolled: 1-line block ×3, first 2 shown]
	s_set_inst_prefetch_distance 0x1
	s_branch .LBB180_32
	.p2align	6
.LBB180_31:                             ;   in Loop: Header=BB180_32 Depth=2
	s_or_b32 exec_lo, exec_lo, s13
	s_delay_alu instid0(SALU_CYCLE_1)
	s_and_b32 s7, exec_lo, vcc_lo
	v_add_co_u32 v8, vcc_lo, v8, s11
	ds_store_b64 v2, v[4:5]
	s_waitcnt vmcnt(0)
	v_mov_b32_e32 v4, v12
	v_dual_mov_b32 v5, v13 :: v_dual_add_nc_u32 v2, s9, v2
	v_add_co_ci_u32_e32 v9, vcc_lo, s10, v9, vcc_lo
	s_or_b32 s12, s7, s12
	s_delay_alu instid0(SALU_CYCLE_1)
	s_and_not1_b32 exec_lo, exec_lo, s12
	s_cbranch_execz .LBB180_34
.LBB180_32:                             ;   Parent Loop BB180_6 Depth=1
                                        ; =>  This Inner Loop Header: Depth=2
	s_delay_alu instid0(VALU_DEP_1) | instskip(SKIP_4) | instid1(VALU_DEP_3)
	v_add_co_u32 v10, vcc_lo, v10, v14
	v_add_co_ci_u32_e32 v11, vcc_lo, 0, v11, vcc_lo
	v_mov_b32_e32 v12, 0
	v_mov_b32_e32 v13, 0
	s_mov_b32 s13, exec_lo
	v_cmp_le_u64_e32 vcc_lo, s[28:29], v[10:11]
	v_cmpx_gt_u64_e64 s[28:29], v[10:11]
	s_cbranch_execz .LBB180_31
; %bb.33:                               ;   in Loop: Header=BB180_32 Depth=2
	global_load_b64 v[12:13], v[8:9], off
	s_branch .LBB180_31
.LBB180_34:                             ;   in Loop: Header=BB180_6 Depth=1
	s_set_inst_prefetch_distance 0x2
	s_or_b32 exec_lo, exec_lo, s8
	s_waitcnt vmcnt(0) lgkmcnt(0)
	s_barrier
	buffer_gl0_inv
	s_and_saveexec_b32 s7, s5
	s_cbranch_execz .LBB180_36
; %bb.35:                               ;   in Loop: Header=BB180_6 Depth=1
	v_dual_mov_b32 v4, s28 :: v_dual_mov_b32 v5, s29
	ds_store_b64 v19, v[4:5] offset:5120
.LBB180_36:                             ;   in Loop: Header=BB180_6 Depth=1
	s_or_b32 exec_lo, exec_lo, s7
	s_mov_b32 s7, -1
	s_waitcnt lgkmcnt(0)
	s_barrier
                                        ; implicit-def: $sgpr62_sgpr63
.LBB180_37:                             ;   in Loop: Header=BB180_6 Depth=1
	s_and_b32 vcc_lo, exec_lo, s7
	s_cbranch_vccz .LBB180_39
; %bb.38:                               ;   in Loop: Header=BB180_6 Depth=1
	buffer_gl0_inv
	ds_load_b64 v[4:5], v19 offset:5120
	s_waitcnt lgkmcnt(0)
	v_readfirstlane_b32 s62, v4
.LBB180_39:                             ;   in Loop: Header=BB180_6 Depth=1
	s_delay_alu instid0(VALU_DEP_1)
	s_cmp_lt_i32 s62, 1
	s_cbranch_scc0 .LBB180_54
; %bb.40:                               ;   in Loop: Header=BB180_6 Depth=1
	global_load_u16 v2, v19, s[56:57]
	s_mov_b32 s8, s55
	s_mov_b32 s9, s29
	s_waitcnt vmcnt(0)
	v_readfirstlane_b32 s7, v2
	s_delay_alu instid0(VALU_DEP_1) | instskip(NEXT) | instid1(SALU_CYCLE_1)
	s_and_b32 s54, s7, 0xffff
	s_lshl_b32 s63, s54, 2
	s_cmp_lg_u64 s[8:9], 0
	s_cbranch_scc0 .LBB180_74
; %bb.41:                               ;   in Loop: Header=BB180_6 Depth=1
	v_cvt_f32_u32_e32 v2, s63
	s_sub_u32 s9, 0, s63
	s_subb_u32 s10, 0, 0
	s_delay_alu instid0(VALU_DEP_1) | instskip(NEXT) | instid1(VALU_DEP_1)
	v_fmac_f32_e64 v2, 0, 0x4f800000
	v_rcp_f32_e32 v2, v2
	s_waitcnt_depctr 0xfff
	v_mul_f32_e32 v2, 0x5f7ffffc, v2
	s_delay_alu instid0(VALU_DEP_1) | instskip(NEXT) | instid1(VALU_DEP_1)
	v_mul_f32_e32 v4, 0x2f800000, v2
	v_trunc_f32_e32 v4, v4
	s_delay_alu instid0(VALU_DEP_1) | instskip(SKIP_1) | instid1(VALU_DEP_2)
	v_fmac_f32_e32 v2, 0xcf800000, v4
	v_cvt_u32_f32_e32 v4, v4
	v_cvt_u32_f32_e32 v2, v2
	s_delay_alu instid0(VALU_DEP_2) | instskip(NEXT) | instid1(VALU_DEP_2)
	v_readfirstlane_b32 s7, v4
	v_readfirstlane_b32 s8, v2
	s_delay_alu instid0(VALU_DEP_2) | instskip(NEXT) | instid1(VALU_DEP_1)
	s_mul_i32 s11, s9, s7
	s_mul_hi_u32 s13, s9, s8
	s_mul_i32 s12, s10, s8
	s_add_i32 s11, s13, s11
	s_mul_i32 s14, s9, s8
	s_add_i32 s11, s11, s12
	s_mul_hi_u32 s13, s8, s14
	s_mul_hi_u32 s15, s7, s14
	s_mul_i32 s12, s7, s14
	s_mul_hi_u32 s14, s8, s11
	s_mul_i32 s8, s8, s11
	s_mul_hi_u32 s16, s7, s11
	s_add_u32 s8, s13, s8
	s_addc_u32 s13, 0, s14
	s_add_u32 s8, s8, s12
	s_mul_i32 s11, s7, s11
	s_addc_u32 s8, s13, s15
	s_addc_u32 s12, s16, 0
	s_add_u32 s8, s8, s11
	s_addc_u32 s11, 0, s12
	v_add_co_u32 v2, s8, v2, s8
	s_delay_alu instid0(VALU_DEP_1) | instskip(SKIP_1) | instid1(VALU_DEP_1)
	s_cmp_lg_u32 s8, 0
	s_addc_u32 s7, s7, s11
	v_readfirstlane_b32 s8, v2
	s_mul_i32 s11, s9, s7
	s_delay_alu instid0(VALU_DEP_1)
	s_mul_hi_u32 s12, s9, s8
	s_mul_i32 s10, s10, s8
	s_add_i32 s11, s12, s11
	s_mul_i32 s9, s9, s8
	s_add_i32 s11, s11, s10
	s_mul_hi_u32 s12, s7, s9
	s_mul_i32 s13, s7, s9
	s_mul_hi_u32 s9, s8, s9
	s_mul_hi_u32 s14, s8, s11
	s_mul_i32 s8, s8, s11
	s_mul_hi_u32 s10, s7, s11
	s_add_u32 s8, s9, s8
	s_addc_u32 s9, 0, s14
	s_add_u32 s8, s8, s13
	s_mul_i32 s11, s7, s11
	s_addc_u32 s8, s9, s12
	s_addc_u32 s9, s10, 0
	s_add_u32 s8, s8, s11
	s_addc_u32 s9, 0, s9
	v_add_co_u32 v2, s8, v2, s8
	s_delay_alu instid0(VALU_DEP_1) | instskip(SKIP_1) | instid1(VALU_DEP_1)
	s_cmp_lg_u32 s8, 0
	s_addc_u32 s7, s7, s9
	v_readfirstlane_b32 s8, v2
	s_mul_i32 s10, s28, s7
	s_mul_hi_u32 s9, s28, s7
	s_mul_hi_u32 s11, s29, s7
	s_mul_i32 s7, s29, s7
	s_mul_hi_u32 s12, s28, s8
	s_mul_hi_u32 s13, s29, s8
	s_mul_i32 s8, s29, s8
	s_add_u32 s10, s12, s10
	s_addc_u32 s9, 0, s9
	s_add_u32 s8, s10, s8
	s_addc_u32 s8, s9, s13
	s_addc_u32 s9, s11, 0
	s_add_u32 s7, s8, s7
	s_addc_u32 s8, 0, s9
	s_mul_hi_u32 s9, s63, s7
	s_mul_i32 s7, s63, s7
	s_mul_i32 s8, s63, s8
	v_sub_co_u32 v2, s7, s28, s7
	s_add_i32 s9, s9, s8
	s_cmp_lg_u32 s7, 0
	s_delay_alu instid0(VALU_DEP_1) | instskip(SKIP_2) | instid1(VALU_DEP_1)
	v_sub_co_u32 v4, s7, v2, s63
	s_subb_u32 s8, s29, s9
	s_cmp_lg_u32 s7, 0
	v_cmp_le_u32_e32 vcc_lo, s63, v4
	v_sub_co_u32 v5, s7, v4, s63
	s_subb_u32 s9, s8, 0
	s_cmp_lg_u32 s7, 0
	v_cndmask_b32_e64 v8, 0, -1, vcc_lo
	s_subb_u32 s7, s9, 0
	s_cmp_eq_u32 s9, 0
	v_mov_b32_e32 v10, s7
	s_cselect_b32 vcc_lo, -1, 0
	s_cmp_eq_u32 s8, 0
	v_cndmask_b32_e32 v8, -1, v8, vcc_lo
	v_cmp_le_u32_e32 vcc_lo, s63, v2
	s_cselect_b32 s7, -1, 0
	v_cndmask_b32_e64 v9, 0, -1, vcc_lo
	s_delay_alu instid0(VALU_DEP_3) | instskip(NEXT) | instid1(VALU_DEP_2)
	v_cmp_ne_u32_e32 vcc_lo, 0, v8
	v_cndmask_b32_e64 v8, -1, v9, s7
	v_cndmask_b32_e32 v9, s9, v10, vcc_lo
	v_cndmask_b32_e32 v4, v4, v5, vcc_lo
	s_delay_alu instid0(VALU_DEP_3) | instskip(NEXT) | instid1(VALU_DEP_3)
	v_cmp_ne_u32_e32 vcc_lo, 0, v8
	v_cndmask_b32_e32 v5, s8, v9, vcc_lo
	s_delay_alu instid0(VALU_DEP_3)
	v_cndmask_b32_e32 v4, v2, v4, vcc_lo
	s_cbranch_execnz .LBB180_43
.LBB180_42:                             ;   in Loop: Header=BB180_6 Depth=1
	v_cvt_f32_u32_e32 v2, s63
	s_sub_i32 s7, 0, s63
	s_delay_alu instid0(VALU_DEP_1) | instskip(SKIP_2) | instid1(VALU_DEP_1)
	v_rcp_iflag_f32_e32 v2, v2
	s_waitcnt_depctr 0xfff
	v_mul_f32_e32 v2, 0x4f7ffffe, v2
	v_cvt_u32_f32_e32 v2, v2
	s_delay_alu instid0(VALU_DEP_1) | instskip(NEXT) | instid1(VALU_DEP_1)
	v_mul_lo_u32 v4, s7, v2
	v_mul_hi_u32 v4, v2, v4
	s_delay_alu instid0(VALU_DEP_1) | instskip(NEXT) | instid1(VALU_DEP_1)
	v_add_nc_u32_e32 v2, v2, v4
	v_mul_hi_u32 v2, s28, v2
	s_delay_alu instid0(VALU_DEP_1) | instskip(NEXT) | instid1(VALU_DEP_1)
	v_mul_lo_u32 v2, v2, s63
	v_sub_nc_u32_e32 v2, s28, v2
	s_delay_alu instid0(VALU_DEP_1) | instskip(SKIP_1) | instid1(VALU_DEP_2)
	v_subrev_nc_u32_e32 v4, s63, v2
	v_cmp_le_u32_e32 vcc_lo, s63, v2
	v_cndmask_b32_e32 v2, v2, v4, vcc_lo
	s_delay_alu instid0(VALU_DEP_1) | instskip(SKIP_1) | instid1(VALU_DEP_2)
	v_subrev_nc_u32_e32 v4, s63, v2
	v_cmp_le_u32_e32 vcc_lo, s63, v2
	v_cndmask_b32_e32 v18, v2, v4, vcc_lo
	s_delay_alu instid0(VALU_DEP_1)
	v_dual_mov_b32 v4, v18 :: v_dual_mov_b32 v5, v19
.LBB180_43:                             ;   in Loop: Header=BB180_6 Depth=1
	v_mov_b32_e32 v8, 0
	v_mov_b32_e32 v9, 0
	s_delay_alu instid0(VALU_DEP_3) | instskip(NEXT) | instid1(VALU_DEP_4)
	v_sub_co_u32 v4, vcc_lo, s28, v4
	v_sub_co_ci_u32_e32 v5, vcc_lo, s29, v5, vcc_lo
	s_delay_alu instid0(VALU_DEP_3)
	v_dual_mov_b32 v11, v9 :: v_dual_mov_b32 v10, v8
	v_dual_mov_b32 v13, v9 :: v_dual_mov_b32 v12, v8
	;; [unrolled: 1-line block ×3, first 2 shown]
	s_mov_b64 s[64:65], 0
	s_mov_b32 s98, exec_lo
	v_cmpx_gt_u64_e64 v[4:5], v[20:21]
	s_cbranch_execz .LBB180_47
; %bb.44:                               ;   in Loop: Header=BB180_6 Depth=1
	v_dual_mov_b32 v36, v21 :: v_dual_mov_b32 v35, v20
	s_mul_i32 s7, s61, s54
	s_mul_hi_u32 s8, s60, s54
	s_and_b32 s99, s91, 0xfe
	s_add_i32 s100, s8, s7
	s_mul_i32 s101, s60, s54
	s_mov_b32 s102, 0
	s_mov_b64 s[66:67], s[52:53]
	s_mov_b64 s[68:69], 0
	s_mov_b64 s[70:71], 0
	s_mov_b64 s[72:73], 0
.LBB180_45:                             ;   Parent Loop BB180_6 Depth=1
                                        ; =>  This Inner Loop Header: Depth=2
	v_add_co_u32 v8, vcc_lo, s66, v27
	v_add_co_ci_u32_e32 v9, vcc_lo, s67, v28, vcc_lo
	v_add_co_u32 v10, vcc_lo, s66, v26
	v_add_co_ci_u32_e32 v11, vcc_lo, s67, v49, vcc_lo
	v_add_co_u32 v12, vcc_lo, s66, v24
	v_add_co_ci_u32_e32 v13, vcc_lo, s67, v25, vcc_lo
	v_add_co_u32 v14, vcc_lo, s66, v22
	v_add_co_ci_u32_e32 v15, vcc_lo, s67, v23, vcc_lo
	s_clause 0x3
	global_load_b64 v[8:9], v[8:9], off
	global_load_b64 v[10:11], v[10:11], off
	global_load_b64 v[12:13], v[12:13], off
	global_load_b64 v[14:15], v[14:15], off
	v_add_co_u32 v35, vcc_lo, v35, s63
	v_add_co_ci_u32_e32 v36, vcc_lo, 0, v36, vcc_lo
	s_delay_alu instid0(VALU_DEP_1)
	v_cmp_ge_u64_e32 vcc_lo, v[35:36], v[4:5]
	s_waitcnt vmcnt(3)
	v_cmp_o_f64_e64 s8, v[8:9], v[8:9]
	s_waitcnt vmcnt(2)
	v_cmp_o_f64_e64 s7, v[10:11], v[10:11]
	;; [unrolled: 2-line block ×4, first 2 shown]
	v_ashrrev_i32_e32 v2, 31, v9
	v_ashrrev_i32_e32 v39, 31, v15
	;; [unrolled: 1-line block ×4, first 2 shown]
	s_delay_alu instid0(VALU_DEP_4) | instskip(NEXT) | instid1(VALU_DEP_4)
	v_or_b32_e32 v41, 0x80000000, v2
	v_or_b32_e32 v53, 0x80000000, v39
	s_delay_alu instid0(VALU_DEP_4) | instskip(NEXT) | instid1(VALU_DEP_4)
	v_or_b32_e32 v51, 0x80000000, v18
	v_or_b32_e32 v52, 0x80000000, v37
	v_xor_b32_e32 v2, v2, v8
	v_xor_b32_e32 v41, v41, v9
	;; [unrolled: 1-line block ×8, first 2 shown]
	v_cndmask_b32_e64 v9, -1, v41, s8
	v_cndmask_b32_e64 v11, -1, v51, s7
	;; [unrolled: 1-line block ×7, first 2 shown]
	v_mov_b32_e32 v38, v19
	v_and_b32_e32 v52, v9, v30
	v_and_b32_e32 v51, v8, v29
	v_lshrrev_b64 v[8:9], s99, v[8:9]
	v_cndmask_b32_e64 v14, -1, v39, s10
	v_dual_mov_b32 v40, v19 :: v_dual_and_b32 v53, v10, v29
	v_lshrrev_b64 v[9:10], s99, v[10:11]
	v_and_b32_e32 v54, v11, v30
	v_lshrrev_b64 v[10:11], s99, v[12:13]
	v_dual_mov_b32 v42, v19 :: v_dual_and_b32 v55, v12, v29
	v_lshrrev_b64 v[11:12], s99, v[14:15]
	v_and_b32_e32 v18, 3, v8
	v_and_b32_e32 v37, 3, v9
	;; [unrolled: 1-line block ×4, first 2 shown]
	v_cmp_eq_u64_e64 s7, v[51:52], v[31:32]
	v_cmp_eq_u64_e64 s11, 0, v[18:19]
	v_and_b32_e32 v58, v15, v30
	v_and_b32_e32 v57, v14, v29
	;; [unrolled: 1-line block ×3, first 2 shown]
	v_cmp_eq_u64_e64 s8, v[53:54], v[31:32]
	v_cmp_eq_u64_e64 s12, 0, v[37:38]
	;; [unrolled: 1-line block ×6, first 2 shown]
	s_and_b32 s11, s7, s11
	v_cmp_eq_u64_e64 s15, 1, v[18:19]
	v_cndmask_b32_e64 v2, 0, 1, s11
	s_and_b32 s11, s8, s12
	v_cmp_eq_u64_e64 s16, 1, v[37:38]
	v_cndmask_b32_e64 v8, 0, 1, s11
	;; [unrolled: 3-line block ×3, first 2 shown]
	s_and_b32 s11, s10, s14
	v_cmp_ne_u32_e64 s12, 0, v8
	v_cndmask_b32_e64 v10, 0, 1, s11
	v_cmp_ne_u32_e64 s11, 0, v2
	v_cmp_ne_u32_e64 s13, 0, v9
	v_cmp_eq_u64_e64 s18, 1, v[41:42]
	s_bcnt1_i32_b32 s12, s12
	v_cmp_ne_u32_e64 s14, 0, v10
	s_bcnt1_i32_b32 s11, s11
	s_bcnt1_i32_b32 s13, s13
	s_add_i32 s11, s12, s11
	v_cmp_eq_u64_e64 s19, 2, v[18:19]
	s_bcnt1_i32_b32 s14, s14
	s_add_i32 s11, s11, s13
	v_cmp_eq_u64_e64 s20, 2, v[37:38]
	s_add_i32 s11, s11, s14
	v_cmp_eq_u64_e64 s21, 2, v[39:40]
	s_add_u32 s72, s72, s11
	s_addc_u32 s73, s73, 0
	s_and_b32 s11, s7, s15
	v_cmp_eq_u64_e64 s22, 2, v[41:42]
	v_cndmask_b32_e64 v2, 0, 1, s11
	s_and_b32 s11, s8, s16
	v_cmp_eq_u64_e64 s23, 3, v[18:19]
	v_cndmask_b32_e64 v10, 0, 1, s11
	;; [unrolled: 3-line block ×3, first 2 shown]
	s_and_b32 s11, s10, s18
	v_cmp_ne_u32_e64 s12, 0, v10
	v_cndmask_b32_e64 v12, 0, 1, s11
	v_cmp_ne_u32_e64 s11, 0, v2
	v_cmp_ne_u32_e64 s13, 0, v11
	v_cmp_eq_u64_e64 s25, 3, v[39:40]
	s_bcnt1_i32_b32 s12, s12
	v_cmp_ne_u32_e64 s14, 0, v12
	s_bcnt1_i32_b32 s11, s11
	s_bcnt1_i32_b32 s13, s13
	s_add_i32 s11, s12, s11
	v_cmp_eq_u64_e64 s26, 3, v[41:42]
	s_bcnt1_i32_b32 s14, s14
	s_add_i32 s11, s11, s13
	v_mov_b32_e32 v8, s72
	s_add_i32 s11, s11, s14
	v_mov_b32_e32 v9, s73
	s_add_u32 s70, s70, s11
	s_addc_u32 s71, s71, 0
	s_and_b32 s11, s7, s19
	s_delay_alu instid0(SALU_CYCLE_1) | instskip(SKIP_1) | instid1(SALU_CYCLE_1)
	v_cndmask_b32_e64 v2, 0, 1, s11
	s_and_b32 s11, s8, s20
	v_cndmask_b32_e64 v10, 0, 1, s11
	s_and_b32 s11, s9, s21
	s_delay_alu instid0(SALU_CYCLE_1) | instskip(SKIP_1) | instid1(VALU_DEP_2)
	v_cndmask_b32_e64 v11, 0, 1, s11
	s_and_b32 s11, s10, s22
	v_cmp_ne_u32_e64 s12, 0, v10
	v_cndmask_b32_e64 v12, 0, 1, s11
	v_cmp_ne_u32_e64 s11, 0, v2
	v_cmp_ne_u32_e64 s13, 0, v11
	s_delay_alu instid0(VALU_DEP_4) | instskip(NEXT) | instid1(VALU_DEP_3)
	s_bcnt1_i32_b32 s12, s12
	v_cmp_ne_u32_e64 s14, 0, v12
	s_delay_alu instid0(VALU_DEP_3) | instskip(NEXT) | instid1(VALU_DEP_2)
	s_bcnt1_i32_b32 s11, s11
	s_bcnt1_i32_b32 s13, s13
	s_add_i32 s11, s12, s11
	s_delay_alu instid0(VALU_DEP_1) | instskip(SKIP_1) | instid1(SALU_CYCLE_1)
	s_bcnt1_i32_b32 s14, s14
	s_add_i32 s11, s11, s13
	s_add_i32 s11, s11, s14
	s_delay_alu instid0(SALU_CYCLE_1) | instskip(SKIP_2) | instid1(SALU_CYCLE_1)
	s_add_u32 s68, s68, s11
	s_addc_u32 s69, s69, 0
	s_and_b32 s7, s7, s23
	v_cndmask_b32_e64 v2, 0, 1, s7
	s_and_b32 s7, s8, s24
	s_delay_alu instid0(SALU_CYCLE_1) | instskip(SKIP_1) | instid1(SALU_CYCLE_1)
	v_cndmask_b32_e64 v10, 0, 1, s7
	s_and_b32 s7, s9, s25
	v_cndmask_b32_e64 v11, 0, 1, s7
	s_and_b32 s7, s10, s26
	s_delay_alu instid0(VALU_DEP_2)
	v_cmp_ne_u32_e64 s8, 0, v10
	v_cndmask_b32_e64 v12, 0, 1, s7
	v_cmp_ne_u32_e64 s7, 0, v2
	v_cmp_ne_u32_e64 s9, 0, v11
	v_mov_b32_e32 v10, s70
	s_bcnt1_i32_b32 s8, s8
	v_cmp_ne_u32_e64 s10, 0, v12
	s_bcnt1_i32_b32 s7, s7
	s_bcnt1_i32_b32 s9, s9
	s_add_i32 s7, s8, s7
	v_mov_b32_e32 v12, s68
	s_bcnt1_i32_b32 s8, s10
	s_add_i32 s7, s7, s9
	v_mov_b32_e32 v11, s71
	s_add_i32 s7, s7, s8
	v_mov_b32_e32 v13, s69
	s_add_u32 s64, s64, s7
	s_addc_u32 s65, s65, 0
	s_delay_alu instid0(SALU_CYCLE_1) | instskip(SKIP_3) | instid1(SALU_CYCLE_1)
	v_dual_mov_b32 v14, s64 :: v_dual_mov_b32 v15, s65
	s_add_u32 s66, s66, s101
	s_addc_u32 s67, s67, s100
	s_or_b32 s102, vcc_lo, s102
	s_and_not1_b32 exec_lo, exec_lo, s102
	s_cbranch_execnz .LBB180_45
; %bb.46:                               ;   in Loop: Header=BB180_6 Depth=1
	s_or_b32 exec_lo, exec_lo, s102
.LBB180_47:                             ;   in Loop: Header=BB180_6 Depth=1
	s_delay_alu instid0(SALU_CYCLE_1) | instskip(SKIP_4) | instid1(VALU_DEP_3)
	s_or_b32 exec_lo, exec_lo, s98
	v_add_co_u32 v4, vcc_lo, v4, v0
	v_add_co_ci_u32_e32 v5, vcc_lo, 0, v5, vcc_lo
	v_mov_b32_e32 v37, 0
	v_mov_b32_e32 v38, 0
	v_cmp_gt_u64_e32 vcc_lo, s[28:29], v[4:5]
	s_and_saveexec_b32 s8, vcc_lo
	s_cbranch_execz .LBB180_49
; %bb.48:                               ;   in Loop: Header=BB180_6 Depth=1
	v_mul_lo_u32 v2, v5, s38
	v_mul_lo_u32 v18, v4, s39
	v_mad_u64_u32 v[35:36], null, v4, s38, 0
	s_delay_alu instid0(VALU_DEP_1) | instskip(NEXT) | instid1(VALU_DEP_1)
	v_add3_u32 v36, v36, v18, v2
	v_lshlrev_b64 v[35:36], 3, v[35:36]
	s_delay_alu instid0(VALU_DEP_1) | instskip(NEXT) | instid1(VALU_DEP_1)
	v_add_co_u32 v35, s7, s52, v35
	v_add_co_ci_u32_e64 v36, s7, s53, v36, s7
	global_load_b64 v[37:38], v[35:36], off
.LBB180_49:                             ;   in Loop: Header=BB180_6 Depth=1
	s_or_b32 exec_lo, exec_lo, s8
	s_and_saveexec_b32 s11, vcc_lo
	s_cbranch_execz .LBB180_56
; %bb.50:                               ;   in Loop: Header=BB180_6 Depth=1
	s_and_b32 s12, s91, 0xfe
	s_mov_b32 s13, 0
	s_branch .LBB180_52
.LBB180_51:                             ;   in Loop: Header=BB180_52 Depth=2
	s_or_b32 exec_lo, exec_lo, s8
	s_waitcnt vmcnt(0)
	v_cmp_o_f64_e64 s7, v[37:38], v[37:38]
	v_ashrrev_i32_e32 v2, 31, v38
	s_and_b32 s9, exec_lo, vcc_lo
	s_delay_alu instid0(SALU_CYCLE_1) | instskip(NEXT) | instid1(VALU_DEP_1)
	s_or_b32 s13, s9, s13
	v_or_b32_e32 v18, 0x80000000, v2
	v_xor_b32_e32 v2, v2, v37
	s_delay_alu instid0(VALU_DEP_2) | instskip(NEXT) | instid1(VALU_DEP_1)
	v_xor_b32_e32 v18, v18, v38
	v_cndmask_b32_e64 v38, -1, v18, s7
	s_delay_alu instid0(VALU_DEP_3) | instskip(NEXT) | instid1(VALU_DEP_1)
	v_cndmask_b32_e64 v37, -1, v2, s7
	v_lshrrev_b64 v[39:40], s12, v[37:38]
	v_and_b32_e32 v38, v38, v30
	v_and_b32_e32 v37, v37, v29
	s_delay_alu instid0(VALU_DEP_3) | instskip(NEXT) | instid1(VALU_DEP_2)
	v_and_b32_e32 v18, 3, v39
	v_cmp_eq_u64_e64 s7, v[37:38], v[31:32]
	s_delay_alu instid0(VALU_DEP_2) | instskip(SKIP_3) | instid1(VALU_DEP_4)
	v_cmp_eq_u64_e64 s8, 0, v[18:19]
	v_cmp_eq_u64_e32 vcc_lo, 1, v[18:19]
	v_cmp_eq_u64_e64 s9, 2, v[18:19]
	v_cmp_eq_u64_e64 s10, 3, v[18:19]
	s_and_b32 s8, s7, s8
	s_delay_alu instid0(SALU_CYCLE_1) | instskip(SKIP_1) | instid1(SALU_CYCLE_1)
	v_cndmask_b32_e64 v2, 0, 1, s8
	s_and_b32 s8, s7, vcc_lo
	v_cndmask_b32_e64 v18, 0, 1, s8
	s_and_b32 s8, s7, s9
	s_delay_alu instid0(VALU_DEP_2) | instskip(SKIP_2) | instid1(SALU_CYCLE_1)
	v_cmp_ne_u32_e32 vcc_lo, 0, v2
	v_cndmask_b32_e64 v37, 0, 1, s8
	s_and_b32 s7, s7, s10
	v_cndmask_b32_e64 v38, 0, 1, s7
	v_cmp_ne_u32_e64 s7, 0, v18
	s_bcnt1_i32_b32 s10, vcc_lo
	v_cmp_ne_u32_e64 s8, 0, v37
	v_add_co_u32 v8, vcc_lo, v8, s10
	s_delay_alu instid0(VALU_DEP_3)
	s_bcnt1_i32_b32 s7, s7
	v_cmp_ne_u32_e64 s9, 0, v38
	v_add_co_ci_u32_e32 v9, vcc_lo, 0, v9, vcc_lo
	v_add_co_u32 v10, vcc_lo, v10, s7
	s_bcnt1_i32_b32 s8, s8
	v_add_co_ci_u32_e32 v11, vcc_lo, 0, v11, vcc_lo
	v_add_co_u32 v12, vcc_lo, v12, s8
	s_bcnt1_i32_b32 s9, s9
	v_add_co_ci_u32_e32 v13, vcc_lo, 0, v13, vcc_lo
	v_add_co_u32 v14, vcc_lo, v14, s9
	v_dual_mov_b32 v38, v36 :: v_dual_mov_b32 v37, v35
	v_add_co_ci_u32_e32 v15, vcc_lo, 0, v15, vcc_lo
	s_and_not1_b32 exec_lo, exec_lo, s13
	s_cbranch_execz .LBB180_55
.LBB180_52:                             ;   Parent Loop BB180_6 Depth=1
                                        ; =>  This Inner Loop Header: Depth=2
	v_add_co_u32 v4, vcc_lo, v4, s54
	v_add_co_ci_u32_e32 v5, vcc_lo, 0, v5, vcc_lo
	v_mov_b32_e32 v35, 0
	v_mov_b32_e32 v36, 0
	s_mov_b32 s8, exec_lo
	s_delay_alu instid0(VALU_DEP_3)
	v_cmp_le_u64_e32 vcc_lo, s[28:29], v[4:5]
	v_cmpx_gt_u64_e64 s[28:29], v[4:5]
	s_cbranch_execz .LBB180_51
; %bb.53:                               ;   in Loop: Header=BB180_52 Depth=2
	v_mul_lo_u32 v2, v5, s38
	v_mul_lo_u32 v18, v4, s39
	v_mad_u64_u32 v[35:36], null, v4, s38, 0
	s_delay_alu instid0(VALU_DEP_1) | instskip(NEXT) | instid1(VALU_DEP_1)
	v_add3_u32 v36, v36, v18, v2
	v_lshlrev_b64 v[35:36], 3, v[35:36]
	s_delay_alu instid0(VALU_DEP_1) | instskip(NEXT) | instid1(VALU_DEP_1)
	v_add_co_u32 v35, s7, s52, v35
	v_add_co_ci_u32_e64 v36, s7, s53, v36, s7
	global_load_b64 v[35:36], v[35:36], off
	s_branch .LBB180_51
.LBB180_54:                             ;   in Loop: Header=BB180_6 Depth=1
                                        ; implicit-def: $vgpr14_vgpr15
                                        ; implicit-def: $vgpr10_vgpr11
	s_cbranch_execnz .LBB180_57
	s_branch .LBB180_66
.LBB180_55:                             ;   in Loop: Header=BB180_6 Depth=1
	s_or_b32 exec_lo, exec_lo, s13
.LBB180_56:                             ;   in Loop: Header=BB180_6 Depth=1
	s_delay_alu instid0(SALU_CYCLE_1)
	s_or_b32 exec_lo, exec_lo, s11
	s_branch .LBB180_66
.LBB180_57:                             ;   in Loop: Header=BB180_6 Depth=1
	global_load_u16 v2, v19, s[56:57]
	v_mov_b32_e32 v8, 0
	s_mov_b64 s[64:65], 0
	s_mov_b32 s72, exec_lo
	v_mov_b32_e32 v9, 0
	s_delay_alu instid0(VALU_DEP_1)
	v_mov_b32_e32 v15, v9
	v_dual_mov_b32 v11, v9 :: v_dual_mov_b32 v10, v8
	v_dual_mov_b32 v13, v9 :: v_dual_mov_b32 v12, v8
	v_mov_b32_e32 v14, v8
	s_waitcnt vmcnt(0)
	v_readfirstlane_b32 s7, v2
	v_and_b32_e32 v2, 0xffff, v2
	s_delay_alu instid0(VALU_DEP_2) | instskip(NEXT) | instid1(SALU_CYCLE_1)
	s_and_b32 s7, 0xffff, s7
	s_lshl_b32 s63, s7, 2
	s_delay_alu instid0(SALU_CYCLE_1) | instskip(SKIP_1) | instid1(VALU_DEP_1)
	v_cvt_f32_u32_e32 v4, s63
	s_sub_i32 s8, 0, s63
	v_rcp_iflag_f32_e32 v4, v4
	s_waitcnt_depctr 0xfff
	v_mul_f32_e32 v4, 0x4f7ffffe, v4
	s_delay_alu instid0(VALU_DEP_1) | instskip(NEXT) | instid1(VALU_DEP_1)
	v_cvt_u32_f32_e32 v4, v4
	v_readfirstlane_b32 s7, v4
	s_delay_alu instid0(VALU_DEP_1) | instskip(NEXT) | instid1(SALU_CYCLE_1)
	s_mul_i32 s8, s8, s7
	s_mul_hi_u32 s8, s7, s8
	s_delay_alu instid0(SALU_CYCLE_1) | instskip(NEXT) | instid1(SALU_CYCLE_1)
	s_add_i32 s7, s7, s8
	s_mul_hi_u32 s7, s62, s7
	s_delay_alu instid0(SALU_CYCLE_1) | instskip(NEXT) | instid1(SALU_CYCLE_1)
	s_mul_i32 s7, s7, s63
	s_sub_i32 s7, s62, s7
	s_delay_alu instid0(SALU_CYCLE_1) | instskip(SKIP_2) | instid1(SALU_CYCLE_1)
	s_sub_i32 s8, s7, s63
	s_cmp_ge_u32 s7, s63
	s_cselect_b32 s7, s8, s7
	s_sub_i32 s8, s7, s63
	s_cmp_ge_u32 s7, s63
	s_cselect_b32 s7, s8, s7
	s_delay_alu instid0(SALU_CYCLE_1) | instskip(NEXT) | instid1(SALU_CYCLE_1)
	s_sub_i32 s54, s62, s7
	v_cmpx_gt_u32_e64 s54, v20
	s_cbranch_execz .LBB180_61
; %bb.58:                               ;   in Loop: Header=BB180_6 Depth=1
	v_dual_mov_b32 v36, v48 :: v_dual_lshlrev_b32 v35, 5, v2
	v_dual_mov_b32 v4, v20 :: v_dual_mov_b32 v5, v21
	s_and_b32 s73, s91, 0xfe
	s_mov_b32 s98, 0
	s_mov_b64 s[66:67], 0
	s_mov_b64 s[68:69], 0
	;; [unrolled: 1-line block ×3, first 2 shown]
.LBB180_59:                             ;   Parent Loop BB180_6 Depth=1
                                        ; =>  This Inner Loop Header: Depth=2
	ds_load_b128 v[8:11], v36
	ds_load_b128 v[12:15], v36 offset:16
	v_add_co_u32 v4, vcc_lo, v4, s63
	v_add_co_ci_u32_e32 v5, vcc_lo, 0, v5, vcc_lo
	s_delay_alu instid0(VALU_DEP_1)
	v_cmp_le_u64_e32 vcc_lo, s[54:55], v[4:5]
	s_waitcnt lgkmcnt(1)
	v_cmp_o_f64_e64 s8, v[8:9], v[8:9]
	s_waitcnt lgkmcnt(0)
	v_cmp_o_f64_e64 s10, v[14:15], v[14:15]
	v_cmp_o_f64_e64 s7, v[10:11], v[10:11]
	;; [unrolled: 1-line block ×3, first 2 shown]
	v_ashrrev_i32_e32 v18, 31, v9
	v_ashrrev_i32_e32 v41, 31, v15
	v_ashrrev_i32_e32 v37, 31, v11
	v_ashrrev_i32_e32 v39, 31, v13
	s_delay_alu instid0(VALU_DEP_4) | instskip(NEXT) | instid1(VALU_DEP_4)
	v_or_b32_e32 v51, 0x80000000, v18
	v_or_b32_e32 v54, 0x80000000, v41
	s_delay_alu instid0(VALU_DEP_4) | instskip(NEXT) | instid1(VALU_DEP_4)
	v_or_b32_e32 v52, 0x80000000, v37
	v_or_b32_e32 v53, 0x80000000, v39
	v_xor_b32_e32 v18, v18, v8
	v_xor_b32_e32 v51, v51, v9
	;; [unrolled: 1-line block ×8, first 2 shown]
	v_cndmask_b32_e64 v9, -1, v51, s8
	v_cndmask_b32_e64 v15, -1, v8, s10
	;; [unrolled: 1-line block ×7, first 2 shown]
	v_dual_mov_b32 v38, v19 :: v_dual_and_b32 v51, v8, v29
	v_and_b32_e32 v52, v9, v30
	v_lshrrev_b64 v[8:9], s73, v[8:9]
	v_cndmask_b32_e64 v14, -1, v41, s10
	v_dual_mov_b32 v40, v19 :: v_dual_and_b32 v53, v10, v29
	v_lshrrev_b64 v[9:10], s73, v[10:11]
	v_and_b32_e32 v54, v11, v30
	v_lshrrev_b64 v[10:11], s73, v[12:13]
	v_dual_mov_b32 v42, v19 :: v_dual_and_b32 v55, v12, v29
	v_lshrrev_b64 v[11:12], s73, v[14:15]
	v_and_b32_e32 v18, 3, v8
	v_and_b32_e32 v37, 3, v9
	;; [unrolled: 1-line block ×4, first 2 shown]
	v_cmp_eq_u64_e64 s7, v[51:52], v[31:32]
	v_cmp_eq_u64_e64 s11, 0, v[18:19]
	v_and_b32_e32 v58, v15, v30
	v_and_b32_e32 v57, v14, v29
	;; [unrolled: 1-line block ×3, first 2 shown]
	v_cmp_eq_u64_e64 s8, v[53:54], v[31:32]
	v_cmp_eq_u64_e64 s12, 0, v[37:38]
	;; [unrolled: 1-line block ×6, first 2 shown]
	s_and_b32 s11, s7, s11
	v_cmp_eq_u64_e64 s15, 1, v[18:19]
	v_cndmask_b32_e64 v8, 0, 1, s11
	s_and_b32 s11, s8, s12
	v_cmp_eq_u64_e64 s16, 1, v[37:38]
	v_cndmask_b32_e64 v9, 0, 1, s11
	;; [unrolled: 3-line block ×3, first 2 shown]
	s_and_b32 s11, s10, s14
	v_cmp_ne_u32_e64 s12, 0, v9
	v_cndmask_b32_e64 v11, 0, 1, s11
	v_cmp_ne_u32_e64 s11, 0, v8
	v_cmp_ne_u32_e64 s13, 0, v10
	v_cmp_eq_u64_e64 s18, 1, v[41:42]
	s_bcnt1_i32_b32 s12, s12
	v_cmp_ne_u32_e64 s14, 0, v11
	s_bcnt1_i32_b32 s11, s11
	s_bcnt1_i32_b32 s13, s13
	s_add_i32 s11, s12, s11
	v_cmp_eq_u64_e64 s19, 2, v[18:19]
	s_bcnt1_i32_b32 s14, s14
	s_add_i32 s11, s11, s13
	v_cmp_eq_u64_e64 s20, 2, v[37:38]
	s_add_i32 s11, s11, s14
	v_cmp_eq_u64_e64 s21, 2, v[39:40]
	s_add_u32 s70, s70, s11
	s_addc_u32 s71, s71, 0
	s_and_b32 s11, s7, s15
	v_cmp_eq_u64_e64 s22, 2, v[41:42]
	v_cndmask_b32_e64 v8, 0, 1, s11
	s_and_b32 s11, s8, s16
	v_cmp_eq_u64_e64 s23, 3, v[18:19]
	v_cndmask_b32_e64 v9, 0, 1, s11
	;; [unrolled: 3-line block ×3, first 2 shown]
	s_and_b32 s11, s10, s18
	v_cmp_ne_u32_e64 s12, 0, v9
	v_cndmask_b32_e64 v11, 0, 1, s11
	v_cmp_ne_u32_e64 s11, 0, v8
	v_cmp_ne_u32_e64 s13, 0, v10
	v_cmp_eq_u64_e64 s26, 3, v[41:42]
	s_bcnt1_i32_b32 s12, s12
	v_cmp_ne_u32_e64 s14, 0, v11
	s_bcnt1_i32_b32 s11, s11
	s_bcnt1_i32_b32 s13, s13
	s_add_i32 s11, s12, s11
	v_add_nc_u32_e32 v36, v36, v35
	s_bcnt1_i32_b32 s14, s14
	s_add_i32 s11, s11, s13
	s_delay_alu instid0(SALU_CYCLE_1) | instskip(NEXT) | instid1(SALU_CYCLE_1)
	s_add_i32 s11, s11, s14
	s_add_u32 s68, s68, s11
	s_addc_u32 s69, s69, 0
	s_and_b32 s11, s7, s19
	s_delay_alu instid0(SALU_CYCLE_1) | instskip(SKIP_1) | instid1(SALU_CYCLE_1)
	v_cndmask_b32_e64 v8, 0, 1, s11
	s_and_b32 s11, s8, s20
	v_cndmask_b32_e64 v9, 0, 1, s11
	s_and_b32 s11, s9, s21
	s_delay_alu instid0(SALU_CYCLE_1) | instskip(SKIP_1) | instid1(VALU_DEP_2)
	v_cndmask_b32_e64 v10, 0, 1, s11
	s_and_b32 s11, s10, s22
	v_cmp_ne_u32_e64 s12, 0, v9
	v_cndmask_b32_e64 v11, 0, 1, s11
	v_cmp_ne_u32_e64 s11, 0, v8
	v_cmp_ne_u32_e64 s13, 0, v10
	s_delay_alu instid0(VALU_DEP_4) | instskip(NEXT) | instid1(VALU_DEP_3)
	s_bcnt1_i32_b32 s12, s12
	v_cmp_ne_u32_e64 s14, 0, v11
	s_delay_alu instid0(VALU_DEP_3) | instskip(NEXT) | instid1(VALU_DEP_2)
	s_bcnt1_i32_b32 s11, s11
	s_bcnt1_i32_b32 s13, s13
	s_add_i32 s11, s12, s11
	s_delay_alu instid0(VALU_DEP_1) | instskip(SKIP_1) | instid1(SALU_CYCLE_1)
	s_bcnt1_i32_b32 s14, s14
	s_add_i32 s11, s11, s13
	s_add_i32 s11, s11, s14
	s_delay_alu instid0(SALU_CYCLE_1)
	s_add_u32 s66, s66, s11
	s_addc_u32 s67, s67, 0
	v_mov_b32_e32 v12, s66
	v_cmp_eq_u64_e64 s25, 3, v[39:40]
	s_and_b32 s7, s7, s23
	v_mov_b32_e32 v13, s67
	v_cndmask_b32_e64 v8, 0, 1, s7
	s_and_b32 s7, s8, s24
	s_delay_alu instid0(SALU_CYCLE_1) | instskip(SKIP_1) | instid1(SALU_CYCLE_1)
	v_cndmask_b32_e64 v9, 0, 1, s7
	s_and_b32 s7, s9, s25
	v_cndmask_b32_e64 v10, 0, 1, s7
	s_and_b32 s7, s10, s26
	s_delay_alu instid0(VALU_DEP_2) | instskip(SKIP_4) | instid1(VALU_DEP_4)
	v_cmp_ne_u32_e64 s8, 0, v9
	v_cndmask_b32_e64 v11, 0, 1, s7
	v_cmp_ne_u32_e64 s7, 0, v8
	v_cmp_ne_u32_e64 s9, 0, v10
	v_dual_mov_b32 v8, s70 :: v_dual_mov_b32 v9, s71
	v_cmp_ne_u32_e64 s10, 0, v11
	s_delay_alu instid0(VALU_DEP_4)
	s_bcnt1_i32_b32 s7, s7
	s_bcnt1_i32_b32 s8, s8
	s_bcnt1_i32_b32 s9, s9
	s_add_i32 s7, s8, s7
	s_bcnt1_i32_b32 s8, s10
	s_add_i32 s7, s7, s9
	v_mov_b32_e32 v10, s68
	s_add_i32 s7, s7, s8
	v_mov_b32_e32 v11, s69
	s_add_u32 s64, s64, s7
	s_addc_u32 s65, s65, 0
	s_delay_alu instid0(SALU_CYCLE_1) | instskip(SKIP_1) | instid1(SALU_CYCLE_1)
	v_dual_mov_b32 v14, s64 :: v_dual_mov_b32 v15, s65
	s_or_b32 s98, vcc_lo, s98
	s_and_not1_b32 exec_lo, exec_lo, s98
	s_cbranch_execnz .LBB180_59
; %bb.60:                               ;   in Loop: Header=BB180_6 Depth=1
	s_or_b32 exec_lo, exec_lo, s98
.LBB180_61:                             ;   in Loop: Header=BB180_6 Depth=1
	s_delay_alu instid0(SALU_CYCLE_1) | instskip(SKIP_2) | instid1(VALU_DEP_1)
	s_or_b32 exec_lo, exec_lo, s72
	v_add_nc_u32_e32 v18, s54, v0
	s_mov_b32 s14, exec_lo
	v_cmpx_gt_u32_e64 s62, v18
	s_cbranch_execz .LBB180_65
; %bb.62:                               ;   in Loop: Header=BB180_6 Depth=1
	v_dual_mov_b32 v4, v18 :: v_dual_lshlrev_b32 v35, 3, v18
	v_dual_mov_b32 v5, v19 :: v_dual_lshlrev_b32 v36, 3, v2
	s_mov_b32 s13, 0
	s_and_b32 s12, s62, 0x7fffffff
	s_and_b32 s16, s91, 0xfe
	s_mov_b32 s15, s13
.LBB180_63:                             ;   Parent Loop BB180_6 Depth=1
                                        ; =>  This Inner Loop Header: Depth=2
	ds_load_b64 v[37:38], v35
	v_add_co_u32 v4, s7, v4, v2
	s_delay_alu instid0(VALU_DEP_1) | instskip(NEXT) | instid1(VALU_DEP_1)
	v_add_co_ci_u32_e64 v5, s7, 0, v5, s7
	v_cmp_le_u64_e64 s7, s[12:13], v[4:5]
	s_waitcnt lgkmcnt(0)
	v_cmp_o_f64_e32 vcc_lo, v[37:38], v[37:38]
	v_ashrrev_i32_e32 v18, 31, v38
	s_delay_alu instid0(VALU_DEP_1) | instskip(SKIP_1) | instid1(VALU_DEP_2)
	v_or_b32_e32 v39, 0x80000000, v18
	v_xor_b32_e32 v18, v18, v37
	v_xor_b32_e32 v39, v39, v38
	s_delay_alu instid0(VALU_DEP_1) | instskip(NEXT) | instid1(VALU_DEP_3)
	v_dual_cndmask_b32 v38, -1, v39 :: v_dual_add_nc_u32 v35, v35, v36
	v_cndmask_b32_e32 v37, -1, v18, vcc_lo
	s_delay_alu instid0(VALU_DEP_2) | instskip(NEXT) | instid1(VALU_DEP_2)
	v_and_b32_e32 v40, v38, v30
	v_and_b32_e32 v39, v37, v29
	v_lshrrev_b64 v[37:38], s16, v[37:38]
	s_delay_alu instid0(VALU_DEP_2) | instskip(NEXT) | instid1(VALU_DEP_2)
	v_cmp_eq_u64_e32 vcc_lo, v[39:40], v[31:32]
	v_and_b32_e32 v18, 3, v37
	s_delay_alu instid0(VALU_DEP_1) | instskip(SKIP_3) | instid1(VALU_DEP_4)
	v_cmp_eq_u64_e64 s8, 0, v[18:19]
	v_cmp_eq_u64_e64 s9, 1, v[18:19]
	v_cmp_eq_u64_e64 s10, 2, v[18:19]
	v_cmp_eq_u64_e64 s11, 3, v[18:19]
	s_and_b32 s8, vcc_lo, s8
	s_delay_alu instid0(SALU_CYCLE_1) | instskip(NEXT) | instid1(VALU_DEP_4)
	v_cndmask_b32_e64 v18, 0, 1, s8
	s_and_b32 s8, vcc_lo, s9
	s_delay_alu instid0(SALU_CYCLE_1) | instskip(SKIP_1) | instid1(SALU_CYCLE_1)
	v_cndmask_b32_e64 v37, 0, 1, s8
	s_and_b32 s8, vcc_lo, s10
	v_cndmask_b32_e64 v38, 0, 1, s8
	s_and_b32 s8, vcc_lo, s11
	v_cmp_ne_u32_e32 vcc_lo, 0, v18
	v_cndmask_b32_e64 v39, 0, 1, s8
	v_cmp_ne_u32_e64 s8, 0, v37
	v_cmp_ne_u32_e64 s9, 0, v38
	s_bcnt1_i32_b32 s11, vcc_lo
	s_delay_alu instid0(VALU_DEP_3)
	v_cmp_ne_u32_e64 s10, 0, v39
	v_add_co_u32 v8, vcc_lo, v8, s11
	s_bcnt1_i32_b32 s8, s8
	v_add_co_ci_u32_e32 v9, vcc_lo, 0, v9, vcc_lo
	v_add_co_u32 v10, vcc_lo, v10, s8
	s_bcnt1_i32_b32 s9, s9
	v_add_co_ci_u32_e32 v11, vcc_lo, 0, v11, vcc_lo
	;; [unrolled: 3-line block ×3, first 2 shown]
	v_add_co_u32 v14, vcc_lo, v14, s10
	v_add_co_ci_u32_e32 v15, vcc_lo, 0, v15, vcc_lo
	s_or_b32 s15, s7, s15
	s_delay_alu instid0(SALU_CYCLE_1)
	s_and_not1_b32 exec_lo, exec_lo, s15
	s_cbranch_execnz .LBB180_63
; %bb.64:                               ;   in Loop: Header=BB180_6 Depth=1
	s_or_b32 exec_lo, exec_lo, s15
.LBB180_65:                             ;   in Loop: Header=BB180_6 Depth=1
	s_delay_alu instid0(SALU_CYCLE_1)
	s_or_b32 exec_lo, exec_lo, s14
.LBB180_66:                             ;   in Loop: Header=BB180_6 Depth=1
	s_lshl_b32 s7, s87, 7
	s_and_saveexec_b32 s8, s2
	s_cbranch_execz .LBB180_68
; %bb.67:                               ;   in Loop: Header=BB180_6 Depth=1
	v_or_b32_e32 v2, s7, v46
	s_delay_alu instid0(VALU_DEP_1)
	v_lshlrev_b32_e32 v2, 3, v2
	ds_store_b128 v2, v[8:11] offset:3072
	ds_store_b128 v2, v[12:15] offset:3088
.LBB180_68:                             ;   in Loop: Header=BB180_6 Depth=1
	s_or_b32 exec_lo, exec_lo, s8
	s_waitcnt vmcnt(0) lgkmcnt(0)
	s_barrier
	buffer_gl0_inv
	s_and_saveexec_b32 s8, s74
	s_cbranch_execz .LBB180_79
; %bb.69:                               ;   in Loop: Header=BB180_6 Depth=1
	v_mov_b32_e32 v4, 0
	v_mov_b32_e32 v5, 0
	s_and_not1_b32 vcc_lo, exec_lo, s82
	s_cbranch_vccnz .LBB180_78
; %bb.70:                               ;   in Loop: Header=BB180_6 Depth=1
	v_mov_b32_e32 v4, 0
	v_mov_b32_e32 v5, 0
	s_and_not1_b32 vcc_lo, exec_lo, s80
	s_cbranch_vccnz .LBB180_75
; %bb.71:                               ;   in Loop: Header=BB180_6 Depth=1
	v_lshl_add_u32 v2, s87, 10, v50
	s_mov_b32 s9, 0
	s_set_inst_prefetch_distance 0x1
	.p2align	6
.LBB180_72:                             ;   Parent Loop BB180_6 Depth=1
                                        ; =>  This Inner Loop Header: Depth=2
	ds_load_2addr_b64 v[8:11], v2 offset1:4
	ds_load_2addr_b64 v[12:15], v2 offset0:8 offset1:12
	ds_load_2addr_b64 v[35:38], v2 offset0:16 offset1:20
	s_add_i32 s9, s9, 8
	s_delay_alu instid0(SALU_CYCLE_1) | instskip(SKIP_3) | instid1(VALU_DEP_2)
	s_cmp_eq_u32 s81, s9
	s_waitcnt lgkmcnt(2)
	v_add_co_u32 v4, vcc_lo, v8, v4
	v_add_co_ci_u32_e32 v5, vcc_lo, v9, v5, vcc_lo
	v_add_co_u32 v4, vcc_lo, v10, v4
	s_delay_alu instid0(VALU_DEP_2)
	v_add_co_ci_u32_e32 v5, vcc_lo, v11, v5, vcc_lo
	ds_load_2addr_b64 v[8:11], v2 offset0:24 offset1:28
	s_waitcnt lgkmcnt(2)
	v_add_co_u32 v4, vcc_lo, v12, v4
	v_add_co_ci_u32_e32 v5, vcc_lo, v13, v5, vcc_lo
	v_add_nc_u32_e32 v2, 0x100, v2
	s_delay_alu instid0(VALU_DEP_3) | instskip(NEXT) | instid1(VALU_DEP_3)
	v_add_co_u32 v4, vcc_lo, v14, v4
	v_add_co_ci_u32_e32 v5, vcc_lo, v15, v5, vcc_lo
	s_waitcnt lgkmcnt(1)
	s_delay_alu instid0(VALU_DEP_2) | instskip(NEXT) | instid1(VALU_DEP_2)
	v_add_co_u32 v4, vcc_lo, v35, v4
	v_add_co_ci_u32_e32 v5, vcc_lo, v36, v5, vcc_lo
	s_delay_alu instid0(VALU_DEP_2) | instskip(NEXT) | instid1(VALU_DEP_2)
	v_add_co_u32 v4, vcc_lo, v37, v4
	v_add_co_ci_u32_e32 v5, vcc_lo, v38, v5, vcc_lo
	s_waitcnt lgkmcnt(0)
	s_delay_alu instid0(VALU_DEP_2) | instskip(NEXT) | instid1(VALU_DEP_2)
	v_add_co_u32 v4, vcc_lo, v8, v4
	v_add_co_ci_u32_e32 v5, vcc_lo, v9, v5, vcc_lo
	s_delay_alu instid0(VALU_DEP_2) | instskip(NEXT) | instid1(VALU_DEP_2)
	v_add_co_u32 v4, vcc_lo, v10, v4
	v_add_co_ci_u32_e32 v5, vcc_lo, v11, v5, vcc_lo
	s_cbranch_scc0 .LBB180_72
; %bb.73:                               ;   in Loop: Header=BB180_6 Depth=1
	s_set_inst_prefetch_distance 0x2
	s_mov_b32 s9, s81
	s_and_not1_b32 vcc_lo, exec_lo, s83
	s_cbranch_vccz .LBB180_76
	s_branch .LBB180_78
.LBB180_74:                             ;   in Loop: Header=BB180_6 Depth=1
                                        ; implicit-def: $vgpr4_vgpr5
	s_branch .LBB180_42
.LBB180_75:                             ;   in Loop: Header=BB180_6 Depth=1
	s_mov_b32 s9, 0
	s_and_not1_b32 vcc_lo, exec_lo, s83
	s_cbranch_vccnz .LBB180_78
.LBB180_76:                             ;   in Loop: Header=BB180_6 Depth=1
	s_lshl_b32 s10, s87, 10
	s_lshl_b32 s9, s9, 5
	s_delay_alu instid0(SALU_CYCLE_1)
	v_add3_u32 v2, s10, s9, v50
	s_mov_b32 s9, s79
.LBB180_77:                             ;   Parent Loop BB180_6 Depth=1
                                        ; =>  This Inner Loop Header: Depth=2
	ds_load_b64 v[8:9], v2
	v_add_nc_u32_e32 v2, 32, v2
	s_add_i32 s9, s9, -1
	s_delay_alu instid0(SALU_CYCLE_1)
	s_cmp_lg_u32 s9, 0
	s_waitcnt lgkmcnt(0)
	v_add_co_u32 v4, vcc_lo, v8, v4
	v_add_co_ci_u32_e32 v5, vcc_lo, v9, v5, vcc_lo
	s_cbranch_scc1 .LBB180_77
.LBB180_78:                             ;   in Loop: Header=BB180_6 Depth=1
	v_add_lshl_u32 v2, s7, v44, 3
	ds_store_b64 v2, v[4:5] offset:3072
.LBB180_79:                             ;   in Loop: Header=BB180_6 Depth=1
	s_or_b32 exec_lo, exec_lo, s8
	s_lshl_b32 s7, s7, 3
	s_waitcnt lgkmcnt(0)
	v_mov_b32_e32 v2, s7
	s_barrier
	buffer_gl0_inv
	s_and_b32 s24, s91, 0xfe
	v_cmp_eq_u64_e64 s7, 1, v[33:34]
	ds_load_b128 v[8:11], v2 offset:3072
	ds_load_b128 v[12:15], v2 offset:3088
	s_lshl_b64 s[12:13], 3, s24
	s_mov_b32 s62, 0
	s_and_not1_b32 vcc_lo, exec_lo, s43
	s_not_b64 s[14:15], s[12:13]
	s_waitcnt lgkmcnt(1)
	v_readfirstlane_b32 s11, v9
	v_readfirstlane_b32 s10, v8
	;; [unrolled: 1-line block ×4, first 2 shown]
	s_waitcnt lgkmcnt(0)
	v_readfirstlane_b32 s19, v13
	v_readfirstlane_b32 s18, v12
	;; [unrolled: 1-line block ×4, first 2 shown]
	s_cbranch_vccnz .LBB180_95
; %bb.80:                               ;   in Loop: Header=BB180_6 Depth=1
	s_cmp_eq_u64 s[10:11], 1
	v_dual_mov_b32 v12, v31 :: v_dual_mov_b32 v13, v32
	v_dual_mov_b32 v14, v29 :: v_dual_mov_b32 v15, v30
	;; [unrolled: 1-line block ×3, first 2 shown]
	s_cselect_b32 s8, -1, 0
                                        ; implicit-def: $sgpr25
                                        ; implicit-def: $sgpr64
                                        ; implicit-def: $sgpr63
	s_delay_alu instid0(SALU_CYCLE_1)
	s_and_b32 s67, s8, s7
	s_mov_b32 s8, -1
	s_and_saveexec_b32 s54, s67
	s_cbranch_execz .LBB180_114
; %bb.81:                               ;   in Loop: Header=BB180_6 Depth=1
	ds_load_b64 v[4:5], v19 offset:5120
	s_waitcnt lgkmcnt(0)
	s_barrier
	buffer_gl0_inv
	v_readfirstlane_b32 s22, v4
	v_readfirstlane_b32 s23, v5
	s_and_saveexec_b32 s8, s6
	s_cbranch_execz .LBB180_83
; %bb.82:                               ;   in Loop: Header=BB180_6 Depth=1
	v_mov_b32_e32 v18, v19
	ds_store_b64 v47, v[18:19]
.LBB180_83:                             ;   in Loop: Header=BB180_6 Depth=1
	s_or_b32 exec_lo, exec_lo, s8
	v_and_b32_e32 v13, s15, v32
	v_and_b32_e32 v12, s14, v31
	v_or_b32_e32 v15, s13, v30
	v_or_b32_e32 v14, s12, v29
	s_cmp_eq_u64 s[22:23], 0
	s_waitcnt lgkmcnt(0)
	s_barrier
	buffer_gl0_inv
	s_cbranch_scc1 .LBB180_97
; %bb.84:                               ;   in Loop: Header=BB180_6 Depth=1
	s_add_u32 s25, s76, s22
	s_addc_u32 s9, s77, s23
	s_mov_b32 s8, s55
	s_delay_alu instid0(SALU_CYCLE_1)
	s_cmp_lg_u64 s[8:9], 0
	s_cbranch_scc0 .LBB180_141
; %bb.85:                               ;   in Loop: Header=BB180_6 Depth=1
	v_cvt_f32_u32_e32 v2, s33
	s_sub_u32 s44, 0, s33
	s_subb_u32 s45, 0, 0
	s_delay_alu instid0(VALU_DEP_1) | instskip(NEXT) | instid1(VALU_DEP_1)
	v_fmac_f32_e64 v2, 0, 0x4f800000
	v_rcp_f32_e32 v2, v2
	s_waitcnt_depctr 0xfff
	v_mul_f32_e32 v2, 0x5f7ffffc, v2
	s_delay_alu instid0(VALU_DEP_1) | instskip(NEXT) | instid1(VALU_DEP_1)
	v_mul_f32_e32 v4, 0x2f800000, v2
	v_trunc_f32_e32 v4, v4
	s_delay_alu instid0(VALU_DEP_1) | instskip(SKIP_1) | instid1(VALU_DEP_2)
	v_fmac_f32_e32 v2, 0xcf800000, v4
	v_cvt_u32_f32_e32 v4, v4
	v_cvt_u32_f32_e32 v2, v2
	s_delay_alu instid0(VALU_DEP_2) | instskip(NEXT) | instid1(VALU_DEP_2)
	v_readfirstlane_b32 s8, v4
	v_readfirstlane_b32 s26, v2
	s_delay_alu instid0(VALU_DEP_2) | instskip(NEXT) | instid1(VALU_DEP_1)
	s_mul_i32 s46, s44, s8
	s_mul_hi_u32 s62, s44, s26
	s_mul_i32 s47, s45, s26
	s_add_i32 s46, s62, s46
	s_mul_i32 s63, s44, s26
	s_add_i32 s46, s46, s47
	s_mul_hi_u32 s62, s26, s63
	s_mul_hi_u32 s64, s8, s63
	s_mul_i32 s47, s8, s63
	s_mul_hi_u32 s63, s26, s46
	s_mul_i32 s26, s26, s46
	s_mul_hi_u32 s65, s8, s46
	s_add_u32 s26, s62, s26
	s_addc_u32 s62, 0, s63
	s_add_u32 s26, s26, s47
	s_mul_i32 s46, s8, s46
	s_addc_u32 s26, s62, s64
	s_addc_u32 s47, s65, 0
	s_add_u32 s26, s26, s46
	s_addc_u32 s46, 0, s47
	v_add_co_u32 v2, s26, v2, s26
	s_delay_alu instid0(VALU_DEP_1) | instskip(SKIP_1) | instid1(VALU_DEP_1)
	s_cmp_lg_u32 s26, 0
	s_addc_u32 s8, s8, s46
	v_readfirstlane_b32 s26, v2
	s_mul_i32 s46, s44, s8
	s_delay_alu instid0(VALU_DEP_1)
	s_mul_hi_u32 s47, s44, s26
	s_mul_i32 s45, s45, s26
	s_add_i32 s46, s47, s46
	s_mul_i32 s44, s44, s26
	s_add_i32 s46, s46, s45
	s_mul_hi_u32 s47, s8, s44
	s_mul_i32 s62, s8, s44
	s_mul_hi_u32 s44, s26, s44
	s_mul_hi_u32 s63, s26, s46
	s_mul_i32 s26, s26, s46
	s_mul_hi_u32 s45, s8, s46
	s_add_u32 s26, s44, s26
	s_addc_u32 s44, 0, s63
	s_add_u32 s26, s26, s62
	s_mul_i32 s46, s8, s46
	s_addc_u32 s26, s44, s47
	s_addc_u32 s44, s45, 0
	s_add_u32 s26, s26, s46
	s_addc_u32 s44, 0, s44
	v_add_co_u32 v2, s26, v2, s26
	s_delay_alu instid0(VALU_DEP_1) | instskip(SKIP_1) | instid1(VALU_DEP_1)
	s_cmp_lg_u32 s26, 0
	s_addc_u32 s8, s8, s44
	v_readfirstlane_b32 s26, v2
	s_mul_i32 s45, s25, s8
	s_mul_hi_u32 s44, s25, s8
	s_mul_hi_u32 s46, s9, s8
	s_mul_i32 s8, s9, s8
	s_mul_hi_u32 s47, s25, s26
	s_mul_hi_u32 s62, s9, s26
	s_mul_i32 s26, s9, s26
	s_add_u32 s45, s47, s45
	s_addc_u32 s44, 0, s44
	s_add_u32 s26, s45, s26
	s_addc_u32 s26, s44, s62
	s_addc_u32 s44, s46, 0
	s_add_u32 s8, s26, s8
	s_addc_u32 s26, 0, s44
	s_mul_hi_u32 s44, s33, s8
	s_mul_i32 s8, s33, s8
	s_mul_i32 s26, s33, s26
	v_sub_co_u32 v2, s8, s25, s8
	s_add_i32 s44, s44, s26
	s_cmp_lg_u32 s8, 0
	s_delay_alu instid0(VALU_DEP_1) | instskip(SKIP_2) | instid1(VALU_DEP_1)
	v_sub_co_u32 v4, s8, v2, s33
	s_subb_u32 s26, s9, s44
	s_cmp_lg_u32 s8, 0
	v_cmp_le_u32_e32 vcc_lo, s33, v4
	v_sub_co_u32 v5, s8, v4, s33
	s_subb_u32 s44, s26, 0
	s_cmp_lg_u32 s8, 0
	v_cndmask_b32_e64 v8, 0, -1, vcc_lo
	s_subb_u32 s8, s44, 0
	s_cmp_eq_u32 s44, 0
	v_mov_b32_e32 v10, s8
	s_cselect_b32 vcc_lo, -1, 0
	s_cmp_eq_u32 s26, 0
	v_cndmask_b32_e32 v8, -1, v8, vcc_lo
	v_cmp_le_u32_e32 vcc_lo, s33, v2
	s_cselect_b32 s8, -1, 0
	v_cndmask_b32_e64 v9, 0, -1, vcc_lo
	s_delay_alu instid0(VALU_DEP_3) | instskip(NEXT) | instid1(VALU_DEP_2)
	v_cmp_ne_u32_e32 vcc_lo, 0, v8
	v_cndmask_b32_e64 v8, -1, v9, s8
	v_cndmask_b32_e32 v9, s44, v10, vcc_lo
	v_cndmask_b32_e32 v4, v4, v5, vcc_lo
	s_delay_alu instid0(VALU_DEP_3) | instskip(NEXT) | instid1(VALU_DEP_3)
	v_cmp_ne_u32_e32 vcc_lo, 0, v8
	v_cndmask_b32_e32 v5, s26, v9, vcc_lo
	s_delay_alu instid0(VALU_DEP_3)
	v_cndmask_b32_e32 v4, v2, v4, vcc_lo
	s_cbranch_execnz .LBB180_87
.LBB180_86:                             ;   in Loop: Header=BB180_6 Depth=1
	v_cvt_f32_u32_e32 v2, s33
	s_sub_i32 s8, 0, s33
	s_delay_alu instid0(VALU_DEP_1) | instskip(SKIP_2) | instid1(VALU_DEP_1)
	v_rcp_iflag_f32_e32 v2, v2
	s_waitcnt_depctr 0xfff
	v_mul_f32_e32 v2, 0x4f7ffffe, v2
	v_cvt_u32_f32_e32 v2, v2
	s_delay_alu instid0(VALU_DEP_1) | instskip(NEXT) | instid1(VALU_DEP_1)
	v_mul_lo_u32 v4, s8, v2
	v_mul_hi_u32 v4, v2, v4
	s_delay_alu instid0(VALU_DEP_1) | instskip(NEXT) | instid1(VALU_DEP_1)
	v_add_nc_u32_e32 v2, v2, v4
	v_mul_hi_u32 v2, s25, v2
	s_delay_alu instid0(VALU_DEP_1) | instskip(NEXT) | instid1(VALU_DEP_1)
	v_mul_lo_u32 v2, v2, s33
	v_sub_nc_u32_e32 v2, s25, v2
	s_delay_alu instid0(VALU_DEP_1) | instskip(SKIP_1) | instid1(VALU_DEP_2)
	v_subrev_nc_u32_e32 v4, s33, v2
	v_cmp_le_u32_e32 vcc_lo, s33, v2
	v_cndmask_b32_e32 v2, v2, v4, vcc_lo
	s_delay_alu instid0(VALU_DEP_1) | instskip(SKIP_1) | instid1(VALU_DEP_2)
	v_subrev_nc_u32_e32 v4, s33, v2
	v_cmp_le_u32_e32 vcc_lo, s33, v2
	v_cndmask_b32_e32 v18, v2, v4, vcc_lo
	s_delay_alu instid0(VALU_DEP_1)
	v_dual_mov_b32 v4, v18 :: v_dual_mov_b32 v5, v19
.LBB180_87:                             ;   in Loop: Header=BB180_6 Depth=1
	s_delay_alu instid0(VALU_DEP_1) | instskip(NEXT) | instid1(VALU_DEP_2)
	v_sub_co_u32 v35, vcc_lo, s25, v4
	v_sub_co_ci_u32_e32 v36, vcc_lo, s9, v5, vcc_lo
	s_mov_b32 s8, 0
	s_mov_b32 s9, exec_lo
                                        ; implicit-def: $vgpr10_vgpr11
	s_delay_alu instid0(VALU_DEP_1)
	v_cmpx_gt_u64_e64 v[35:36], v[0:1]
	s_cbranch_execz .LBB180_99
; %bb.88:                               ;   in Loop: Header=BB180_6 Depth=1
	v_mov_b32_e32 v38, v1
	v_dual_mov_b32 v18, v45 :: v_dual_mov_b32 v37, v0
	s_mov_b32 s26, 0
                                        ; implicit-def: $sgpr25
	s_set_inst_prefetch_distance 0x1
	s_branch .LBB180_90
	.p2align	6
.LBB180_89:                             ;   in Loop: Header=BB180_90 Depth=2
	s_or_b32 exec_lo, exec_lo, s8
	s_waitcnt lgkmcnt(0)
	s_barrier
	buffer_gl0_inv
	ds_load_b128 v[8:11], v19 offset:3072
	v_add_co_u32 v37, s8, v37, s33
	s_delay_alu instid0(VALU_DEP_1) | instskip(SKIP_3) | instid1(VALU_DEP_2)
	v_add_co_ci_u32_e64 v38, s8, 0, v38, s8
	v_add_nc_u32_e32 v18, s84, v18
	s_waitcnt lgkmcnt(0)
	s_barrier
	v_cmp_ge_u64_e64 s8, v[37:38], v[35:36]
	buffer_gl0_inv
	v_cmp_neq_f64_e32 vcc_lo, 0, v[8:9]
	s_or_b32 s8, s8, vcc_lo
	s_delay_alu instid0(SALU_CYCLE_1) | instskip(NEXT) | instid1(SALU_CYCLE_1)
	s_and_b32 s8, exec_lo, s8
	s_or_b32 s26, s8, s26
	s_and_not1_b32 s8, s25, exec_lo
	s_and_b32 s25, vcc_lo, exec_lo
	s_delay_alu instid0(SALU_CYCLE_1)
	s_or_b32 s25, s8, s25
	s_and_not1_b32 exec_lo, exec_lo, s26
	s_cbranch_execz .LBB180_98
.LBB180_90:                             ;   Parent Loop BB180_6 Depth=1
                                        ; =>  This Inner Loop Header: Depth=2
	s_delay_alu instid0(VALU_DEP_1)
	v_cmp_gt_u64_e32 vcc_lo, s[22:23], v[37:38]
	v_mov_b32_e32 v4, 0
	v_mov_b32_e32 v5, 0
	s_and_saveexec_b32 s8, vcc_lo
	s_cbranch_execz .LBB180_92
; %bb.91:                               ;   in Loop: Header=BB180_90 Depth=2
	ds_load_b64 v[4:5], v18
.LBB180_92:                             ;   in Loop: Header=BB180_90 Depth=2
	s_or_b32 exec_lo, exec_lo, s8
	s_and_saveexec_b32 s8, vcc_lo
	s_cbranch_execz .LBB180_89
; %bb.93:                               ;   in Loop: Header=BB180_90 Depth=2
	s_waitcnt lgkmcnt(0)
	v_cmp_o_f64_e32 vcc_lo, v[4:5], v[4:5]
	v_ashrrev_i32_e32 v2, 31, v5
	s_delay_alu instid0(VALU_DEP_1) | instskip(SKIP_1) | instid1(VALU_DEP_2)
	v_or_b32_e32 v8, 0x80000000, v2
	v_xor_b32_e32 v2, v2, v4
	v_xor_b32_e32 v8, v8, v5
	s_delay_alu instid0(VALU_DEP_1) | instskip(NEXT) | instid1(VALU_DEP_1)
	v_cndmask_b32_e32 v8, -1, v8, vcc_lo
	v_dual_cndmask_b32 v2, -1, v2 :: v_dual_and_b32 v9, v8, v15
	s_delay_alu instid0(VALU_DEP_1) | instskip(NEXT) | instid1(VALU_DEP_1)
	v_and_b32_e32 v8, v2, v14
	v_cmp_eq_u64_e32 vcc_lo, v[8:9], v[12:13]
	s_and_b32 exec_lo, exec_lo, vcc_lo
	s_cbranch_execz .LBB180_89
; %bb.94:                               ;   in Loop: Header=BB180_90 Depth=2
	v_mov_b32_e32 v2, v19
	ds_store_b128 v19, v[2:5] offset:3072
	s_branch .LBB180_89
.LBB180_95:                             ;   in Loop: Header=BB180_6 Depth=1
	s_mov_b32 s54, 0
                                        ; implicit-def: $sgpr63
                                        ; implicit-def: $sgpr64
                                        ; implicit-def: $sgpr25
                                        ; implicit-def: $vgpr2
                                        ; implicit-def: $vgpr35_vgpr36
                                        ; implicit-def: $vgpr12_vgpr13
                                        ; implicit-def: $vgpr14_vgpr15
                                        ; implicit-def: $vgpr10_vgpr11
	s_cbranch_execnz .LBB180_278
.LBB180_96:                             ;   in Loop: Header=BB180_6 Depth=1
	s_mov_b32 s22, s25
	s_mov_b32 s23, s25
	s_and_saveexec_b32 s7, s62
	s_cbranch_execnz .LBB180_474
	s_branch .LBB180_475
.LBB180_97:                             ;   in Loop: Header=BB180_6 Depth=1
	s_mov_b32 s25, -1
	s_mov_b32 s8, 0
                                        ; implicit-def: $sgpr63
                                        ; implicit-def: $vgpr10_vgpr11
	s_mov_b32 s64, s25
	s_cbranch_execnz .LBB180_100
	s_branch .LBB180_113
.LBB180_98:                             ;   in Loop: Header=BB180_6 Depth=1
	s_set_inst_prefetch_distance 0x2
	s_or_b32 exec_lo, exec_lo, s26
	s_delay_alu instid0(SALU_CYCLE_1)
	s_and_b32 s8, s25, exec_lo
.LBB180_99:                             ;   in Loop: Header=BB180_6 Depth=1
	s_or_b32 exec_lo, exec_lo, s9
	s_mov_b32 s63, -1
	s_mov_b32 s25, 0
	s_delay_alu instid0(SALU_CYCLE_1)
	s_mov_b32 s64, s25
	s_branch .LBB180_113
.LBB180_100:                            ;   in Loop: Header=BB180_6 Depth=1
	s_mov_b32 s26, s55
	s_delay_alu instid0(SALU_CYCLE_1)
	s_cmp_lg_u64 s[26:27], 0
	s_cbranch_scc0 .LBB180_142
; %bb.101:                              ;   in Loop: Header=BB180_6 Depth=1
	v_cvt_f32_u32_e32 v2, s33
	s_sub_u32 s22, 0, s33
	s_subb_u32 s23, 0, 0
	s_delay_alu instid0(VALU_DEP_1) | instskip(NEXT) | instid1(VALU_DEP_1)
	v_fmac_f32_e64 v2, 0, 0x4f800000
	v_rcp_f32_e32 v2, v2
	s_waitcnt_depctr 0xfff
	v_mul_f32_e32 v2, 0x5f7ffffc, v2
	s_delay_alu instid0(VALU_DEP_1) | instskip(NEXT) | instid1(VALU_DEP_1)
	v_mul_f32_e32 v4, 0x2f800000, v2
	v_trunc_f32_e32 v4, v4
	s_delay_alu instid0(VALU_DEP_1) | instskip(SKIP_1) | instid1(VALU_DEP_2)
	v_fmac_f32_e32 v2, 0xcf800000, v4
	v_cvt_u32_f32_e32 v4, v4
	v_cvt_u32_f32_e32 v2, v2
	s_delay_alu instid0(VALU_DEP_2) | instskip(NEXT) | instid1(VALU_DEP_2)
	v_readfirstlane_b32 s8, v4
	v_readfirstlane_b32 s9, v2
	s_delay_alu instid0(VALU_DEP_2) | instskip(NEXT) | instid1(VALU_DEP_1)
	s_mul_i32 s25, s22, s8
	s_mul_hi_u32 s44, s22, s9
	s_mul_i32 s26, s23, s9
	s_add_i32 s25, s44, s25
	s_mul_i32 s45, s22, s9
	s_add_i32 s25, s25, s26
	s_mul_hi_u32 s44, s9, s45
	s_mul_hi_u32 s46, s8, s45
	s_mul_i32 s26, s8, s45
	s_mul_hi_u32 s45, s9, s25
	s_mul_i32 s9, s9, s25
	s_mul_hi_u32 s47, s8, s25
	s_add_u32 s9, s44, s9
	s_addc_u32 s44, 0, s45
	s_add_u32 s9, s9, s26
	s_mul_i32 s25, s8, s25
	s_addc_u32 s9, s44, s46
	s_addc_u32 s26, s47, 0
	s_add_u32 s9, s9, s25
	s_addc_u32 s25, 0, s26
	v_add_co_u32 v2, s9, v2, s9
	s_delay_alu instid0(VALU_DEP_1) | instskip(SKIP_1) | instid1(VALU_DEP_1)
	s_cmp_lg_u32 s9, 0
	s_addc_u32 s8, s8, s25
	v_readfirstlane_b32 s9, v2
	s_mul_i32 s25, s22, s8
	s_delay_alu instid0(VALU_DEP_1)
	s_mul_hi_u32 s26, s22, s9
	s_mul_i32 s23, s23, s9
	s_add_i32 s25, s26, s25
	s_mul_i32 s22, s22, s9
	s_add_i32 s25, s25, s23
	s_mul_hi_u32 s26, s8, s22
	s_mul_i32 s44, s8, s22
	s_mul_hi_u32 s22, s9, s22
	s_mul_hi_u32 s45, s9, s25
	s_mul_i32 s9, s9, s25
	s_mul_hi_u32 s23, s8, s25
	s_add_u32 s9, s22, s9
	s_addc_u32 s22, 0, s45
	s_add_u32 s9, s9, s44
	s_mul_i32 s25, s8, s25
	s_addc_u32 s9, s22, s26
	s_addc_u32 s22, s23, 0
	s_add_u32 s9, s9, s25
	s_addc_u32 s22, 0, s22
	v_add_co_u32 v2, s9, v2, s9
	s_delay_alu instid0(VALU_DEP_1) | instskip(SKIP_1) | instid1(VALU_DEP_1)
	s_cmp_lg_u32 s9, 0
	s_addc_u32 s8, s8, s22
	v_readfirstlane_b32 s9, v2
	s_mul_i32 s23, s78, s8
	s_mul_hi_u32 s22, s78, s8
	s_mul_hi_u32 s25, s27, s8
	s_mul_i32 s8, s27, s8
	s_mul_hi_u32 s26, s78, s9
	s_mul_hi_u32 s44, s27, s9
	s_mul_i32 s9, s27, s9
	s_add_u32 s23, s26, s23
	s_addc_u32 s22, 0, s22
	s_add_u32 s9, s23, s9
	s_addc_u32 s9, s22, s44
	s_addc_u32 s22, s25, 0
	s_add_u32 s8, s9, s8
	s_addc_u32 s9, 0, s22
	s_mul_hi_u32 s22, s33, s8
	s_mul_i32 s8, s33, s8
	s_mul_i32 s9, s33, s9
	v_sub_co_u32 v2, s8, s78, s8
	s_add_i32 s22, s22, s9
	s_cmp_lg_u32 s8, 0
	s_delay_alu instid0(VALU_DEP_1) | instskip(SKIP_2) | instid1(VALU_DEP_1)
	v_sub_co_u32 v4, s8, v2, s33
	s_subb_u32 s9, s27, s22
	s_cmp_lg_u32 s8, 0
	v_cmp_le_u32_e32 vcc_lo, s33, v4
	v_sub_co_u32 v5, s8, v4, s33
	s_subb_u32 s22, s9, 0
	s_cmp_lg_u32 s8, 0
	v_cndmask_b32_e64 v8, 0, -1, vcc_lo
	s_subb_u32 s8, s22, 0
	s_cmp_eq_u32 s22, 0
	v_mov_b32_e32 v10, s8
	s_cselect_b32 vcc_lo, -1, 0
	s_cmp_eq_u32 s9, 0
	v_cndmask_b32_e32 v8, -1, v8, vcc_lo
	v_cmp_le_u32_e32 vcc_lo, s33, v2
	s_cselect_b32 s8, -1, 0
	v_cndmask_b32_e64 v9, 0, -1, vcc_lo
	s_delay_alu instid0(VALU_DEP_3) | instskip(NEXT) | instid1(VALU_DEP_2)
	v_cmp_ne_u32_e32 vcc_lo, 0, v8
	v_cndmask_b32_e64 v8, -1, v9, s8
	v_cndmask_b32_e32 v9, s22, v10, vcc_lo
	v_cndmask_b32_e32 v4, v4, v5, vcc_lo
	s_delay_alu instid0(VALU_DEP_3) | instskip(NEXT) | instid1(VALU_DEP_3)
	v_cmp_ne_u32_e32 vcc_lo, 0, v8
	v_cndmask_b32_e32 v5, s9, v9, vcc_lo
	s_delay_alu instid0(VALU_DEP_3)
	v_cndmask_b32_e32 v4, v2, v4, vcc_lo
	s_cbranch_execnz .LBB180_103
.LBB180_102:                            ;   in Loop: Header=BB180_6 Depth=1
	v_cvt_f32_u32_e32 v2, s33
	s_sub_i32 s8, 0, s33
	s_delay_alu instid0(VALU_DEP_1) | instskip(SKIP_2) | instid1(VALU_DEP_1)
	v_rcp_iflag_f32_e32 v2, v2
	s_waitcnt_depctr 0xfff
	v_mul_f32_e32 v2, 0x4f7ffffe, v2
	v_cvt_u32_f32_e32 v2, v2
	s_delay_alu instid0(VALU_DEP_1) | instskip(NEXT) | instid1(VALU_DEP_1)
	v_mul_lo_u32 v4, s8, v2
	v_mul_hi_u32 v4, v2, v4
	s_delay_alu instid0(VALU_DEP_1) | instskip(NEXT) | instid1(VALU_DEP_1)
	v_add_nc_u32_e32 v2, v2, v4
	v_mul_hi_u32 v2, s78, v2
	s_delay_alu instid0(VALU_DEP_1) | instskip(NEXT) | instid1(VALU_DEP_1)
	v_mul_lo_u32 v2, v2, s33
	v_sub_nc_u32_e32 v2, s78, v2
	s_delay_alu instid0(VALU_DEP_1) | instskip(SKIP_1) | instid1(VALU_DEP_2)
	v_subrev_nc_u32_e32 v4, s33, v2
	v_cmp_le_u32_e32 vcc_lo, s33, v2
	v_cndmask_b32_e32 v2, v2, v4, vcc_lo
	s_delay_alu instid0(VALU_DEP_1) | instskip(SKIP_1) | instid1(VALU_DEP_2)
	v_subrev_nc_u32_e32 v4, s33, v2
	v_cmp_le_u32_e32 vcc_lo, s33, v2
	v_cndmask_b32_e32 v18, v2, v4, vcc_lo
	s_delay_alu instid0(VALU_DEP_1)
	v_dual_mov_b32 v4, v18 :: v_dual_mov_b32 v5, v19
.LBB180_103:                            ;   in Loop: Header=BB180_6 Depth=1
	s_delay_alu instid0(VALU_DEP_1) | instskip(NEXT) | instid1(VALU_DEP_2)
	v_sub_co_u32 v35, vcc_lo, s78, v4
	v_sub_co_ci_u32_e32 v36, vcc_lo, s27, v5, vcc_lo
	s_mov_b32 s8, 0
	s_mov_b32 s9, exec_lo
                                        ; implicit-def: $vgpr10_vgpr11
	s_delay_alu instid0(VALU_DEP_1)
	v_cmpx_gt_u64_e64 v[35:36], v[0:1]
	s_cbranch_execz .LBB180_112
; %bb.104:                              ;   in Loop: Header=BB180_6 Depth=1
	v_dual_mov_b32 v38, v17 :: v_dual_mov_b32 v37, v16
	v_dual_mov_b32 v40, v1 :: v_dual_mov_b32 v39, v0
	s_mov_b32 s23, 0
                                        ; implicit-def: $sgpr22
	s_branch .LBB180_106
.LBB180_105:                            ;   in Loop: Header=BB180_106 Depth=2
	s_or_b32 exec_lo, exec_lo, s8
	s_waitcnt vmcnt(0) lgkmcnt(0)
	s_barrier
	buffer_gl0_inv
	ds_load_b128 v[8:11], v19 offset:3072
	v_add_co_u32 v39, s8, v39, s33
	s_delay_alu instid0(VALU_DEP_1)
	v_add_co_ci_u32_e64 v40, s8, 0, v40, s8
	s_waitcnt lgkmcnt(0)
	s_barrier
	buffer_gl0_inv
	v_cmp_ge_u64_e64 s8, v[39:40], v[35:36]
	v_cmp_neq_f64_e32 vcc_lo, 0, v[8:9]
	s_delay_alu instid0(VALU_DEP_2) | instskip(NEXT) | instid1(SALU_CYCLE_1)
	s_or_b32 s8, s8, vcc_lo
	s_and_b32 s25, exec_lo, s8
	v_add_co_u32 v37, s8, v37, s34
	s_delay_alu instid0(VALU_DEP_1) | instskip(SKIP_3) | instid1(SALU_CYCLE_1)
	v_add_co_ci_u32_e64 v38, s8, s35, v38, s8
	s_or_b32 s23, s25, s23
	s_and_not1_b32 s8, s22, exec_lo
	s_and_b32 s22, vcc_lo, exec_lo
	s_or_b32 s22, s8, s22
	s_and_not1_b32 exec_lo, exec_lo, s23
	s_cbranch_execz .LBB180_111
.LBB180_106:                            ;   Parent Loop BB180_6 Depth=1
                                        ; =>  This Inner Loop Header: Depth=2
	s_delay_alu instid0(VALU_DEP_1)
	v_cmp_gt_u64_e32 vcc_lo, s[28:29], v[39:40]
	v_mov_b32_e32 v4, 0
	v_mov_b32_e32 v5, 0
	s_and_saveexec_b32 s8, vcc_lo
	s_cbranch_execz .LBB180_108
; %bb.107:                              ;   in Loop: Header=BB180_106 Depth=2
	global_load_b64 v[4:5], v[37:38], off
.LBB180_108:                            ;   in Loop: Header=BB180_106 Depth=2
	s_or_b32 exec_lo, exec_lo, s8
	s_and_saveexec_b32 s8, vcc_lo
	s_cbranch_execz .LBB180_105
; %bb.109:                              ;   in Loop: Header=BB180_106 Depth=2
	s_waitcnt vmcnt(0)
	v_cmp_o_f64_e32 vcc_lo, v[4:5], v[4:5]
	v_ashrrev_i32_e32 v2, 31, v5
	s_delay_alu instid0(VALU_DEP_1) | instskip(SKIP_1) | instid1(VALU_DEP_2)
	v_or_b32_e32 v8, 0x80000000, v2
	v_xor_b32_e32 v2, v2, v4
	v_xor_b32_e32 v8, v8, v5
	s_delay_alu instid0(VALU_DEP_1) | instskip(NEXT) | instid1(VALU_DEP_1)
	v_cndmask_b32_e32 v8, -1, v8, vcc_lo
	v_dual_cndmask_b32 v2, -1, v2 :: v_dual_and_b32 v9, v8, v15
	s_delay_alu instid0(VALU_DEP_1) | instskip(NEXT) | instid1(VALU_DEP_1)
	v_and_b32_e32 v8, v2, v14
	v_cmp_eq_u64_e32 vcc_lo, v[8:9], v[12:13]
	s_and_b32 exec_lo, exec_lo, vcc_lo
	s_cbranch_execz .LBB180_105
; %bb.110:                              ;   in Loop: Header=BB180_106 Depth=2
	v_mov_b32_e32 v2, v19
	ds_store_b128 v19, v[2:5] offset:3072
	s_branch .LBB180_105
.LBB180_111:                            ;   in Loop: Header=BB180_6 Depth=1
	s_or_b32 exec_lo, exec_lo, s23
	s_delay_alu instid0(SALU_CYCLE_1)
	s_and_b32 s8, s22, exec_lo
.LBB180_112:                            ;   in Loop: Header=BB180_6 Depth=1
	s_or_b32 exec_lo, exec_lo, s9
	s_mov_b32 s64, -1
	s_mov_b32 s25, 0
	s_mov_b32 s63, 0
.LBB180_113:                            ;   in Loop: Header=BB180_6 Depth=1
	s_or_not1_b32 s8, s8, exec_lo
.LBB180_114:                            ;   in Loop: Header=BB180_6 Depth=1
	s_or_b32 exec_lo, exec_lo, s54
	s_mov_b32 s65, 0
	s_mov_b32 s62, 0
	;; [unrolled: 1-line block ×3, first 2 shown]
                                        ; implicit-def: $vgpr2
                                        ; implicit-def: $vgpr35_vgpr36
	s_and_saveexec_b32 s66, s8
	s_cbranch_execz .LBB180_277
; %bb.115:                              ;   in Loop: Header=BB180_6 Depth=1
	v_dual_mov_b32 v35, 1 :: v_dual_mov_b32 v2, 1
	v_mov_b32_e32 v36, 0
	s_xor_b32 s9, s67, -1
	s_mov_b32 s26, 0
	s_and_saveexec_b32 s8, s9
	s_cbranch_execz .LBB180_125
; %bb.116:                              ;   in Loop: Header=BB180_6 Depth=1
	s_mov_b32 s22, exec_lo
                                        ; implicit-def: $sgpr23
                                        ; implicit-def: $sgpr9
	v_cmpx_ge_u64_e64 s[10:11], v[33:34]
	s_xor_b32 s22, exec_lo, s22
	s_cbranch_execz .LBB180_122
; %bb.117:                              ;   in Loop: Header=BB180_6 Depth=1
	ds_load_b64 v[4:5], v19 offset:5120
	s_waitcnt lgkmcnt(0)
	v_cmp_ne_u64_e32 vcc_lo, 0, v[4:5]
	s_cbranch_vccnz .LBB180_121
; %bb.118:                              ;   in Loop: Header=BB180_6 Depth=1
	s_and_saveexec_b32 s9, s5
	s_cbranch_execz .LBB180_120
; %bb.119:                              ;   in Loop: Header=BB180_6 Depth=1
	v_dual_mov_b32 v4, s10 :: v_dual_mov_b32 v5, s11
	ds_store_b64 v19, v[4:5] offset:5128
.LBB180_120:                            ;   in Loop: Header=BB180_6 Depth=1
	s_or_b32 exec_lo, exec_lo, s9
	s_waitcnt lgkmcnt(0)
	s_barrier
	buffer_gl0_inv
.LBB180_121:                            ;   in Loop: Header=BB180_6 Depth=1
	v_and_b32_e32 v13, s15, v13
	v_and_b32_e32 v12, s14, v12
	v_or_b32_e32 v15, s13, v15
	v_or_b32_e32 v14, s12, v14
	s_mov_b32 s9, 0
	s_mov_b32 s23, 8
.LBB180_122:                            ;   in Loop: Header=BB180_6 Depth=1
	s_or_saveexec_b32 s22, s22
	v_mov_b32_e32 v36, v34
	v_dual_mov_b32 v2, s23 :: v_dual_mov_b32 v35, v33
	s_xor_b32 exec_lo, exec_lo, s22
; %bb.123:                              ;   in Loop: Header=BB180_6 Depth=1
	v_sub_co_u32 v35, vcc_lo, v33, s10
	v_subrev_co_ci_u32_e32 v36, vcc_lo, s11, v34, vcc_lo
	v_mov_b32_e32 v2, 0
	s_or_b32 s9, s9, exec_lo
; %bb.124:                              ;   in Loop: Header=BB180_6 Depth=1
	s_or_b32 exec_lo, exec_lo, s22
	s_delay_alu instid0(SALU_CYCLE_1)
	s_and_b32 s26, s9, exec_lo
.LBB180_125:                            ;   in Loop: Header=BB180_6 Depth=1
	s_or_b32 exec_lo, exec_lo, s8
	s_mov_b32 s62, -1
                                        ; implicit-def: $sgpr9
                                        ; implicit-def: $sgpr22
                                        ; implicit-def: $sgpr23
	s_and_saveexec_b32 s8, s26
	s_delay_alu instid0(SALU_CYCLE_1)
	s_xor_b32 s54, exec_lo, s8
	s_cbranch_execz .LBB180_274
; %bb.126:                              ;   in Loop: Header=BB180_6 Depth=1
	v_cmp_eq_u64_e32 vcc_lo, 1, v[35:36]
	s_cmp_eq_u64 s[16:17], 1
                                        ; implicit-def: $sgpr62
                                        ; implicit-def: $sgpr68
                                        ; implicit-def: $sgpr67
	s_cselect_b32 s8, -1, 0
	s_delay_alu instid0(SALU_CYCLE_1)
	s_and_b32 s70, s8, vcc_lo
	s_mov_b32 s8, -1
	s_and_saveexec_b32 s69, s70
	s_cbranch_execz .LBB180_160
; %bb.127:                              ;   in Loop: Header=BB180_6 Depth=1
	ds_load_b64 v[4:5], v19 offset:5120
	s_waitcnt lgkmcnt(0)
	s_barrier
	buffer_gl0_inv
	v_readfirstlane_b32 s22, v4
	v_readfirstlane_b32 s23, v5
	s_and_saveexec_b32 s8, s6
	s_cbranch_execz .LBB180_129
; %bb.128:                              ;   in Loop: Header=BB180_6 Depth=1
	v_mov_b32_e32 v18, v19
	ds_store_b64 v47, v[18:19]
.LBB180_129:                            ;   in Loop: Header=BB180_6 Depth=1
	s_or_b32 exec_lo, exec_lo, s8
	v_and_b32_e32 v2, s15, v13
	v_and_b32_e32 v4, s14, v12
	s_lshl_b64 s[8:9], 1, s24
	v_or_b32_e32 v15, s13, v15
	v_or_b32_e32 v14, s12, v14
	;; [unrolled: 1-line block ×4, first 2 shown]
	s_cmp_eq_u64 s[22:23], 0
	s_waitcnt lgkmcnt(0)
	s_barrier
	buffer_gl0_inv
	s_cbranch_scc1 .LBB180_143
; %bb.130:                              ;   in Loop: Header=BB180_6 Depth=1
	s_add_u32 s26, s76, s22
	s_addc_u32 s9, s77, s23
	s_mov_b32 s8, s55
	s_delay_alu instid0(SALU_CYCLE_1)
	s_cmp_lg_u64 s[8:9], 0
	s_cbranch_scc0 .LBB180_187
; %bb.131:                              ;   in Loop: Header=BB180_6 Depth=1
	v_cvt_f32_u32_e32 v2, s33
	s_sub_u32 s67, 0, s33
	s_subb_u32 s68, 0, 0
	s_delay_alu instid0(VALU_DEP_1) | instskip(NEXT) | instid1(VALU_DEP_1)
	v_fmac_f32_e64 v2, 0, 0x4f800000
	v_rcp_f32_e32 v2, v2
	s_waitcnt_depctr 0xfff
	v_mul_f32_e32 v2, 0x5f7ffffc, v2
	s_delay_alu instid0(VALU_DEP_1) | instskip(NEXT) | instid1(VALU_DEP_1)
	v_mul_f32_e32 v4, 0x2f800000, v2
	v_trunc_f32_e32 v4, v4
	s_delay_alu instid0(VALU_DEP_1) | instskip(SKIP_1) | instid1(VALU_DEP_2)
	v_fmac_f32_e32 v2, 0xcf800000, v4
	v_cvt_u32_f32_e32 v4, v4
	v_cvt_u32_f32_e32 v2, v2
	s_delay_alu instid0(VALU_DEP_2) | instskip(NEXT) | instid1(VALU_DEP_2)
	v_readfirstlane_b32 s8, v4
	v_readfirstlane_b32 s62, v2
	s_delay_alu instid0(VALU_DEP_2) | instskip(NEXT) | instid1(VALU_DEP_1)
	s_mul_i32 s71, s67, s8
	s_mul_hi_u32 s73, s67, s62
	s_mul_i32 s72, s68, s62
	s_add_i32 s71, s73, s71
	s_mul_i32 s98, s67, s62
	s_add_i32 s71, s71, s72
	s_mul_hi_u32 s73, s62, s98
	s_mul_hi_u32 s99, s8, s98
	s_mul_i32 s72, s8, s98
	s_mul_hi_u32 s98, s62, s71
	s_mul_i32 s62, s62, s71
	s_mul_hi_u32 s100, s8, s71
	s_add_u32 s62, s73, s62
	s_addc_u32 s73, 0, s98
	s_add_u32 s62, s62, s72
	s_mul_i32 s71, s8, s71
	s_addc_u32 s62, s73, s99
	s_addc_u32 s72, s100, 0
	s_add_u32 s62, s62, s71
	s_addc_u32 s71, 0, s72
	v_add_co_u32 v2, s62, v2, s62
	s_delay_alu instid0(VALU_DEP_1) | instskip(SKIP_1) | instid1(VALU_DEP_1)
	s_cmp_lg_u32 s62, 0
	s_addc_u32 s8, s8, s71
	v_readfirstlane_b32 s62, v2
	s_mul_i32 s71, s67, s8
	s_delay_alu instid0(VALU_DEP_1)
	s_mul_hi_u32 s72, s67, s62
	s_mul_i32 s68, s68, s62
	s_add_i32 s71, s72, s71
	s_mul_i32 s67, s67, s62
	s_add_i32 s71, s71, s68
	s_mul_hi_u32 s72, s8, s67
	s_mul_i32 s73, s8, s67
	s_mul_hi_u32 s67, s62, s67
	s_mul_hi_u32 s98, s62, s71
	s_mul_i32 s62, s62, s71
	s_mul_hi_u32 s68, s8, s71
	s_add_u32 s62, s67, s62
	s_addc_u32 s67, 0, s98
	s_add_u32 s62, s62, s73
	s_mul_i32 s71, s8, s71
	s_addc_u32 s62, s67, s72
	s_addc_u32 s67, s68, 0
	s_add_u32 s62, s62, s71
	s_addc_u32 s67, 0, s67
	v_add_co_u32 v2, s62, v2, s62
	s_delay_alu instid0(VALU_DEP_1) | instskip(SKIP_1) | instid1(VALU_DEP_1)
	s_cmp_lg_u32 s62, 0
	s_addc_u32 s8, s8, s67
	v_readfirstlane_b32 s62, v2
	s_mul_i32 s68, s26, s8
	s_mul_hi_u32 s67, s26, s8
	s_mul_hi_u32 s71, s9, s8
	s_mul_i32 s8, s9, s8
	s_mul_hi_u32 s72, s26, s62
	s_mul_hi_u32 s73, s9, s62
	s_mul_i32 s62, s9, s62
	s_add_u32 s68, s72, s68
	s_addc_u32 s67, 0, s67
	s_add_u32 s62, s68, s62
	s_addc_u32 s62, s67, s73
	s_addc_u32 s67, s71, 0
	s_add_u32 s8, s62, s8
	s_addc_u32 s62, 0, s67
	s_mul_hi_u32 s67, s33, s8
	s_mul_i32 s8, s33, s8
	s_mul_i32 s62, s33, s62
	v_sub_co_u32 v2, s8, s26, s8
	s_add_i32 s67, s67, s62
	s_cmp_lg_u32 s8, 0
	s_delay_alu instid0(VALU_DEP_1) | instskip(SKIP_2) | instid1(VALU_DEP_1)
	v_sub_co_u32 v4, s8, v2, s33
	s_subb_u32 s62, s9, s67
	s_cmp_lg_u32 s8, 0
	v_cmp_le_u32_e32 vcc_lo, s33, v4
	v_sub_co_u32 v5, s8, v4, s33
	s_subb_u32 s67, s62, 0
	s_cmp_lg_u32 s8, 0
	v_cndmask_b32_e64 v8, 0, -1, vcc_lo
	s_subb_u32 s8, s67, 0
	s_cmp_eq_u32 s67, 0
	v_mov_b32_e32 v10, s8
	s_cselect_b32 vcc_lo, -1, 0
	s_cmp_eq_u32 s62, 0
	v_cndmask_b32_e32 v8, -1, v8, vcc_lo
	v_cmp_le_u32_e32 vcc_lo, s33, v2
	s_cselect_b32 s8, -1, 0
	v_cndmask_b32_e64 v9, 0, -1, vcc_lo
	s_delay_alu instid0(VALU_DEP_3) | instskip(NEXT) | instid1(VALU_DEP_2)
	v_cmp_ne_u32_e32 vcc_lo, 0, v8
	v_cndmask_b32_e64 v8, -1, v9, s8
	v_cndmask_b32_e32 v9, s67, v10, vcc_lo
	v_cndmask_b32_e32 v4, v4, v5, vcc_lo
	s_delay_alu instid0(VALU_DEP_3) | instskip(NEXT) | instid1(VALU_DEP_3)
	v_cmp_ne_u32_e32 vcc_lo, 0, v8
	v_cndmask_b32_e32 v5, s62, v9, vcc_lo
	s_delay_alu instid0(VALU_DEP_3)
	v_cndmask_b32_e32 v4, v2, v4, vcc_lo
	s_cbranch_execnz .LBB180_133
.LBB180_132:                            ;   in Loop: Header=BB180_6 Depth=1
	v_cvt_f32_u32_e32 v2, s33
	s_sub_i32 s8, 0, s33
	s_delay_alu instid0(VALU_DEP_1) | instskip(SKIP_2) | instid1(VALU_DEP_1)
	v_rcp_iflag_f32_e32 v2, v2
	s_waitcnt_depctr 0xfff
	v_mul_f32_e32 v2, 0x4f7ffffe, v2
	v_cvt_u32_f32_e32 v2, v2
	s_delay_alu instid0(VALU_DEP_1) | instskip(NEXT) | instid1(VALU_DEP_1)
	v_mul_lo_u32 v4, s8, v2
	v_mul_hi_u32 v4, v2, v4
	s_delay_alu instid0(VALU_DEP_1) | instskip(NEXT) | instid1(VALU_DEP_1)
	v_add_nc_u32_e32 v2, v2, v4
	v_mul_hi_u32 v2, s26, v2
	s_delay_alu instid0(VALU_DEP_1) | instskip(NEXT) | instid1(VALU_DEP_1)
	v_mul_lo_u32 v2, v2, s33
	v_sub_nc_u32_e32 v2, s26, v2
	s_delay_alu instid0(VALU_DEP_1) | instskip(SKIP_1) | instid1(VALU_DEP_2)
	v_subrev_nc_u32_e32 v4, s33, v2
	v_cmp_le_u32_e32 vcc_lo, s33, v2
	v_cndmask_b32_e32 v2, v2, v4, vcc_lo
	s_delay_alu instid0(VALU_DEP_1) | instskip(SKIP_1) | instid1(VALU_DEP_2)
	v_subrev_nc_u32_e32 v4, s33, v2
	v_cmp_le_u32_e32 vcc_lo, s33, v2
	v_cndmask_b32_e32 v18, v2, v4, vcc_lo
	s_delay_alu instid0(VALU_DEP_1)
	v_dual_mov_b32 v4, v18 :: v_dual_mov_b32 v5, v19
.LBB180_133:                            ;   in Loop: Header=BB180_6 Depth=1
	s_delay_alu instid0(VALU_DEP_1) | instskip(NEXT) | instid1(VALU_DEP_2)
	v_sub_co_u32 v37, vcc_lo, s26, v4
	v_sub_co_ci_u32_e32 v38, vcc_lo, s9, v5, vcc_lo
	s_mov_b32 s8, 0
	s_mov_b32 s9, exec_lo
                                        ; implicit-def: $vgpr10_vgpr11
	s_delay_alu instid0(VALU_DEP_1)
	v_cmpx_gt_u64_e64 v[37:38], v[0:1]
	s_cbranch_execz .LBB180_145
; %bb.134:                              ;   in Loop: Header=BB180_6 Depth=1
	v_mov_b32_e32 v40, v1
	v_dual_mov_b32 v18, v45 :: v_dual_mov_b32 v39, v0
	s_mov_b32 s62, 0
                                        ; implicit-def: $sgpr26
	s_set_inst_prefetch_distance 0x1
	s_branch .LBB180_136
	.p2align	6
.LBB180_135:                            ;   in Loop: Header=BB180_136 Depth=2
	s_or_b32 exec_lo, exec_lo, s8
	s_waitcnt lgkmcnt(0)
	s_barrier
	buffer_gl0_inv
	ds_load_b128 v[8:11], v19 offset:3072
	v_add_co_u32 v39, s8, v39, s33
	s_delay_alu instid0(VALU_DEP_1) | instskip(SKIP_3) | instid1(VALU_DEP_2)
	v_add_co_ci_u32_e64 v40, s8, 0, v40, s8
	v_add_nc_u32_e32 v18, s84, v18
	s_waitcnt lgkmcnt(0)
	s_barrier
	v_cmp_ge_u64_e64 s8, v[39:40], v[37:38]
	buffer_gl0_inv
	v_cmp_neq_f64_e32 vcc_lo, 0, v[8:9]
	s_or_b32 s8, s8, vcc_lo
	s_delay_alu instid0(SALU_CYCLE_1) | instskip(NEXT) | instid1(SALU_CYCLE_1)
	s_and_b32 s8, exec_lo, s8
	s_or_b32 s62, s8, s62
	s_and_not1_b32 s8, s26, exec_lo
	s_and_b32 s26, vcc_lo, exec_lo
	s_delay_alu instid0(SALU_CYCLE_1)
	s_or_b32 s26, s8, s26
	s_and_not1_b32 exec_lo, exec_lo, s62
	s_cbranch_execz .LBB180_144
.LBB180_136:                            ;   Parent Loop BB180_6 Depth=1
                                        ; =>  This Inner Loop Header: Depth=2
	s_delay_alu instid0(VALU_DEP_1)
	v_cmp_gt_u64_e32 vcc_lo, s[22:23], v[39:40]
	v_mov_b32_e32 v4, 0
	v_mov_b32_e32 v5, 0
	s_and_saveexec_b32 s8, vcc_lo
	s_cbranch_execz .LBB180_138
; %bb.137:                              ;   in Loop: Header=BB180_136 Depth=2
	ds_load_b64 v[4:5], v18
.LBB180_138:                            ;   in Loop: Header=BB180_136 Depth=2
	s_or_b32 exec_lo, exec_lo, s8
	s_and_saveexec_b32 s8, vcc_lo
	s_cbranch_execz .LBB180_135
; %bb.139:                              ;   in Loop: Header=BB180_136 Depth=2
	s_waitcnt lgkmcnt(0)
	v_cmp_o_f64_e32 vcc_lo, v[4:5], v[4:5]
	v_ashrrev_i32_e32 v2, 31, v5
	s_delay_alu instid0(VALU_DEP_1) | instskip(SKIP_1) | instid1(VALU_DEP_2)
	v_or_b32_e32 v8, 0x80000000, v2
	v_xor_b32_e32 v2, v2, v4
	v_xor_b32_e32 v8, v8, v5
	s_delay_alu instid0(VALU_DEP_1) | instskip(NEXT) | instid1(VALU_DEP_1)
	v_cndmask_b32_e32 v8, -1, v8, vcc_lo
	v_dual_cndmask_b32 v2, -1, v2 :: v_dual_and_b32 v9, v8, v15
	s_delay_alu instid0(VALU_DEP_1) | instskip(NEXT) | instid1(VALU_DEP_1)
	v_and_b32_e32 v8, v2, v14
	v_cmp_eq_u64_e32 vcc_lo, v[8:9], v[12:13]
	s_and_b32 exec_lo, exec_lo, vcc_lo
	s_cbranch_execz .LBB180_135
; %bb.140:                              ;   in Loop: Header=BB180_136 Depth=2
	v_mov_b32_e32 v2, v19
	ds_store_b128 v19, v[2:5] offset:3072
	s_branch .LBB180_135
.LBB180_141:                            ;   in Loop: Header=BB180_6 Depth=1
                                        ; implicit-def: $vgpr4_vgpr5
	s_branch .LBB180_86
.LBB180_142:                            ;   in Loop: Header=BB180_6 Depth=1
                                        ; implicit-def: $vgpr4_vgpr5
	s_branch .LBB180_102
.LBB180_143:                            ;   in Loop: Header=BB180_6 Depth=1
	s_mov_b32 s62, -1
	s_mov_b32 s8, 0
                                        ; implicit-def: $sgpr67
                                        ; implicit-def: $vgpr10_vgpr11
	s_mov_b32 s68, s62
	s_cbranch_execnz .LBB180_146
	s_branch .LBB180_159
.LBB180_144:                            ;   in Loop: Header=BB180_6 Depth=1
	s_set_inst_prefetch_distance 0x2
	s_or_b32 exec_lo, exec_lo, s62
	s_delay_alu instid0(SALU_CYCLE_1)
	s_and_b32 s8, s26, exec_lo
.LBB180_145:                            ;   in Loop: Header=BB180_6 Depth=1
	s_or_b32 exec_lo, exec_lo, s9
	s_mov_b32 s67, -1
	s_mov_b32 s62, 0
	s_delay_alu instid0(SALU_CYCLE_1)
	s_mov_b32 s68, s62
	s_branch .LBB180_159
.LBB180_146:                            ;   in Loop: Header=BB180_6 Depth=1
	s_mov_b32 s26, s55
	s_delay_alu instid0(SALU_CYCLE_1)
	s_cmp_lg_u64 s[26:27], 0
	s_cbranch_scc0 .LBB180_188
; %bb.147:                              ;   in Loop: Header=BB180_6 Depth=1
	v_cvt_f32_u32_e32 v2, s33
	s_sub_u32 s22, 0, s33
	s_subb_u32 s23, 0, 0
	s_delay_alu instid0(VALU_DEP_1) | instskip(NEXT) | instid1(VALU_DEP_1)
	v_fmac_f32_e64 v2, 0, 0x4f800000
	v_rcp_f32_e32 v2, v2
	s_waitcnt_depctr 0xfff
	v_mul_f32_e32 v2, 0x5f7ffffc, v2
	s_delay_alu instid0(VALU_DEP_1) | instskip(NEXT) | instid1(VALU_DEP_1)
	v_mul_f32_e32 v4, 0x2f800000, v2
	v_trunc_f32_e32 v4, v4
	s_delay_alu instid0(VALU_DEP_1) | instskip(SKIP_1) | instid1(VALU_DEP_2)
	v_fmac_f32_e32 v2, 0xcf800000, v4
	v_cvt_u32_f32_e32 v4, v4
	v_cvt_u32_f32_e32 v2, v2
	s_delay_alu instid0(VALU_DEP_2) | instskip(NEXT) | instid1(VALU_DEP_2)
	v_readfirstlane_b32 s8, v4
	v_readfirstlane_b32 s9, v2
	s_delay_alu instid0(VALU_DEP_2) | instskip(NEXT) | instid1(VALU_DEP_1)
	s_mul_i32 s26, s22, s8
	s_mul_hi_u32 s67, s22, s9
	s_mul_i32 s62, s23, s9
	s_add_i32 s26, s67, s26
	s_mul_i32 s68, s22, s9
	s_add_i32 s26, s26, s62
	s_mul_hi_u32 s67, s9, s68
	s_mul_hi_u32 s71, s8, s68
	s_mul_i32 s62, s8, s68
	s_mul_hi_u32 s68, s9, s26
	s_mul_i32 s9, s9, s26
	s_mul_hi_u32 s72, s8, s26
	s_add_u32 s9, s67, s9
	s_addc_u32 s67, 0, s68
	s_add_u32 s9, s9, s62
	s_mul_i32 s26, s8, s26
	s_addc_u32 s9, s67, s71
	s_addc_u32 s62, s72, 0
	s_add_u32 s9, s9, s26
	s_addc_u32 s26, 0, s62
	v_add_co_u32 v2, s9, v2, s9
	s_delay_alu instid0(VALU_DEP_1) | instskip(SKIP_1) | instid1(VALU_DEP_1)
	s_cmp_lg_u32 s9, 0
	s_addc_u32 s8, s8, s26
	v_readfirstlane_b32 s9, v2
	s_mul_i32 s26, s22, s8
	s_delay_alu instid0(VALU_DEP_1)
	s_mul_hi_u32 s62, s22, s9
	s_mul_i32 s23, s23, s9
	s_add_i32 s26, s62, s26
	s_mul_i32 s22, s22, s9
	s_add_i32 s26, s26, s23
	s_mul_hi_u32 s62, s8, s22
	s_mul_i32 s67, s8, s22
	s_mul_hi_u32 s22, s9, s22
	s_mul_hi_u32 s68, s9, s26
	s_mul_i32 s9, s9, s26
	s_mul_hi_u32 s23, s8, s26
	s_add_u32 s9, s22, s9
	s_addc_u32 s22, 0, s68
	s_add_u32 s9, s9, s67
	s_mul_i32 s26, s8, s26
	s_addc_u32 s9, s22, s62
	s_addc_u32 s22, s23, 0
	s_add_u32 s9, s9, s26
	s_addc_u32 s22, 0, s22
	v_add_co_u32 v2, s9, v2, s9
	s_delay_alu instid0(VALU_DEP_1) | instskip(SKIP_1) | instid1(VALU_DEP_1)
	s_cmp_lg_u32 s9, 0
	s_addc_u32 s8, s8, s22
	v_readfirstlane_b32 s9, v2
	s_mul_i32 s23, s78, s8
	s_mul_hi_u32 s22, s78, s8
	s_mul_hi_u32 s26, s27, s8
	s_mul_i32 s8, s27, s8
	s_mul_hi_u32 s62, s78, s9
	s_mul_hi_u32 s67, s27, s9
	s_mul_i32 s9, s27, s9
	s_add_u32 s23, s62, s23
	s_addc_u32 s22, 0, s22
	s_add_u32 s9, s23, s9
	s_addc_u32 s9, s22, s67
	s_addc_u32 s22, s26, 0
	s_add_u32 s8, s9, s8
	s_addc_u32 s9, 0, s22
	s_mul_hi_u32 s22, s33, s8
	s_mul_i32 s8, s33, s8
	s_mul_i32 s9, s33, s9
	v_sub_co_u32 v2, s8, s78, s8
	s_add_i32 s22, s22, s9
	s_cmp_lg_u32 s8, 0
	s_delay_alu instid0(VALU_DEP_1) | instskip(SKIP_2) | instid1(VALU_DEP_1)
	v_sub_co_u32 v4, s8, v2, s33
	s_subb_u32 s9, s27, s22
	s_cmp_lg_u32 s8, 0
	v_cmp_le_u32_e32 vcc_lo, s33, v4
	v_sub_co_u32 v5, s8, v4, s33
	s_subb_u32 s22, s9, 0
	s_cmp_lg_u32 s8, 0
	v_cndmask_b32_e64 v8, 0, -1, vcc_lo
	s_subb_u32 s8, s22, 0
	s_cmp_eq_u32 s22, 0
	v_mov_b32_e32 v10, s8
	s_cselect_b32 vcc_lo, -1, 0
	s_cmp_eq_u32 s9, 0
	v_cndmask_b32_e32 v8, -1, v8, vcc_lo
	v_cmp_le_u32_e32 vcc_lo, s33, v2
	s_cselect_b32 s8, -1, 0
	v_cndmask_b32_e64 v9, 0, -1, vcc_lo
	s_delay_alu instid0(VALU_DEP_3) | instskip(NEXT) | instid1(VALU_DEP_2)
	v_cmp_ne_u32_e32 vcc_lo, 0, v8
	v_cndmask_b32_e64 v8, -1, v9, s8
	v_cndmask_b32_e32 v9, s22, v10, vcc_lo
	v_cndmask_b32_e32 v4, v4, v5, vcc_lo
	s_delay_alu instid0(VALU_DEP_3) | instskip(NEXT) | instid1(VALU_DEP_3)
	v_cmp_ne_u32_e32 vcc_lo, 0, v8
	v_cndmask_b32_e32 v5, s9, v9, vcc_lo
	s_delay_alu instid0(VALU_DEP_3)
	v_cndmask_b32_e32 v4, v2, v4, vcc_lo
	s_cbranch_execnz .LBB180_149
.LBB180_148:                            ;   in Loop: Header=BB180_6 Depth=1
	v_cvt_f32_u32_e32 v2, s33
	s_sub_i32 s8, 0, s33
	s_delay_alu instid0(VALU_DEP_1) | instskip(SKIP_2) | instid1(VALU_DEP_1)
	v_rcp_iflag_f32_e32 v2, v2
	s_waitcnt_depctr 0xfff
	v_mul_f32_e32 v2, 0x4f7ffffe, v2
	v_cvt_u32_f32_e32 v2, v2
	s_delay_alu instid0(VALU_DEP_1) | instskip(NEXT) | instid1(VALU_DEP_1)
	v_mul_lo_u32 v4, s8, v2
	v_mul_hi_u32 v4, v2, v4
	s_delay_alu instid0(VALU_DEP_1) | instskip(NEXT) | instid1(VALU_DEP_1)
	v_add_nc_u32_e32 v2, v2, v4
	v_mul_hi_u32 v2, s78, v2
	s_delay_alu instid0(VALU_DEP_1) | instskip(NEXT) | instid1(VALU_DEP_1)
	v_mul_lo_u32 v2, v2, s33
	v_sub_nc_u32_e32 v2, s78, v2
	s_delay_alu instid0(VALU_DEP_1) | instskip(SKIP_1) | instid1(VALU_DEP_2)
	v_subrev_nc_u32_e32 v4, s33, v2
	v_cmp_le_u32_e32 vcc_lo, s33, v2
	v_cndmask_b32_e32 v2, v2, v4, vcc_lo
	s_delay_alu instid0(VALU_DEP_1) | instskip(SKIP_1) | instid1(VALU_DEP_2)
	v_subrev_nc_u32_e32 v4, s33, v2
	v_cmp_le_u32_e32 vcc_lo, s33, v2
	v_cndmask_b32_e32 v18, v2, v4, vcc_lo
	s_delay_alu instid0(VALU_DEP_1)
	v_dual_mov_b32 v4, v18 :: v_dual_mov_b32 v5, v19
.LBB180_149:                            ;   in Loop: Header=BB180_6 Depth=1
	s_delay_alu instid0(VALU_DEP_1) | instskip(NEXT) | instid1(VALU_DEP_2)
	v_sub_co_u32 v37, vcc_lo, s78, v4
	v_sub_co_ci_u32_e32 v38, vcc_lo, s27, v5, vcc_lo
	s_mov_b32 s8, 0
	s_mov_b32 s9, exec_lo
                                        ; implicit-def: $vgpr10_vgpr11
	s_delay_alu instid0(VALU_DEP_1)
	v_cmpx_gt_u64_e64 v[37:38], v[0:1]
	s_cbranch_execz .LBB180_158
; %bb.150:                              ;   in Loop: Header=BB180_6 Depth=1
	v_dual_mov_b32 v40, v17 :: v_dual_mov_b32 v39, v16
	v_dual_mov_b32 v42, v1 :: v_dual_mov_b32 v41, v0
	s_mov_b32 s23, 0
                                        ; implicit-def: $sgpr22
	s_branch .LBB180_152
.LBB180_151:                            ;   in Loop: Header=BB180_152 Depth=2
	s_or_b32 exec_lo, exec_lo, s8
	s_waitcnt vmcnt(0) lgkmcnt(0)
	s_barrier
	buffer_gl0_inv
	ds_load_b128 v[8:11], v19 offset:3072
	v_add_co_u32 v41, s8, v41, s33
	s_delay_alu instid0(VALU_DEP_1)
	v_add_co_ci_u32_e64 v42, s8, 0, v42, s8
	s_waitcnt lgkmcnt(0)
	s_barrier
	buffer_gl0_inv
	v_cmp_ge_u64_e64 s8, v[41:42], v[37:38]
	v_cmp_neq_f64_e32 vcc_lo, 0, v[8:9]
	s_delay_alu instid0(VALU_DEP_2) | instskip(NEXT) | instid1(SALU_CYCLE_1)
	s_or_b32 s8, s8, vcc_lo
	s_and_b32 s26, exec_lo, s8
	v_add_co_u32 v39, s8, v39, s34
	s_delay_alu instid0(VALU_DEP_1) | instskip(SKIP_3) | instid1(SALU_CYCLE_1)
	v_add_co_ci_u32_e64 v40, s8, s35, v40, s8
	s_or_b32 s23, s26, s23
	s_and_not1_b32 s8, s22, exec_lo
	s_and_b32 s22, vcc_lo, exec_lo
	s_or_b32 s22, s8, s22
	s_and_not1_b32 exec_lo, exec_lo, s23
	s_cbranch_execz .LBB180_157
.LBB180_152:                            ;   Parent Loop BB180_6 Depth=1
                                        ; =>  This Inner Loop Header: Depth=2
	s_delay_alu instid0(VALU_DEP_1)
	v_cmp_gt_u64_e32 vcc_lo, s[28:29], v[41:42]
	v_mov_b32_e32 v4, 0
	v_mov_b32_e32 v5, 0
	s_and_saveexec_b32 s8, vcc_lo
	s_cbranch_execz .LBB180_154
; %bb.153:                              ;   in Loop: Header=BB180_152 Depth=2
	global_load_b64 v[4:5], v[39:40], off
.LBB180_154:                            ;   in Loop: Header=BB180_152 Depth=2
	s_or_b32 exec_lo, exec_lo, s8
	s_and_saveexec_b32 s8, vcc_lo
	s_cbranch_execz .LBB180_151
; %bb.155:                              ;   in Loop: Header=BB180_152 Depth=2
	s_waitcnt vmcnt(0)
	v_cmp_o_f64_e32 vcc_lo, v[4:5], v[4:5]
	v_ashrrev_i32_e32 v2, 31, v5
	s_delay_alu instid0(VALU_DEP_1) | instskip(SKIP_1) | instid1(VALU_DEP_2)
	v_or_b32_e32 v8, 0x80000000, v2
	v_xor_b32_e32 v2, v2, v4
	v_xor_b32_e32 v8, v8, v5
	s_delay_alu instid0(VALU_DEP_1) | instskip(NEXT) | instid1(VALU_DEP_1)
	v_cndmask_b32_e32 v8, -1, v8, vcc_lo
	v_dual_cndmask_b32 v2, -1, v2 :: v_dual_and_b32 v9, v8, v15
	s_delay_alu instid0(VALU_DEP_1) | instskip(NEXT) | instid1(VALU_DEP_1)
	v_and_b32_e32 v8, v2, v14
	v_cmp_eq_u64_e32 vcc_lo, v[8:9], v[12:13]
	s_and_b32 exec_lo, exec_lo, vcc_lo
	s_cbranch_execz .LBB180_151
; %bb.156:                              ;   in Loop: Header=BB180_152 Depth=2
	v_mov_b32_e32 v2, v19
	ds_store_b128 v19, v[2:5] offset:3072
	s_branch .LBB180_151
.LBB180_157:                            ;   in Loop: Header=BB180_6 Depth=1
	s_or_b32 exec_lo, exec_lo, s23
	s_delay_alu instid0(SALU_CYCLE_1)
	s_and_b32 s8, s22, exec_lo
.LBB180_158:                            ;   in Loop: Header=BB180_6 Depth=1
	s_or_b32 exec_lo, exec_lo, s9
	s_mov_b32 s68, -1
	s_mov_b32 s62, 0
	s_mov_b32 s67, 0
.LBB180_159:                            ;   in Loop: Header=BB180_6 Depth=1
	s_or_not1_b32 s8, s8, exec_lo
.LBB180_160:                            ;   in Loop: Header=BB180_6 Depth=1
	s_or_b32 exec_lo, exec_lo, s69
	s_mov_b32 s26, 0
                                        ; implicit-def: $vgpr2
	s_and_saveexec_b32 s69, s8
	s_cbranch_execz .LBB180_273
; %bb.161:                              ;   in Loop: Header=BB180_6 Depth=1
	v_dual_mov_b32 v37, 1 :: v_dual_mov_b32 v2, 1
	v_mov_b32_e32 v38, 0
	s_xor_b32 s9, s70, -1
	s_delay_alu instid0(SALU_CYCLE_1)
	s_and_saveexec_b32 s8, s9
	s_cbranch_execz .LBB180_171
; %bb.162:                              ;   in Loop: Header=BB180_6 Depth=1
	s_mov_b32 s22, exec_lo
                                        ; implicit-def: $sgpr23
                                        ; implicit-def: $sgpr9
	v_cmpx_ge_u64_e64 s[16:17], v[35:36]
	s_xor_b32 s22, exec_lo, s22
	s_cbranch_execz .LBB180_168
; %bb.163:                              ;   in Loop: Header=BB180_6 Depth=1
	ds_load_b64 v[4:5], v19 offset:5120
	s_waitcnt lgkmcnt(0)
	v_cmp_ne_u64_e32 vcc_lo, 0, v[4:5]
	s_cbranch_vccnz .LBB180_167
; %bb.164:                              ;   in Loop: Header=BB180_6 Depth=1
	s_and_saveexec_b32 s9, s5
	s_cbranch_execz .LBB180_166
; %bb.165:                              ;   in Loop: Header=BB180_6 Depth=1
	v_dual_mov_b32 v4, s16 :: v_dual_mov_b32 v5, s17
	ds_store_b64 v19, v[4:5] offset:5128
.LBB180_166:                            ;   in Loop: Header=BB180_6 Depth=1
	s_or_b32 exec_lo, exec_lo, s9
	s_waitcnt lgkmcnt(0)
	s_barrier
	buffer_gl0_inv
.LBB180_167:                            ;   in Loop: Header=BB180_6 Depth=1
	v_and_b32_e32 v2, s15, v13
	v_and_b32_e32 v4, s14, v12
	s_lshl_b64 s[70:71], 1, s24
	v_or_b32_e32 v15, s13, v15
	v_or_b32_e32 v14, s12, v14
	;; [unrolled: 1-line block ×4, first 2 shown]
	s_mov_b32 s9, 0
	s_mov_b32 s23, 8
.LBB180_168:                            ;   in Loop: Header=BB180_6 Depth=1
	s_or_saveexec_b32 s22, s22
	v_mov_b32_e32 v2, s23
	s_xor_b32 exec_lo, exec_lo, s22
; %bb.169:                              ;   in Loop: Header=BB180_6 Depth=1
	v_sub_co_u32 v35, vcc_lo, v35, s16
	v_subrev_co_ci_u32_e32 v36, vcc_lo, s17, v36, vcc_lo
	v_mov_b32_e32 v2, 0
	s_or_b32 s9, s9, exec_lo
; %bb.170:                              ;   in Loop: Header=BB180_6 Depth=1
	s_or_b32 exec_lo, exec_lo, s22
	s_delay_alu instid0(VALU_DEP_2)
	v_dual_mov_b32 v38, v36 :: v_dual_mov_b32 v37, v35
	s_and_b32 s26, s9, exec_lo
.LBB180_171:                            ;   in Loop: Header=BB180_6 Depth=1
	s_or_b32 exec_lo, exec_lo, s8
	s_mov_b32 s8, -1
                                        ; implicit-def: $sgpr9
                                        ; implicit-def: $sgpr22
                                        ; implicit-def: $sgpr23
	s_and_saveexec_b32 s70, s26
	s_cbranch_execz .LBB180_272
; %bb.172:                              ;   in Loop: Header=BB180_6 Depth=1
	v_cmp_eq_u64_e32 vcc_lo, 1, v[37:38]
	s_cmp_eq_u64 s[18:19], 1
                                        ; implicit-def: $sgpr71
                                        ; implicit-def: $sgpr73
                                        ; implicit-def: $sgpr72
	s_cselect_b32 s8, -1, 0
	s_delay_alu instid0(SALU_CYCLE_1)
	s_and_b32 s99, s8, vcc_lo
	s_mov_b32 s8, -1
	s_and_saveexec_b32 s98, s99
	s_cbranch_execz .LBB180_206
; %bb.173:                              ;   in Loop: Header=BB180_6 Depth=1
	ds_load_b64 v[4:5], v19 offset:5120
	s_waitcnt lgkmcnt(0)
	s_barrier
	buffer_gl0_inv
	v_readfirstlane_b32 s22, v4
	v_readfirstlane_b32 s23, v5
	s_and_saveexec_b32 s8, s6
	s_cbranch_execz .LBB180_175
; %bb.174:                              ;   in Loop: Header=BB180_6 Depth=1
	v_mov_b32_e32 v18, v19
	ds_store_b64 v47, v[18:19]
.LBB180_175:                            ;   in Loop: Header=BB180_6 Depth=1
	s_or_b32 exec_lo, exec_lo, s8
	v_and_b32_e32 v2, s15, v13
	v_and_b32_e32 v4, s14, v12
	s_lshl_b64 s[8:9], 2, s24
	v_or_b32_e32 v15, s13, v15
	v_or_b32_e32 v14, s12, v14
	;; [unrolled: 1-line block ×4, first 2 shown]
	s_cmp_eq_u64 s[22:23], 0
	s_waitcnt lgkmcnt(0)
	s_barrier
	buffer_gl0_inv
	s_cbranch_scc1 .LBB180_189
; %bb.176:                              ;   in Loop: Header=BB180_6 Depth=1
	s_add_u32 s26, s76, s22
	s_addc_u32 s9, s77, s23
	s_mov_b32 s8, s55
	s_delay_alu instid0(SALU_CYCLE_1)
	s_cmp_lg_u64 s[8:9], 0
	s_cbranch_scc0 .LBB180_224
; %bb.177:                              ;   in Loop: Header=BB180_6 Depth=1
	v_cvt_f32_u32_e32 v2, s33
	s_sub_u32 s72, 0, s33
	s_subb_u32 s73, 0, 0
	s_delay_alu instid0(VALU_DEP_1) | instskip(NEXT) | instid1(VALU_DEP_1)
	v_fmac_f32_e64 v2, 0, 0x4f800000
	v_rcp_f32_e32 v2, v2
	s_waitcnt_depctr 0xfff
	v_mul_f32_e32 v2, 0x5f7ffffc, v2
	s_delay_alu instid0(VALU_DEP_1) | instskip(NEXT) | instid1(VALU_DEP_1)
	v_mul_f32_e32 v4, 0x2f800000, v2
	v_trunc_f32_e32 v4, v4
	s_delay_alu instid0(VALU_DEP_1) | instskip(SKIP_1) | instid1(VALU_DEP_2)
	v_fmac_f32_e32 v2, 0xcf800000, v4
	v_cvt_u32_f32_e32 v4, v4
	v_cvt_u32_f32_e32 v2, v2
	s_delay_alu instid0(VALU_DEP_2) | instskip(NEXT) | instid1(VALU_DEP_2)
	v_readfirstlane_b32 s8, v4
	v_readfirstlane_b32 s71, v2
	s_delay_alu instid0(VALU_DEP_2) | instskip(NEXT) | instid1(VALU_DEP_1)
	s_mul_i32 s100, s72, s8
	s_mul_hi_u32 s102, s72, s71
	s_mul_i32 s101, s73, s71
	s_add_i32 s100, s102, s100
	s_mul_i32 s103, s72, s71
	s_add_i32 s100, s100, s101
	s_mul_hi_u32 s102, s71, s103
	s_mul_hi_u32 s104, s8, s103
	s_mul_i32 s101, s8, s103
	s_mul_hi_u32 s103, s71, s100
	s_mul_i32 s71, s71, s100
	s_mul_hi_u32 vcc_lo, s8, s100
	s_add_u32 s71, s102, s71
	s_addc_u32 s102, 0, s103
	s_add_u32 s71, s71, s101
	s_mul_i32 s100, s8, s100
	s_addc_u32 s71, s102, s104
	s_addc_u32 s101, vcc_lo, 0
	s_add_u32 s71, s71, s100
	s_addc_u32 s100, 0, s101
	v_add_co_u32 v2, s71, v2, s71
	s_delay_alu instid0(VALU_DEP_1) | instskip(SKIP_1) | instid1(VALU_DEP_1)
	s_cmp_lg_u32 s71, 0
	s_addc_u32 s8, s8, s100
	v_readfirstlane_b32 s71, v2
	s_mul_i32 s100, s72, s8
	s_delay_alu instid0(VALU_DEP_1)
	s_mul_hi_u32 s101, s72, s71
	s_mul_i32 s73, s73, s71
	s_add_i32 s100, s101, s100
	s_mul_i32 s72, s72, s71
	s_add_i32 s100, s100, s73
	s_mul_hi_u32 s101, s8, s72
	s_mul_i32 s102, s8, s72
	s_mul_hi_u32 s72, s71, s72
	s_mul_hi_u32 s103, s71, s100
	s_mul_i32 s71, s71, s100
	s_mul_hi_u32 s73, s8, s100
	s_add_u32 s71, s72, s71
	s_addc_u32 s72, 0, s103
	s_add_u32 s71, s71, s102
	s_mul_i32 s100, s8, s100
	s_addc_u32 s71, s72, s101
	s_addc_u32 s72, s73, 0
	s_add_u32 s71, s71, s100
	s_addc_u32 s72, 0, s72
	v_add_co_u32 v2, s71, v2, s71
	s_delay_alu instid0(VALU_DEP_1) | instskip(SKIP_1) | instid1(VALU_DEP_1)
	s_cmp_lg_u32 s71, 0
	s_addc_u32 s8, s8, s72
	v_readfirstlane_b32 s71, v2
	s_mul_i32 s73, s26, s8
	s_mul_hi_u32 s72, s26, s8
	s_mul_hi_u32 s100, s9, s8
	s_mul_i32 s8, s9, s8
	s_mul_hi_u32 s101, s26, s71
	s_mul_hi_u32 s102, s9, s71
	s_mul_i32 s71, s9, s71
	s_add_u32 s73, s101, s73
	s_addc_u32 s72, 0, s72
	s_add_u32 s71, s73, s71
	s_addc_u32 s71, s72, s102
	s_addc_u32 s72, s100, 0
	s_add_u32 s8, s71, s8
	s_addc_u32 s71, 0, s72
	s_mul_hi_u32 s72, s33, s8
	s_mul_i32 s8, s33, s8
	s_mul_i32 s71, s33, s71
	v_sub_co_u32 v2, s8, s26, s8
	s_add_i32 s72, s72, s71
	s_cmp_lg_u32 s8, 0
	s_delay_alu instid0(VALU_DEP_1) | instskip(SKIP_2) | instid1(VALU_DEP_1)
	v_sub_co_u32 v4, s8, v2, s33
	s_subb_u32 s71, s9, s72
	s_cmp_lg_u32 s8, 0
	v_cmp_le_u32_e32 vcc_lo, s33, v4
	v_sub_co_u32 v5, s8, v4, s33
	s_subb_u32 s72, s71, 0
	s_cmp_lg_u32 s8, 0
	v_cndmask_b32_e64 v8, 0, -1, vcc_lo
	s_subb_u32 s8, s72, 0
	s_cmp_eq_u32 s72, 0
	v_mov_b32_e32 v10, s8
	s_cselect_b32 vcc_lo, -1, 0
	s_cmp_eq_u32 s71, 0
	v_cndmask_b32_e32 v8, -1, v8, vcc_lo
	v_cmp_le_u32_e32 vcc_lo, s33, v2
	s_cselect_b32 s8, -1, 0
	v_cndmask_b32_e64 v9, 0, -1, vcc_lo
	s_delay_alu instid0(VALU_DEP_3) | instskip(NEXT) | instid1(VALU_DEP_2)
	v_cmp_ne_u32_e32 vcc_lo, 0, v8
	v_cndmask_b32_e64 v8, -1, v9, s8
	v_cndmask_b32_e32 v9, s72, v10, vcc_lo
	v_cndmask_b32_e32 v4, v4, v5, vcc_lo
	s_delay_alu instid0(VALU_DEP_3) | instskip(NEXT) | instid1(VALU_DEP_3)
	v_cmp_ne_u32_e32 vcc_lo, 0, v8
	v_cndmask_b32_e32 v5, s71, v9, vcc_lo
	s_delay_alu instid0(VALU_DEP_3)
	v_cndmask_b32_e32 v4, v2, v4, vcc_lo
	s_cbranch_execnz .LBB180_179
.LBB180_178:                            ;   in Loop: Header=BB180_6 Depth=1
	v_cvt_f32_u32_e32 v2, s33
	s_sub_i32 s8, 0, s33
	s_delay_alu instid0(VALU_DEP_1) | instskip(SKIP_2) | instid1(VALU_DEP_1)
	v_rcp_iflag_f32_e32 v2, v2
	s_waitcnt_depctr 0xfff
	v_mul_f32_e32 v2, 0x4f7ffffe, v2
	v_cvt_u32_f32_e32 v2, v2
	s_delay_alu instid0(VALU_DEP_1) | instskip(NEXT) | instid1(VALU_DEP_1)
	v_mul_lo_u32 v4, s8, v2
	v_mul_hi_u32 v4, v2, v4
	s_delay_alu instid0(VALU_DEP_1) | instskip(NEXT) | instid1(VALU_DEP_1)
	v_add_nc_u32_e32 v2, v2, v4
	v_mul_hi_u32 v2, s26, v2
	s_delay_alu instid0(VALU_DEP_1) | instskip(NEXT) | instid1(VALU_DEP_1)
	v_mul_lo_u32 v2, v2, s33
	v_sub_nc_u32_e32 v2, s26, v2
	s_delay_alu instid0(VALU_DEP_1) | instskip(SKIP_1) | instid1(VALU_DEP_2)
	v_subrev_nc_u32_e32 v4, s33, v2
	v_cmp_le_u32_e32 vcc_lo, s33, v2
	v_cndmask_b32_e32 v2, v2, v4, vcc_lo
	s_delay_alu instid0(VALU_DEP_1) | instskip(SKIP_1) | instid1(VALU_DEP_2)
	v_subrev_nc_u32_e32 v4, s33, v2
	v_cmp_le_u32_e32 vcc_lo, s33, v2
	v_cndmask_b32_e32 v18, v2, v4, vcc_lo
	s_delay_alu instid0(VALU_DEP_1)
	v_dual_mov_b32 v4, v18 :: v_dual_mov_b32 v5, v19
.LBB180_179:                            ;   in Loop: Header=BB180_6 Depth=1
	s_delay_alu instid0(VALU_DEP_1) | instskip(NEXT) | instid1(VALU_DEP_2)
	v_sub_co_u32 v35, vcc_lo, s26, v4
	v_sub_co_ci_u32_e32 v36, vcc_lo, s9, v5, vcc_lo
	s_mov_b32 s8, 0
	s_mov_b32 s9, exec_lo
                                        ; implicit-def: $vgpr10_vgpr11
	s_delay_alu instid0(VALU_DEP_1)
	v_cmpx_gt_u64_e64 v[35:36], v[0:1]
	s_cbranch_execz .LBB180_191
; %bb.180:                              ;   in Loop: Header=BB180_6 Depth=1
	v_mov_b32_e32 v40, v1
	v_dual_mov_b32 v18, v45 :: v_dual_mov_b32 v39, v0
	s_mov_b32 s71, 0
                                        ; implicit-def: $sgpr26
	s_set_inst_prefetch_distance 0x1
	s_branch .LBB180_182
	.p2align	6
.LBB180_181:                            ;   in Loop: Header=BB180_182 Depth=2
	s_or_b32 exec_lo, exec_lo, s8
	s_waitcnt lgkmcnt(0)
	s_barrier
	buffer_gl0_inv
	ds_load_b128 v[8:11], v19 offset:3072
	v_add_co_u32 v39, s8, v39, s33
	s_delay_alu instid0(VALU_DEP_1) | instskip(SKIP_3) | instid1(VALU_DEP_2)
	v_add_co_ci_u32_e64 v40, s8, 0, v40, s8
	v_add_nc_u32_e32 v18, s84, v18
	s_waitcnt lgkmcnt(0)
	s_barrier
	v_cmp_ge_u64_e64 s8, v[39:40], v[35:36]
	buffer_gl0_inv
	v_cmp_neq_f64_e32 vcc_lo, 0, v[8:9]
	s_or_b32 s8, s8, vcc_lo
	s_delay_alu instid0(SALU_CYCLE_1) | instskip(NEXT) | instid1(SALU_CYCLE_1)
	s_and_b32 s8, exec_lo, s8
	s_or_b32 s71, s8, s71
	s_and_not1_b32 s8, s26, exec_lo
	s_and_b32 s26, vcc_lo, exec_lo
	s_delay_alu instid0(SALU_CYCLE_1)
	s_or_b32 s26, s8, s26
	s_and_not1_b32 exec_lo, exec_lo, s71
	s_cbranch_execz .LBB180_190
.LBB180_182:                            ;   Parent Loop BB180_6 Depth=1
                                        ; =>  This Inner Loop Header: Depth=2
	s_delay_alu instid0(VALU_DEP_1)
	v_cmp_gt_u64_e32 vcc_lo, s[22:23], v[39:40]
	v_mov_b32_e32 v4, 0
	v_mov_b32_e32 v5, 0
	s_and_saveexec_b32 s8, vcc_lo
	s_cbranch_execz .LBB180_184
; %bb.183:                              ;   in Loop: Header=BB180_182 Depth=2
	ds_load_b64 v[4:5], v18
.LBB180_184:                            ;   in Loop: Header=BB180_182 Depth=2
	s_or_b32 exec_lo, exec_lo, s8
	s_and_saveexec_b32 s8, vcc_lo
	s_cbranch_execz .LBB180_181
; %bb.185:                              ;   in Loop: Header=BB180_182 Depth=2
	s_waitcnt lgkmcnt(0)
	v_cmp_o_f64_e32 vcc_lo, v[4:5], v[4:5]
	v_ashrrev_i32_e32 v2, 31, v5
	s_delay_alu instid0(VALU_DEP_1) | instskip(SKIP_1) | instid1(VALU_DEP_2)
	v_or_b32_e32 v8, 0x80000000, v2
	v_xor_b32_e32 v2, v2, v4
	v_xor_b32_e32 v8, v8, v5
	s_delay_alu instid0(VALU_DEP_1) | instskip(NEXT) | instid1(VALU_DEP_1)
	v_cndmask_b32_e32 v8, -1, v8, vcc_lo
	v_dual_cndmask_b32 v2, -1, v2 :: v_dual_and_b32 v9, v8, v15
	s_delay_alu instid0(VALU_DEP_1) | instskip(NEXT) | instid1(VALU_DEP_1)
	v_and_b32_e32 v8, v2, v14
	v_cmp_eq_u64_e32 vcc_lo, v[8:9], v[12:13]
	s_and_b32 exec_lo, exec_lo, vcc_lo
	s_cbranch_execz .LBB180_181
; %bb.186:                              ;   in Loop: Header=BB180_182 Depth=2
	v_mov_b32_e32 v2, v19
	ds_store_b128 v19, v[2:5] offset:3072
	s_branch .LBB180_181
.LBB180_187:                            ;   in Loop: Header=BB180_6 Depth=1
                                        ; implicit-def: $vgpr4_vgpr5
	s_branch .LBB180_132
.LBB180_188:                            ;   in Loop: Header=BB180_6 Depth=1
                                        ; implicit-def: $vgpr4_vgpr5
	s_branch .LBB180_148
.LBB180_189:                            ;   in Loop: Header=BB180_6 Depth=1
	s_mov_b32 s71, -1
	s_mov_b32 s8, 0
                                        ; implicit-def: $sgpr72
                                        ; implicit-def: $vgpr10_vgpr11
	s_mov_b32 s73, s71
	s_cbranch_execnz .LBB180_192
	s_branch .LBB180_205
.LBB180_190:                            ;   in Loop: Header=BB180_6 Depth=1
	s_set_inst_prefetch_distance 0x2
	s_or_b32 exec_lo, exec_lo, s71
	s_delay_alu instid0(SALU_CYCLE_1)
	s_and_b32 s8, s26, exec_lo
.LBB180_191:                            ;   in Loop: Header=BB180_6 Depth=1
	s_or_b32 exec_lo, exec_lo, s9
	s_mov_b32 s72, -1
	s_mov_b32 s71, 0
	s_delay_alu instid0(SALU_CYCLE_1)
	s_mov_b32 s73, s71
	s_branch .LBB180_205
.LBB180_192:                            ;   in Loop: Header=BB180_6 Depth=1
	s_mov_b32 s26, s55
	s_delay_alu instid0(SALU_CYCLE_1)
	s_cmp_lg_u64 s[26:27], 0
	s_cbranch_scc0 .LBB180_225
; %bb.193:                              ;   in Loop: Header=BB180_6 Depth=1
	v_cvt_f32_u32_e32 v2, s33
	s_sub_u32 s22, 0, s33
	s_subb_u32 s23, 0, 0
	s_delay_alu instid0(VALU_DEP_1) | instskip(NEXT) | instid1(VALU_DEP_1)
	v_fmac_f32_e64 v2, 0, 0x4f800000
	v_rcp_f32_e32 v2, v2
	s_waitcnt_depctr 0xfff
	v_mul_f32_e32 v2, 0x5f7ffffc, v2
	s_delay_alu instid0(VALU_DEP_1) | instskip(NEXT) | instid1(VALU_DEP_1)
	v_mul_f32_e32 v4, 0x2f800000, v2
	v_trunc_f32_e32 v4, v4
	s_delay_alu instid0(VALU_DEP_1) | instskip(SKIP_1) | instid1(VALU_DEP_2)
	v_fmac_f32_e32 v2, 0xcf800000, v4
	v_cvt_u32_f32_e32 v4, v4
	v_cvt_u32_f32_e32 v2, v2
	s_delay_alu instid0(VALU_DEP_2) | instskip(NEXT) | instid1(VALU_DEP_2)
	v_readfirstlane_b32 s8, v4
	v_readfirstlane_b32 s9, v2
	s_delay_alu instid0(VALU_DEP_2) | instskip(NEXT) | instid1(VALU_DEP_1)
	s_mul_i32 s26, s22, s8
	s_mul_hi_u32 s72, s22, s9
	s_mul_i32 s71, s23, s9
	s_add_i32 s26, s72, s26
	s_mul_i32 s73, s22, s9
	s_add_i32 s26, s26, s71
	s_mul_hi_u32 s72, s9, s73
	s_mul_hi_u32 s100, s8, s73
	s_mul_i32 s71, s8, s73
	s_mul_hi_u32 s73, s9, s26
	s_mul_i32 s9, s9, s26
	s_mul_hi_u32 s101, s8, s26
	s_add_u32 s9, s72, s9
	s_addc_u32 s72, 0, s73
	s_add_u32 s9, s9, s71
	s_mul_i32 s26, s8, s26
	s_addc_u32 s9, s72, s100
	s_addc_u32 s71, s101, 0
	s_add_u32 s9, s9, s26
	s_addc_u32 s26, 0, s71
	v_add_co_u32 v2, s9, v2, s9
	s_delay_alu instid0(VALU_DEP_1) | instskip(SKIP_1) | instid1(VALU_DEP_1)
	s_cmp_lg_u32 s9, 0
	s_addc_u32 s8, s8, s26
	v_readfirstlane_b32 s9, v2
	s_mul_i32 s26, s22, s8
	s_delay_alu instid0(VALU_DEP_1)
	s_mul_hi_u32 s71, s22, s9
	s_mul_i32 s23, s23, s9
	s_add_i32 s26, s71, s26
	s_mul_i32 s22, s22, s9
	s_add_i32 s26, s26, s23
	s_mul_hi_u32 s71, s8, s22
	s_mul_i32 s72, s8, s22
	s_mul_hi_u32 s22, s9, s22
	s_mul_hi_u32 s73, s9, s26
	s_mul_i32 s9, s9, s26
	s_mul_hi_u32 s23, s8, s26
	s_add_u32 s9, s22, s9
	s_addc_u32 s22, 0, s73
	s_add_u32 s9, s9, s72
	s_mul_i32 s26, s8, s26
	s_addc_u32 s9, s22, s71
	s_addc_u32 s22, s23, 0
	s_add_u32 s9, s9, s26
	s_addc_u32 s22, 0, s22
	v_add_co_u32 v2, s9, v2, s9
	s_delay_alu instid0(VALU_DEP_1) | instskip(SKIP_1) | instid1(VALU_DEP_1)
	s_cmp_lg_u32 s9, 0
	s_addc_u32 s8, s8, s22
	v_readfirstlane_b32 s9, v2
	s_mul_i32 s23, s78, s8
	s_mul_hi_u32 s22, s78, s8
	s_mul_hi_u32 s26, s27, s8
	s_mul_i32 s8, s27, s8
	s_mul_hi_u32 s71, s78, s9
	s_mul_hi_u32 s72, s27, s9
	s_mul_i32 s9, s27, s9
	s_add_u32 s23, s71, s23
	s_addc_u32 s22, 0, s22
	s_add_u32 s9, s23, s9
	s_addc_u32 s9, s22, s72
	s_addc_u32 s22, s26, 0
	s_add_u32 s8, s9, s8
	s_addc_u32 s9, 0, s22
	s_mul_hi_u32 s22, s33, s8
	s_mul_i32 s8, s33, s8
	s_mul_i32 s9, s33, s9
	v_sub_co_u32 v2, s8, s78, s8
	s_add_i32 s22, s22, s9
	s_cmp_lg_u32 s8, 0
	s_delay_alu instid0(VALU_DEP_1) | instskip(SKIP_2) | instid1(VALU_DEP_1)
	v_sub_co_u32 v4, s8, v2, s33
	s_subb_u32 s9, s27, s22
	s_cmp_lg_u32 s8, 0
	v_cmp_le_u32_e32 vcc_lo, s33, v4
	v_sub_co_u32 v5, s8, v4, s33
	s_subb_u32 s22, s9, 0
	s_cmp_lg_u32 s8, 0
	v_cndmask_b32_e64 v8, 0, -1, vcc_lo
	s_subb_u32 s8, s22, 0
	s_cmp_eq_u32 s22, 0
	v_mov_b32_e32 v10, s8
	s_cselect_b32 vcc_lo, -1, 0
	s_cmp_eq_u32 s9, 0
	v_cndmask_b32_e32 v8, -1, v8, vcc_lo
	v_cmp_le_u32_e32 vcc_lo, s33, v2
	s_cselect_b32 s8, -1, 0
	v_cndmask_b32_e64 v9, 0, -1, vcc_lo
	s_delay_alu instid0(VALU_DEP_3) | instskip(NEXT) | instid1(VALU_DEP_2)
	v_cmp_ne_u32_e32 vcc_lo, 0, v8
	v_cndmask_b32_e64 v8, -1, v9, s8
	v_cndmask_b32_e32 v9, s22, v10, vcc_lo
	v_cndmask_b32_e32 v4, v4, v5, vcc_lo
	s_delay_alu instid0(VALU_DEP_3) | instskip(NEXT) | instid1(VALU_DEP_3)
	v_cmp_ne_u32_e32 vcc_lo, 0, v8
	v_cndmask_b32_e32 v5, s9, v9, vcc_lo
	s_delay_alu instid0(VALU_DEP_3)
	v_cndmask_b32_e32 v4, v2, v4, vcc_lo
	s_cbranch_execnz .LBB180_195
.LBB180_194:                            ;   in Loop: Header=BB180_6 Depth=1
	v_cvt_f32_u32_e32 v2, s33
	s_sub_i32 s8, 0, s33
	s_delay_alu instid0(VALU_DEP_1) | instskip(SKIP_2) | instid1(VALU_DEP_1)
	v_rcp_iflag_f32_e32 v2, v2
	s_waitcnt_depctr 0xfff
	v_mul_f32_e32 v2, 0x4f7ffffe, v2
	v_cvt_u32_f32_e32 v2, v2
	s_delay_alu instid0(VALU_DEP_1) | instskip(NEXT) | instid1(VALU_DEP_1)
	v_mul_lo_u32 v4, s8, v2
	v_mul_hi_u32 v4, v2, v4
	s_delay_alu instid0(VALU_DEP_1) | instskip(NEXT) | instid1(VALU_DEP_1)
	v_add_nc_u32_e32 v2, v2, v4
	v_mul_hi_u32 v2, s78, v2
	s_delay_alu instid0(VALU_DEP_1) | instskip(NEXT) | instid1(VALU_DEP_1)
	v_mul_lo_u32 v2, v2, s33
	v_sub_nc_u32_e32 v2, s78, v2
	s_delay_alu instid0(VALU_DEP_1) | instskip(SKIP_1) | instid1(VALU_DEP_2)
	v_subrev_nc_u32_e32 v4, s33, v2
	v_cmp_le_u32_e32 vcc_lo, s33, v2
	v_cndmask_b32_e32 v2, v2, v4, vcc_lo
	s_delay_alu instid0(VALU_DEP_1) | instskip(SKIP_1) | instid1(VALU_DEP_2)
	v_subrev_nc_u32_e32 v4, s33, v2
	v_cmp_le_u32_e32 vcc_lo, s33, v2
	v_cndmask_b32_e32 v18, v2, v4, vcc_lo
	s_delay_alu instid0(VALU_DEP_1)
	v_dual_mov_b32 v4, v18 :: v_dual_mov_b32 v5, v19
.LBB180_195:                            ;   in Loop: Header=BB180_6 Depth=1
	s_delay_alu instid0(VALU_DEP_1) | instskip(NEXT) | instid1(VALU_DEP_2)
	v_sub_co_u32 v35, vcc_lo, s78, v4
	v_sub_co_ci_u32_e32 v36, vcc_lo, s27, v5, vcc_lo
	s_mov_b32 s8, 0
	s_mov_b32 s9, exec_lo
                                        ; implicit-def: $vgpr10_vgpr11
	s_delay_alu instid0(VALU_DEP_1)
	v_cmpx_gt_u64_e64 v[35:36], v[0:1]
	s_cbranch_execz .LBB180_204
; %bb.196:                              ;   in Loop: Header=BB180_6 Depth=1
	v_dual_mov_b32 v40, v17 :: v_dual_mov_b32 v39, v16
	v_dual_mov_b32 v42, v1 :: v_dual_mov_b32 v41, v0
	s_mov_b32 s23, 0
                                        ; implicit-def: $sgpr22
	s_branch .LBB180_198
.LBB180_197:                            ;   in Loop: Header=BB180_198 Depth=2
	s_or_b32 exec_lo, exec_lo, s8
	s_waitcnt vmcnt(0) lgkmcnt(0)
	s_barrier
	buffer_gl0_inv
	ds_load_b128 v[8:11], v19 offset:3072
	v_add_co_u32 v41, s8, v41, s33
	s_delay_alu instid0(VALU_DEP_1)
	v_add_co_ci_u32_e64 v42, s8, 0, v42, s8
	s_waitcnt lgkmcnt(0)
	s_barrier
	buffer_gl0_inv
	v_cmp_ge_u64_e64 s8, v[41:42], v[35:36]
	v_cmp_neq_f64_e32 vcc_lo, 0, v[8:9]
	s_delay_alu instid0(VALU_DEP_2) | instskip(NEXT) | instid1(SALU_CYCLE_1)
	s_or_b32 s8, s8, vcc_lo
	s_and_b32 s26, exec_lo, s8
	v_add_co_u32 v39, s8, v39, s34
	s_delay_alu instid0(VALU_DEP_1) | instskip(SKIP_3) | instid1(SALU_CYCLE_1)
	v_add_co_ci_u32_e64 v40, s8, s35, v40, s8
	s_or_b32 s23, s26, s23
	s_and_not1_b32 s8, s22, exec_lo
	s_and_b32 s22, vcc_lo, exec_lo
	s_or_b32 s22, s8, s22
	s_and_not1_b32 exec_lo, exec_lo, s23
	s_cbranch_execz .LBB180_203
.LBB180_198:                            ;   Parent Loop BB180_6 Depth=1
                                        ; =>  This Inner Loop Header: Depth=2
	s_delay_alu instid0(VALU_DEP_1)
	v_cmp_gt_u64_e32 vcc_lo, s[28:29], v[41:42]
	v_mov_b32_e32 v4, 0
	v_mov_b32_e32 v5, 0
	s_and_saveexec_b32 s8, vcc_lo
	s_cbranch_execz .LBB180_200
; %bb.199:                              ;   in Loop: Header=BB180_198 Depth=2
	global_load_b64 v[4:5], v[39:40], off
.LBB180_200:                            ;   in Loop: Header=BB180_198 Depth=2
	s_or_b32 exec_lo, exec_lo, s8
	s_and_saveexec_b32 s8, vcc_lo
	s_cbranch_execz .LBB180_197
; %bb.201:                              ;   in Loop: Header=BB180_198 Depth=2
	s_waitcnt vmcnt(0)
	v_cmp_o_f64_e32 vcc_lo, v[4:5], v[4:5]
	v_ashrrev_i32_e32 v2, 31, v5
	s_delay_alu instid0(VALU_DEP_1) | instskip(SKIP_1) | instid1(VALU_DEP_2)
	v_or_b32_e32 v8, 0x80000000, v2
	v_xor_b32_e32 v2, v2, v4
	v_xor_b32_e32 v8, v8, v5
	s_delay_alu instid0(VALU_DEP_1) | instskip(NEXT) | instid1(VALU_DEP_1)
	v_cndmask_b32_e32 v8, -1, v8, vcc_lo
	v_dual_cndmask_b32 v2, -1, v2 :: v_dual_and_b32 v9, v8, v15
	s_delay_alu instid0(VALU_DEP_1) | instskip(NEXT) | instid1(VALU_DEP_1)
	v_and_b32_e32 v8, v2, v14
	v_cmp_eq_u64_e32 vcc_lo, v[8:9], v[12:13]
	s_and_b32 exec_lo, exec_lo, vcc_lo
	s_cbranch_execz .LBB180_197
; %bb.202:                              ;   in Loop: Header=BB180_198 Depth=2
	v_mov_b32_e32 v2, v19
	ds_store_b128 v19, v[2:5] offset:3072
	s_branch .LBB180_197
.LBB180_203:                            ;   in Loop: Header=BB180_6 Depth=1
	s_or_b32 exec_lo, exec_lo, s23
	s_delay_alu instid0(SALU_CYCLE_1)
	s_and_b32 s8, s22, exec_lo
.LBB180_204:                            ;   in Loop: Header=BB180_6 Depth=1
	s_or_b32 exec_lo, exec_lo, s9
	s_mov_b32 s73, -1
	s_mov_b32 s71, 0
	s_mov_b32 s72, 0
.LBB180_205:                            ;   in Loop: Header=BB180_6 Depth=1
	s_or_not1_b32 s8, s8, exec_lo
.LBB180_206:                            ;   in Loop: Header=BB180_6 Depth=1
	s_or_b32 exec_lo, exec_lo, s98
	s_mov_b32 s26, 0
                                        ; implicit-def: $vgpr2
	s_and_saveexec_b32 s98, s8
	s_cbranch_execz .LBB180_271
; %bb.207:                              ;   in Loop: Header=BB180_6 Depth=1
	v_dual_mov_b32 v35, 1 :: v_dual_mov_b32 v2, 1
	v_mov_b32_e32 v36, 0
	s_xor_b32 s9, s99, -1
	s_delay_alu instid0(SALU_CYCLE_1)
	s_and_saveexec_b32 s8, s9
	s_cbranch_execz .LBB180_217
; %bb.208:                              ;   in Loop: Header=BB180_6 Depth=1
	s_mov_b32 s22, exec_lo
                                        ; implicit-def: $sgpr23
                                        ; implicit-def: $sgpr9
	v_cmpx_ge_u64_e64 s[18:19], v[37:38]
	s_xor_b32 s22, exec_lo, s22
	s_cbranch_execz .LBB180_214
; %bb.209:                              ;   in Loop: Header=BB180_6 Depth=1
	ds_load_b64 v[4:5], v19 offset:5120
	s_waitcnt lgkmcnt(0)
	v_cmp_ne_u64_e32 vcc_lo, 0, v[4:5]
	s_cbranch_vccnz .LBB180_213
; %bb.210:                              ;   in Loop: Header=BB180_6 Depth=1
	s_and_saveexec_b32 s9, s5
	s_cbranch_execz .LBB180_212
; %bb.211:                              ;   in Loop: Header=BB180_6 Depth=1
	v_dual_mov_b32 v4, s18 :: v_dual_mov_b32 v5, s19
	ds_store_b64 v19, v[4:5] offset:5128
.LBB180_212:                            ;   in Loop: Header=BB180_6 Depth=1
	s_or_b32 exec_lo, exec_lo, s9
	s_waitcnt lgkmcnt(0)
	s_barrier
	buffer_gl0_inv
.LBB180_213:                            ;   in Loop: Header=BB180_6 Depth=1
	v_and_b32_e32 v2, s15, v13
	v_and_b32_e32 v4, s14, v12
	s_lshl_b64 s[100:101], 2, s24
	v_or_b32_e32 v15, s13, v15
	v_or_b32_e32 v14, s12, v14
	;; [unrolled: 1-line block ×4, first 2 shown]
	s_mov_b32 s9, 0
	s_mov_b32 s23, 8
.LBB180_214:                            ;   in Loop: Header=BB180_6 Depth=1
	s_or_saveexec_b32 s22, s22
	v_mov_b32_e32 v2, s23
	s_xor_b32 exec_lo, exec_lo, s22
; %bb.215:                              ;   in Loop: Header=BB180_6 Depth=1
	v_sub_co_u32 v37, vcc_lo, v37, s18
	v_subrev_co_ci_u32_e32 v38, vcc_lo, s19, v38, vcc_lo
	v_mov_b32_e32 v2, 0
	s_or_b32 s9, s9, exec_lo
; %bb.216:                              ;   in Loop: Header=BB180_6 Depth=1
	s_or_b32 exec_lo, exec_lo, s22
	s_delay_alu instid0(VALU_DEP_2)
	v_dual_mov_b32 v35, v37 :: v_dual_mov_b32 v36, v38
	s_and_b32 s26, s9, exec_lo
.LBB180_217:                            ;   in Loop: Header=BB180_6 Depth=1
	s_or_b32 exec_lo, exec_lo, s8
	s_mov_b32 s23, -1
                                        ; implicit-def: $sgpr8
                                        ; implicit-def: $sgpr22
                                        ; implicit-def: $sgpr9
	s_and_saveexec_b32 s99, s26
	s_cbranch_execz .LBB180_270
; %bb.218:                              ;   in Loop: Header=BB180_6 Depth=1
	v_cmp_eq_u64_e32 vcc_lo, 1, v[35:36]
	s_cmp_eq_u64 s[20:21], 1
	s_mov_b32 s26, -1
	s_cselect_b32 s8, -1, 0
                                        ; implicit-def: $sgpr22
                                        ; implicit-def: $sgpr9
	s_delay_alu instid0(SALU_CYCLE_1) | instskip(NEXT) | instid1(SALU_CYCLE_1)
	s_and_b32 s100, s8, vcc_lo
                                        ; implicit-def: $sgpr8
	s_and_saveexec_b32 s101, s100
	s_cbranch_execz .LBB180_257
; %bb.219:                              ;   in Loop: Header=BB180_6 Depth=1
	ds_load_b64 v[4:5], v19 offset:5120
	s_waitcnt lgkmcnt(0)
	s_barrier
	buffer_gl0_inv
	v_readfirstlane_b32 s22, v4
	v_readfirstlane_b32 s23, v5
	s_and_saveexec_b32 s8, s6
	s_cbranch_execz .LBB180_221
; %bb.220:                              ;   in Loop: Header=BB180_6 Depth=1
	v_mov_b32_e32 v18, v19
	ds_store_b64 v47, v[18:19]
.LBB180_221:                            ;   in Loop: Header=BB180_6 Depth=1
	s_or_b32 exec_lo, exec_lo, s8
	v_or_b32_e32 v13, s13, v13
	v_or_b32_e32 v12, s12, v12
	;; [unrolled: 1-line block ×4, first 2 shown]
	s_cmp_eq_u64 s[22:23], 0
	s_waitcnt lgkmcnt(0)
	s_barrier
	buffer_gl0_inv
	s_cbranch_scc1 .LBB180_226
; %bb.222:                              ;   in Loop: Header=BB180_6 Depth=1
	s_add_u32 s26, s76, s22
	s_addc_u32 s9, s77, s23
	s_mov_b32 s8, s55
	s_delay_alu instid0(SALU_CYCLE_1)
	s_cmp_lg_u64 s[8:9], 0
	s_cbranch_scc0 .LBB180_227
; %bb.223:                              ;   in Loop: Header=BB180_6 Depth=1
	v_cvt_f32_u32_e32 v2, s33
	s_sub_u32 s103, 0, s33
	s_subb_u32 s104, 0, 0
	s_delay_alu instid0(VALU_DEP_1) | instskip(NEXT) | instid1(VALU_DEP_1)
	v_fmac_f32_e64 v2, 0, 0x4f800000
	v_rcp_f32_e32 v2, v2
	s_waitcnt_depctr 0xfff
	v_mul_f32_e32 v2, 0x5f7ffffc, v2
	s_delay_alu instid0(VALU_DEP_1) | instskip(NEXT) | instid1(VALU_DEP_1)
	v_mul_f32_e32 v4, 0x2f800000, v2
	v_trunc_f32_e32 v4, v4
	s_delay_alu instid0(VALU_DEP_1) | instskip(SKIP_1) | instid1(VALU_DEP_2)
	v_fmac_f32_e32 v2, 0xcf800000, v4
	v_cvt_u32_f32_e32 v4, v4
	v_cvt_u32_f32_e32 v2, v2
	s_delay_alu instid0(VALU_DEP_2) | instskip(NEXT) | instid1(VALU_DEP_2)
	v_readfirstlane_b32 s8, v4
	v_readfirstlane_b32 s102, v2
	s_delay_alu instid0(VALU_DEP_2) | instskip(NEXT) | instid1(VALU_DEP_1)
	s_mul_i32 vcc_lo, s103, s8
	s_mul_hi_u32 s44, s103, s102
	s_mul_i32 vcc_hi, s104, s102
	s_add_i32 s44, s44, vcc_lo
	s_mul_i32 s45, s103, s102
	s_add_i32 s44, s44, vcc_hi
	s_mul_hi_u32 vcc_lo, s102, s45
	s_mul_hi_u32 s47, s102, s44
	s_mul_i32 s102, s102, s44
	s_mul_hi_u32 s46, s8, s45
	s_mul_i32 s45, s8, s45
	s_add_u32 s102, vcc_lo, s102
	s_addc_u32 s47, 0, s47
	s_mul_hi_u32 vcc_hi, s8, s44
	s_add_u32 s45, s102, s45
	s_mul_i32 s44, s8, s44
	s_addc_u32 s45, s47, s46
	s_addc_u32 s46, vcc_hi, 0
	s_add_u32 s44, s45, s44
	s_addc_u32 s45, 0, s46
	v_add_co_u32 v2, s44, v2, s44
	s_delay_alu instid0(VALU_DEP_1) | instskip(SKIP_1) | instid1(VALU_DEP_1)
	s_cmp_lg_u32 s44, 0
	s_addc_u32 s8, s8, s45
	v_readfirstlane_b32 s44, v2
	s_mul_i32 s45, s103, s8
	s_delay_alu instid0(VALU_DEP_1)
	s_mul_hi_u32 s46, s103, s44
	s_mul_i32 s104, s104, s44
	s_add_i32 s45, s46, s45
	s_mul_i32 s103, s103, s44
	s_add_i32 s45, s45, s104
	s_mul_hi_u32 s102, s44, s103
	s_mul_hi_u32 s104, s44, s45
	s_mul_i32 s44, s44, s45
	s_mul_i32 s47, s8, s103
	s_add_u32 s44, s102, s44
	s_mul_hi_u32 s46, s8, s103
	s_addc_u32 s102, 0, s104
	s_mul_hi_u32 s103, s8, s45
	s_add_u32 s44, s44, s47
	s_mul_i32 s45, s8, s45
	s_addc_u32 s44, s102, s46
	s_addc_u32 s46, s103, 0
	s_add_u32 s44, s44, s45
	s_addc_u32 s45, 0, s46
	v_add_co_u32 v2, s44, v2, s44
	s_delay_alu instid0(VALU_DEP_1) | instskip(SKIP_1) | instid1(VALU_DEP_1)
	s_cmp_lg_u32 s44, 0
	s_addc_u32 s8, s8, s45
	v_readfirstlane_b32 s44, v2
	s_mul_i32 s46, s26, s8
	s_mul_hi_u32 s45, s26, s8
	s_mul_hi_u32 s47, s9, s8
	s_mul_i32 s8, s9, s8
	s_mul_hi_u32 s102, s26, s44
	s_mul_hi_u32 s103, s9, s44
	s_mul_i32 s44, s9, s44
	s_add_u32 s46, s102, s46
	s_addc_u32 s45, 0, s45
	s_add_u32 s44, s46, s44
	s_addc_u32 s44, s45, s103
	s_addc_u32 s45, s47, 0
	s_add_u32 s8, s44, s8
	s_addc_u32 s44, 0, s45
	s_mul_hi_u32 s45, s33, s8
	s_mul_i32 s8, s33, s8
	s_mul_i32 s44, s33, s44
	v_sub_co_u32 v2, s8, s26, s8
	s_add_i32 s45, s45, s44
	s_cmp_lg_u32 s8, 0
	s_delay_alu instid0(VALU_DEP_1) | instskip(SKIP_3) | instid1(VALU_DEP_2)
	v_sub_co_u32 v4, s8, v2, s33
	s_subb_u32 s44, s9, s45
	s_cmp_lg_u32 s8, 0
	v_cmp_le_u32_e32 vcc_lo, s33, v2
	v_cmp_le_u32_e64 s8, s33, v4
	v_sub_co_u32 v5, s45, v4, s33
	s_subb_u32 s46, s44, 0
	s_cmp_lg_u32 s45, 0
	s_delay_alu instid0(VALU_DEP_2)
	v_cndmask_b32_e64 v8, 0, -1, s8
	s_subb_u32 s45, s46, 0
	s_cmp_eq_u32 s46, 0
	v_cndmask_b32_e64 v9, 0, -1, vcc_lo
	s_cselect_b32 vcc_lo, -1, 0
	s_cmp_eq_u32 s44, 0
	v_cndmask_b32_e32 v8, -1, v8, vcc_lo
	s_cselect_b32 vcc_lo, -1, 0
	v_dual_mov_b32 v10, s45 :: v_dual_cndmask_b32 v9, -1, v9
	s_delay_alu instid0(VALU_DEP_2) | instskip(NEXT) | instid1(VALU_DEP_2)
	v_cmp_ne_u32_e32 vcc_lo, 0, v8
	v_cmp_ne_u32_e64 s8, 0, v9
	s_delay_alu instid0(VALU_DEP_3) | instskip(SKIP_1) | instid1(VALU_DEP_2)
	v_cndmask_b32_e32 v8, s46, v10, vcc_lo
	v_cndmask_b32_e32 v4, v4, v5, vcc_lo
	v_cndmask_b32_e64 v5, s44, v8, s8
	s_delay_alu instid0(VALU_DEP_2)
	v_cndmask_b32_e64 v4, v2, v4, s8
	s_mov_b32 s8, 0
	s_branch .LBB180_228
.LBB180_224:                            ;   in Loop: Header=BB180_6 Depth=1
                                        ; implicit-def: $vgpr4_vgpr5
	s_branch .LBB180_178
.LBB180_225:                            ;   in Loop: Header=BB180_6 Depth=1
                                        ; implicit-def: $vgpr4_vgpr5
	s_branch .LBB180_194
.LBB180_226:                            ;   in Loop: Header=BB180_6 Depth=1
	s_mov_b32 s8, -1
	s_mov_b32 s26, 0
                                        ; implicit-def: $sgpr9
                                        ; implicit-def: $vgpr10_vgpr11
	s_branch .LBB180_240
.LBB180_227:                            ;   in Loop: Header=BB180_6 Depth=1
	s_mov_b32 s8, -1
                                        ; implicit-def: $vgpr4_vgpr5
.LBB180_228:                            ;   in Loop: Header=BB180_6 Depth=1
	s_delay_alu instid0(SALU_CYCLE_1)
	s_and_not1_b32 vcc_lo, exec_lo, s8
	s_cbranch_vccnz .LBB180_230
; %bb.229:                              ;   in Loop: Header=BB180_6 Depth=1
	v_cvt_f32_u32_e32 v2, s33
	s_sub_i32 s8, 0, s33
	s_delay_alu instid0(VALU_DEP_1) | instskip(SKIP_2) | instid1(VALU_DEP_1)
	v_rcp_iflag_f32_e32 v2, v2
	s_waitcnt_depctr 0xfff
	v_mul_f32_e32 v2, 0x4f7ffffe, v2
	v_cvt_u32_f32_e32 v2, v2
	s_delay_alu instid0(VALU_DEP_1) | instskip(NEXT) | instid1(VALU_DEP_1)
	v_mul_lo_u32 v4, s8, v2
	v_mul_hi_u32 v4, v2, v4
	s_delay_alu instid0(VALU_DEP_1) | instskip(NEXT) | instid1(VALU_DEP_1)
	v_add_nc_u32_e32 v2, v2, v4
	v_mul_hi_u32 v2, s26, v2
	s_delay_alu instid0(VALU_DEP_1) | instskip(NEXT) | instid1(VALU_DEP_1)
	v_mul_lo_u32 v2, v2, s33
	v_sub_nc_u32_e32 v2, s26, v2
	s_delay_alu instid0(VALU_DEP_1) | instskip(SKIP_1) | instid1(VALU_DEP_2)
	v_subrev_nc_u32_e32 v4, s33, v2
	v_cmp_le_u32_e32 vcc_lo, s33, v2
	v_cndmask_b32_e32 v2, v2, v4, vcc_lo
	s_delay_alu instid0(VALU_DEP_1) | instskip(SKIP_1) | instid1(VALU_DEP_2)
	v_subrev_nc_u32_e32 v4, s33, v2
	v_cmp_le_u32_e32 vcc_lo, s33, v2
	v_cndmask_b32_e32 v18, v2, v4, vcc_lo
	s_delay_alu instid0(VALU_DEP_1)
	v_dual_mov_b32 v4, v18 :: v_dual_mov_b32 v5, v19
.LBB180_230:                            ;   in Loop: Header=BB180_6 Depth=1
	s_delay_alu instid0(VALU_DEP_1) | instskip(NEXT) | instid1(VALU_DEP_2)
	v_sub_co_u32 v37, vcc_lo, s26, v4
	v_sub_co_ci_u32_e32 v38, vcc_lo, s9, v5, vcc_lo
	s_mov_b32 s26, 0
	s_mov_b32 s9, exec_lo
                                        ; implicit-def: $vgpr10_vgpr11
	s_delay_alu instid0(VALU_DEP_1)
	v_cmpx_gt_u64_e64 v[37:38], v[0:1]
	s_cbranch_execz .LBB180_239
; %bb.231:                              ;   in Loop: Header=BB180_6 Depth=1
	v_mov_b32_e32 v40, v1
	v_dual_mov_b32 v18, v45 :: v_dual_mov_b32 v39, v0
	s_mov_b32 s102, 0
                                        ; implicit-def: $sgpr26
	s_set_inst_prefetch_distance 0x1
	s_branch .LBB180_233
	.p2align	6
.LBB180_232:                            ;   in Loop: Header=BB180_233 Depth=2
	s_or_b32 exec_lo, exec_lo, s8
	s_waitcnt lgkmcnt(0)
	s_barrier
	buffer_gl0_inv
	ds_load_b128 v[8:11], v19 offset:3072
	v_add_co_u32 v39, s8, v39, s33
	s_delay_alu instid0(VALU_DEP_1) | instskip(SKIP_3) | instid1(VALU_DEP_2)
	v_add_co_ci_u32_e64 v40, s8, 0, v40, s8
	v_add_nc_u32_e32 v18, s84, v18
	s_waitcnt lgkmcnt(0)
	s_barrier
	v_cmp_ge_u64_e64 s8, v[39:40], v[37:38]
	buffer_gl0_inv
	v_cmp_neq_f64_e32 vcc_lo, 0, v[8:9]
	s_or_b32 s8, s8, vcc_lo
	s_delay_alu instid0(SALU_CYCLE_1) | instskip(NEXT) | instid1(SALU_CYCLE_1)
	s_and_b32 s8, exec_lo, s8
	s_or_b32 s102, s8, s102
	s_and_not1_b32 s8, s26, exec_lo
	s_and_b32 s26, vcc_lo, exec_lo
	s_delay_alu instid0(SALU_CYCLE_1)
	s_or_b32 s26, s8, s26
	s_and_not1_b32 exec_lo, exec_lo, s102
	s_cbranch_execz .LBB180_238
.LBB180_233:                            ;   Parent Loop BB180_6 Depth=1
                                        ; =>  This Inner Loop Header: Depth=2
	s_delay_alu instid0(VALU_DEP_1)
	v_cmp_gt_u64_e32 vcc_lo, s[22:23], v[39:40]
	v_mov_b32_e32 v4, 0
	v_mov_b32_e32 v5, 0
	s_and_saveexec_b32 s8, vcc_lo
	s_cbranch_execz .LBB180_235
; %bb.234:                              ;   in Loop: Header=BB180_233 Depth=2
	ds_load_b64 v[4:5], v18
.LBB180_235:                            ;   in Loop: Header=BB180_233 Depth=2
	s_or_b32 exec_lo, exec_lo, s8
	s_and_saveexec_b32 s8, vcc_lo
	s_cbranch_execz .LBB180_232
; %bb.236:                              ;   in Loop: Header=BB180_233 Depth=2
	s_waitcnt lgkmcnt(0)
	v_cmp_o_f64_e32 vcc_lo, v[4:5], v[4:5]
	v_ashrrev_i32_e32 v2, 31, v5
	s_delay_alu instid0(VALU_DEP_1) | instskip(SKIP_1) | instid1(VALU_DEP_2)
	v_or_b32_e32 v8, 0x80000000, v2
	v_xor_b32_e32 v2, v2, v4
	v_xor_b32_e32 v8, v8, v5
	s_delay_alu instid0(VALU_DEP_1) | instskip(NEXT) | instid1(VALU_DEP_1)
	v_cndmask_b32_e32 v8, -1, v8, vcc_lo
	v_dual_cndmask_b32 v2, -1, v2 :: v_dual_and_b32 v9, v8, v15
	s_delay_alu instid0(VALU_DEP_1) | instskip(NEXT) | instid1(VALU_DEP_1)
	v_and_b32_e32 v8, v2, v14
	v_cmp_eq_u64_e32 vcc_lo, v[8:9], v[12:13]
	s_and_b32 exec_lo, exec_lo, vcc_lo
	s_cbranch_execz .LBB180_232
; %bb.237:                              ;   in Loop: Header=BB180_233 Depth=2
	v_mov_b32_e32 v2, v19
	ds_store_b128 v19, v[2:5] offset:3072
	s_branch .LBB180_232
.LBB180_238:                            ;   in Loop: Header=BB180_6 Depth=1
	s_set_inst_prefetch_distance 0x2
	s_or_b32 exec_lo, exec_lo, s102
	s_delay_alu instid0(SALU_CYCLE_1)
	s_and_b32 s26, s26, exec_lo
.LBB180_239:                            ;   in Loop: Header=BB180_6 Depth=1
	s_or_b32 exec_lo, exec_lo, s9
	s_mov_b32 s9, -1
	s_mov_b32 s8, 0
.LBB180_240:                            ;   in Loop: Header=BB180_6 Depth=1
	s_delay_alu instid0(SALU_CYCLE_1)
	s_and_b32 vcc_lo, exec_lo, s8
	s_mov_b32 s22, s8
	s_cbranch_vccz .LBB180_256
; %bb.241:                              ;   in Loop: Header=BB180_6 Depth=1
	s_mov_b32 s26, s55
	s_delay_alu instid0(SALU_CYCLE_1)
	s_cmp_lg_u64 s[26:27], 0
	s_cbranch_scc0 .LBB180_243
; %bb.242:                              ;   in Loop: Header=BB180_6 Depth=1
	v_cvt_f32_u32_e32 v2, s33
	s_sub_u32 s22, 0, s33
	s_subb_u32 s23, 0, 0
	s_delay_alu instid0(VALU_DEP_1) | instskip(NEXT) | instid1(VALU_DEP_1)
	v_fmac_f32_e64 v2, 0, 0x4f800000
	v_rcp_f32_e32 v2, v2
	s_waitcnt_depctr 0xfff
	v_mul_f32_e32 v2, 0x5f7ffffc, v2
	s_delay_alu instid0(VALU_DEP_1) | instskip(NEXT) | instid1(VALU_DEP_1)
	v_mul_f32_e32 v4, 0x2f800000, v2
	v_trunc_f32_e32 v4, v4
	s_delay_alu instid0(VALU_DEP_1) | instskip(SKIP_1) | instid1(VALU_DEP_2)
	v_fmac_f32_e32 v2, 0xcf800000, v4
	v_cvt_u32_f32_e32 v4, v4
	v_cvt_u32_f32_e32 v2, v2
	s_delay_alu instid0(VALU_DEP_2) | instskip(NEXT) | instid1(VALU_DEP_2)
	v_readfirstlane_b32 s8, v4
	v_readfirstlane_b32 s9, v2
	s_delay_alu instid0(VALU_DEP_2) | instskip(NEXT) | instid1(VALU_DEP_1)
	s_mul_i32 s26, s22, s8
	s_mul_hi_u32 s45, s22, s9
	s_mul_i32 s44, s23, s9
	s_add_i32 s26, s45, s26
	s_mul_i32 s46, s22, s9
	s_add_i32 s26, s26, s44
	s_mul_hi_u32 s45, s9, s46
	s_mul_hi_u32 s47, s8, s46
	s_mul_i32 s44, s8, s46
	s_mul_hi_u32 s46, s9, s26
	s_mul_i32 s9, s9, s26
	s_mul_hi_u32 s102, s8, s26
	s_add_u32 s9, s45, s9
	s_addc_u32 s45, 0, s46
	s_add_u32 s9, s9, s44
	s_mul_i32 s26, s8, s26
	s_addc_u32 s9, s45, s47
	s_addc_u32 s44, s102, 0
	s_add_u32 s9, s9, s26
	s_addc_u32 s26, 0, s44
	v_add_co_u32 v2, s9, v2, s9
	s_delay_alu instid0(VALU_DEP_1) | instskip(SKIP_1) | instid1(VALU_DEP_1)
	s_cmp_lg_u32 s9, 0
	s_addc_u32 s8, s8, s26
	v_readfirstlane_b32 s9, v2
	s_mul_i32 s26, s22, s8
	s_delay_alu instid0(VALU_DEP_1)
	s_mul_hi_u32 s44, s22, s9
	s_mul_i32 s23, s23, s9
	s_add_i32 s26, s44, s26
	s_mul_i32 s22, s22, s9
	s_add_i32 s26, s26, s23
	s_mul_hi_u32 s44, s8, s22
	s_mul_i32 s45, s8, s22
	s_mul_hi_u32 s22, s9, s22
	s_mul_hi_u32 s46, s9, s26
	s_mul_i32 s9, s9, s26
	s_mul_hi_u32 s23, s8, s26
	s_add_u32 s9, s22, s9
	s_addc_u32 s22, 0, s46
	s_add_u32 s9, s9, s45
	s_mul_i32 s26, s8, s26
	s_addc_u32 s9, s22, s44
	s_addc_u32 s22, s23, 0
	s_add_u32 s9, s9, s26
	s_addc_u32 s22, 0, s22
	v_add_co_u32 v2, s9, v2, s9
	s_delay_alu instid0(VALU_DEP_1) | instskip(SKIP_1) | instid1(VALU_DEP_1)
	s_cmp_lg_u32 s9, 0
	s_addc_u32 s8, s8, s22
	v_readfirstlane_b32 s9, v2
	s_mul_i32 s23, s78, s8
	s_mul_hi_u32 s22, s78, s8
	s_mul_hi_u32 s26, s27, s8
	s_mul_i32 s8, s27, s8
	s_mul_hi_u32 s44, s78, s9
	s_mul_hi_u32 s45, s27, s9
	s_mul_i32 s9, s27, s9
	s_add_u32 s23, s44, s23
	s_addc_u32 s22, 0, s22
	s_add_u32 s9, s23, s9
	s_addc_u32 s9, s22, s45
	s_addc_u32 s22, s26, 0
	s_add_u32 s8, s9, s8
	s_addc_u32 s9, 0, s22
	s_mul_hi_u32 s22, s33, s8
	s_mul_i32 s8, s33, s8
	s_mul_i32 s9, s33, s9
	v_sub_co_u32 v2, s8, s78, s8
	s_add_i32 s22, s22, s9
	s_cmp_lg_u32 s8, 0
	s_delay_alu instid0(VALU_DEP_1) | instskip(SKIP_3) | instid1(VALU_DEP_2)
	v_sub_co_u32 v4, s8, v2, s33
	s_subb_u32 s9, s27, s22
	s_cmp_lg_u32 s8, 0
	v_cmp_le_u32_e32 vcc_lo, s33, v2
	v_cmp_le_u32_e64 s8, s33, v4
	v_sub_co_u32 v5, s22, v4, s33
	s_subb_u32 s23, s9, 0
	s_cmp_lg_u32 s22, 0
	s_delay_alu instid0(VALU_DEP_2)
	v_cndmask_b32_e64 v8, 0, -1, s8
	s_subb_u32 s22, s23, 0
	s_cmp_eq_u32 s23, 0
	v_cndmask_b32_e64 v9, 0, -1, vcc_lo
	s_cselect_b32 vcc_lo, -1, 0
	s_cmp_eq_u32 s9, 0
	v_cndmask_b32_e32 v8, -1, v8, vcc_lo
	s_cselect_b32 vcc_lo, -1, 0
	v_dual_mov_b32 v10, s22 :: v_dual_cndmask_b32 v9, -1, v9
	s_delay_alu instid0(VALU_DEP_2) | instskip(NEXT) | instid1(VALU_DEP_2)
	v_cmp_ne_u32_e32 vcc_lo, 0, v8
	v_cmp_ne_u32_e64 s8, 0, v9
	s_delay_alu instid0(VALU_DEP_3) | instskip(SKIP_1) | instid1(VALU_DEP_2)
	v_cndmask_b32_e32 v8, s23, v10, vcc_lo
	v_cndmask_b32_e32 v4, v4, v5, vcc_lo
	v_cndmask_b32_e64 v5, s9, v8, s8
	s_delay_alu instid0(VALU_DEP_2)
	v_cndmask_b32_e64 v4, v2, v4, s8
	s_mov_b32 s8, 0
	s_branch .LBB180_244
.LBB180_243:                            ;   in Loop: Header=BB180_6 Depth=1
	s_mov_b32 s8, -1
                                        ; implicit-def: $vgpr4_vgpr5
.LBB180_244:                            ;   in Loop: Header=BB180_6 Depth=1
	s_delay_alu instid0(SALU_CYCLE_1)
	s_and_not1_b32 vcc_lo, exec_lo, s8
	s_cbranch_vccnz .LBB180_246
; %bb.245:                              ;   in Loop: Header=BB180_6 Depth=1
	v_cvt_f32_u32_e32 v2, s33
	s_sub_i32 s8, 0, s33
	s_delay_alu instid0(VALU_DEP_1) | instskip(SKIP_2) | instid1(VALU_DEP_1)
	v_rcp_iflag_f32_e32 v2, v2
	s_waitcnt_depctr 0xfff
	v_mul_f32_e32 v2, 0x4f7ffffe, v2
	v_cvt_u32_f32_e32 v2, v2
	s_delay_alu instid0(VALU_DEP_1) | instskip(NEXT) | instid1(VALU_DEP_1)
	v_mul_lo_u32 v4, s8, v2
	v_mul_hi_u32 v4, v2, v4
	s_delay_alu instid0(VALU_DEP_1) | instskip(NEXT) | instid1(VALU_DEP_1)
	v_add_nc_u32_e32 v2, v2, v4
	v_mul_hi_u32 v2, s78, v2
	s_delay_alu instid0(VALU_DEP_1) | instskip(NEXT) | instid1(VALU_DEP_1)
	v_mul_lo_u32 v2, v2, s33
	v_sub_nc_u32_e32 v2, s78, v2
	s_delay_alu instid0(VALU_DEP_1) | instskip(SKIP_1) | instid1(VALU_DEP_2)
	v_subrev_nc_u32_e32 v4, s33, v2
	v_cmp_le_u32_e32 vcc_lo, s33, v2
	v_cndmask_b32_e32 v2, v2, v4, vcc_lo
	s_delay_alu instid0(VALU_DEP_1) | instskip(SKIP_1) | instid1(VALU_DEP_2)
	v_subrev_nc_u32_e32 v4, s33, v2
	v_cmp_le_u32_e32 vcc_lo, s33, v2
	v_cndmask_b32_e32 v18, v2, v4, vcc_lo
	s_delay_alu instid0(VALU_DEP_1)
	v_dual_mov_b32 v4, v18 :: v_dual_mov_b32 v5, v19
.LBB180_246:                            ;   in Loop: Header=BB180_6 Depth=1
	s_delay_alu instid0(VALU_DEP_1) | instskip(NEXT) | instid1(VALU_DEP_2)
	v_sub_co_u32 v37, vcc_lo, s78, v4
	v_sub_co_ci_u32_e32 v38, vcc_lo, s27, v5, vcc_lo
	s_mov_b32 s26, 0
	s_mov_b32 s9, exec_lo
                                        ; implicit-def: $vgpr10_vgpr11
	s_delay_alu instid0(VALU_DEP_1)
	v_cmpx_gt_u64_e64 v[37:38], v[0:1]
	s_cbranch_execz .LBB180_255
; %bb.247:                              ;   in Loop: Header=BB180_6 Depth=1
	v_dual_mov_b32 v40, v17 :: v_dual_mov_b32 v39, v16
	v_dual_mov_b32 v42, v1 :: v_dual_mov_b32 v41, v0
	s_mov_b32 s23, 0
                                        ; implicit-def: $sgpr22
	s_branch .LBB180_249
.LBB180_248:                            ;   in Loop: Header=BB180_249 Depth=2
	s_or_b32 exec_lo, exec_lo, s8
	s_waitcnt vmcnt(0) lgkmcnt(0)
	s_barrier
	buffer_gl0_inv
	ds_load_b128 v[8:11], v19 offset:3072
	v_add_co_u32 v41, s8, v41, s33
	s_delay_alu instid0(VALU_DEP_1)
	v_add_co_ci_u32_e64 v42, s8, 0, v42, s8
	s_waitcnt lgkmcnt(0)
	s_barrier
	buffer_gl0_inv
	v_cmp_ge_u64_e64 s8, v[41:42], v[37:38]
	v_cmp_neq_f64_e32 vcc_lo, 0, v[8:9]
	s_delay_alu instid0(VALU_DEP_2) | instskip(NEXT) | instid1(SALU_CYCLE_1)
	s_or_b32 s8, s8, vcc_lo
	s_and_b32 s26, exec_lo, s8
	v_add_co_u32 v39, s8, v39, s34
	s_delay_alu instid0(VALU_DEP_1) | instskip(SKIP_3) | instid1(SALU_CYCLE_1)
	v_add_co_ci_u32_e64 v40, s8, s35, v40, s8
	s_or_b32 s23, s26, s23
	s_and_not1_b32 s8, s22, exec_lo
	s_and_b32 s22, vcc_lo, exec_lo
	s_or_b32 s22, s8, s22
	s_and_not1_b32 exec_lo, exec_lo, s23
	s_cbranch_execz .LBB180_254
.LBB180_249:                            ;   Parent Loop BB180_6 Depth=1
                                        ; =>  This Inner Loop Header: Depth=2
	s_delay_alu instid0(VALU_DEP_1)
	v_cmp_gt_u64_e32 vcc_lo, s[28:29], v[41:42]
	v_mov_b32_e32 v4, 0
	v_mov_b32_e32 v5, 0
	s_and_saveexec_b32 s8, vcc_lo
	s_cbranch_execz .LBB180_251
; %bb.250:                              ;   in Loop: Header=BB180_249 Depth=2
	global_load_b64 v[4:5], v[39:40], off
.LBB180_251:                            ;   in Loop: Header=BB180_249 Depth=2
	s_or_b32 exec_lo, exec_lo, s8
	s_and_saveexec_b32 s8, vcc_lo
	s_cbranch_execz .LBB180_248
; %bb.252:                              ;   in Loop: Header=BB180_249 Depth=2
	s_waitcnt vmcnt(0)
	v_cmp_o_f64_e32 vcc_lo, v[4:5], v[4:5]
	v_ashrrev_i32_e32 v2, 31, v5
	s_delay_alu instid0(VALU_DEP_1) | instskip(SKIP_1) | instid1(VALU_DEP_2)
	v_or_b32_e32 v8, 0x80000000, v2
	v_xor_b32_e32 v2, v2, v4
	v_xor_b32_e32 v8, v8, v5
	s_delay_alu instid0(VALU_DEP_1) | instskip(NEXT) | instid1(VALU_DEP_1)
	v_cndmask_b32_e32 v8, -1, v8, vcc_lo
	v_dual_cndmask_b32 v2, -1, v2 :: v_dual_and_b32 v9, v8, v15
	s_delay_alu instid0(VALU_DEP_1) | instskip(NEXT) | instid1(VALU_DEP_1)
	v_and_b32_e32 v8, v2, v14
	v_cmp_eq_u64_e32 vcc_lo, v[8:9], v[12:13]
	s_and_b32 exec_lo, exec_lo, vcc_lo
	s_cbranch_execz .LBB180_248
; %bb.253:                              ;   in Loop: Header=BB180_249 Depth=2
	v_mov_b32_e32 v2, v19
	ds_store_b128 v19, v[2:5] offset:3072
	s_branch .LBB180_248
.LBB180_254:                            ;   in Loop: Header=BB180_6 Depth=1
	s_or_b32 exec_lo, exec_lo, s23
	s_delay_alu instid0(SALU_CYCLE_1)
	s_and_b32 s26, s22, exec_lo
.LBB180_255:                            ;   in Loop: Header=BB180_6 Depth=1
	s_or_b32 exec_lo, exec_lo, s9
	s_mov_b32 s22, -1
	s_mov_b32 s8, 0
	s_mov_b32 s9, 0
.LBB180_256:                            ;   in Loop: Header=BB180_6 Depth=1
	s_or_not1_b32 s26, s26, exec_lo
.LBB180_257:                            ;   in Loop: Header=BB180_6 Depth=1
	s_or_b32 exec_lo, exec_lo, s101
	s_mov_b32 s101, 0
                                        ; implicit-def: $vgpr2
                                        ; implicit-def: $vgpr4_vgpr5
	s_and_saveexec_b32 s23, s26
	s_cbranch_execz .LBB180_269
; %bb.258:                              ;   in Loop: Header=BB180_6 Depth=1
	v_mov_b32_e32 v4, 1
	v_dual_mov_b32 v5, 0 :: v_dual_mov_b32 v2, 1
	s_xor_b32 s44, s100, -1
	s_delay_alu instid0(SALU_CYCLE_1)
	s_and_saveexec_b32 s26, s44
	s_cbranch_execz .LBB180_268
; %bb.259:                              ;   in Loop: Header=BB180_6 Depth=1
                                        ; implicit-def: $sgpr101
	s_mov_b32 s44, exec_lo
	v_cmpx_ge_u64_e64 s[20:21], v[35:36]
	s_xor_b32 s100, exec_lo, s44
	s_cbranch_execz .LBB180_265
; %bb.260:                              ;   in Loop: Header=BB180_6 Depth=1
	ds_load_b64 v[4:5], v19 offset:5120
	s_waitcnt lgkmcnt(0)
	v_cmp_ne_u64_e32 vcc_lo, 0, v[4:5]
	s_cbranch_vccnz .LBB180_264
; %bb.261:                              ;   in Loop: Header=BB180_6 Depth=1
	s_and_saveexec_b32 s101, s5
	s_cbranch_execz .LBB180_263
; %bb.262:                              ;   in Loop: Header=BB180_6 Depth=1
	v_dual_mov_b32 v4, s20 :: v_dual_mov_b32 v5, s21
	ds_store_b64 v19, v[4:5] offset:5128
.LBB180_263:                            ;   in Loop: Header=BB180_6 Depth=1
	s_or_b32 exec_lo, exec_lo, s101
	s_waitcnt lgkmcnt(0)
	s_barrier
	buffer_gl0_inv
.LBB180_264:                            ;   in Loop: Header=BB180_6 Depth=1
	v_or_b32_e32 v13, s13, v13
	v_or_b32_e32 v12, s12, v12
	;; [unrolled: 1-line block ×4, first 2 shown]
	s_mov_b32 s101, 8
.LBB180_265:                            ;   in Loop: Header=BB180_6 Depth=1
	s_or_saveexec_b32 s100, s100
	v_mov_b32_e32 v2, s101
	s_xor_b32 exec_lo, exec_lo, s100
; %bb.266:                              ;   in Loop: Header=BB180_6 Depth=1
	v_sub_co_u32 v35, vcc_lo, v35, s20
	v_subrev_co_ci_u32_e32 v36, vcc_lo, s21, v36, vcc_lo
	v_mov_b32_e32 v2, 8
; %bb.267:                              ;   in Loop: Header=BB180_6 Depth=1
	s_or_b32 exec_lo, exec_lo, s100
	s_delay_alu instid0(VALU_DEP_2)
	v_dual_mov_b32 v4, v35 :: v_dual_mov_b32 v5, v36
.LBB180_268:                            ;   in Loop: Header=BB180_6 Depth=1
	s_or_b32 exec_lo, exec_lo, s26
	s_delay_alu instid0(SALU_CYCLE_1)
	s_mov_b32 s101, exec_lo
.LBB180_269:                            ;   in Loop: Header=BB180_6 Depth=1
	s_or_b32 exec_lo, exec_lo, s23
	s_delay_alu instid0(VALU_DEP_1)
	v_dual_mov_b32 v36, v5 :: v_dual_mov_b32 v35, v4
	s_or_not1_b32 s23, s101, exec_lo
.LBB180_270:                            ;   in Loop: Header=BB180_6 Depth=1
	s_or_b32 exec_lo, exec_lo, s99
	s_delay_alu instid0(SALU_CYCLE_1)
	s_and_not1_b32 s26, s71, exec_lo
	s_and_b32 s8, s8, exec_lo
	v_dual_mov_b32 v38, v36 :: v_dual_mov_b32 v37, v35
	s_or_b32 s71, s26, s8
	s_and_not1_b32 s8, s73, exec_lo
	s_and_b32 s22, s22, exec_lo
	s_and_not1_b32 s26, s72, exec_lo
	s_and_b32 s9, s9, exec_lo
	s_or_b32 s73, s8, s22
	s_or_b32 s72, s26, s9
	s_and_b32 s26, s23, exec_lo
.LBB180_271:                            ;   in Loop: Header=BB180_6 Depth=1
	s_or_b32 exec_lo, exec_lo, s98
	s_delay_alu instid0(SALU_CYCLE_1)
	s_and_b32 s23, s71, exec_lo
	s_and_b32 s22, s73, exec_lo
	;; [unrolled: 1-line block ×3, first 2 shown]
	s_or_not1_b32 s8, s26, exec_lo
.LBB180_272:                            ;   in Loop: Header=BB180_6 Depth=1
	s_or_b32 exec_lo, exec_lo, s70
	s_delay_alu instid0(SALU_CYCLE_1)
	s_and_not1_b32 s26, s62, exec_lo
	s_and_b32 s23, s23, exec_lo
	v_dual_mov_b32 v35, v37 :: v_dual_mov_b32 v36, v38
	s_or_b32 s62, s26, s23
	s_and_not1_b32 s23, s68, exec_lo
	s_and_b32 s22, s22, exec_lo
	s_and_not1_b32 s26, s67, exec_lo
	s_and_b32 s9, s9, exec_lo
	s_or_b32 s68, s23, s22
	s_or_b32 s67, s26, s9
	s_and_b32 s26, s8, exec_lo
.LBB180_273:                            ;   in Loop: Header=BB180_6 Depth=1
	s_or_b32 exec_lo, exec_lo, s69
	s_delay_alu instid0(SALU_CYCLE_1)
	s_and_b32 s23, s62, exec_lo
	s_and_b32 s22, s68, exec_lo
	;; [unrolled: 1-line block ×3, first 2 shown]
	s_or_not1_b32 s62, s26, exec_lo
.LBB180_274:                            ;   in Loop: Header=BB180_6 Depth=1
	s_or_b32 exec_lo, exec_lo, s54
	s_mov_b32 s8, 0
	s_mov_b32 s26, 0
	s_and_saveexec_b32 s54, s62
	s_delay_alu instid0(SALU_CYCLE_1)
	s_xor_b32 s54, exec_lo, s54
; %bb.275:                              ;   in Loop: Header=BB180_6 Depth=1
	v_cmp_ne_u32_e32 vcc_lo, 8, v2
	v_cmp_eq_u32_e64 s8, 8, v2
	s_and_not1_b32 s23, s23, exec_lo
	s_and_not1_b32 s22, s22, exec_lo
	;; [unrolled: 1-line block ×3, first 2 shown]
	s_and_b32 s26, vcc_lo, exec_lo
	s_and_b32 s8, s8, exec_lo
; %bb.276:                              ;   in Loop: Header=BB180_6 Depth=1
	s_or_b32 exec_lo, exec_lo, s54
	s_delay_alu instid0(SALU_CYCLE_1)
	s_and_not1_b32 s25, s25, exec_lo
	s_and_b32 s23, s23, exec_lo
	s_and_b32 s22, s22, exec_lo
	s_or_b32 s25, s25, s23
	s_and_not1_b32 s23, s64, exec_lo
	s_and_not1_b32 s54, s63, exec_lo
	s_and_b32 s9, s9, exec_lo
	s_or_b32 s64, s23, s22
	s_or_b32 s63, s54, s9
	s_and_b32 s54, s26, exec_lo
	s_and_b32 s62, s8, exec_lo
.LBB180_277:                            ;   in Loop: Header=BB180_6 Depth=1
	s_or_b32 exec_lo, exec_lo, s66
	s_delay_alu instid0(SALU_CYCLE_1)
	s_and_b32 vcc_lo, exec_lo, s65
	s_cbranch_vccz .LBB180_96
.LBB180_278:                            ;   in Loop: Header=BB180_6 Depth=1
	s_delay_alu instid0(VALU_DEP_1) | instskip(SKIP_1) | instid1(SALU_CYCLE_1)
	s_cmp_eq_u64 s[20:21], 1
                                        ; implicit-def: $sgpr22
                                        ; implicit-def: $sgpr23
                                        ; implicit-def: $sgpr25
	s_cselect_b32 s8, -1, 0
	s_and_b32 s64, s8, s7
	s_mov_b32 s7, -1
	s_and_saveexec_b32 s63, s64
	s_cbranch_execz .LBB180_310
; %bb.279:                              ;   in Loop: Header=BB180_6 Depth=1
	ds_load_b64 v[4:5], v19 offset:5120
	s_waitcnt lgkmcnt(0)
	s_barrier
	buffer_gl0_inv
	v_readfirstlane_b32 s8, v4
	v_readfirstlane_b32 s9, v5
	s_and_saveexec_b32 s7, s6
	s_cbranch_execz .LBB180_281
; %bb.280:                              ;   in Loop: Header=BB180_6 Depth=1
	v_mov_b32_e32 v18, v19
	ds_store_b64 v47, v[18:19]
.LBB180_281:                            ;   in Loop: Header=BB180_6 Depth=1
	s_or_b32 exec_lo, exec_lo, s7
	v_or_b32_e32 v32, s13, v32
	v_or_b32_e32 v31, s12, v31
	;; [unrolled: 1-line block ×4, first 2 shown]
	s_cmp_eq_u64 s[8:9], 0
	s_waitcnt lgkmcnt(0)
	s_barrier
	buffer_gl0_inv
	s_cbranch_scc1 .LBB180_293
; %bb.282:                              ;   in Loop: Header=BB180_6 Depth=1
	s_add_u32 s25, s76, s8
	s_addc_u32 s23, s77, s9
	s_mov_b32 s22, s55
	s_delay_alu instid0(SALU_CYCLE_1)
	s_cmp_lg_u64 s[22:23], 0
	s_cbranch_scc0 .LBB180_337
; %bb.283:                              ;   in Loop: Header=BB180_6 Depth=1
	v_cvt_f32_u32_e32 v2, s33
	s_sub_u32 s26, 0, s33
	s_subb_u32 s65, 0, 0
	s_delay_alu instid0(VALU_DEP_1) | instskip(NEXT) | instid1(VALU_DEP_1)
	v_fmac_f32_e64 v2, 0, 0x4f800000
	v_rcp_f32_e32 v2, v2
	s_waitcnt_depctr 0xfff
	v_mul_f32_e32 v2, 0x5f7ffffc, v2
	s_delay_alu instid0(VALU_DEP_1) | instskip(NEXT) | instid1(VALU_DEP_1)
	v_mul_f32_e32 v4, 0x2f800000, v2
	v_trunc_f32_e32 v4, v4
	s_delay_alu instid0(VALU_DEP_1) | instskip(SKIP_1) | instid1(VALU_DEP_2)
	v_fmac_f32_e32 v2, 0xcf800000, v4
	v_cvt_u32_f32_e32 v4, v4
	v_cvt_u32_f32_e32 v2, v2
	s_delay_alu instid0(VALU_DEP_2) | instskip(NEXT) | instid1(VALU_DEP_2)
	v_readfirstlane_b32 s7, v4
	v_readfirstlane_b32 s22, v2
	s_delay_alu instid0(VALU_DEP_2) | instskip(NEXT) | instid1(VALU_DEP_1)
	s_mul_i32 s66, s26, s7
	s_mul_hi_u32 s68, s26, s22
	s_mul_i32 s67, s65, s22
	s_add_i32 s66, s68, s66
	s_mul_i32 s69, s26, s22
	s_add_i32 s66, s66, s67
	s_mul_hi_u32 s68, s22, s69
	s_mul_hi_u32 s70, s7, s69
	s_mul_i32 s67, s7, s69
	s_mul_hi_u32 s69, s22, s66
	s_mul_i32 s22, s22, s66
	s_mul_hi_u32 s71, s7, s66
	s_add_u32 s22, s68, s22
	s_addc_u32 s68, 0, s69
	s_add_u32 s22, s22, s67
	s_mul_i32 s66, s7, s66
	s_addc_u32 s22, s68, s70
	s_addc_u32 s67, s71, 0
	s_add_u32 s22, s22, s66
	s_addc_u32 s66, 0, s67
	v_add_co_u32 v2, s22, v2, s22
	s_delay_alu instid0(VALU_DEP_1) | instskip(SKIP_1) | instid1(VALU_DEP_1)
	s_cmp_lg_u32 s22, 0
	s_addc_u32 s7, s7, s66
	v_readfirstlane_b32 s22, v2
	s_mul_i32 s66, s26, s7
	s_delay_alu instid0(VALU_DEP_1)
	s_mul_hi_u32 s67, s26, s22
	s_mul_i32 s65, s65, s22
	s_add_i32 s66, s67, s66
	s_mul_i32 s26, s26, s22
	s_add_i32 s66, s66, s65
	s_mul_hi_u32 s67, s7, s26
	s_mul_i32 s68, s7, s26
	s_mul_hi_u32 s26, s22, s26
	s_mul_hi_u32 s69, s22, s66
	s_mul_i32 s22, s22, s66
	s_mul_hi_u32 s65, s7, s66
	s_add_u32 s22, s26, s22
	s_addc_u32 s26, 0, s69
	s_add_u32 s22, s22, s68
	s_mul_i32 s66, s7, s66
	s_addc_u32 s22, s26, s67
	s_addc_u32 s26, s65, 0
	s_add_u32 s22, s22, s66
	s_addc_u32 s26, 0, s26
	v_add_co_u32 v2, s22, v2, s22
	s_delay_alu instid0(VALU_DEP_1) | instskip(SKIP_1) | instid1(VALU_DEP_1)
	s_cmp_lg_u32 s22, 0
	s_addc_u32 s7, s7, s26
	v_readfirstlane_b32 s22, v2
	s_mul_i32 s65, s25, s7
	s_mul_hi_u32 s26, s25, s7
	s_mul_hi_u32 s66, s23, s7
	s_mul_i32 s7, s23, s7
	s_mul_hi_u32 s67, s25, s22
	s_mul_hi_u32 s68, s23, s22
	s_mul_i32 s22, s23, s22
	s_add_u32 s65, s67, s65
	s_addc_u32 s26, 0, s26
	s_add_u32 s22, s65, s22
	s_addc_u32 s22, s26, s68
	s_addc_u32 s26, s66, 0
	s_add_u32 s7, s22, s7
	s_addc_u32 s22, 0, s26
	s_mul_hi_u32 s26, s33, s7
	s_mul_i32 s7, s33, s7
	s_mul_i32 s22, s33, s22
	v_sub_co_u32 v2, s7, s25, s7
	s_add_i32 s26, s26, s22
	s_cmp_lg_u32 s7, 0
	s_delay_alu instid0(VALU_DEP_1) | instskip(SKIP_2) | instid1(VALU_DEP_1)
	v_sub_co_u32 v4, s7, v2, s33
	s_subb_u32 s22, s23, s26
	s_cmp_lg_u32 s7, 0
	v_cmp_le_u32_e32 vcc_lo, s33, v4
	v_sub_co_u32 v5, s7, v4, s33
	s_subb_u32 s26, s22, 0
	s_cmp_lg_u32 s7, 0
	v_cndmask_b32_e64 v6, 0, -1, vcc_lo
	s_subb_u32 s7, s26, 0
	s_cmp_eq_u32 s26, 0
	v_mov_b32_e32 v8, s7
	s_cselect_b32 vcc_lo, -1, 0
	s_cmp_eq_u32 s22, 0
	v_cndmask_b32_e32 v6, -1, v6, vcc_lo
	v_cmp_le_u32_e32 vcc_lo, s33, v2
	s_cselect_b32 s7, -1, 0
	v_cndmask_b32_e64 v7, 0, -1, vcc_lo
	s_delay_alu instid0(VALU_DEP_3) | instskip(NEXT) | instid1(VALU_DEP_2)
	v_cmp_ne_u32_e32 vcc_lo, 0, v6
	v_cndmask_b32_e64 v6, -1, v7, s7
	v_cndmask_b32_e32 v7, s26, v8, vcc_lo
	v_cndmask_b32_e32 v4, v4, v5, vcc_lo
	s_delay_alu instid0(VALU_DEP_3) | instskip(NEXT) | instid1(VALU_DEP_3)
	v_cmp_ne_u32_e32 vcc_lo, 0, v6
	v_cndmask_b32_e32 v5, s22, v7, vcc_lo
	s_delay_alu instid0(VALU_DEP_3)
	v_cndmask_b32_e32 v4, v2, v4, vcc_lo
	s_cbranch_execnz .LBB180_285
.LBB180_284:                            ;   in Loop: Header=BB180_6 Depth=1
	v_cvt_f32_u32_e32 v2, s33
	s_sub_i32 s7, 0, s33
	s_delay_alu instid0(VALU_DEP_1) | instskip(SKIP_2) | instid1(VALU_DEP_1)
	v_rcp_iflag_f32_e32 v2, v2
	s_waitcnt_depctr 0xfff
	v_mul_f32_e32 v2, 0x4f7ffffe, v2
	v_cvt_u32_f32_e32 v2, v2
	s_delay_alu instid0(VALU_DEP_1) | instskip(NEXT) | instid1(VALU_DEP_1)
	v_mul_lo_u32 v4, s7, v2
	v_mul_hi_u32 v4, v2, v4
	s_delay_alu instid0(VALU_DEP_1) | instskip(NEXT) | instid1(VALU_DEP_1)
	v_add_nc_u32_e32 v2, v2, v4
	v_mul_hi_u32 v2, s25, v2
	s_delay_alu instid0(VALU_DEP_1) | instskip(NEXT) | instid1(VALU_DEP_1)
	v_mul_lo_u32 v2, v2, s33
	v_sub_nc_u32_e32 v2, s25, v2
	s_delay_alu instid0(VALU_DEP_1) | instskip(SKIP_1) | instid1(VALU_DEP_2)
	v_subrev_nc_u32_e32 v4, s33, v2
	v_cmp_le_u32_e32 vcc_lo, s33, v2
	v_cndmask_b32_e32 v2, v2, v4, vcc_lo
	s_delay_alu instid0(VALU_DEP_1) | instskip(SKIP_1) | instid1(VALU_DEP_2)
	v_subrev_nc_u32_e32 v4, s33, v2
	v_cmp_le_u32_e32 vcc_lo, s33, v2
	v_cndmask_b32_e32 v18, v2, v4, vcc_lo
	s_delay_alu instid0(VALU_DEP_1)
	v_dual_mov_b32 v4, v18 :: v_dual_mov_b32 v5, v19
.LBB180_285:                            ;   in Loop: Header=BB180_6 Depth=1
	s_delay_alu instid0(VALU_DEP_1) | instskip(NEXT) | instid1(VALU_DEP_2)
	v_sub_co_u32 v8, vcc_lo, s25, v4
	v_sub_co_ci_u32_e32 v9, vcc_lo, s23, v5, vcc_lo
	s_mov_b32 s7, 0
	s_mov_b32 s22, exec_lo
                                        ; implicit-def: $vgpr6_vgpr7
	s_delay_alu instid0(VALU_DEP_1)
	v_cmpx_gt_u64_e64 v[8:9], v[0:1]
	s_cbranch_execz .LBB180_295
; %bb.286:                              ;   in Loop: Header=BB180_6 Depth=1
	v_mov_b32_e32 v12, v45
	v_dual_mov_b32 v11, v1 :: v_dual_mov_b32 v10, v0
	s_mov_b32 s25, 0
                                        ; implicit-def: $sgpr23
	s_set_inst_prefetch_distance 0x1
	s_branch .LBB180_288
	.p2align	6
.LBB180_287:                            ;   in Loop: Header=BB180_288 Depth=2
	s_or_b32 exec_lo, exec_lo, s7
	s_waitcnt lgkmcnt(0)
	s_barrier
	buffer_gl0_inv
	ds_load_b128 v[4:7], v19 offset:3072
	v_add_co_u32 v10, s7, v10, s33
	s_delay_alu instid0(VALU_DEP_1) | instskip(SKIP_3) | instid1(VALU_DEP_2)
	v_add_co_ci_u32_e64 v11, s7, 0, v11, s7
	v_add_nc_u32_e32 v12, s84, v12
	s_waitcnt lgkmcnt(0)
	s_barrier
	v_cmp_ge_u64_e64 s7, v[10:11], v[8:9]
	buffer_gl0_inv
	v_cmp_neq_f64_e32 vcc_lo, 0, v[4:5]
	s_or_b32 s7, s7, vcc_lo
	s_delay_alu instid0(SALU_CYCLE_1) | instskip(NEXT) | instid1(SALU_CYCLE_1)
	s_and_b32 s7, exec_lo, s7
	s_or_b32 s25, s7, s25
	s_and_not1_b32 s7, s23, exec_lo
	s_and_b32 s23, vcc_lo, exec_lo
	s_delay_alu instid0(SALU_CYCLE_1)
	s_or_b32 s23, s7, s23
	s_and_not1_b32 exec_lo, exec_lo, s25
	s_cbranch_execz .LBB180_294
.LBB180_288:                            ;   Parent Loop BB180_6 Depth=1
                                        ; =>  This Inner Loop Header: Depth=2
	s_delay_alu instid0(VALU_DEP_1)
	v_cmp_gt_u64_e32 vcc_lo, s[8:9], v[10:11]
	v_mov_b32_e32 v4, 0
	v_mov_b32_e32 v5, 0
	s_and_saveexec_b32 s7, vcc_lo
	s_cbranch_execz .LBB180_290
; %bb.289:                              ;   in Loop: Header=BB180_288 Depth=2
	ds_load_b64 v[4:5], v12
.LBB180_290:                            ;   in Loop: Header=BB180_288 Depth=2
	s_or_b32 exec_lo, exec_lo, s7
	s_and_saveexec_b32 s7, vcc_lo
	s_cbranch_execz .LBB180_287
; %bb.291:                              ;   in Loop: Header=BB180_288 Depth=2
	s_waitcnt lgkmcnt(0)
	v_cmp_o_f64_e32 vcc_lo, v[4:5], v[4:5]
	v_ashrrev_i32_e32 v2, 31, v5
	s_delay_alu instid0(VALU_DEP_1) | instskip(SKIP_1) | instid1(VALU_DEP_2)
	v_or_b32_e32 v6, 0x80000000, v2
	v_xor_b32_e32 v2, v2, v4
	v_xor_b32_e32 v6, v6, v5
	s_delay_alu instid0(VALU_DEP_1) | instskip(NEXT) | instid1(VALU_DEP_3)
	v_cndmask_b32_e32 v6, -1, v6, vcc_lo
	v_cndmask_b32_e32 v2, -1, v2, vcc_lo
	s_delay_alu instid0(VALU_DEP_2) | instskip(NEXT) | instid1(VALU_DEP_2)
	v_and_b32_e32 v7, v6, v30
	v_and_b32_e32 v6, v2, v29
	s_delay_alu instid0(VALU_DEP_1)
	v_cmp_eq_u64_e32 vcc_lo, v[6:7], v[31:32]
	s_and_b32 exec_lo, exec_lo, vcc_lo
	s_cbranch_execz .LBB180_287
; %bb.292:                              ;   in Loop: Header=BB180_288 Depth=2
	v_mov_b32_e32 v2, v19
	ds_store_b128 v19, v[2:5] offset:3072
	s_branch .LBB180_287
.LBB180_293:                            ;   in Loop: Header=BB180_6 Depth=1
	s_mov_b32 s22, -1
	s_mov_b32 s7, 0
                                        ; implicit-def: $sgpr23
                                        ; implicit-def: $vgpr6_vgpr7
	s_mov_b32 s25, s22
	s_cbranch_execnz .LBB180_296
	s_branch .LBB180_309
.LBB180_294:                            ;   in Loop: Header=BB180_6 Depth=1
	s_set_inst_prefetch_distance 0x2
	s_or_b32 exec_lo, exec_lo, s25
	s_delay_alu instid0(SALU_CYCLE_1)
	s_and_b32 s7, s23, exec_lo
.LBB180_295:                            ;   in Loop: Header=BB180_6 Depth=1
	s_or_b32 exec_lo, exec_lo, s22
	s_mov_b32 s22, 0
	s_mov_b32 s23, -1
	s_mov_b32 s25, s22
	s_branch .LBB180_309
.LBB180_296:                            ;   in Loop: Header=BB180_6 Depth=1
	s_mov_b32 s26, s55
	s_delay_alu instid0(SALU_CYCLE_1)
	s_cmp_lg_u64 s[26:27], 0
	s_cbranch_scc0 .LBB180_338
; %bb.297:                              ;   in Loop: Header=BB180_6 Depth=1
	v_cvt_f32_u32_e32 v2, s33
	s_sub_u32 s9, 0, s33
	s_subb_u32 s22, 0, 0
	s_delay_alu instid0(VALU_DEP_1) | instskip(NEXT) | instid1(VALU_DEP_1)
	v_fmac_f32_e64 v2, 0, 0x4f800000
	v_rcp_f32_e32 v2, v2
	s_waitcnt_depctr 0xfff
	v_mul_f32_e32 v2, 0x5f7ffffc, v2
	s_delay_alu instid0(VALU_DEP_1) | instskip(NEXT) | instid1(VALU_DEP_1)
	v_mul_f32_e32 v4, 0x2f800000, v2
	v_trunc_f32_e32 v4, v4
	s_delay_alu instid0(VALU_DEP_1) | instskip(SKIP_1) | instid1(VALU_DEP_2)
	v_fmac_f32_e32 v2, 0xcf800000, v4
	v_cvt_u32_f32_e32 v4, v4
	v_cvt_u32_f32_e32 v2, v2
	s_delay_alu instid0(VALU_DEP_2) | instskip(NEXT) | instid1(VALU_DEP_2)
	v_readfirstlane_b32 s7, v4
	v_readfirstlane_b32 s8, v2
	s_delay_alu instid0(VALU_DEP_2) | instskip(NEXT) | instid1(VALU_DEP_1)
	s_mul_i32 s23, s9, s7
	s_mul_hi_u32 s26, s9, s8
	s_mul_i32 s25, s22, s8
	s_add_i32 s23, s26, s23
	s_mul_i32 s65, s9, s8
	s_add_i32 s23, s23, s25
	s_mul_hi_u32 s26, s8, s65
	s_mul_hi_u32 s66, s7, s65
	s_mul_i32 s25, s7, s65
	s_mul_hi_u32 s65, s8, s23
	s_mul_i32 s8, s8, s23
	s_mul_hi_u32 s67, s7, s23
	s_add_u32 s8, s26, s8
	s_addc_u32 s26, 0, s65
	s_add_u32 s8, s8, s25
	s_mul_i32 s23, s7, s23
	s_addc_u32 s8, s26, s66
	s_addc_u32 s25, s67, 0
	s_add_u32 s8, s8, s23
	s_addc_u32 s23, 0, s25
	v_add_co_u32 v2, s8, v2, s8
	s_delay_alu instid0(VALU_DEP_1) | instskip(SKIP_1) | instid1(VALU_DEP_1)
	s_cmp_lg_u32 s8, 0
	s_addc_u32 s7, s7, s23
	v_readfirstlane_b32 s8, v2
	s_mul_i32 s23, s9, s7
	s_delay_alu instid0(VALU_DEP_1)
	s_mul_hi_u32 s25, s9, s8
	s_mul_i32 s22, s22, s8
	s_add_i32 s23, s25, s23
	s_mul_i32 s9, s9, s8
	s_add_i32 s23, s23, s22
	s_mul_hi_u32 s25, s7, s9
	s_mul_i32 s26, s7, s9
	s_mul_hi_u32 s9, s8, s9
	s_mul_hi_u32 s65, s8, s23
	s_mul_i32 s8, s8, s23
	s_mul_hi_u32 s22, s7, s23
	s_add_u32 s8, s9, s8
	s_addc_u32 s9, 0, s65
	s_add_u32 s8, s8, s26
	s_mul_i32 s23, s7, s23
	s_addc_u32 s8, s9, s25
	s_addc_u32 s9, s22, 0
	s_add_u32 s8, s8, s23
	s_addc_u32 s9, 0, s9
	v_add_co_u32 v2, s8, v2, s8
	s_delay_alu instid0(VALU_DEP_1) | instskip(SKIP_1) | instid1(VALU_DEP_1)
	s_cmp_lg_u32 s8, 0
	s_addc_u32 s7, s7, s9
	v_readfirstlane_b32 s8, v2
	s_mul_i32 s22, s78, s7
	s_mul_hi_u32 s9, s78, s7
	s_mul_hi_u32 s23, s27, s7
	s_mul_i32 s7, s27, s7
	s_mul_hi_u32 s25, s78, s8
	s_mul_hi_u32 s26, s27, s8
	s_mul_i32 s8, s27, s8
	s_add_u32 s22, s25, s22
	s_addc_u32 s9, 0, s9
	s_add_u32 s8, s22, s8
	s_addc_u32 s8, s9, s26
	s_addc_u32 s9, s23, 0
	s_add_u32 s7, s8, s7
	s_addc_u32 s8, 0, s9
	s_mul_hi_u32 s9, s33, s7
	s_mul_i32 s7, s33, s7
	s_mul_i32 s8, s33, s8
	v_sub_co_u32 v2, s7, s78, s7
	s_add_i32 s9, s9, s8
	s_cmp_lg_u32 s7, 0
	s_delay_alu instid0(VALU_DEP_1) | instskip(SKIP_2) | instid1(VALU_DEP_1)
	v_sub_co_u32 v4, s7, v2, s33
	s_subb_u32 s8, s27, s9
	s_cmp_lg_u32 s7, 0
	v_cmp_le_u32_e32 vcc_lo, s33, v4
	v_sub_co_u32 v5, s7, v4, s33
	s_subb_u32 s9, s8, 0
	s_cmp_lg_u32 s7, 0
	v_cndmask_b32_e64 v6, 0, -1, vcc_lo
	s_subb_u32 s7, s9, 0
	s_cmp_eq_u32 s9, 0
	v_mov_b32_e32 v8, s7
	s_cselect_b32 vcc_lo, -1, 0
	s_cmp_eq_u32 s8, 0
	v_cndmask_b32_e32 v6, -1, v6, vcc_lo
	v_cmp_le_u32_e32 vcc_lo, s33, v2
	s_cselect_b32 s7, -1, 0
	v_cndmask_b32_e64 v7, 0, -1, vcc_lo
	s_delay_alu instid0(VALU_DEP_3) | instskip(NEXT) | instid1(VALU_DEP_2)
	v_cmp_ne_u32_e32 vcc_lo, 0, v6
	v_cndmask_b32_e64 v6, -1, v7, s7
	v_cndmask_b32_e32 v7, s9, v8, vcc_lo
	v_cndmask_b32_e32 v4, v4, v5, vcc_lo
	s_delay_alu instid0(VALU_DEP_3) | instskip(NEXT) | instid1(VALU_DEP_3)
	v_cmp_ne_u32_e32 vcc_lo, 0, v6
	v_cndmask_b32_e32 v5, s8, v7, vcc_lo
	s_delay_alu instid0(VALU_DEP_3)
	v_cndmask_b32_e32 v4, v2, v4, vcc_lo
	s_cbranch_execnz .LBB180_299
.LBB180_298:                            ;   in Loop: Header=BB180_6 Depth=1
	v_cvt_f32_u32_e32 v2, s33
	s_sub_i32 s7, 0, s33
	s_delay_alu instid0(VALU_DEP_1) | instskip(SKIP_2) | instid1(VALU_DEP_1)
	v_rcp_iflag_f32_e32 v2, v2
	s_waitcnt_depctr 0xfff
	v_mul_f32_e32 v2, 0x4f7ffffe, v2
	v_cvt_u32_f32_e32 v2, v2
	s_delay_alu instid0(VALU_DEP_1) | instskip(NEXT) | instid1(VALU_DEP_1)
	v_mul_lo_u32 v4, s7, v2
	v_mul_hi_u32 v4, v2, v4
	s_delay_alu instid0(VALU_DEP_1) | instskip(NEXT) | instid1(VALU_DEP_1)
	v_add_nc_u32_e32 v2, v2, v4
	v_mul_hi_u32 v2, s78, v2
	s_delay_alu instid0(VALU_DEP_1) | instskip(NEXT) | instid1(VALU_DEP_1)
	v_mul_lo_u32 v2, v2, s33
	v_sub_nc_u32_e32 v2, s78, v2
	s_delay_alu instid0(VALU_DEP_1) | instskip(SKIP_1) | instid1(VALU_DEP_2)
	v_subrev_nc_u32_e32 v4, s33, v2
	v_cmp_le_u32_e32 vcc_lo, s33, v2
	v_cndmask_b32_e32 v2, v2, v4, vcc_lo
	s_delay_alu instid0(VALU_DEP_1) | instskip(SKIP_1) | instid1(VALU_DEP_2)
	v_subrev_nc_u32_e32 v4, s33, v2
	v_cmp_le_u32_e32 vcc_lo, s33, v2
	v_cndmask_b32_e32 v18, v2, v4, vcc_lo
	s_delay_alu instid0(VALU_DEP_1)
	v_dual_mov_b32 v4, v18 :: v_dual_mov_b32 v5, v19
.LBB180_299:                            ;   in Loop: Header=BB180_6 Depth=1
	s_delay_alu instid0(VALU_DEP_1) | instskip(NEXT) | instid1(VALU_DEP_2)
	v_sub_co_u32 v8, vcc_lo, s78, v4
	v_sub_co_ci_u32_e32 v9, vcc_lo, s27, v5, vcc_lo
	s_mov_b32 s7, 0
	s_mov_b32 s8, exec_lo
                                        ; implicit-def: $vgpr6_vgpr7
	s_delay_alu instid0(VALU_DEP_1)
	v_cmpx_gt_u64_e64 v[8:9], v[0:1]
	s_cbranch_execz .LBB180_308
; %bb.300:                              ;   in Loop: Header=BB180_6 Depth=1
	v_dual_mov_b32 v10, v16 :: v_dual_mov_b32 v11, v17
	v_dual_mov_b32 v13, v1 :: v_dual_mov_b32 v12, v0
	s_mov_b32 s22, 0
                                        ; implicit-def: $sgpr9
	s_branch .LBB180_302
.LBB180_301:                            ;   in Loop: Header=BB180_302 Depth=2
	s_or_b32 exec_lo, exec_lo, s7
	s_waitcnt vmcnt(0) lgkmcnt(0)
	s_barrier
	buffer_gl0_inv
	ds_load_b128 v[4:7], v19 offset:3072
	v_add_co_u32 v12, s7, v12, s33
	s_delay_alu instid0(VALU_DEP_1)
	v_add_co_ci_u32_e64 v13, s7, 0, v13, s7
	s_waitcnt lgkmcnt(0)
	s_barrier
	buffer_gl0_inv
	v_cmp_ge_u64_e64 s7, v[12:13], v[8:9]
	v_cmp_neq_f64_e32 vcc_lo, 0, v[4:5]
	s_delay_alu instid0(VALU_DEP_2) | instskip(NEXT) | instid1(SALU_CYCLE_1)
	s_or_b32 s7, s7, vcc_lo
	s_and_b32 s23, exec_lo, s7
	v_add_co_u32 v10, s7, v10, s34
	s_delay_alu instid0(VALU_DEP_1) | instskip(SKIP_3) | instid1(SALU_CYCLE_1)
	v_add_co_ci_u32_e64 v11, s7, s35, v11, s7
	s_or_b32 s22, s23, s22
	s_and_not1_b32 s7, s9, exec_lo
	s_and_b32 s9, vcc_lo, exec_lo
	s_or_b32 s9, s7, s9
	s_and_not1_b32 exec_lo, exec_lo, s22
	s_cbranch_execz .LBB180_307
.LBB180_302:                            ;   Parent Loop BB180_6 Depth=1
                                        ; =>  This Inner Loop Header: Depth=2
	s_delay_alu instid0(VALU_DEP_1)
	v_cmp_gt_u64_e32 vcc_lo, s[28:29], v[12:13]
	v_mov_b32_e32 v4, 0
	v_mov_b32_e32 v5, 0
	s_and_saveexec_b32 s7, vcc_lo
	s_cbranch_execz .LBB180_304
; %bb.303:                              ;   in Loop: Header=BB180_302 Depth=2
	global_load_b64 v[4:5], v[10:11], off
.LBB180_304:                            ;   in Loop: Header=BB180_302 Depth=2
	s_or_b32 exec_lo, exec_lo, s7
	s_and_saveexec_b32 s7, vcc_lo
	s_cbranch_execz .LBB180_301
; %bb.305:                              ;   in Loop: Header=BB180_302 Depth=2
	s_waitcnt vmcnt(0)
	v_cmp_o_f64_e32 vcc_lo, v[4:5], v[4:5]
	v_ashrrev_i32_e32 v2, 31, v5
	s_delay_alu instid0(VALU_DEP_1) | instskip(SKIP_1) | instid1(VALU_DEP_2)
	v_or_b32_e32 v6, 0x80000000, v2
	v_xor_b32_e32 v2, v2, v4
	v_xor_b32_e32 v6, v6, v5
	s_delay_alu instid0(VALU_DEP_1) | instskip(NEXT) | instid1(VALU_DEP_3)
	v_cndmask_b32_e32 v6, -1, v6, vcc_lo
	v_cndmask_b32_e32 v2, -1, v2, vcc_lo
	s_delay_alu instid0(VALU_DEP_2) | instskip(NEXT) | instid1(VALU_DEP_2)
	v_and_b32_e32 v7, v6, v30
	v_and_b32_e32 v6, v2, v29
	s_delay_alu instid0(VALU_DEP_1)
	v_cmp_eq_u64_e32 vcc_lo, v[6:7], v[31:32]
	s_and_b32 exec_lo, exec_lo, vcc_lo
	s_cbranch_execz .LBB180_301
; %bb.306:                              ;   in Loop: Header=BB180_302 Depth=2
	v_mov_b32_e32 v2, v19
	ds_store_b128 v19, v[2:5] offset:3072
	s_branch .LBB180_301
.LBB180_307:                            ;   in Loop: Header=BB180_6 Depth=1
	s_or_b32 exec_lo, exec_lo, s22
	s_delay_alu instid0(SALU_CYCLE_1)
	s_and_b32 s7, s9, exec_lo
.LBB180_308:                            ;   in Loop: Header=BB180_6 Depth=1
	s_or_b32 exec_lo, exec_lo, s8
	s_mov_b32 s23, 0
	s_mov_b32 s22, -1
	s_mov_b32 s25, 0
.LBB180_309:                            ;   in Loop: Header=BB180_6 Depth=1
	s_or_not1_b32 s7, s7, exec_lo
.LBB180_310:                            ;   in Loop: Header=BB180_6 Depth=1
	s_or_b32 exec_lo, exec_lo, s63
                                        ; implicit-def: $vgpr2
                                        ; implicit-def: $vgpr35_vgpr36
                                        ; implicit-def: $vgpr12_vgpr13
                                        ; implicit-def: $vgpr14_vgpr15
                                        ; implicit-def: $vgpr10_vgpr11
	s_and_saveexec_b32 s63, s7
	s_cbranch_execz .LBB180_473
; %bb.311:                              ;   in Loop: Header=BB180_6 Depth=1
	v_dual_mov_b32 v35, 1 :: v_dual_mov_b32 v2, 1
	v_mov_b32_e32 v36, 0
	s_xor_b32 s8, s64, -1
	s_mov_b32 s26, 0
	s_and_saveexec_b32 s7, s8
	s_cbranch_execz .LBB180_321
; %bb.312:                              ;   in Loop: Header=BB180_6 Depth=1
	s_mov_b32 s9, exec_lo
                                        ; implicit-def: $sgpr26
                                        ; implicit-def: $sgpr8
	v_cmpx_ge_u64_e64 s[20:21], v[33:34]
	s_xor_b32 s9, exec_lo, s9
	s_cbranch_execz .LBB180_318
; %bb.313:                              ;   in Loop: Header=BB180_6 Depth=1
	ds_load_b64 v[4:5], v19 offset:5120
	s_waitcnt lgkmcnt(0)
	v_cmp_ne_u64_e32 vcc_lo, 0, v[4:5]
	s_cbranch_vccnz .LBB180_317
; %bb.314:                              ;   in Loop: Header=BB180_6 Depth=1
	s_and_saveexec_b32 s8, s5
	s_cbranch_execz .LBB180_316
; %bb.315:                              ;   in Loop: Header=BB180_6 Depth=1
	v_dual_mov_b32 v4, s20 :: v_dual_mov_b32 v5, s21
	ds_store_b64 v19, v[4:5] offset:5128
.LBB180_316:                            ;   in Loop: Header=BB180_6 Depth=1
	s_or_b32 exec_lo, exec_lo, s8
	s_waitcnt lgkmcnt(0)
	s_barrier
	buffer_gl0_inv
.LBB180_317:                            ;   in Loop: Header=BB180_6 Depth=1
	v_or_b32_e32 v32, s13, v32
	v_or_b32_e32 v31, s12, v31
	;; [unrolled: 1-line block ×4, first 2 shown]
	s_mov_b32 s8, 0
	s_mov_b32 s26, 5
.LBB180_318:                            ;   in Loop: Header=BB180_6 Depth=1
	s_or_saveexec_b32 s9, s9
	v_mov_b32_e32 v2, s26
	s_xor_b32 exec_lo, exec_lo, s9
; %bb.319:                              ;   in Loop: Header=BB180_6 Depth=1
	v_sub_co_u32 v33, vcc_lo, v33, s20
	v_subrev_co_ci_u32_e32 v34, vcc_lo, s21, v34, vcc_lo
	v_mov_b32_e32 v2, 0
	s_or_b32 s8, s8, exec_lo
; %bb.320:                              ;   in Loop: Header=BB180_6 Depth=1
	s_or_b32 exec_lo, exec_lo, s9
	s_delay_alu instid0(VALU_DEP_2)
	v_dual_mov_b32 v36, v34 :: v_dual_mov_b32 v35, v33
	s_and_b32 s26, s8, exec_lo
.LBB180_321:                            ;   in Loop: Header=BB180_6 Depth=1
	s_or_b32 exec_lo, exec_lo, s7
	s_mov_b32 s21, -1
                                        ; implicit-def: $sgpr8
                                        ; implicit-def: $sgpr9
                                        ; implicit-def: $sgpr20
	s_and_saveexec_b32 s7, s26
	s_delay_alu instid0(SALU_CYCLE_1)
	s_xor_b32 s64, exec_lo, s7
	s_cbranch_execz .LBB180_470
; %bb.322:                              ;   in Loop: Header=BB180_6 Depth=1
	v_cmp_eq_u64_e32 vcc_lo, 1, v[35:36]
	s_cmp_eq_u64 s[18:19], 1
                                        ; implicit-def: $sgpr20
                                        ; implicit-def: $sgpr21
                                        ; implicit-def: $sgpr65
	s_cselect_b32 s7, -1, 0
	s_delay_alu instid0(SALU_CYCLE_1)
	s_and_b32 s67, s7, vcc_lo
	s_mov_b32 s7, -1
	s_and_saveexec_b32 s66, s67
	s_cbranch_execz .LBB180_356
; %bb.323:                              ;   in Loop: Header=BB180_6 Depth=1
	ds_load_b64 v[4:5], v19 offset:5120
	s_waitcnt lgkmcnt(0)
	s_barrier
	buffer_gl0_inv
	v_readfirstlane_b32 s8, v4
	v_readfirstlane_b32 s9, v5
	s_and_saveexec_b32 s7, s6
	s_cbranch_execz .LBB180_325
; %bb.324:                              ;   in Loop: Header=BB180_6 Depth=1
	v_mov_b32_e32 v18, v19
	ds_store_b64 v47, v[18:19]
.LBB180_325:                            ;   in Loop: Header=BB180_6 Depth=1
	s_or_b32 exec_lo, exec_lo, s7
	v_and_b32_e32 v2, s15, v32
	v_and_b32_e32 v4, s14, v31
	s_lshl_b64 s[20:21], 2, s24
	v_or_b32_e32 v30, s13, v30
	v_or_b32_e32 v29, s12, v29
	;; [unrolled: 1-line block ×4, first 2 shown]
	s_cmp_eq_u64 s[8:9], 0
	s_waitcnt lgkmcnt(0)
	s_barrier
	buffer_gl0_inv
	s_cbranch_scc1 .LBB180_339
; %bb.326:                              ;   in Loop: Header=BB180_6 Depth=1
	s_add_u32 s26, s76, s8
	s_addc_u32 s21, s77, s9
	s_mov_b32 s20, s55
	s_delay_alu instid0(SALU_CYCLE_1)
	s_cmp_lg_u64 s[20:21], 0
	s_cbranch_scc0 .LBB180_383
; %bb.327:                              ;   in Loop: Header=BB180_6 Depth=1
	v_cvt_f32_u32_e32 v2, s33
	s_sub_u32 s65, 0, s33
	s_subb_u32 s68, 0, 0
	s_delay_alu instid0(VALU_DEP_1) | instskip(NEXT) | instid1(VALU_DEP_1)
	v_fmac_f32_e64 v2, 0, 0x4f800000
	v_rcp_f32_e32 v2, v2
	s_waitcnt_depctr 0xfff
	v_mul_f32_e32 v2, 0x5f7ffffc, v2
	s_delay_alu instid0(VALU_DEP_1) | instskip(NEXT) | instid1(VALU_DEP_1)
	v_mul_f32_e32 v4, 0x2f800000, v2
	v_trunc_f32_e32 v4, v4
	s_delay_alu instid0(VALU_DEP_1) | instskip(SKIP_1) | instid1(VALU_DEP_2)
	v_fmac_f32_e32 v2, 0xcf800000, v4
	v_cvt_u32_f32_e32 v4, v4
	v_cvt_u32_f32_e32 v2, v2
	s_delay_alu instid0(VALU_DEP_2) | instskip(NEXT) | instid1(VALU_DEP_2)
	v_readfirstlane_b32 s7, v4
	v_readfirstlane_b32 s20, v2
	s_delay_alu instid0(VALU_DEP_2) | instskip(NEXT) | instid1(VALU_DEP_1)
	s_mul_i32 s69, s65, s7
	s_mul_hi_u32 s71, s65, s20
	s_mul_i32 s70, s68, s20
	s_add_i32 s69, s71, s69
	s_mul_i32 s72, s65, s20
	s_add_i32 s69, s69, s70
	s_mul_hi_u32 s71, s20, s72
	s_mul_hi_u32 s73, s7, s72
	s_mul_i32 s70, s7, s72
	s_mul_hi_u32 s72, s20, s69
	s_mul_i32 s20, s20, s69
	s_mul_hi_u32 s98, s7, s69
	s_add_u32 s20, s71, s20
	s_addc_u32 s71, 0, s72
	s_add_u32 s20, s20, s70
	s_mul_i32 s69, s7, s69
	s_addc_u32 s20, s71, s73
	s_addc_u32 s70, s98, 0
	s_add_u32 s20, s20, s69
	s_addc_u32 s69, 0, s70
	v_add_co_u32 v2, s20, v2, s20
	s_delay_alu instid0(VALU_DEP_1) | instskip(SKIP_1) | instid1(VALU_DEP_1)
	s_cmp_lg_u32 s20, 0
	s_addc_u32 s7, s7, s69
	v_readfirstlane_b32 s20, v2
	s_mul_i32 s69, s65, s7
	s_delay_alu instid0(VALU_DEP_1)
	s_mul_hi_u32 s70, s65, s20
	s_mul_i32 s68, s68, s20
	s_add_i32 s69, s70, s69
	s_mul_i32 s65, s65, s20
	s_add_i32 s69, s69, s68
	s_mul_hi_u32 s70, s7, s65
	s_mul_i32 s71, s7, s65
	s_mul_hi_u32 s65, s20, s65
	s_mul_hi_u32 s72, s20, s69
	s_mul_i32 s20, s20, s69
	s_mul_hi_u32 s68, s7, s69
	s_add_u32 s20, s65, s20
	s_addc_u32 s65, 0, s72
	s_add_u32 s20, s20, s71
	s_mul_i32 s69, s7, s69
	s_addc_u32 s20, s65, s70
	s_addc_u32 s65, s68, 0
	s_add_u32 s20, s20, s69
	s_addc_u32 s65, 0, s65
	v_add_co_u32 v2, s20, v2, s20
	s_delay_alu instid0(VALU_DEP_1) | instskip(SKIP_1) | instid1(VALU_DEP_1)
	s_cmp_lg_u32 s20, 0
	s_addc_u32 s7, s7, s65
	v_readfirstlane_b32 s20, v2
	s_mul_i32 s68, s26, s7
	s_mul_hi_u32 s65, s26, s7
	s_mul_hi_u32 s69, s21, s7
	s_mul_i32 s7, s21, s7
	s_mul_hi_u32 s70, s26, s20
	s_mul_hi_u32 s71, s21, s20
	s_mul_i32 s20, s21, s20
	s_add_u32 s68, s70, s68
	s_addc_u32 s65, 0, s65
	s_add_u32 s20, s68, s20
	s_addc_u32 s20, s65, s71
	s_addc_u32 s65, s69, 0
	s_add_u32 s7, s20, s7
	s_addc_u32 s20, 0, s65
	s_mul_hi_u32 s65, s33, s7
	s_mul_i32 s7, s33, s7
	s_mul_i32 s20, s33, s20
	v_sub_co_u32 v2, s7, s26, s7
	s_add_i32 s65, s65, s20
	s_cmp_lg_u32 s7, 0
	s_delay_alu instid0(VALU_DEP_1) | instskip(SKIP_2) | instid1(VALU_DEP_1)
	v_sub_co_u32 v4, s7, v2, s33
	s_subb_u32 s20, s21, s65
	s_cmp_lg_u32 s7, 0
	v_cmp_le_u32_e32 vcc_lo, s33, v4
	v_sub_co_u32 v5, s7, v4, s33
	s_subb_u32 s65, s20, 0
	s_cmp_lg_u32 s7, 0
	v_cndmask_b32_e64 v6, 0, -1, vcc_lo
	s_subb_u32 s7, s65, 0
	s_cmp_eq_u32 s65, 0
	v_mov_b32_e32 v8, s7
	s_cselect_b32 vcc_lo, -1, 0
	s_cmp_eq_u32 s20, 0
	v_cndmask_b32_e32 v6, -1, v6, vcc_lo
	v_cmp_le_u32_e32 vcc_lo, s33, v2
	s_cselect_b32 s7, -1, 0
	v_cndmask_b32_e64 v7, 0, -1, vcc_lo
	s_delay_alu instid0(VALU_DEP_3) | instskip(NEXT) | instid1(VALU_DEP_2)
	v_cmp_ne_u32_e32 vcc_lo, 0, v6
	v_cndmask_b32_e64 v6, -1, v7, s7
	v_cndmask_b32_e32 v7, s65, v8, vcc_lo
	v_cndmask_b32_e32 v4, v4, v5, vcc_lo
	s_delay_alu instid0(VALU_DEP_3) | instskip(NEXT) | instid1(VALU_DEP_3)
	v_cmp_ne_u32_e32 vcc_lo, 0, v6
	v_cndmask_b32_e32 v5, s20, v7, vcc_lo
	s_delay_alu instid0(VALU_DEP_3)
	v_cndmask_b32_e32 v4, v2, v4, vcc_lo
	s_cbranch_execnz .LBB180_329
.LBB180_328:                            ;   in Loop: Header=BB180_6 Depth=1
	v_cvt_f32_u32_e32 v2, s33
	s_sub_i32 s7, 0, s33
	s_delay_alu instid0(VALU_DEP_1) | instskip(SKIP_2) | instid1(VALU_DEP_1)
	v_rcp_iflag_f32_e32 v2, v2
	s_waitcnt_depctr 0xfff
	v_mul_f32_e32 v2, 0x4f7ffffe, v2
	v_cvt_u32_f32_e32 v2, v2
	s_delay_alu instid0(VALU_DEP_1) | instskip(NEXT) | instid1(VALU_DEP_1)
	v_mul_lo_u32 v4, s7, v2
	v_mul_hi_u32 v4, v2, v4
	s_delay_alu instid0(VALU_DEP_1) | instskip(NEXT) | instid1(VALU_DEP_1)
	v_add_nc_u32_e32 v2, v2, v4
	v_mul_hi_u32 v2, s26, v2
	s_delay_alu instid0(VALU_DEP_1) | instskip(NEXT) | instid1(VALU_DEP_1)
	v_mul_lo_u32 v2, v2, s33
	v_sub_nc_u32_e32 v2, s26, v2
	s_delay_alu instid0(VALU_DEP_1) | instskip(SKIP_1) | instid1(VALU_DEP_2)
	v_subrev_nc_u32_e32 v4, s33, v2
	v_cmp_le_u32_e32 vcc_lo, s33, v2
	v_cndmask_b32_e32 v2, v2, v4, vcc_lo
	s_delay_alu instid0(VALU_DEP_1) | instskip(SKIP_1) | instid1(VALU_DEP_2)
	v_subrev_nc_u32_e32 v4, s33, v2
	v_cmp_le_u32_e32 vcc_lo, s33, v2
	v_cndmask_b32_e32 v18, v2, v4, vcc_lo
	s_delay_alu instid0(VALU_DEP_1)
	v_dual_mov_b32 v4, v18 :: v_dual_mov_b32 v5, v19
.LBB180_329:                            ;   in Loop: Header=BB180_6 Depth=1
	s_delay_alu instid0(VALU_DEP_1) | instskip(NEXT) | instid1(VALU_DEP_2)
	v_sub_co_u32 v8, vcc_lo, s26, v4
	v_sub_co_ci_u32_e32 v9, vcc_lo, s21, v5, vcc_lo
	s_mov_b32 s7, 0
	s_mov_b32 s20, exec_lo
                                        ; implicit-def: $vgpr6_vgpr7
	s_delay_alu instid0(VALU_DEP_1)
	v_cmpx_gt_u64_e64 v[8:9], v[0:1]
	s_cbranch_execz .LBB180_341
; %bb.330:                              ;   in Loop: Header=BB180_6 Depth=1
	v_mov_b32_e32 v12, v45
	v_dual_mov_b32 v11, v1 :: v_dual_mov_b32 v10, v0
	s_mov_b32 s26, 0
                                        ; implicit-def: $sgpr21
	s_set_inst_prefetch_distance 0x1
	s_branch .LBB180_332
	.p2align	6
.LBB180_331:                            ;   in Loop: Header=BB180_332 Depth=2
	s_or_b32 exec_lo, exec_lo, s7
	s_waitcnt lgkmcnt(0)
	s_barrier
	buffer_gl0_inv
	ds_load_b128 v[4:7], v19 offset:3072
	v_add_co_u32 v10, s7, v10, s33
	s_delay_alu instid0(VALU_DEP_1) | instskip(SKIP_3) | instid1(VALU_DEP_2)
	v_add_co_ci_u32_e64 v11, s7, 0, v11, s7
	v_add_nc_u32_e32 v12, s84, v12
	s_waitcnt lgkmcnt(0)
	s_barrier
	v_cmp_ge_u64_e64 s7, v[10:11], v[8:9]
	buffer_gl0_inv
	v_cmp_neq_f64_e32 vcc_lo, 0, v[4:5]
	s_or_b32 s7, s7, vcc_lo
	s_delay_alu instid0(SALU_CYCLE_1) | instskip(NEXT) | instid1(SALU_CYCLE_1)
	s_and_b32 s7, exec_lo, s7
	s_or_b32 s26, s7, s26
	s_and_not1_b32 s7, s21, exec_lo
	s_and_b32 s21, vcc_lo, exec_lo
	s_delay_alu instid0(SALU_CYCLE_1)
	s_or_b32 s21, s7, s21
	s_and_not1_b32 exec_lo, exec_lo, s26
	s_cbranch_execz .LBB180_340
.LBB180_332:                            ;   Parent Loop BB180_6 Depth=1
                                        ; =>  This Inner Loop Header: Depth=2
	s_delay_alu instid0(VALU_DEP_1)
	v_cmp_gt_u64_e32 vcc_lo, s[8:9], v[10:11]
	v_mov_b32_e32 v4, 0
	v_mov_b32_e32 v5, 0
	s_and_saveexec_b32 s7, vcc_lo
	s_cbranch_execz .LBB180_334
; %bb.333:                              ;   in Loop: Header=BB180_332 Depth=2
	ds_load_b64 v[4:5], v12
.LBB180_334:                            ;   in Loop: Header=BB180_332 Depth=2
	s_or_b32 exec_lo, exec_lo, s7
	s_and_saveexec_b32 s7, vcc_lo
	s_cbranch_execz .LBB180_331
; %bb.335:                              ;   in Loop: Header=BB180_332 Depth=2
	s_waitcnt lgkmcnt(0)
	v_cmp_o_f64_e32 vcc_lo, v[4:5], v[4:5]
	v_ashrrev_i32_e32 v2, 31, v5
	s_delay_alu instid0(VALU_DEP_1) | instskip(SKIP_1) | instid1(VALU_DEP_2)
	v_or_b32_e32 v6, 0x80000000, v2
	v_xor_b32_e32 v2, v2, v4
	v_xor_b32_e32 v6, v6, v5
	s_delay_alu instid0(VALU_DEP_1) | instskip(NEXT) | instid1(VALU_DEP_3)
	v_cndmask_b32_e32 v6, -1, v6, vcc_lo
	v_cndmask_b32_e32 v2, -1, v2, vcc_lo
	s_delay_alu instid0(VALU_DEP_2) | instskip(NEXT) | instid1(VALU_DEP_2)
	v_and_b32_e32 v7, v6, v30
	v_and_b32_e32 v6, v2, v29
	s_delay_alu instid0(VALU_DEP_1)
	v_cmp_eq_u64_e32 vcc_lo, v[6:7], v[31:32]
	s_and_b32 exec_lo, exec_lo, vcc_lo
	s_cbranch_execz .LBB180_331
; %bb.336:                              ;   in Loop: Header=BB180_332 Depth=2
	v_mov_b32_e32 v2, v19
	ds_store_b128 v19, v[2:5] offset:3072
	s_branch .LBB180_331
.LBB180_337:                            ;   in Loop: Header=BB180_6 Depth=1
                                        ; implicit-def: $vgpr4_vgpr5
	s_branch .LBB180_284
.LBB180_338:                            ;   in Loop: Header=BB180_6 Depth=1
                                        ; implicit-def: $vgpr4_vgpr5
	s_branch .LBB180_298
.LBB180_339:                            ;   in Loop: Header=BB180_6 Depth=1
	s_mov_b32 s20, -1
	s_mov_b32 s7, 0
                                        ; implicit-def: $sgpr21
                                        ; implicit-def: $vgpr6_vgpr7
	s_mov_b32 s65, s20
	s_cbranch_execnz .LBB180_342
	s_branch .LBB180_355
.LBB180_340:                            ;   in Loop: Header=BB180_6 Depth=1
	s_set_inst_prefetch_distance 0x2
	s_or_b32 exec_lo, exec_lo, s26
	s_delay_alu instid0(SALU_CYCLE_1)
	s_and_b32 s7, s21, exec_lo
.LBB180_341:                            ;   in Loop: Header=BB180_6 Depth=1
	s_or_b32 exec_lo, exec_lo, s20
	s_mov_b32 s20, 0
	s_mov_b32 s21, -1
	s_mov_b32 s65, s20
	s_branch .LBB180_355
.LBB180_342:                            ;   in Loop: Header=BB180_6 Depth=1
	s_mov_b32 s26, s55
	s_delay_alu instid0(SALU_CYCLE_1)
	s_cmp_lg_u64 s[26:27], 0
	s_cbranch_scc0 .LBB180_384
; %bb.343:                              ;   in Loop: Header=BB180_6 Depth=1
	v_cvt_f32_u32_e32 v2, s33
	s_sub_u32 s9, 0, s33
	s_subb_u32 s20, 0, 0
	s_delay_alu instid0(VALU_DEP_1) | instskip(NEXT) | instid1(VALU_DEP_1)
	v_fmac_f32_e64 v2, 0, 0x4f800000
	v_rcp_f32_e32 v2, v2
	s_waitcnt_depctr 0xfff
	v_mul_f32_e32 v2, 0x5f7ffffc, v2
	s_delay_alu instid0(VALU_DEP_1) | instskip(NEXT) | instid1(VALU_DEP_1)
	v_mul_f32_e32 v4, 0x2f800000, v2
	v_trunc_f32_e32 v4, v4
	s_delay_alu instid0(VALU_DEP_1) | instskip(SKIP_1) | instid1(VALU_DEP_2)
	v_fmac_f32_e32 v2, 0xcf800000, v4
	v_cvt_u32_f32_e32 v4, v4
	v_cvt_u32_f32_e32 v2, v2
	s_delay_alu instid0(VALU_DEP_2) | instskip(NEXT) | instid1(VALU_DEP_2)
	v_readfirstlane_b32 s7, v4
	v_readfirstlane_b32 s8, v2
	s_delay_alu instid0(VALU_DEP_2) | instskip(NEXT) | instid1(VALU_DEP_1)
	s_mul_i32 s21, s9, s7
	s_mul_hi_u32 s65, s9, s8
	s_mul_i32 s26, s20, s8
	s_add_i32 s21, s65, s21
	s_mul_i32 s68, s9, s8
	s_add_i32 s21, s21, s26
	s_mul_hi_u32 s65, s8, s68
	s_mul_hi_u32 s69, s7, s68
	s_mul_i32 s26, s7, s68
	s_mul_hi_u32 s68, s8, s21
	s_mul_i32 s8, s8, s21
	s_mul_hi_u32 s70, s7, s21
	s_add_u32 s8, s65, s8
	s_addc_u32 s65, 0, s68
	s_add_u32 s8, s8, s26
	s_mul_i32 s21, s7, s21
	s_addc_u32 s8, s65, s69
	s_addc_u32 s26, s70, 0
	s_add_u32 s8, s8, s21
	s_addc_u32 s21, 0, s26
	v_add_co_u32 v2, s8, v2, s8
	s_delay_alu instid0(VALU_DEP_1) | instskip(SKIP_1) | instid1(VALU_DEP_1)
	s_cmp_lg_u32 s8, 0
	s_addc_u32 s7, s7, s21
	v_readfirstlane_b32 s8, v2
	s_mul_i32 s21, s9, s7
	s_delay_alu instid0(VALU_DEP_1)
	s_mul_hi_u32 s26, s9, s8
	s_mul_i32 s20, s20, s8
	s_add_i32 s21, s26, s21
	s_mul_i32 s9, s9, s8
	s_add_i32 s21, s21, s20
	s_mul_hi_u32 s26, s7, s9
	s_mul_i32 s65, s7, s9
	s_mul_hi_u32 s9, s8, s9
	s_mul_hi_u32 s68, s8, s21
	s_mul_i32 s8, s8, s21
	s_mul_hi_u32 s20, s7, s21
	s_add_u32 s8, s9, s8
	s_addc_u32 s9, 0, s68
	s_add_u32 s8, s8, s65
	s_mul_i32 s21, s7, s21
	s_addc_u32 s8, s9, s26
	s_addc_u32 s9, s20, 0
	s_add_u32 s8, s8, s21
	s_addc_u32 s9, 0, s9
	v_add_co_u32 v2, s8, v2, s8
	s_delay_alu instid0(VALU_DEP_1) | instskip(SKIP_1) | instid1(VALU_DEP_1)
	s_cmp_lg_u32 s8, 0
	s_addc_u32 s7, s7, s9
	v_readfirstlane_b32 s8, v2
	s_mul_i32 s20, s78, s7
	s_mul_hi_u32 s9, s78, s7
	s_mul_hi_u32 s21, s27, s7
	s_mul_i32 s7, s27, s7
	s_mul_hi_u32 s26, s78, s8
	s_mul_hi_u32 s65, s27, s8
	s_mul_i32 s8, s27, s8
	s_add_u32 s20, s26, s20
	s_addc_u32 s9, 0, s9
	s_add_u32 s8, s20, s8
	s_addc_u32 s8, s9, s65
	s_addc_u32 s9, s21, 0
	s_add_u32 s7, s8, s7
	s_addc_u32 s8, 0, s9
	s_mul_hi_u32 s9, s33, s7
	s_mul_i32 s7, s33, s7
	s_mul_i32 s8, s33, s8
	v_sub_co_u32 v2, s7, s78, s7
	s_add_i32 s9, s9, s8
	s_cmp_lg_u32 s7, 0
	s_delay_alu instid0(VALU_DEP_1) | instskip(SKIP_2) | instid1(VALU_DEP_1)
	v_sub_co_u32 v4, s7, v2, s33
	s_subb_u32 s8, s27, s9
	s_cmp_lg_u32 s7, 0
	v_cmp_le_u32_e32 vcc_lo, s33, v4
	v_sub_co_u32 v5, s7, v4, s33
	s_subb_u32 s9, s8, 0
	s_cmp_lg_u32 s7, 0
	v_cndmask_b32_e64 v6, 0, -1, vcc_lo
	s_subb_u32 s7, s9, 0
	s_cmp_eq_u32 s9, 0
	v_mov_b32_e32 v8, s7
	s_cselect_b32 vcc_lo, -1, 0
	s_cmp_eq_u32 s8, 0
	v_cndmask_b32_e32 v6, -1, v6, vcc_lo
	v_cmp_le_u32_e32 vcc_lo, s33, v2
	s_cselect_b32 s7, -1, 0
	v_cndmask_b32_e64 v7, 0, -1, vcc_lo
	s_delay_alu instid0(VALU_DEP_3) | instskip(NEXT) | instid1(VALU_DEP_2)
	v_cmp_ne_u32_e32 vcc_lo, 0, v6
	v_cndmask_b32_e64 v6, -1, v7, s7
	v_cndmask_b32_e32 v7, s9, v8, vcc_lo
	v_cndmask_b32_e32 v4, v4, v5, vcc_lo
	s_delay_alu instid0(VALU_DEP_3) | instskip(NEXT) | instid1(VALU_DEP_3)
	v_cmp_ne_u32_e32 vcc_lo, 0, v6
	v_cndmask_b32_e32 v5, s8, v7, vcc_lo
	s_delay_alu instid0(VALU_DEP_3)
	v_cndmask_b32_e32 v4, v2, v4, vcc_lo
	s_cbranch_execnz .LBB180_345
.LBB180_344:                            ;   in Loop: Header=BB180_6 Depth=1
	v_cvt_f32_u32_e32 v2, s33
	s_sub_i32 s7, 0, s33
	s_delay_alu instid0(VALU_DEP_1) | instskip(SKIP_2) | instid1(VALU_DEP_1)
	v_rcp_iflag_f32_e32 v2, v2
	s_waitcnt_depctr 0xfff
	v_mul_f32_e32 v2, 0x4f7ffffe, v2
	v_cvt_u32_f32_e32 v2, v2
	s_delay_alu instid0(VALU_DEP_1) | instskip(NEXT) | instid1(VALU_DEP_1)
	v_mul_lo_u32 v4, s7, v2
	v_mul_hi_u32 v4, v2, v4
	s_delay_alu instid0(VALU_DEP_1) | instskip(NEXT) | instid1(VALU_DEP_1)
	v_add_nc_u32_e32 v2, v2, v4
	v_mul_hi_u32 v2, s78, v2
	s_delay_alu instid0(VALU_DEP_1) | instskip(NEXT) | instid1(VALU_DEP_1)
	v_mul_lo_u32 v2, v2, s33
	v_sub_nc_u32_e32 v2, s78, v2
	s_delay_alu instid0(VALU_DEP_1) | instskip(SKIP_1) | instid1(VALU_DEP_2)
	v_subrev_nc_u32_e32 v4, s33, v2
	v_cmp_le_u32_e32 vcc_lo, s33, v2
	v_cndmask_b32_e32 v2, v2, v4, vcc_lo
	s_delay_alu instid0(VALU_DEP_1) | instskip(SKIP_1) | instid1(VALU_DEP_2)
	v_subrev_nc_u32_e32 v4, s33, v2
	v_cmp_le_u32_e32 vcc_lo, s33, v2
	v_cndmask_b32_e32 v18, v2, v4, vcc_lo
	s_delay_alu instid0(VALU_DEP_1)
	v_dual_mov_b32 v4, v18 :: v_dual_mov_b32 v5, v19
.LBB180_345:                            ;   in Loop: Header=BB180_6 Depth=1
	s_delay_alu instid0(VALU_DEP_1) | instskip(NEXT) | instid1(VALU_DEP_2)
	v_sub_co_u32 v8, vcc_lo, s78, v4
	v_sub_co_ci_u32_e32 v9, vcc_lo, s27, v5, vcc_lo
	s_mov_b32 s7, 0
	s_mov_b32 s8, exec_lo
                                        ; implicit-def: $vgpr6_vgpr7
	s_delay_alu instid0(VALU_DEP_1)
	v_cmpx_gt_u64_e64 v[8:9], v[0:1]
	s_cbranch_execz .LBB180_354
; %bb.346:                              ;   in Loop: Header=BB180_6 Depth=1
	v_dual_mov_b32 v10, v16 :: v_dual_mov_b32 v11, v17
	v_dual_mov_b32 v13, v1 :: v_dual_mov_b32 v12, v0
	s_mov_b32 s20, 0
                                        ; implicit-def: $sgpr9
	s_branch .LBB180_348
.LBB180_347:                            ;   in Loop: Header=BB180_348 Depth=2
	s_or_b32 exec_lo, exec_lo, s7
	s_waitcnt vmcnt(0) lgkmcnt(0)
	s_barrier
	buffer_gl0_inv
	ds_load_b128 v[4:7], v19 offset:3072
	v_add_co_u32 v12, s7, v12, s33
	s_delay_alu instid0(VALU_DEP_1)
	v_add_co_ci_u32_e64 v13, s7, 0, v13, s7
	s_waitcnt lgkmcnt(0)
	s_barrier
	buffer_gl0_inv
	v_cmp_ge_u64_e64 s7, v[12:13], v[8:9]
	v_cmp_neq_f64_e32 vcc_lo, 0, v[4:5]
	s_delay_alu instid0(VALU_DEP_2) | instskip(NEXT) | instid1(SALU_CYCLE_1)
	s_or_b32 s7, s7, vcc_lo
	s_and_b32 s21, exec_lo, s7
	v_add_co_u32 v10, s7, v10, s34
	s_delay_alu instid0(VALU_DEP_1) | instskip(SKIP_3) | instid1(SALU_CYCLE_1)
	v_add_co_ci_u32_e64 v11, s7, s35, v11, s7
	s_or_b32 s20, s21, s20
	s_and_not1_b32 s7, s9, exec_lo
	s_and_b32 s9, vcc_lo, exec_lo
	s_or_b32 s9, s7, s9
	s_and_not1_b32 exec_lo, exec_lo, s20
	s_cbranch_execz .LBB180_353
.LBB180_348:                            ;   Parent Loop BB180_6 Depth=1
                                        ; =>  This Inner Loop Header: Depth=2
	s_delay_alu instid0(VALU_DEP_1)
	v_cmp_gt_u64_e32 vcc_lo, s[28:29], v[12:13]
	v_mov_b32_e32 v4, 0
	v_mov_b32_e32 v5, 0
	s_and_saveexec_b32 s7, vcc_lo
	s_cbranch_execz .LBB180_350
; %bb.349:                              ;   in Loop: Header=BB180_348 Depth=2
	global_load_b64 v[4:5], v[10:11], off
.LBB180_350:                            ;   in Loop: Header=BB180_348 Depth=2
	s_or_b32 exec_lo, exec_lo, s7
	s_and_saveexec_b32 s7, vcc_lo
	s_cbranch_execz .LBB180_347
; %bb.351:                              ;   in Loop: Header=BB180_348 Depth=2
	s_waitcnt vmcnt(0)
	v_cmp_o_f64_e32 vcc_lo, v[4:5], v[4:5]
	v_ashrrev_i32_e32 v2, 31, v5
	s_delay_alu instid0(VALU_DEP_1) | instskip(SKIP_1) | instid1(VALU_DEP_2)
	v_or_b32_e32 v6, 0x80000000, v2
	v_xor_b32_e32 v2, v2, v4
	v_xor_b32_e32 v6, v6, v5
	s_delay_alu instid0(VALU_DEP_1) | instskip(NEXT) | instid1(VALU_DEP_3)
	v_cndmask_b32_e32 v6, -1, v6, vcc_lo
	v_cndmask_b32_e32 v2, -1, v2, vcc_lo
	s_delay_alu instid0(VALU_DEP_2) | instskip(NEXT) | instid1(VALU_DEP_2)
	v_and_b32_e32 v7, v6, v30
	v_and_b32_e32 v6, v2, v29
	s_delay_alu instid0(VALU_DEP_1)
	v_cmp_eq_u64_e32 vcc_lo, v[6:7], v[31:32]
	s_and_b32 exec_lo, exec_lo, vcc_lo
	s_cbranch_execz .LBB180_347
; %bb.352:                              ;   in Loop: Header=BB180_348 Depth=2
	v_mov_b32_e32 v2, v19
	ds_store_b128 v19, v[2:5] offset:3072
	s_branch .LBB180_347
.LBB180_353:                            ;   in Loop: Header=BB180_6 Depth=1
	s_or_b32 exec_lo, exec_lo, s20
	s_delay_alu instid0(SALU_CYCLE_1)
	s_and_b32 s7, s9, exec_lo
.LBB180_354:                            ;   in Loop: Header=BB180_6 Depth=1
	s_or_b32 exec_lo, exec_lo, s8
	s_mov_b32 s21, 0
	s_mov_b32 s20, -1
	s_mov_b32 s65, 0
.LBB180_355:                            ;   in Loop: Header=BB180_6 Depth=1
	s_or_not1_b32 s7, s7, exec_lo
.LBB180_356:                            ;   in Loop: Header=BB180_6 Depth=1
	s_or_b32 exec_lo, exec_lo, s66
	s_mov_b32 s26, 0
                                        ; implicit-def: $vgpr2
	s_and_saveexec_b32 s66, s7
	s_cbranch_execz .LBB180_469
; %bb.357:                              ;   in Loop: Header=BB180_6 Depth=1
	v_mov_b32_e32 v8, 1
	v_dual_mov_b32 v9, 0 :: v_dual_mov_b32 v2, 1
	s_xor_b32 s8, s67, -1
	s_delay_alu instid0(SALU_CYCLE_1)
	s_and_saveexec_b32 s7, s8
	s_cbranch_execz .LBB180_367
; %bb.358:                              ;   in Loop: Header=BB180_6 Depth=1
	s_mov_b32 s9, exec_lo
                                        ; implicit-def: $sgpr26
                                        ; implicit-def: $sgpr8
	v_cmpx_ge_u64_e64 s[18:19], v[35:36]
	s_xor_b32 s9, exec_lo, s9
	s_cbranch_execz .LBB180_364
; %bb.359:                              ;   in Loop: Header=BB180_6 Depth=1
	ds_load_b64 v[4:5], v19 offset:5120
	s_waitcnt lgkmcnt(0)
	v_cmp_ne_u64_e32 vcc_lo, 0, v[4:5]
	s_cbranch_vccnz .LBB180_363
; %bb.360:                              ;   in Loop: Header=BB180_6 Depth=1
	s_and_saveexec_b32 s8, s5
	s_cbranch_execz .LBB180_362
; %bb.361:                              ;   in Loop: Header=BB180_6 Depth=1
	v_dual_mov_b32 v4, s18 :: v_dual_mov_b32 v5, s19
	ds_store_b64 v19, v[4:5] offset:5128
.LBB180_362:                            ;   in Loop: Header=BB180_6 Depth=1
	s_or_b32 exec_lo, exec_lo, s8
	s_waitcnt lgkmcnt(0)
	s_barrier
	buffer_gl0_inv
.LBB180_363:                            ;   in Loop: Header=BB180_6 Depth=1
	v_and_b32_e32 v2, s15, v32
	v_and_b32_e32 v4, s14, v31
	s_lshl_b64 s[68:69], 2, s24
	v_or_b32_e32 v30, s13, v30
	v_or_b32_e32 v29, s12, v29
	;; [unrolled: 1-line block ×4, first 2 shown]
	s_mov_b32 s8, 0
	s_mov_b32 s26, 5
.LBB180_364:                            ;   in Loop: Header=BB180_6 Depth=1
	s_or_saveexec_b32 s9, s9
	v_mov_b32_e32 v2, s26
	s_xor_b32 exec_lo, exec_lo, s9
; %bb.365:                              ;   in Loop: Header=BB180_6 Depth=1
	v_sub_co_u32 v35, vcc_lo, v35, s18
	v_subrev_co_ci_u32_e32 v36, vcc_lo, s19, v36, vcc_lo
	v_mov_b32_e32 v2, 0
	s_or_b32 s8, s8, exec_lo
; %bb.366:                              ;   in Loop: Header=BB180_6 Depth=1
	s_or_b32 exec_lo, exec_lo, s9
	s_delay_alu instid0(VALU_DEP_2)
	v_dual_mov_b32 v8, v35 :: v_dual_mov_b32 v9, v36
	s_and_b32 s26, s8, exec_lo
.LBB180_367:                            ;   in Loop: Header=BB180_6 Depth=1
	s_or_b32 exec_lo, exec_lo, s7
	s_mov_b32 s7, -1
                                        ; implicit-def: $sgpr8
                                        ; implicit-def: $sgpr9
                                        ; implicit-def: $sgpr18
	s_and_saveexec_b32 s67, s26
	s_cbranch_execz .LBB180_468
; %bb.368:                              ;   in Loop: Header=BB180_6 Depth=1
	v_cmp_eq_u64_e32 vcc_lo, 1, v[8:9]
	s_cmp_eq_u64 s[16:17], 1
                                        ; implicit-def: $sgpr18
                                        ; implicit-def: $sgpr19
                                        ; implicit-def: $sgpr68
	s_cselect_b32 s7, -1, 0
	s_delay_alu instid0(SALU_CYCLE_1)
	s_and_b32 s70, s7, vcc_lo
	s_mov_b32 s7, -1
	s_and_saveexec_b32 s69, s70
	s_cbranch_execz .LBB180_402
; %bb.369:                              ;   in Loop: Header=BB180_6 Depth=1
	ds_load_b64 v[4:5], v19 offset:5120
	s_waitcnt lgkmcnt(0)
	s_barrier
	buffer_gl0_inv
	v_readfirstlane_b32 s8, v4
	v_readfirstlane_b32 s9, v5
	s_and_saveexec_b32 s7, s6
	s_cbranch_execz .LBB180_371
; %bb.370:                              ;   in Loop: Header=BB180_6 Depth=1
	v_mov_b32_e32 v18, v19
	ds_store_b64 v47, v[18:19]
.LBB180_371:                            ;   in Loop: Header=BB180_6 Depth=1
	s_or_b32 exec_lo, exec_lo, s7
	v_and_b32_e32 v2, s15, v32
	v_and_b32_e32 v4, s14, v31
	s_lshl_b64 s[18:19], 1, s24
	v_or_b32_e32 v30, s13, v30
	v_or_b32_e32 v29, s12, v29
	v_or_b32_e32 v32, s19, v2
	v_or_b32_e32 v31, s18, v4
	s_cmp_eq_u64 s[8:9], 0
	s_waitcnt lgkmcnt(0)
	s_barrier
	buffer_gl0_inv
	s_cbranch_scc1 .LBB180_385
; %bb.372:                              ;   in Loop: Header=BB180_6 Depth=1
	s_add_u32 s26, s76, s8
	s_addc_u32 s19, s77, s9
	s_mov_b32 s18, s55
	s_delay_alu instid0(SALU_CYCLE_1)
	s_cmp_lg_u64 s[18:19], 0
	s_cbranch_scc0 .LBB180_420
; %bb.373:                              ;   in Loop: Header=BB180_6 Depth=1
	v_cvt_f32_u32_e32 v2, s33
	s_sub_u32 s68, 0, s33
	s_subb_u32 s71, 0, 0
	s_delay_alu instid0(VALU_DEP_1) | instskip(NEXT) | instid1(VALU_DEP_1)
	v_fmac_f32_e64 v2, 0, 0x4f800000
	v_rcp_f32_e32 v2, v2
	s_waitcnt_depctr 0xfff
	v_mul_f32_e32 v2, 0x5f7ffffc, v2
	s_delay_alu instid0(VALU_DEP_1) | instskip(NEXT) | instid1(VALU_DEP_1)
	v_mul_f32_e32 v4, 0x2f800000, v2
	v_trunc_f32_e32 v4, v4
	s_delay_alu instid0(VALU_DEP_1) | instskip(SKIP_1) | instid1(VALU_DEP_2)
	v_fmac_f32_e32 v2, 0xcf800000, v4
	v_cvt_u32_f32_e32 v4, v4
	v_cvt_u32_f32_e32 v2, v2
	s_delay_alu instid0(VALU_DEP_2) | instskip(NEXT) | instid1(VALU_DEP_2)
	v_readfirstlane_b32 s7, v4
	v_readfirstlane_b32 s18, v2
	s_delay_alu instid0(VALU_DEP_2) | instskip(NEXT) | instid1(VALU_DEP_1)
	s_mul_i32 s72, s68, s7
	s_mul_hi_u32 s98, s68, s18
	s_mul_i32 s73, s71, s18
	s_add_i32 s72, s98, s72
	s_mul_i32 s99, s68, s18
	s_add_i32 s72, s72, s73
	s_mul_hi_u32 s98, s18, s99
	s_mul_hi_u32 s100, s7, s99
	s_mul_i32 s73, s7, s99
	s_mul_hi_u32 s99, s18, s72
	s_mul_i32 s18, s18, s72
	s_mul_hi_u32 s101, s7, s72
	s_add_u32 s18, s98, s18
	s_addc_u32 s98, 0, s99
	s_add_u32 s18, s18, s73
	s_mul_i32 s72, s7, s72
	s_addc_u32 s18, s98, s100
	s_addc_u32 s73, s101, 0
	s_add_u32 s18, s18, s72
	s_addc_u32 s72, 0, s73
	v_add_co_u32 v2, s18, v2, s18
	s_delay_alu instid0(VALU_DEP_1) | instskip(SKIP_1) | instid1(VALU_DEP_1)
	s_cmp_lg_u32 s18, 0
	s_addc_u32 s7, s7, s72
	v_readfirstlane_b32 s18, v2
	s_mul_i32 s72, s68, s7
	s_delay_alu instid0(VALU_DEP_1)
	s_mul_hi_u32 s73, s68, s18
	s_mul_i32 s71, s71, s18
	s_add_i32 s72, s73, s72
	s_mul_i32 s68, s68, s18
	s_add_i32 s72, s72, s71
	s_mul_hi_u32 s73, s7, s68
	s_mul_i32 s98, s7, s68
	s_mul_hi_u32 s68, s18, s68
	s_mul_hi_u32 s99, s18, s72
	s_mul_i32 s18, s18, s72
	s_mul_hi_u32 s71, s7, s72
	s_add_u32 s18, s68, s18
	s_addc_u32 s68, 0, s99
	s_add_u32 s18, s18, s98
	s_mul_i32 s72, s7, s72
	s_addc_u32 s18, s68, s73
	s_addc_u32 s68, s71, 0
	s_add_u32 s18, s18, s72
	s_addc_u32 s68, 0, s68
	v_add_co_u32 v2, s18, v2, s18
	s_delay_alu instid0(VALU_DEP_1) | instskip(SKIP_1) | instid1(VALU_DEP_1)
	s_cmp_lg_u32 s18, 0
	s_addc_u32 s7, s7, s68
	v_readfirstlane_b32 s18, v2
	s_mul_i32 s71, s26, s7
	s_mul_hi_u32 s68, s26, s7
	s_mul_hi_u32 s72, s19, s7
	s_mul_i32 s7, s19, s7
	s_mul_hi_u32 s73, s26, s18
	s_mul_hi_u32 s98, s19, s18
	s_mul_i32 s18, s19, s18
	s_add_u32 s71, s73, s71
	s_addc_u32 s68, 0, s68
	s_add_u32 s18, s71, s18
	s_addc_u32 s18, s68, s98
	s_addc_u32 s68, s72, 0
	s_add_u32 s7, s18, s7
	s_addc_u32 s18, 0, s68
	s_mul_hi_u32 s68, s33, s7
	s_mul_i32 s7, s33, s7
	s_mul_i32 s18, s33, s18
	v_sub_co_u32 v2, s7, s26, s7
	s_add_i32 s68, s68, s18
	s_cmp_lg_u32 s7, 0
	s_delay_alu instid0(VALU_DEP_1) | instskip(SKIP_2) | instid1(VALU_DEP_1)
	v_sub_co_u32 v4, s7, v2, s33
	s_subb_u32 s18, s19, s68
	s_cmp_lg_u32 s7, 0
	v_cmp_le_u32_e32 vcc_lo, s33, v4
	v_sub_co_u32 v5, s7, v4, s33
	s_subb_u32 s68, s18, 0
	s_cmp_lg_u32 s7, 0
	v_cndmask_b32_e64 v6, 0, -1, vcc_lo
	s_subb_u32 s7, s68, 0
	s_cmp_eq_u32 s68, 0
	v_mov_b32_e32 v10, s7
	s_cselect_b32 vcc_lo, -1, 0
	s_cmp_eq_u32 s18, 0
	v_cndmask_b32_e32 v6, -1, v6, vcc_lo
	v_cmp_le_u32_e32 vcc_lo, s33, v2
	s_cselect_b32 s7, -1, 0
	v_cndmask_b32_e64 v7, 0, -1, vcc_lo
	s_delay_alu instid0(VALU_DEP_3) | instskip(NEXT) | instid1(VALU_DEP_2)
	v_cmp_ne_u32_e32 vcc_lo, 0, v6
	v_cndmask_b32_e64 v6, -1, v7, s7
	v_cndmask_b32_e32 v7, s68, v10, vcc_lo
	v_cndmask_b32_e32 v4, v4, v5, vcc_lo
	s_delay_alu instid0(VALU_DEP_3) | instskip(NEXT) | instid1(VALU_DEP_3)
	v_cmp_ne_u32_e32 vcc_lo, 0, v6
	v_cndmask_b32_e32 v5, s18, v7, vcc_lo
	s_delay_alu instid0(VALU_DEP_3)
	v_cndmask_b32_e32 v4, v2, v4, vcc_lo
	s_cbranch_execnz .LBB180_375
.LBB180_374:                            ;   in Loop: Header=BB180_6 Depth=1
	v_cvt_f32_u32_e32 v2, s33
	s_sub_i32 s7, 0, s33
	s_delay_alu instid0(VALU_DEP_1) | instskip(SKIP_2) | instid1(VALU_DEP_1)
	v_rcp_iflag_f32_e32 v2, v2
	s_waitcnt_depctr 0xfff
	v_mul_f32_e32 v2, 0x4f7ffffe, v2
	v_cvt_u32_f32_e32 v2, v2
	s_delay_alu instid0(VALU_DEP_1) | instskip(NEXT) | instid1(VALU_DEP_1)
	v_mul_lo_u32 v4, s7, v2
	v_mul_hi_u32 v4, v2, v4
	s_delay_alu instid0(VALU_DEP_1) | instskip(NEXT) | instid1(VALU_DEP_1)
	v_add_nc_u32_e32 v2, v2, v4
	v_mul_hi_u32 v2, s26, v2
	s_delay_alu instid0(VALU_DEP_1) | instskip(NEXT) | instid1(VALU_DEP_1)
	v_mul_lo_u32 v2, v2, s33
	v_sub_nc_u32_e32 v2, s26, v2
	s_delay_alu instid0(VALU_DEP_1) | instskip(SKIP_1) | instid1(VALU_DEP_2)
	v_subrev_nc_u32_e32 v4, s33, v2
	v_cmp_le_u32_e32 vcc_lo, s33, v2
	v_cndmask_b32_e32 v2, v2, v4, vcc_lo
	s_delay_alu instid0(VALU_DEP_1) | instskip(SKIP_1) | instid1(VALU_DEP_2)
	v_subrev_nc_u32_e32 v4, s33, v2
	v_cmp_le_u32_e32 vcc_lo, s33, v2
	v_cndmask_b32_e32 v18, v2, v4, vcc_lo
	s_delay_alu instid0(VALU_DEP_1)
	v_dual_mov_b32 v4, v18 :: v_dual_mov_b32 v5, v19
.LBB180_375:                            ;   in Loop: Header=BB180_6 Depth=1
	s_delay_alu instid0(VALU_DEP_1) | instskip(NEXT) | instid1(VALU_DEP_2)
	v_sub_co_u32 v10, vcc_lo, s26, v4
	v_sub_co_ci_u32_e32 v11, vcc_lo, s19, v5, vcc_lo
	s_mov_b32 s7, 0
	s_mov_b32 s18, exec_lo
                                        ; implicit-def: $vgpr6_vgpr7
	s_delay_alu instid0(VALU_DEP_1)
	v_cmpx_gt_u64_e64 v[10:11], v[0:1]
	s_cbranch_execz .LBB180_387
; %bb.376:                              ;   in Loop: Header=BB180_6 Depth=1
	v_mov_b32_e32 v14, v45
	v_dual_mov_b32 v13, v1 :: v_dual_mov_b32 v12, v0
	s_mov_b32 s26, 0
                                        ; implicit-def: $sgpr19
	s_set_inst_prefetch_distance 0x1
	s_branch .LBB180_378
	.p2align	6
.LBB180_377:                            ;   in Loop: Header=BB180_378 Depth=2
	s_or_b32 exec_lo, exec_lo, s7
	s_waitcnt lgkmcnt(0)
	s_barrier
	buffer_gl0_inv
	ds_load_b128 v[4:7], v19 offset:3072
	v_add_co_u32 v12, s7, v12, s33
	s_delay_alu instid0(VALU_DEP_1) | instskip(SKIP_3) | instid1(VALU_DEP_2)
	v_add_co_ci_u32_e64 v13, s7, 0, v13, s7
	v_add_nc_u32_e32 v14, s84, v14
	s_waitcnt lgkmcnt(0)
	s_barrier
	v_cmp_ge_u64_e64 s7, v[12:13], v[10:11]
	buffer_gl0_inv
	v_cmp_neq_f64_e32 vcc_lo, 0, v[4:5]
	s_or_b32 s7, s7, vcc_lo
	s_delay_alu instid0(SALU_CYCLE_1) | instskip(NEXT) | instid1(SALU_CYCLE_1)
	s_and_b32 s7, exec_lo, s7
	s_or_b32 s26, s7, s26
	s_and_not1_b32 s7, s19, exec_lo
	s_and_b32 s19, vcc_lo, exec_lo
	s_delay_alu instid0(SALU_CYCLE_1)
	s_or_b32 s19, s7, s19
	s_and_not1_b32 exec_lo, exec_lo, s26
	s_cbranch_execz .LBB180_386
.LBB180_378:                            ;   Parent Loop BB180_6 Depth=1
                                        ; =>  This Inner Loop Header: Depth=2
	s_delay_alu instid0(VALU_DEP_1)
	v_cmp_gt_u64_e32 vcc_lo, s[8:9], v[12:13]
	v_mov_b32_e32 v4, 0
	v_mov_b32_e32 v5, 0
	s_and_saveexec_b32 s7, vcc_lo
	s_cbranch_execz .LBB180_380
; %bb.379:                              ;   in Loop: Header=BB180_378 Depth=2
	ds_load_b64 v[4:5], v14
.LBB180_380:                            ;   in Loop: Header=BB180_378 Depth=2
	s_or_b32 exec_lo, exec_lo, s7
	s_and_saveexec_b32 s7, vcc_lo
	s_cbranch_execz .LBB180_377
; %bb.381:                              ;   in Loop: Header=BB180_378 Depth=2
	s_waitcnt lgkmcnt(0)
	v_cmp_o_f64_e32 vcc_lo, v[4:5], v[4:5]
	v_ashrrev_i32_e32 v2, 31, v5
	s_delay_alu instid0(VALU_DEP_1) | instskip(SKIP_1) | instid1(VALU_DEP_2)
	v_or_b32_e32 v6, 0x80000000, v2
	v_xor_b32_e32 v2, v2, v4
	v_xor_b32_e32 v6, v6, v5
	s_delay_alu instid0(VALU_DEP_1) | instskip(NEXT) | instid1(VALU_DEP_3)
	v_cndmask_b32_e32 v6, -1, v6, vcc_lo
	v_cndmask_b32_e32 v2, -1, v2, vcc_lo
	s_delay_alu instid0(VALU_DEP_2) | instskip(NEXT) | instid1(VALU_DEP_2)
	v_and_b32_e32 v7, v6, v30
	v_and_b32_e32 v6, v2, v29
	s_delay_alu instid0(VALU_DEP_1)
	v_cmp_eq_u64_e32 vcc_lo, v[6:7], v[31:32]
	s_and_b32 exec_lo, exec_lo, vcc_lo
	s_cbranch_execz .LBB180_377
; %bb.382:                              ;   in Loop: Header=BB180_378 Depth=2
	v_mov_b32_e32 v2, v19
	ds_store_b128 v19, v[2:5] offset:3072
	s_branch .LBB180_377
.LBB180_383:                            ;   in Loop: Header=BB180_6 Depth=1
                                        ; implicit-def: $vgpr4_vgpr5
	s_branch .LBB180_328
.LBB180_384:                            ;   in Loop: Header=BB180_6 Depth=1
                                        ; implicit-def: $vgpr4_vgpr5
	s_branch .LBB180_344
.LBB180_385:                            ;   in Loop: Header=BB180_6 Depth=1
	s_mov_b32 s18, -1
	s_mov_b32 s7, 0
                                        ; implicit-def: $sgpr19
                                        ; implicit-def: $vgpr6_vgpr7
	s_mov_b32 s68, s18
	s_cbranch_execnz .LBB180_388
	s_branch .LBB180_401
.LBB180_386:                            ;   in Loop: Header=BB180_6 Depth=1
	s_set_inst_prefetch_distance 0x2
	s_or_b32 exec_lo, exec_lo, s26
	s_delay_alu instid0(SALU_CYCLE_1)
	s_and_b32 s7, s19, exec_lo
.LBB180_387:                            ;   in Loop: Header=BB180_6 Depth=1
	s_or_b32 exec_lo, exec_lo, s18
	s_mov_b32 s18, 0
	s_mov_b32 s19, -1
	s_mov_b32 s68, s18
	s_branch .LBB180_401
.LBB180_388:                            ;   in Loop: Header=BB180_6 Depth=1
	s_mov_b32 s26, s55
	s_delay_alu instid0(SALU_CYCLE_1)
	s_cmp_lg_u64 s[26:27], 0
	s_cbranch_scc0 .LBB180_421
; %bb.389:                              ;   in Loop: Header=BB180_6 Depth=1
	v_cvt_f32_u32_e32 v2, s33
	s_sub_u32 s9, 0, s33
	s_subb_u32 s18, 0, 0
	s_delay_alu instid0(VALU_DEP_1) | instskip(NEXT) | instid1(VALU_DEP_1)
	v_fmac_f32_e64 v2, 0, 0x4f800000
	v_rcp_f32_e32 v2, v2
	s_waitcnt_depctr 0xfff
	v_mul_f32_e32 v2, 0x5f7ffffc, v2
	s_delay_alu instid0(VALU_DEP_1) | instskip(NEXT) | instid1(VALU_DEP_1)
	v_mul_f32_e32 v4, 0x2f800000, v2
	v_trunc_f32_e32 v4, v4
	s_delay_alu instid0(VALU_DEP_1) | instskip(SKIP_1) | instid1(VALU_DEP_2)
	v_fmac_f32_e32 v2, 0xcf800000, v4
	v_cvt_u32_f32_e32 v4, v4
	v_cvt_u32_f32_e32 v2, v2
	s_delay_alu instid0(VALU_DEP_2) | instskip(NEXT) | instid1(VALU_DEP_2)
	v_readfirstlane_b32 s7, v4
	v_readfirstlane_b32 s8, v2
	s_delay_alu instid0(VALU_DEP_2) | instskip(NEXT) | instid1(VALU_DEP_1)
	s_mul_i32 s19, s9, s7
	s_mul_hi_u32 s68, s9, s8
	s_mul_i32 s26, s18, s8
	s_add_i32 s19, s68, s19
	s_mul_i32 s71, s9, s8
	s_add_i32 s19, s19, s26
	s_mul_hi_u32 s68, s8, s71
	s_mul_hi_u32 s72, s7, s71
	s_mul_i32 s26, s7, s71
	s_mul_hi_u32 s71, s8, s19
	s_mul_i32 s8, s8, s19
	s_mul_hi_u32 s73, s7, s19
	s_add_u32 s8, s68, s8
	s_addc_u32 s68, 0, s71
	s_add_u32 s8, s8, s26
	s_mul_i32 s19, s7, s19
	s_addc_u32 s8, s68, s72
	s_addc_u32 s26, s73, 0
	s_add_u32 s8, s8, s19
	s_addc_u32 s19, 0, s26
	v_add_co_u32 v2, s8, v2, s8
	s_delay_alu instid0(VALU_DEP_1) | instskip(SKIP_1) | instid1(VALU_DEP_1)
	s_cmp_lg_u32 s8, 0
	s_addc_u32 s7, s7, s19
	v_readfirstlane_b32 s8, v2
	s_mul_i32 s19, s9, s7
	s_delay_alu instid0(VALU_DEP_1)
	s_mul_hi_u32 s26, s9, s8
	s_mul_i32 s18, s18, s8
	s_add_i32 s19, s26, s19
	s_mul_i32 s9, s9, s8
	s_add_i32 s19, s19, s18
	s_mul_hi_u32 s26, s7, s9
	s_mul_i32 s68, s7, s9
	s_mul_hi_u32 s9, s8, s9
	s_mul_hi_u32 s71, s8, s19
	s_mul_i32 s8, s8, s19
	s_mul_hi_u32 s18, s7, s19
	s_add_u32 s8, s9, s8
	s_addc_u32 s9, 0, s71
	s_add_u32 s8, s8, s68
	s_mul_i32 s19, s7, s19
	s_addc_u32 s8, s9, s26
	s_addc_u32 s9, s18, 0
	s_add_u32 s8, s8, s19
	s_addc_u32 s9, 0, s9
	v_add_co_u32 v2, s8, v2, s8
	s_delay_alu instid0(VALU_DEP_1) | instskip(SKIP_1) | instid1(VALU_DEP_1)
	s_cmp_lg_u32 s8, 0
	s_addc_u32 s7, s7, s9
	v_readfirstlane_b32 s8, v2
	s_mul_i32 s18, s78, s7
	s_mul_hi_u32 s9, s78, s7
	s_mul_hi_u32 s19, s27, s7
	s_mul_i32 s7, s27, s7
	s_mul_hi_u32 s26, s78, s8
	s_mul_hi_u32 s68, s27, s8
	s_mul_i32 s8, s27, s8
	s_add_u32 s18, s26, s18
	s_addc_u32 s9, 0, s9
	s_add_u32 s8, s18, s8
	s_addc_u32 s8, s9, s68
	s_addc_u32 s9, s19, 0
	s_add_u32 s7, s8, s7
	s_addc_u32 s8, 0, s9
	s_mul_hi_u32 s9, s33, s7
	s_mul_i32 s7, s33, s7
	s_mul_i32 s8, s33, s8
	v_sub_co_u32 v2, s7, s78, s7
	s_add_i32 s9, s9, s8
	s_cmp_lg_u32 s7, 0
	s_delay_alu instid0(VALU_DEP_1) | instskip(SKIP_2) | instid1(VALU_DEP_1)
	v_sub_co_u32 v4, s7, v2, s33
	s_subb_u32 s8, s27, s9
	s_cmp_lg_u32 s7, 0
	v_cmp_le_u32_e32 vcc_lo, s33, v4
	v_sub_co_u32 v5, s7, v4, s33
	s_subb_u32 s9, s8, 0
	s_cmp_lg_u32 s7, 0
	v_cndmask_b32_e64 v6, 0, -1, vcc_lo
	s_subb_u32 s7, s9, 0
	s_cmp_eq_u32 s9, 0
	v_mov_b32_e32 v10, s7
	s_cselect_b32 vcc_lo, -1, 0
	s_cmp_eq_u32 s8, 0
	v_cndmask_b32_e32 v6, -1, v6, vcc_lo
	v_cmp_le_u32_e32 vcc_lo, s33, v2
	s_cselect_b32 s7, -1, 0
	v_cndmask_b32_e64 v7, 0, -1, vcc_lo
	s_delay_alu instid0(VALU_DEP_3) | instskip(NEXT) | instid1(VALU_DEP_2)
	v_cmp_ne_u32_e32 vcc_lo, 0, v6
	v_cndmask_b32_e64 v6, -1, v7, s7
	v_cndmask_b32_e32 v7, s9, v10, vcc_lo
	v_cndmask_b32_e32 v4, v4, v5, vcc_lo
	s_delay_alu instid0(VALU_DEP_3) | instskip(NEXT) | instid1(VALU_DEP_3)
	v_cmp_ne_u32_e32 vcc_lo, 0, v6
	v_cndmask_b32_e32 v5, s8, v7, vcc_lo
	s_delay_alu instid0(VALU_DEP_3)
	v_cndmask_b32_e32 v4, v2, v4, vcc_lo
	s_cbranch_execnz .LBB180_391
.LBB180_390:                            ;   in Loop: Header=BB180_6 Depth=1
	v_cvt_f32_u32_e32 v2, s33
	s_sub_i32 s7, 0, s33
	s_delay_alu instid0(VALU_DEP_1) | instskip(SKIP_2) | instid1(VALU_DEP_1)
	v_rcp_iflag_f32_e32 v2, v2
	s_waitcnt_depctr 0xfff
	v_mul_f32_e32 v2, 0x4f7ffffe, v2
	v_cvt_u32_f32_e32 v2, v2
	s_delay_alu instid0(VALU_DEP_1) | instskip(NEXT) | instid1(VALU_DEP_1)
	v_mul_lo_u32 v4, s7, v2
	v_mul_hi_u32 v4, v2, v4
	s_delay_alu instid0(VALU_DEP_1) | instskip(NEXT) | instid1(VALU_DEP_1)
	v_add_nc_u32_e32 v2, v2, v4
	v_mul_hi_u32 v2, s78, v2
	s_delay_alu instid0(VALU_DEP_1) | instskip(NEXT) | instid1(VALU_DEP_1)
	v_mul_lo_u32 v2, v2, s33
	v_sub_nc_u32_e32 v2, s78, v2
	s_delay_alu instid0(VALU_DEP_1) | instskip(SKIP_1) | instid1(VALU_DEP_2)
	v_subrev_nc_u32_e32 v4, s33, v2
	v_cmp_le_u32_e32 vcc_lo, s33, v2
	v_cndmask_b32_e32 v2, v2, v4, vcc_lo
	s_delay_alu instid0(VALU_DEP_1) | instskip(SKIP_1) | instid1(VALU_DEP_2)
	v_subrev_nc_u32_e32 v4, s33, v2
	v_cmp_le_u32_e32 vcc_lo, s33, v2
	v_cndmask_b32_e32 v18, v2, v4, vcc_lo
	s_delay_alu instid0(VALU_DEP_1)
	v_dual_mov_b32 v4, v18 :: v_dual_mov_b32 v5, v19
.LBB180_391:                            ;   in Loop: Header=BB180_6 Depth=1
	s_delay_alu instid0(VALU_DEP_1) | instskip(NEXT) | instid1(VALU_DEP_2)
	v_sub_co_u32 v10, vcc_lo, s78, v4
	v_sub_co_ci_u32_e32 v11, vcc_lo, s27, v5, vcc_lo
	s_mov_b32 s7, 0
	s_mov_b32 s8, exec_lo
                                        ; implicit-def: $vgpr6_vgpr7
	s_delay_alu instid0(VALU_DEP_1)
	v_cmpx_gt_u64_e64 v[10:11], v[0:1]
	s_cbranch_execz .LBB180_400
; %bb.392:                              ;   in Loop: Header=BB180_6 Depth=1
	v_dual_mov_b32 v12, v16 :: v_dual_mov_b32 v13, v17
	v_dual_mov_b32 v15, v1 :: v_dual_mov_b32 v14, v0
	s_mov_b32 s18, 0
                                        ; implicit-def: $sgpr9
	s_branch .LBB180_394
.LBB180_393:                            ;   in Loop: Header=BB180_394 Depth=2
	s_or_b32 exec_lo, exec_lo, s7
	s_waitcnt vmcnt(0) lgkmcnt(0)
	s_barrier
	buffer_gl0_inv
	ds_load_b128 v[4:7], v19 offset:3072
	v_add_co_u32 v14, s7, v14, s33
	s_delay_alu instid0(VALU_DEP_1)
	v_add_co_ci_u32_e64 v15, s7, 0, v15, s7
	s_waitcnt lgkmcnt(0)
	s_barrier
	buffer_gl0_inv
	v_cmp_ge_u64_e64 s7, v[14:15], v[10:11]
	v_cmp_neq_f64_e32 vcc_lo, 0, v[4:5]
	s_delay_alu instid0(VALU_DEP_2) | instskip(NEXT) | instid1(SALU_CYCLE_1)
	s_or_b32 s7, s7, vcc_lo
	s_and_b32 s19, exec_lo, s7
	v_add_co_u32 v12, s7, v12, s34
	s_delay_alu instid0(VALU_DEP_1) | instskip(SKIP_3) | instid1(SALU_CYCLE_1)
	v_add_co_ci_u32_e64 v13, s7, s35, v13, s7
	s_or_b32 s18, s19, s18
	s_and_not1_b32 s7, s9, exec_lo
	s_and_b32 s9, vcc_lo, exec_lo
	s_or_b32 s9, s7, s9
	s_and_not1_b32 exec_lo, exec_lo, s18
	s_cbranch_execz .LBB180_399
.LBB180_394:                            ;   Parent Loop BB180_6 Depth=1
                                        ; =>  This Inner Loop Header: Depth=2
	s_delay_alu instid0(VALU_DEP_1)
	v_cmp_gt_u64_e32 vcc_lo, s[28:29], v[14:15]
	v_mov_b32_e32 v4, 0
	v_mov_b32_e32 v5, 0
	s_and_saveexec_b32 s7, vcc_lo
	s_cbranch_execz .LBB180_396
; %bb.395:                              ;   in Loop: Header=BB180_394 Depth=2
	global_load_b64 v[4:5], v[12:13], off
.LBB180_396:                            ;   in Loop: Header=BB180_394 Depth=2
	s_or_b32 exec_lo, exec_lo, s7
	s_and_saveexec_b32 s7, vcc_lo
	s_cbranch_execz .LBB180_393
; %bb.397:                              ;   in Loop: Header=BB180_394 Depth=2
	s_waitcnt vmcnt(0)
	v_cmp_o_f64_e32 vcc_lo, v[4:5], v[4:5]
	v_ashrrev_i32_e32 v2, 31, v5
	s_delay_alu instid0(VALU_DEP_1) | instskip(SKIP_1) | instid1(VALU_DEP_2)
	v_or_b32_e32 v6, 0x80000000, v2
	v_xor_b32_e32 v2, v2, v4
	v_xor_b32_e32 v6, v6, v5
	s_delay_alu instid0(VALU_DEP_1) | instskip(NEXT) | instid1(VALU_DEP_3)
	v_cndmask_b32_e32 v6, -1, v6, vcc_lo
	v_cndmask_b32_e32 v2, -1, v2, vcc_lo
	s_delay_alu instid0(VALU_DEP_2) | instskip(NEXT) | instid1(VALU_DEP_2)
	v_and_b32_e32 v7, v6, v30
	v_and_b32_e32 v6, v2, v29
	s_delay_alu instid0(VALU_DEP_1)
	v_cmp_eq_u64_e32 vcc_lo, v[6:7], v[31:32]
	s_and_b32 exec_lo, exec_lo, vcc_lo
	s_cbranch_execz .LBB180_393
; %bb.398:                              ;   in Loop: Header=BB180_394 Depth=2
	v_mov_b32_e32 v2, v19
	ds_store_b128 v19, v[2:5] offset:3072
	s_branch .LBB180_393
.LBB180_399:                            ;   in Loop: Header=BB180_6 Depth=1
	s_or_b32 exec_lo, exec_lo, s18
	s_delay_alu instid0(SALU_CYCLE_1)
	s_and_b32 s7, s9, exec_lo
.LBB180_400:                            ;   in Loop: Header=BB180_6 Depth=1
	s_or_b32 exec_lo, exec_lo, s8
	s_mov_b32 s19, 0
	s_mov_b32 s18, -1
	s_mov_b32 s68, 0
.LBB180_401:                            ;   in Loop: Header=BB180_6 Depth=1
	s_or_not1_b32 s7, s7, exec_lo
.LBB180_402:                            ;   in Loop: Header=BB180_6 Depth=1
	s_or_b32 exec_lo, exec_lo, s69
	s_mov_b32 s26, 0
                                        ; implicit-def: $vgpr2
	s_and_saveexec_b32 s69, s7
	s_cbranch_execz .LBB180_467
; %bb.403:                              ;   in Loop: Header=BB180_6 Depth=1
	v_mov_b32_e32 v10, 1
	v_dual_mov_b32 v11, 0 :: v_dual_mov_b32 v2, 1
	s_xor_b32 s8, s70, -1
	s_delay_alu instid0(SALU_CYCLE_1)
	s_and_saveexec_b32 s7, s8
	s_cbranch_execz .LBB180_413
; %bb.404:                              ;   in Loop: Header=BB180_6 Depth=1
	s_mov_b32 s9, exec_lo
                                        ; implicit-def: $sgpr26
                                        ; implicit-def: $sgpr8
	v_cmpx_ge_u64_e64 s[16:17], v[8:9]
	s_xor_b32 s9, exec_lo, s9
	s_cbranch_execz .LBB180_410
; %bb.405:                              ;   in Loop: Header=BB180_6 Depth=1
	ds_load_b64 v[4:5], v19 offset:5120
	s_waitcnt lgkmcnt(0)
	v_cmp_ne_u64_e32 vcc_lo, 0, v[4:5]
	s_cbranch_vccnz .LBB180_409
; %bb.406:                              ;   in Loop: Header=BB180_6 Depth=1
	s_and_saveexec_b32 s8, s5
	s_cbranch_execz .LBB180_408
; %bb.407:                              ;   in Loop: Header=BB180_6 Depth=1
	v_dual_mov_b32 v4, s16 :: v_dual_mov_b32 v5, s17
	ds_store_b64 v19, v[4:5] offset:5128
.LBB180_408:                            ;   in Loop: Header=BB180_6 Depth=1
	s_or_b32 exec_lo, exec_lo, s8
	s_waitcnt lgkmcnt(0)
	s_barrier
	buffer_gl0_inv
.LBB180_409:                            ;   in Loop: Header=BB180_6 Depth=1
	v_and_b32_e32 v2, s15, v32
	v_and_b32_e32 v4, s14, v31
	s_lshl_b64 s[70:71], 1, s24
	v_or_b32_e32 v30, s13, v30
	v_or_b32_e32 v29, s12, v29
	;; [unrolled: 1-line block ×4, first 2 shown]
	s_mov_b32 s8, 0
	s_mov_b32 s26, 5
.LBB180_410:                            ;   in Loop: Header=BB180_6 Depth=1
	s_or_saveexec_b32 s9, s9
	v_mov_b32_e32 v2, s26
	s_xor_b32 exec_lo, exec_lo, s9
; %bb.411:                              ;   in Loop: Header=BB180_6 Depth=1
	v_sub_co_u32 v8, vcc_lo, v8, s16
	v_subrev_co_ci_u32_e32 v9, vcc_lo, s17, v9, vcc_lo
	v_mov_b32_e32 v2, 0
	s_or_b32 s8, s8, exec_lo
; %bb.412:                              ;   in Loop: Header=BB180_6 Depth=1
	s_or_b32 exec_lo, exec_lo, s9
	s_delay_alu instid0(VALU_DEP_2)
	v_dual_mov_b32 v11, v9 :: v_dual_mov_b32 v10, v8
	s_and_b32 s26, s8, exec_lo
.LBB180_413:                            ;   in Loop: Header=BB180_6 Depth=1
	s_or_b32 exec_lo, exec_lo, s7
	s_mov_b32 s16, -1
                                        ; implicit-def: $sgpr7
                                        ; implicit-def: $sgpr8
                                        ; implicit-def: $sgpr9
	s_and_saveexec_b32 s24, s26
	s_cbranch_execz .LBB180_466
; %bb.414:                              ;   in Loop: Header=BB180_6 Depth=1
	v_cmp_eq_u64_e32 vcc_lo, 1, v[10:11]
	s_cmp_eq_u64 s[10:11], 1
	s_mov_b32 s17, -1
	s_cselect_b32 s7, -1, 0
                                        ; implicit-def: $sgpr8
                                        ; implicit-def: $sgpr9
	s_delay_alu instid0(SALU_CYCLE_1) | instskip(NEXT) | instid1(SALU_CYCLE_1)
	s_and_b32 s70, s7, vcc_lo
                                        ; implicit-def: $sgpr7
	s_and_saveexec_b32 s71, s70
	s_cbranch_execz .LBB180_453
; %bb.415:                              ;   in Loop: Header=BB180_6 Depth=1
	ds_load_b64 v[4:5], v19 offset:5120
	s_waitcnt lgkmcnt(0)
	s_barrier
	buffer_gl0_inv
	v_readfirstlane_b32 s8, v4
	v_readfirstlane_b32 s9, v5
	s_and_saveexec_b32 s7, s6
	s_cbranch_execz .LBB180_417
; %bb.416:                              ;   in Loop: Header=BB180_6 Depth=1
	v_mov_b32_e32 v18, v19
	ds_store_b64 v47, v[18:19]
.LBB180_417:                            ;   in Loop: Header=BB180_6 Depth=1
	s_or_b32 exec_lo, exec_lo, s7
	v_and_b32_e32 v32, s15, v32
	v_and_b32_e32 v31, s14, v31
	v_or_b32_e32 v30, s13, v30
	v_or_b32_e32 v29, s12, v29
	s_cmp_eq_u64 s[8:9], 0
	s_waitcnt lgkmcnt(0)
	s_barrier
	buffer_gl0_inv
	s_cbranch_scc1 .LBB180_422
; %bb.418:                              ;   in Loop: Header=BB180_6 Depth=1
	s_add_u32 s26, s76, s8
	s_addc_u32 s17, s77, s9
	s_mov_b32 s16, s55
	s_delay_alu instid0(SALU_CYCLE_1)
	s_cmp_lg_u64 s[16:17], 0
	s_cbranch_scc0 .LBB180_423
; %bb.419:                              ;   in Loop: Header=BB180_6 Depth=1
	v_cvt_f32_u32_e32 v2, s33
	s_sub_u32 s72, 0, s33
	s_subb_u32 s73, 0, 0
	s_delay_alu instid0(VALU_DEP_1) | instskip(NEXT) | instid1(VALU_DEP_1)
	v_fmac_f32_e64 v2, 0, 0x4f800000
	v_rcp_f32_e32 v2, v2
	s_waitcnt_depctr 0xfff
	v_mul_f32_e32 v2, 0x5f7ffffc, v2
	s_delay_alu instid0(VALU_DEP_1) | instskip(NEXT) | instid1(VALU_DEP_1)
	v_mul_f32_e32 v4, 0x2f800000, v2
	v_trunc_f32_e32 v4, v4
	s_delay_alu instid0(VALU_DEP_1) | instskip(SKIP_1) | instid1(VALU_DEP_2)
	v_fmac_f32_e32 v2, 0xcf800000, v4
	v_cvt_u32_f32_e32 v4, v4
	v_cvt_u32_f32_e32 v2, v2
	s_delay_alu instid0(VALU_DEP_2) | instskip(NEXT) | instid1(VALU_DEP_2)
	v_readfirstlane_b32 s7, v4
	v_readfirstlane_b32 s16, v2
	s_delay_alu instid0(VALU_DEP_2) | instskip(NEXT) | instid1(VALU_DEP_1)
	s_mul_i32 s98, s72, s7
	s_mul_hi_u32 s100, s72, s16
	s_mul_i32 s99, s73, s16
	s_add_i32 s98, s100, s98
	s_mul_i32 s101, s72, s16
	s_add_i32 s98, s98, s99
	s_mul_hi_u32 s100, s16, s101
	s_mul_hi_u32 s102, s7, s101
	s_mul_i32 s99, s7, s101
	s_mul_hi_u32 s101, s16, s98
	s_mul_i32 s16, s16, s98
	s_mul_hi_u32 s103, s7, s98
	s_add_u32 s16, s100, s16
	s_addc_u32 s100, 0, s101
	s_add_u32 s16, s16, s99
	s_mul_i32 s98, s7, s98
	s_addc_u32 s16, s100, s102
	s_addc_u32 s99, s103, 0
	s_add_u32 s16, s16, s98
	s_addc_u32 s98, 0, s99
	v_add_co_u32 v2, s16, v2, s16
	s_delay_alu instid0(VALU_DEP_1) | instskip(SKIP_1) | instid1(VALU_DEP_1)
	s_cmp_lg_u32 s16, 0
	s_addc_u32 s7, s7, s98
	v_readfirstlane_b32 s16, v2
	s_mul_i32 s98, s72, s7
	s_delay_alu instid0(VALU_DEP_1)
	s_mul_hi_u32 s99, s72, s16
	s_mul_i32 s73, s73, s16
	s_add_i32 s98, s99, s98
	s_mul_i32 s72, s72, s16
	s_add_i32 s98, s98, s73
	s_mul_hi_u32 s99, s7, s72
	s_mul_i32 s100, s7, s72
	s_mul_hi_u32 s72, s16, s72
	s_mul_hi_u32 s101, s16, s98
	s_mul_i32 s16, s16, s98
	s_mul_hi_u32 s73, s7, s98
	s_add_u32 s16, s72, s16
	s_addc_u32 s72, 0, s101
	s_add_u32 s16, s16, s100
	s_mul_i32 s98, s7, s98
	s_addc_u32 s16, s72, s99
	s_addc_u32 s72, s73, 0
	s_add_u32 s16, s16, s98
	s_addc_u32 s72, 0, s72
	v_add_co_u32 v2, s16, v2, s16
	s_delay_alu instid0(VALU_DEP_1) | instskip(SKIP_1) | instid1(VALU_DEP_1)
	s_cmp_lg_u32 s16, 0
	s_addc_u32 s7, s7, s72
	v_readfirstlane_b32 s16, v2
	s_mul_i32 s73, s26, s7
	s_mul_hi_u32 s72, s26, s7
	s_mul_hi_u32 s98, s17, s7
	s_mul_i32 s7, s17, s7
	s_mul_hi_u32 s99, s26, s16
	s_mul_hi_u32 s100, s17, s16
	s_mul_i32 s16, s17, s16
	s_add_u32 s73, s99, s73
	s_addc_u32 s72, 0, s72
	s_add_u32 s16, s73, s16
	s_addc_u32 s16, s72, s100
	s_addc_u32 s72, s98, 0
	s_add_u32 s7, s16, s7
	s_addc_u32 s16, 0, s72
	s_mul_hi_u32 s72, s33, s7
	s_mul_i32 s7, s33, s7
	s_mul_i32 s16, s33, s16
	v_sub_co_u32 v2, s7, s26, s7
	s_add_i32 s72, s72, s16
	s_cmp_lg_u32 s7, 0
	s_delay_alu instid0(VALU_DEP_1) | instskip(SKIP_2) | instid1(VALU_DEP_1)
	v_sub_co_u32 v4, s7, v2, s33
	s_subb_u32 s16, s17, s72
	s_cmp_lg_u32 s7, 0
	v_cmp_le_u32_e32 vcc_lo, s33, v4
	v_sub_co_u32 v5, s7, v4, s33
	s_subb_u32 s72, s16, 0
	s_cmp_lg_u32 s7, 0
	v_cndmask_b32_e64 v6, 0, -1, vcc_lo
	s_subb_u32 s7, s72, 0
	s_cmp_eq_u32 s72, 0
	v_mov_b32_e32 v8, s7
	s_cselect_b32 vcc_lo, -1, 0
	s_cmp_eq_u32 s16, 0
	v_cndmask_b32_e32 v6, -1, v6, vcc_lo
	v_cmp_le_u32_e32 vcc_lo, s33, v2
	s_cselect_b32 s7, -1, 0
	v_cndmask_b32_e64 v7, 0, -1, vcc_lo
	s_delay_alu instid0(VALU_DEP_3) | instskip(NEXT) | instid1(VALU_DEP_2)
	v_cmp_ne_u32_e32 vcc_lo, 0, v6
	v_cndmask_b32_e64 v6, -1, v7, s7
	v_cndmask_b32_e32 v7, s72, v8, vcc_lo
	v_cndmask_b32_e32 v4, v4, v5, vcc_lo
	s_mov_b32 s7, 0
	s_delay_alu instid0(VALU_DEP_3) | instskip(NEXT) | instid1(VALU_DEP_3)
	v_cmp_ne_u32_e32 vcc_lo, 0, v6
	v_cndmask_b32_e32 v5, s16, v7, vcc_lo
	s_delay_alu instid0(VALU_DEP_3)
	v_cndmask_b32_e32 v4, v2, v4, vcc_lo
	s_branch .LBB180_424
.LBB180_420:                            ;   in Loop: Header=BB180_6 Depth=1
                                        ; implicit-def: $vgpr4_vgpr5
	s_branch .LBB180_374
.LBB180_421:                            ;   in Loop: Header=BB180_6 Depth=1
                                        ; implicit-def: $vgpr4_vgpr5
	s_branch .LBB180_390
.LBB180_422:                            ;   in Loop: Header=BB180_6 Depth=1
	s_mov_b32 s7, -1
	s_mov_b32 s17, 0
                                        ; implicit-def: $sgpr8
                                        ; implicit-def: $vgpr6_vgpr7
	s_branch .LBB180_436
.LBB180_423:                            ;   in Loop: Header=BB180_6 Depth=1
	s_mov_b32 s7, -1
                                        ; implicit-def: $vgpr4_vgpr5
.LBB180_424:                            ;   in Loop: Header=BB180_6 Depth=1
	s_delay_alu instid0(SALU_CYCLE_1)
	s_and_not1_b32 vcc_lo, exec_lo, s7
	s_cbranch_vccnz .LBB180_426
; %bb.425:                              ;   in Loop: Header=BB180_6 Depth=1
	v_cvt_f32_u32_e32 v2, s33
	s_sub_i32 s7, 0, s33
	s_delay_alu instid0(VALU_DEP_1) | instskip(SKIP_2) | instid1(VALU_DEP_1)
	v_rcp_iflag_f32_e32 v2, v2
	s_waitcnt_depctr 0xfff
	v_mul_f32_e32 v2, 0x4f7ffffe, v2
	v_cvt_u32_f32_e32 v2, v2
	s_delay_alu instid0(VALU_DEP_1) | instskip(NEXT) | instid1(VALU_DEP_1)
	v_mul_lo_u32 v4, s7, v2
	v_mul_hi_u32 v4, v2, v4
	s_delay_alu instid0(VALU_DEP_1) | instskip(NEXT) | instid1(VALU_DEP_1)
	v_add_nc_u32_e32 v2, v2, v4
	v_mul_hi_u32 v2, s26, v2
	s_delay_alu instid0(VALU_DEP_1) | instskip(NEXT) | instid1(VALU_DEP_1)
	v_mul_lo_u32 v2, v2, s33
	v_sub_nc_u32_e32 v2, s26, v2
	s_delay_alu instid0(VALU_DEP_1) | instskip(SKIP_1) | instid1(VALU_DEP_2)
	v_subrev_nc_u32_e32 v4, s33, v2
	v_cmp_le_u32_e32 vcc_lo, s33, v2
	v_cndmask_b32_e32 v2, v2, v4, vcc_lo
	s_delay_alu instid0(VALU_DEP_1) | instskip(SKIP_1) | instid1(VALU_DEP_2)
	v_subrev_nc_u32_e32 v4, s33, v2
	v_cmp_le_u32_e32 vcc_lo, s33, v2
	v_cndmask_b32_e32 v18, v2, v4, vcc_lo
	s_delay_alu instid0(VALU_DEP_1)
	v_dual_mov_b32 v4, v18 :: v_dual_mov_b32 v5, v19
.LBB180_426:                            ;   in Loop: Header=BB180_6 Depth=1
	s_delay_alu instid0(VALU_DEP_1) | instskip(NEXT) | instid1(VALU_DEP_2)
	v_sub_co_u32 v8, vcc_lo, s26, v4
	v_sub_co_ci_u32_e32 v9, vcc_lo, s17, v5, vcc_lo
	s_mov_b32 s17, 0
	s_mov_b32 s16, exec_lo
                                        ; implicit-def: $vgpr6_vgpr7
	s_delay_alu instid0(VALU_DEP_1)
	v_cmpx_gt_u64_e64 v[8:9], v[0:1]
	s_cbranch_execz .LBB180_435
; %bb.427:                              ;   in Loop: Header=BB180_6 Depth=1
	v_mov_b32_e32 v14, v45
	v_dual_mov_b32 v13, v1 :: v_dual_mov_b32 v12, v0
	s_mov_b32 s26, 0
                                        ; implicit-def: $sgpr17
	s_set_inst_prefetch_distance 0x1
	s_branch .LBB180_429
	.p2align	6
.LBB180_428:                            ;   in Loop: Header=BB180_429 Depth=2
	s_or_b32 exec_lo, exec_lo, s7
	s_waitcnt lgkmcnt(0)
	s_barrier
	buffer_gl0_inv
	ds_load_b128 v[4:7], v19 offset:3072
	v_add_co_u32 v12, s7, v12, s33
	s_delay_alu instid0(VALU_DEP_1) | instskip(SKIP_3) | instid1(VALU_DEP_2)
	v_add_co_ci_u32_e64 v13, s7, 0, v13, s7
	v_add_nc_u32_e32 v14, s84, v14
	s_waitcnt lgkmcnt(0)
	s_barrier
	v_cmp_ge_u64_e64 s7, v[12:13], v[8:9]
	buffer_gl0_inv
	v_cmp_neq_f64_e32 vcc_lo, 0, v[4:5]
	s_or_b32 s7, s7, vcc_lo
	s_delay_alu instid0(SALU_CYCLE_1) | instskip(NEXT) | instid1(SALU_CYCLE_1)
	s_and_b32 s7, exec_lo, s7
	s_or_b32 s26, s7, s26
	s_and_not1_b32 s7, s17, exec_lo
	s_and_b32 s17, vcc_lo, exec_lo
	s_delay_alu instid0(SALU_CYCLE_1)
	s_or_b32 s17, s7, s17
	s_and_not1_b32 exec_lo, exec_lo, s26
	s_cbranch_execz .LBB180_434
.LBB180_429:                            ;   Parent Loop BB180_6 Depth=1
                                        ; =>  This Inner Loop Header: Depth=2
	s_delay_alu instid0(VALU_DEP_1)
	v_cmp_gt_u64_e32 vcc_lo, s[8:9], v[12:13]
	v_mov_b32_e32 v4, 0
	v_mov_b32_e32 v5, 0
	s_and_saveexec_b32 s7, vcc_lo
	s_cbranch_execz .LBB180_431
; %bb.430:                              ;   in Loop: Header=BB180_429 Depth=2
	ds_load_b64 v[4:5], v14
.LBB180_431:                            ;   in Loop: Header=BB180_429 Depth=2
	s_or_b32 exec_lo, exec_lo, s7
	s_and_saveexec_b32 s7, vcc_lo
	s_cbranch_execz .LBB180_428
; %bb.432:                              ;   in Loop: Header=BB180_429 Depth=2
	s_waitcnt lgkmcnt(0)
	v_cmp_o_f64_e32 vcc_lo, v[4:5], v[4:5]
	v_ashrrev_i32_e32 v2, 31, v5
	s_delay_alu instid0(VALU_DEP_1) | instskip(SKIP_1) | instid1(VALU_DEP_2)
	v_or_b32_e32 v6, 0x80000000, v2
	v_xor_b32_e32 v2, v2, v4
	v_xor_b32_e32 v6, v6, v5
	s_delay_alu instid0(VALU_DEP_1) | instskip(NEXT) | instid1(VALU_DEP_3)
	v_cndmask_b32_e32 v6, -1, v6, vcc_lo
	v_cndmask_b32_e32 v2, -1, v2, vcc_lo
	s_delay_alu instid0(VALU_DEP_2) | instskip(NEXT) | instid1(VALU_DEP_2)
	v_and_b32_e32 v7, v6, v30
	v_and_b32_e32 v6, v2, v29
	s_delay_alu instid0(VALU_DEP_1)
	v_cmp_eq_u64_e32 vcc_lo, v[6:7], v[31:32]
	s_and_b32 exec_lo, exec_lo, vcc_lo
	s_cbranch_execz .LBB180_428
; %bb.433:                              ;   in Loop: Header=BB180_429 Depth=2
	v_mov_b32_e32 v2, v19
	ds_store_b128 v19, v[2:5] offset:3072
	s_branch .LBB180_428
.LBB180_434:                            ;   in Loop: Header=BB180_6 Depth=1
	s_set_inst_prefetch_distance 0x2
	s_or_b32 exec_lo, exec_lo, s26
	s_delay_alu instid0(SALU_CYCLE_1)
	s_and_b32 s17, s17, exec_lo
.LBB180_435:                            ;   in Loop: Header=BB180_6 Depth=1
	s_or_b32 exec_lo, exec_lo, s16
	s_mov_b32 s7, 0
	s_mov_b32 s8, -1
.LBB180_436:                            ;   in Loop: Header=BB180_6 Depth=1
	s_and_b32 vcc_lo, exec_lo, s7
	s_mov_b32 s9, s7
	s_cbranch_vccz .LBB180_452
; %bb.437:                              ;   in Loop: Header=BB180_6 Depth=1
	s_mov_b32 s26, s55
	s_delay_alu instid0(SALU_CYCLE_1)
	s_cmp_lg_u64 s[26:27], 0
	s_cbranch_scc0 .LBB180_439
; %bb.438:                              ;   in Loop: Header=BB180_6 Depth=1
	v_cvt_f32_u32_e32 v2, s33
	s_sub_u32 s9, 0, s33
	s_subb_u32 s16, 0, 0
	s_delay_alu instid0(VALU_DEP_1) | instskip(NEXT) | instid1(VALU_DEP_1)
	v_fmac_f32_e64 v2, 0, 0x4f800000
	v_rcp_f32_e32 v2, v2
	s_waitcnt_depctr 0xfff
	v_mul_f32_e32 v2, 0x5f7ffffc, v2
	s_delay_alu instid0(VALU_DEP_1) | instskip(NEXT) | instid1(VALU_DEP_1)
	v_mul_f32_e32 v4, 0x2f800000, v2
	v_trunc_f32_e32 v4, v4
	s_delay_alu instid0(VALU_DEP_1) | instskip(SKIP_1) | instid1(VALU_DEP_2)
	v_fmac_f32_e32 v2, 0xcf800000, v4
	v_cvt_u32_f32_e32 v4, v4
	v_cvt_u32_f32_e32 v2, v2
	s_delay_alu instid0(VALU_DEP_2) | instskip(NEXT) | instid1(VALU_DEP_2)
	v_readfirstlane_b32 s7, v4
	v_readfirstlane_b32 s8, v2
	s_delay_alu instid0(VALU_DEP_2) | instskip(NEXT) | instid1(VALU_DEP_1)
	s_mul_i32 s17, s9, s7
	s_mul_hi_u32 s72, s9, s8
	s_mul_i32 s26, s16, s8
	s_add_i32 s17, s72, s17
	s_mul_i32 s73, s9, s8
	s_add_i32 s17, s17, s26
	s_mul_hi_u32 s72, s8, s73
	s_mul_hi_u32 s98, s7, s73
	s_mul_i32 s26, s7, s73
	s_mul_hi_u32 s73, s8, s17
	s_mul_i32 s8, s8, s17
	s_mul_hi_u32 s99, s7, s17
	s_add_u32 s8, s72, s8
	s_addc_u32 s72, 0, s73
	s_add_u32 s8, s8, s26
	s_mul_i32 s17, s7, s17
	s_addc_u32 s8, s72, s98
	s_addc_u32 s26, s99, 0
	s_add_u32 s8, s8, s17
	s_addc_u32 s17, 0, s26
	v_add_co_u32 v2, s8, v2, s8
	s_delay_alu instid0(VALU_DEP_1) | instskip(SKIP_1) | instid1(VALU_DEP_1)
	s_cmp_lg_u32 s8, 0
	s_addc_u32 s7, s7, s17
	v_readfirstlane_b32 s8, v2
	s_mul_i32 s17, s9, s7
	s_delay_alu instid0(VALU_DEP_1)
	s_mul_hi_u32 s26, s9, s8
	s_mul_i32 s16, s16, s8
	s_add_i32 s17, s26, s17
	s_mul_i32 s9, s9, s8
	s_add_i32 s17, s17, s16
	s_mul_hi_u32 s26, s7, s9
	s_mul_i32 s72, s7, s9
	s_mul_hi_u32 s9, s8, s9
	s_mul_hi_u32 s73, s8, s17
	s_mul_i32 s8, s8, s17
	s_mul_hi_u32 s16, s7, s17
	s_add_u32 s8, s9, s8
	s_addc_u32 s9, 0, s73
	s_add_u32 s8, s8, s72
	s_mul_i32 s17, s7, s17
	s_addc_u32 s8, s9, s26
	s_addc_u32 s9, s16, 0
	s_add_u32 s8, s8, s17
	s_addc_u32 s9, 0, s9
	v_add_co_u32 v2, s8, v2, s8
	s_delay_alu instid0(VALU_DEP_1) | instskip(SKIP_1) | instid1(VALU_DEP_1)
	s_cmp_lg_u32 s8, 0
	s_addc_u32 s7, s7, s9
	v_readfirstlane_b32 s8, v2
	s_mul_i32 s16, s78, s7
	s_mul_hi_u32 s9, s78, s7
	s_mul_hi_u32 s17, s27, s7
	s_mul_i32 s7, s27, s7
	s_mul_hi_u32 s26, s78, s8
	s_mul_hi_u32 s72, s27, s8
	s_mul_i32 s8, s27, s8
	s_add_u32 s16, s26, s16
	s_addc_u32 s9, 0, s9
	s_add_u32 s8, s16, s8
	s_addc_u32 s8, s9, s72
	s_addc_u32 s9, s17, 0
	s_add_u32 s7, s8, s7
	s_addc_u32 s8, 0, s9
	s_mul_hi_u32 s9, s33, s7
	s_mul_i32 s7, s33, s7
	s_mul_i32 s8, s33, s8
	v_sub_co_u32 v2, s7, s78, s7
	s_add_i32 s9, s9, s8
	s_cmp_lg_u32 s7, 0
	s_delay_alu instid0(VALU_DEP_1) | instskip(SKIP_2) | instid1(VALU_DEP_1)
	v_sub_co_u32 v4, s7, v2, s33
	s_subb_u32 s8, s27, s9
	s_cmp_lg_u32 s7, 0
	v_cmp_le_u32_e32 vcc_lo, s33, v4
	v_sub_co_u32 v5, s7, v4, s33
	s_subb_u32 s9, s8, 0
	s_cmp_lg_u32 s7, 0
	v_cndmask_b32_e64 v6, 0, -1, vcc_lo
	s_subb_u32 s7, s9, 0
	s_cmp_eq_u32 s9, 0
	v_mov_b32_e32 v8, s7
	s_cselect_b32 vcc_lo, -1, 0
	s_cmp_eq_u32 s8, 0
	v_cndmask_b32_e32 v6, -1, v6, vcc_lo
	v_cmp_le_u32_e32 vcc_lo, s33, v2
	s_cselect_b32 s7, -1, 0
	v_cndmask_b32_e64 v7, 0, -1, vcc_lo
	s_delay_alu instid0(VALU_DEP_3) | instskip(NEXT) | instid1(VALU_DEP_2)
	v_cmp_ne_u32_e32 vcc_lo, 0, v6
	v_cndmask_b32_e64 v6, -1, v7, s7
	v_cndmask_b32_e32 v7, s9, v8, vcc_lo
	v_cndmask_b32_e32 v4, v4, v5, vcc_lo
	s_mov_b32 s7, 0
	s_delay_alu instid0(VALU_DEP_3) | instskip(NEXT) | instid1(VALU_DEP_3)
	v_cmp_ne_u32_e32 vcc_lo, 0, v6
	v_cndmask_b32_e32 v5, s8, v7, vcc_lo
	s_delay_alu instid0(VALU_DEP_3)
	v_cndmask_b32_e32 v4, v2, v4, vcc_lo
	s_branch .LBB180_440
.LBB180_439:                            ;   in Loop: Header=BB180_6 Depth=1
	s_mov_b32 s7, -1
                                        ; implicit-def: $vgpr4_vgpr5
.LBB180_440:                            ;   in Loop: Header=BB180_6 Depth=1
	s_delay_alu instid0(SALU_CYCLE_1)
	s_and_not1_b32 vcc_lo, exec_lo, s7
	s_cbranch_vccnz .LBB180_442
; %bb.441:                              ;   in Loop: Header=BB180_6 Depth=1
	v_cvt_f32_u32_e32 v2, s33
	s_sub_i32 s7, 0, s33
	s_delay_alu instid0(VALU_DEP_1) | instskip(SKIP_2) | instid1(VALU_DEP_1)
	v_rcp_iflag_f32_e32 v2, v2
	s_waitcnt_depctr 0xfff
	v_mul_f32_e32 v2, 0x4f7ffffe, v2
	v_cvt_u32_f32_e32 v2, v2
	s_delay_alu instid0(VALU_DEP_1) | instskip(NEXT) | instid1(VALU_DEP_1)
	v_mul_lo_u32 v4, s7, v2
	v_mul_hi_u32 v4, v2, v4
	s_delay_alu instid0(VALU_DEP_1) | instskip(NEXT) | instid1(VALU_DEP_1)
	v_add_nc_u32_e32 v2, v2, v4
	v_mul_hi_u32 v2, s78, v2
	s_delay_alu instid0(VALU_DEP_1) | instskip(NEXT) | instid1(VALU_DEP_1)
	v_mul_lo_u32 v2, v2, s33
	v_sub_nc_u32_e32 v2, s78, v2
	s_delay_alu instid0(VALU_DEP_1) | instskip(SKIP_1) | instid1(VALU_DEP_2)
	v_subrev_nc_u32_e32 v4, s33, v2
	v_cmp_le_u32_e32 vcc_lo, s33, v2
	v_cndmask_b32_e32 v2, v2, v4, vcc_lo
	s_delay_alu instid0(VALU_DEP_1) | instskip(SKIP_1) | instid1(VALU_DEP_2)
	v_subrev_nc_u32_e32 v4, s33, v2
	v_cmp_le_u32_e32 vcc_lo, s33, v2
	v_cndmask_b32_e32 v18, v2, v4, vcc_lo
	s_delay_alu instid0(VALU_DEP_1)
	v_dual_mov_b32 v4, v18 :: v_dual_mov_b32 v5, v19
.LBB180_442:                            ;   in Loop: Header=BB180_6 Depth=1
	s_delay_alu instid0(VALU_DEP_1) | instskip(NEXT) | instid1(VALU_DEP_2)
	v_sub_co_u32 v8, vcc_lo, s78, v4
	v_sub_co_ci_u32_e32 v9, vcc_lo, s27, v5, vcc_lo
	s_mov_b32 s17, 0
	s_mov_b32 s8, exec_lo
                                        ; implicit-def: $vgpr6_vgpr7
	s_delay_alu instid0(VALU_DEP_1)
	v_cmpx_gt_u64_e64 v[8:9], v[0:1]
	s_cbranch_execz .LBB180_451
; %bb.443:                              ;   in Loop: Header=BB180_6 Depth=1
	v_dual_mov_b32 v12, v16 :: v_dual_mov_b32 v13, v17
	v_dual_mov_b32 v15, v1 :: v_dual_mov_b32 v14, v0
	s_mov_b32 s16, 0
                                        ; implicit-def: $sgpr9
	s_branch .LBB180_445
.LBB180_444:                            ;   in Loop: Header=BB180_445 Depth=2
	s_or_b32 exec_lo, exec_lo, s7
	s_waitcnt vmcnt(0) lgkmcnt(0)
	s_barrier
	buffer_gl0_inv
	ds_load_b128 v[4:7], v19 offset:3072
	v_add_co_u32 v14, s7, v14, s33
	s_delay_alu instid0(VALU_DEP_1)
	v_add_co_ci_u32_e64 v15, s7, 0, v15, s7
	s_waitcnt lgkmcnt(0)
	s_barrier
	buffer_gl0_inv
	v_cmp_ge_u64_e64 s7, v[14:15], v[8:9]
	v_cmp_neq_f64_e32 vcc_lo, 0, v[4:5]
	s_delay_alu instid0(VALU_DEP_2) | instskip(NEXT) | instid1(SALU_CYCLE_1)
	s_or_b32 s7, s7, vcc_lo
	s_and_b32 s17, exec_lo, s7
	v_add_co_u32 v12, s7, v12, s34
	s_delay_alu instid0(VALU_DEP_1) | instskip(SKIP_3) | instid1(SALU_CYCLE_1)
	v_add_co_ci_u32_e64 v13, s7, s35, v13, s7
	s_or_b32 s16, s17, s16
	s_and_not1_b32 s7, s9, exec_lo
	s_and_b32 s9, vcc_lo, exec_lo
	s_or_b32 s9, s7, s9
	s_and_not1_b32 exec_lo, exec_lo, s16
	s_cbranch_execz .LBB180_450
.LBB180_445:                            ;   Parent Loop BB180_6 Depth=1
                                        ; =>  This Inner Loop Header: Depth=2
	s_delay_alu instid0(VALU_DEP_1)
	v_cmp_gt_u64_e32 vcc_lo, s[28:29], v[14:15]
	v_mov_b32_e32 v4, 0
	v_mov_b32_e32 v5, 0
	s_and_saveexec_b32 s7, vcc_lo
	s_cbranch_execz .LBB180_447
; %bb.446:                              ;   in Loop: Header=BB180_445 Depth=2
	global_load_b64 v[4:5], v[12:13], off
.LBB180_447:                            ;   in Loop: Header=BB180_445 Depth=2
	s_or_b32 exec_lo, exec_lo, s7
	s_and_saveexec_b32 s7, vcc_lo
	s_cbranch_execz .LBB180_444
; %bb.448:                              ;   in Loop: Header=BB180_445 Depth=2
	s_waitcnt vmcnt(0)
	v_cmp_o_f64_e32 vcc_lo, v[4:5], v[4:5]
	v_ashrrev_i32_e32 v2, 31, v5
	s_delay_alu instid0(VALU_DEP_1) | instskip(SKIP_1) | instid1(VALU_DEP_2)
	v_or_b32_e32 v6, 0x80000000, v2
	v_xor_b32_e32 v2, v2, v4
	v_xor_b32_e32 v6, v6, v5
	s_delay_alu instid0(VALU_DEP_1) | instskip(NEXT) | instid1(VALU_DEP_3)
	v_cndmask_b32_e32 v6, -1, v6, vcc_lo
	v_cndmask_b32_e32 v2, -1, v2, vcc_lo
	s_delay_alu instid0(VALU_DEP_2) | instskip(NEXT) | instid1(VALU_DEP_2)
	v_and_b32_e32 v7, v6, v30
	v_and_b32_e32 v6, v2, v29
	s_delay_alu instid0(VALU_DEP_1)
	v_cmp_eq_u64_e32 vcc_lo, v[6:7], v[31:32]
	s_and_b32 exec_lo, exec_lo, vcc_lo
	s_cbranch_execz .LBB180_444
; %bb.449:                              ;   in Loop: Header=BB180_445 Depth=2
	v_mov_b32_e32 v2, v19
	ds_store_b128 v19, v[2:5] offset:3072
	s_branch .LBB180_444
.LBB180_450:                            ;   in Loop: Header=BB180_6 Depth=1
	s_or_b32 exec_lo, exec_lo, s16
	s_delay_alu instid0(SALU_CYCLE_1)
	s_and_b32 s17, s9, exec_lo
.LBB180_451:                            ;   in Loop: Header=BB180_6 Depth=1
	s_or_b32 exec_lo, exec_lo, s8
	s_mov_b32 s8, 0
	s_mov_b32 s7, -1
	s_mov_b32 s9, 0
.LBB180_452:                            ;   in Loop: Header=BB180_6 Depth=1
	s_or_not1_b32 s17, s17, exec_lo
.LBB180_453:                            ;   in Loop: Header=BB180_6 Depth=1
	s_or_b32 exec_lo, exec_lo, s71
	s_mov_b32 s26, 0
                                        ; implicit-def: $vgpr2
                                        ; implicit-def: $vgpr4_vgpr5
	s_and_saveexec_b32 s16, s17
	s_cbranch_execz .LBB180_465
; %bb.454:                              ;   in Loop: Header=BB180_6 Depth=1
	v_mov_b32_e32 v4, 1
	v_dual_mov_b32 v5, 0 :: v_dual_mov_b32 v2, 1
	s_xor_b32 s26, s70, -1
	s_delay_alu instid0(SALU_CYCLE_1)
	s_and_saveexec_b32 s17, s26
	s_cbranch_execz .LBB180_464
; %bb.455:                              ;   in Loop: Header=BB180_6 Depth=1
	s_mov_b32 s26, exec_lo
                                        ; implicit-def: $sgpr70
	v_cmpx_ge_u64_e64 s[10:11], v[10:11]
	s_xor_b32 s26, exec_lo, s26
	s_cbranch_execz .LBB180_461
; %bb.456:                              ;   in Loop: Header=BB180_6 Depth=1
	ds_load_b64 v[4:5], v19 offset:5120
	s_waitcnt lgkmcnt(0)
	v_cmp_ne_u64_e32 vcc_lo, 0, v[4:5]
	s_cbranch_vccnz .LBB180_460
; %bb.457:                              ;   in Loop: Header=BB180_6 Depth=1
	s_and_saveexec_b32 s70, s5
	s_cbranch_execz .LBB180_459
; %bb.458:                              ;   in Loop: Header=BB180_6 Depth=1
	v_dual_mov_b32 v4, s10 :: v_dual_mov_b32 v5, s11
	ds_store_b64 v19, v[4:5] offset:5128
.LBB180_459:                            ;   in Loop: Header=BB180_6 Depth=1
	s_or_b32 exec_lo, exec_lo, s70
	s_waitcnt lgkmcnt(0)
	s_barrier
	buffer_gl0_inv
.LBB180_460:                            ;   in Loop: Header=BB180_6 Depth=1
	v_and_b32_e32 v32, s15, v32
	v_and_b32_e32 v31, s14, v31
	v_or_b32_e32 v30, s13, v30
	v_or_b32_e32 v29, s12, v29
	s_mov_b32 s70, 5
.LBB180_461:                            ;   in Loop: Header=BB180_6 Depth=1
	s_or_saveexec_b32 s12, s26
	v_mov_b32_e32 v2, s70
	s_xor_b32 exec_lo, exec_lo, s12
; %bb.462:                              ;   in Loop: Header=BB180_6 Depth=1
	v_sub_co_u32 v10, vcc_lo, v10, s10
	v_subrev_co_ci_u32_e32 v11, vcc_lo, s11, v11, vcc_lo
	v_mov_b32_e32 v2, 5
; %bb.463:                              ;   in Loop: Header=BB180_6 Depth=1
	s_or_b32 exec_lo, exec_lo, s12
	s_delay_alu instid0(VALU_DEP_2)
	v_dual_mov_b32 v4, v10 :: v_dual_mov_b32 v5, v11
.LBB180_464:                            ;   in Loop: Header=BB180_6 Depth=1
	s_or_b32 exec_lo, exec_lo, s17
	s_delay_alu instid0(SALU_CYCLE_1)
	s_mov_b32 s26, exec_lo
.LBB180_465:                            ;   in Loop: Header=BB180_6 Depth=1
	s_or_b32 exec_lo, exec_lo, s16
	s_delay_alu instid0(VALU_DEP_1)
	v_dual_mov_b32 v11, v5 :: v_dual_mov_b32 v10, v4
	s_or_not1_b32 s16, s26, exec_lo
.LBB180_466:                            ;   in Loop: Header=BB180_6 Depth=1
	s_or_b32 exec_lo, exec_lo, s24
	s_delay_alu instid0(SALU_CYCLE_1)
	s_and_not1_b32 s10, s18, exec_lo
	s_and_b32 s7, s7, exec_lo
	s_and_b32 s8, s8, exec_lo
	s_or_b32 s18, s10, s7
	s_and_not1_b32 s7, s19, exec_lo
	s_and_not1_b32 s10, s68, exec_lo
	s_and_b32 s9, s9, exec_lo
	v_dual_mov_b32 v8, v10 :: v_dual_mov_b32 v9, v11
	s_or_b32 s19, s7, s8
	s_or_b32 s68, s10, s9
	s_and_b32 s26, s16, exec_lo
.LBB180_467:                            ;   in Loop: Header=BB180_6 Depth=1
	s_or_b32 exec_lo, exec_lo, s69
	s_delay_alu instid0(SALU_CYCLE_1)
	s_and_b32 s18, s18, exec_lo
	s_and_b32 s9, s19, exec_lo
	;; [unrolled: 1-line block ×3, first 2 shown]
	s_or_not1_b32 s7, s26, exec_lo
.LBB180_468:                            ;   in Loop: Header=BB180_6 Depth=1
	s_or_b32 exec_lo, exec_lo, s67
	s_delay_alu instid0(SALU_CYCLE_1)
	s_and_not1_b32 s10, s20, exec_lo
	s_and_b32 s11, s18, exec_lo
	s_and_b32 s9, s9, exec_lo
	s_or_b32 s20, s10, s11
	s_and_not1_b32 s10, s21, exec_lo
	s_and_not1_b32 s11, s65, exec_lo
	s_and_b32 s8, s8, exec_lo
	v_dual_mov_b32 v36, v9 :: v_dual_mov_b32 v35, v8
	s_or_b32 s21, s10, s9
	s_or_b32 s65, s11, s8
	s_and_b32 s26, s7, exec_lo
.LBB180_469:                            ;   in Loop: Header=BB180_6 Depth=1
	s_or_b32 exec_lo, exec_lo, s66
	s_delay_alu instid0(SALU_CYCLE_1)
	s_and_b32 s20, s20, exec_lo
	s_and_b32 s9, s21, exec_lo
	;; [unrolled: 1-line block ×3, first 2 shown]
	s_or_not1_b32 s21, s26, exec_lo
.LBB180_470:                            ;   in Loop: Header=BB180_6 Depth=1
	s_or_b32 exec_lo, exec_lo, s64
	s_mov_b32 s7, s62
	s_mov_b32 s10, s54
	s_and_saveexec_b32 s11, s21
; %bb.471:                              ;   in Loop: Header=BB180_6 Depth=1
	v_cmp_eq_u32_e32 vcc_lo, 5, v2
	v_cmp_ne_u32_e64 s7, 5, v2
	s_and_not1_b32 s10, s54, exec_lo
	s_and_not1_b32 s12, s62, exec_lo
	;; [unrolled: 1-line block ×3, first 2 shown]
	s_and_b32 s13, vcc_lo, exec_lo
	s_and_b32 s7, s7, exec_lo
	s_and_not1_b32 s9, s9, exec_lo
	s_and_not1_b32 s8, s8, exec_lo
	s_or_b32 s10, s10, s7
	s_or_b32 s7, s12, s13
; %bb.472:                              ;   in Loop: Header=BB180_6 Depth=1
	s_or_b32 exec_lo, exec_lo, s11
	s_delay_alu instid0(SALU_CYCLE_1)
	s_and_not1_b32 s11, s22, exec_lo
	s_and_b32 s12, s20, exec_lo
	s_and_b32 s9, s9, exec_lo
	s_or_b32 s22, s11, s12
	s_and_not1_b32 s11, s23, exec_lo
	s_and_not1_b32 s12, s25, exec_lo
	s_and_b32 s8, s8, exec_lo
	v_dual_mov_b32 v12, v31 :: v_dual_mov_b32 v13, v32
	v_dual_mov_b32 v14, v29 :: v_dual_mov_b32 v15, v30
	;; [unrolled: 1-line block ×3, first 2 shown]
	s_or_b32 s23, s11, s9
	s_or_b32 s25, s12, s8
	s_and_not1_b32 s8, s54, exec_lo
	s_and_b32 s9, s10, exec_lo
	s_and_not1_b32 s10, s62, exec_lo
	s_and_b32 s7, s7, exec_lo
	s_or_b32 s54, s8, s9
	s_or_b32 s62, s10, s7
.LBB180_473:                            ;   in Loop: Header=BB180_6 Depth=1
	s_or_b32 exec_lo, exec_lo, s63
	s_mov_b32 s64, s25
	s_mov_b32 s63, s25
	s_and_saveexec_b32 s7, s62
.LBB180_474:                            ;   in Loop: Header=BB180_6 Depth=1
	v_mov_b32_e32 v2, 0
	s_and_not1_b32 s25, s25, exec_lo
	s_and_not1_b32 s22, s22, exec_lo
	;; [unrolled: 1-line block ×5, first 2 shown]
	s_or_b32 s54, s54, exec_lo
.LBB180_475:                            ;   in Loop: Header=BB180_6 Depth=1
	s_or_b32 exec_lo, exec_lo, s7
	s_delay_alu instid0(SALU_CYCLE_1)
	s_and_not1_b32 s7, s97, exec_lo
	s_and_b32 s9, s25, exec_lo
	s_and_not1_b32 s10, s94, exec_lo
	s_or_b32 s97, s7, s9
	s_and_not1_b32 s7, s96, exec_lo
	s_and_b32 s9, s22, exec_lo
	s_and_b32 s11, s23, exec_lo
	s_or_b32 s96, s7, s9
	s_or_b32 s94, s10, s11
	s_and_not1_b32 s7, s95, exec_lo
	s_and_b32 s9, s64, exec_lo
	s_and_not1_b32 s10, s93, exec_lo
	s_and_b32 s11, s63, exec_lo
	s_mov_b32 s8, -1
	s_or_b32 s95, s7, s9
	s_or_b32 s93, s10, s11
                                        ; implicit-def: $vgpr29_vgpr30
                                        ; implicit-def: $vgpr31_vgpr32
                                        ; implicit-def: $vgpr33_vgpr34
                                        ; implicit-def: $vgpr6_vgpr7
	s_and_saveexec_b32 s7, s54
	s_delay_alu instid0(SALU_CYCLE_1)
	s_xor_b32 s7, exec_lo, s7
	s_cbranch_execz .LBB180_5
; %bb.476:                              ;   in Loop: Header=BB180_6 Depth=1
	s_mov_b32 s9, -1
	s_mov_b32 s10, exec_lo
	v_cmpx_eq_u32_e32 0, v2
	s_cbranch_execz .LBB180_4
; %bb.477:                              ;   in Loop: Header=BB180_6 Depth=1
	s_xor_b32 s87, s87, 1
	s_add_i32 s11, s91, -2
	s_cmp_eq_u32 s91, 0
	s_mov_b32 s91, s11
	s_cselect_b32 s8, -1, 0
	s_xor_b32 s9, exec_lo, -1
	s_or_not1_b32 s8, s8, exec_lo
	s_branch .LBB180_4
.LBB180_478:
	s_or_b32 exec_lo, exec_lo, s85
	s_xor_b32 s7, s92, -1
	s_xor_b32 s9, s89, -1
	;; [unrolled: 1-line block ×5, first 2 shown]
	s_mov_b32 s8, 0
	s_and_saveexec_b32 s12, s11
	s_delay_alu instid0(SALU_CYCLE_1)
	s_xor_b32 s12, exec_lo, s12
	s_cbranch_execz .LBB180_539
; %bb.479:
	s_and_saveexec_b32 s11, s10
	s_delay_alu instid0(SALU_CYCLE_1)
	s_xor_b32 s13, exec_lo, s11
	s_cbranch_execz .LBB180_537
; %bb.480:
	;; [unrolled: 5-line block ×4, first 2 shown]
	s_and_saveexec_b32 s7, s6
	s_delay_alu instid0(SALU_CYCLE_1)
	s_xor_b32 s6, exec_lo, s7
; %bb.483:
	v_lshrrev_b32_e32 v2, 31, v13
	s_delay_alu instid0(VALU_DEP_1) | instskip(NEXT) | instid1(VALU_DEP_1)
	v_add_co_u32 v2, s7, v2, -1
	v_add_co_ci_u32_e64 v3, null, 0, -1, s7
	s_delay_alu instid0(VALU_DEP_2) | instskip(NEXT) | instid1(VALU_DEP_2)
	v_xor_b32_e32 v10, v2, v12
	v_or_b32_e32 v3, 0x80000000, v3
	s_delay_alu instid0(VALU_DEP_1)
	v_xor_b32_e32 v11, v3, v13
; %bb.484:
	s_or_b32 exec_lo, exec_lo, s6
	s_and_saveexec_b32 s6, s5
	s_cbranch_execz .LBB180_486
; %bb.485:
	v_mov_b32_e32 v2, 0
	s_delay_alu instid0(VALU_DEP_1)
	v_mov_b32_e32 v3, v2
	ds_store_b64 v2, v[2:3] offset:5136
.LBB180_486:
	s_or_b32 exec_lo, exec_lo, s6
	v_mov_b32_e32 v4, 0
	v_mov_b32_e32 v5, 0
	s_waitcnt lgkmcnt(0)
	s_barrier
	buffer_gl0_inv
	s_and_saveexec_b32 s5, s3
	s_cbranch_execz .LBB180_488
; %bb.487:
	global_load_b64 v[4:5], v[16:17], off
.LBB180_488:
	s_or_b32 exec_lo, exec_lo, s5
	v_cmp_o_f64_e32 vcc_lo, v[10:11], v[10:11]
	v_ashrrev_i32_e32 v2, 31, v11
	s_clause 0x1
	s_load_b64 s[6:7], s[0:1], 0x368
	s_load_b64 s[8:9], s[0:1], 0x510
	s_mul_i32 s17, s51, s42
	s_mul_hi_u32 s19, s50, s42
	s_mul_i32 s20, s49, s42
	s_mul_hi_u32 s22, s48, s42
	v_or_b32_e32 v3, 0x80000000, v2
	s_add_u32 s5, s28, 31
	s_addc_u32 s11, s29, 0
	s_add_i32 s17, s19, s17
	s_add_i32 s19, s22, s20
	v_readlane_b32 s22, v59, 2
	s_mul_i32 s16, s50, s42
	v_readlane_b32 s23, v59, 3
	s_lshl_b64 s[16:17], s[16:17], 3
	v_xor_b32_e32 v3, v3, v11
	s_mul_i32 s18, s48, s42
	s_and_b32 s10, s5, 0xffffffe0
	v_xor_b32_e32 v2, v2, v10
	s_add_u32 s1, s22, s16
	s_addc_u32 s5, s23, s17
	s_lshl_b64 s[16:17], s[18:19], 3
	v_readlane_b32 s18, v59, 0
	v_readlane_b32 s19, v59, 1
	v_add_nc_u32_e32 v22, s33, v0
	s_mov_b32 s21, -1
	s_mov_b32 s20, exec_lo
	s_add_u32 s16, s18, s16
	s_addc_u32 s17, s19, s17
	s_mov_b32 s19, 0
	s_mov_b32 s18, 0
	v_dual_cndmask_b32 v3, -1, v3 :: v_dual_cndmask_b32 v2, -1, v2
	v_cmpx_gt_u64_e64 s[10:11], v[0:1]
	s_cbranch_execz .LBB180_506
; %bb.489:
	v_mad_u64_u32 v[6:7], null, s38, v22, 0
	s_add_u32 s0, s36, s40
	s_addc_u32 s18, s37, s41
	v_mov_b32_e32 v19, v1
                                        ; implicit-def: $sgpr21
                                        ; implicit-def: $vgpr14_vgpr15
	v_mov_b32_e32 v18, v0
	s_delay_alu instid0(VALU_DEP_3) | instskip(NEXT) | instid1(VALU_DEP_1)
	v_mad_u64_u32 v[8:9], null, s39, v22, v[7:8]
	v_mov_b32_e32 v7, v8
	s_delay_alu instid0(VALU_DEP_1) | instskip(SKIP_1) | instid1(VALU_DEP_2)
	v_lshlrev_b64 v[8:9], 3, v[6:7]
	v_mov_b32_e32 v7, 0
	v_add_co_u32 v8, vcc_lo, s0, v8
	s_delay_alu instid0(VALU_DEP_3)
	v_add_co_ci_u32_e32 v9, vcc_lo, s18, v9, vcc_lo
	s_mov_b32 s18, 0
	s_branch .LBB180_491
.LBB180_490:                            ;   in Loop: Header=BB180_491 Depth=1
	s_or_b32 exec_lo, exec_lo, s22
	s_xor_b32 s22, s24, -1
	s_and_b32 s0, exec_lo, s0
	s_waitcnt vmcnt(0)
	v_dual_mov_b32 v4, v12 :: v_dual_mov_b32 v5, v13
	s_or_b32 s18, s0, s18
	v_dual_mov_b32 v19, v11 :: v_dual_mov_b32 v18, v10
	s_and_not1_b32 s0, s21, exec_lo
	s_and_b32 s21, s22, exec_lo
	s_delay_alu instid0(SALU_CYCLE_1)
	s_or_b32 s21, s0, s21
	s_and_not1_b32 exec_lo, exec_lo, s18
	s_cbranch_execz .LBB180_505
.LBB180_491:                            ; =>This Inner Loop Header: Depth=1
	v_add_co_u32 v10, vcc_lo, v18, s33
	v_mov_b32_e32 v12, 0
	v_add_co_ci_u32_e32 v11, vcc_lo, 0, v19, vcc_lo
	v_mov_b32_e32 v13, 0
	s_mov_b32 s0, exec_lo
	s_delay_alu instid0(VALU_DEP_2)
	v_cmpx_gt_u64_e64 s[28:29], v[10:11]
	s_cbranch_execz .LBB180_493
; %bb.492:                              ;   in Loop: Header=BB180_491 Depth=1
	global_load_b64 v[12:13], v[8:9], off
.LBB180_493:                            ;   in Loop: Header=BB180_491 Depth=1
	s_or_b32 exec_lo, exec_lo, s0
	s_mov_b32 s22, 0
	s_mov_b32 s0, exec_lo
	v_cmpx_gt_u64_e64 s[28:29], v[18:19]
	s_cbranch_execz .LBB180_495
; %bb.494:                              ;   in Loop: Header=BB180_491 Depth=1
	s_waitcnt vmcnt(0)
	v_cmp_o_f64_e32 vcc_lo, v[4:5], v[4:5]
	v_ashrrev_i32_e32 v6, 31, v5
	s_delay_alu instid0(VALU_DEP_1) | instskip(SKIP_1) | instid1(VALU_DEP_2)
	v_or_b32_e32 v20, 0x80000000, v6
	v_xor_b32_e32 v6, v6, v4
	v_xor_b32_e32 v20, v20, v5
	s_delay_alu instid0(VALU_DEP_1) | instskip(NEXT) | instid1(VALU_DEP_1)
	v_dual_cndmask_b32 v21, -1, v20 :: v_dual_cndmask_b32 v20, -1, v6
	v_cmp_gt_u64_e32 vcc_lo, v[20:21], v[2:3]
	v_cndmask_b32_e64 v6, 0, 1, vcc_lo
	v_cmp_lt_u64_e32 vcc_lo, v[20:21], v[2:3]
	v_cndmask_b32_e64 v20, 0, 1, vcc_lo
	s_delay_alu instid0(VALU_DEP_1) | instskip(NEXT) | instid1(VALU_DEP_1)
	v_cndmask_b32_e64 v6, v20, v6, s4
	v_and_b32_e32 v6, 1, v6
	s_delay_alu instid0(VALU_DEP_1)
	v_cmp_eq_u32_e32 vcc_lo, 1, v6
	s_and_b32 s22, vcc_lo, exec_lo
.LBB180_495:                            ;   in Loop: Header=BB180_491 Depth=1
	s_or_b32 exec_lo, exec_lo, s0
	v_cndmask_b32_e64 v6, 0, 1, s22
	s_delay_alu instid0(VALU_DEP_1) | instskip(SKIP_2) | instid1(SALU_CYCLE_1)
	v_cmp_ne_u32_e32 vcc_lo, 0, v6
	s_cmp_lg_u32 vcc_lo, 0
	s_cselect_b32 s0, -1, 0
	s_and_b32 s0, s2, s0
	s_delay_alu instid0(SALU_CYCLE_1)
	s_and_saveexec_b32 s23, s0
	s_cbranch_execz .LBB180_499
; %bb.496:                              ;   in Loop: Header=BB180_491 Depth=1
	s_mov_b32 s26, exec_lo
	s_bcnt1_i32_b32 s24, vcc_lo
	v_mbcnt_lo_u32_b32 v20, s26, 0
	s_mov_b32 s25, exec_lo
                                        ; implicit-def: $vgpr14_vgpr15
	s_delay_alu instid0(VALU_DEP_1)
	v_cmpx_eq_u32_e32 0, v20
	s_cbranch_execz .LBB180_498
; %bb.497:                              ;   in Loop: Header=BB180_491 Depth=1
	s_bcnt1_i32_b32 s0, s26
	s_delay_alu instid0(SALU_CYCLE_1) | instskip(NEXT) | instid1(SALU_CYCLE_1)
	s_mul_i32 s0, s24, s0
	v_mov_b32_e32 v6, s0
	s_waitcnt lgkmcnt(0)
	ds_add_rtn_u64 v[14:15], v7, v[6:7] offset:5136
.LBB180_498:                            ;   in Loop: Header=BB180_491 Depth=1
	s_or_b32 exec_lo, exec_lo, s25
	s_waitcnt lgkmcnt(0)
	v_readfirstlane_b32 s27, v15
	v_readfirstlane_b32 s26, v14
	s_delay_alu instid0(VALU_DEP_1)
	v_mad_u64_u32 v[14:15], null, s24, v20, s[26:27]
.LBB180_499:                            ;   in Loop: Header=BB180_491 Depth=1
	s_or_b32 exec_lo, exec_lo, s23
	s_waitcnt lgkmcnt(0)
	ds_bpermute_b32 v14, v7, v14
	ds_bpermute_b32 v15, v7, v15
	s_mov_b32 s0, -1
	s_mov_b32 s25, -1
                                        ; implicit-def: $sgpr24
	s_and_saveexec_b32 s23, s22
	s_cbranch_execz .LBB180_503
; %bb.500:                              ;   in Loop: Header=BB180_491 Depth=1
	v_and_b32_e32 v6, vcc_lo, v43
	s_mov_b32 s22, 0
	s_mov_b32 s24, exec_lo
	s_delay_alu instid0(VALU_DEP_1) | instskip(SKIP_1) | instid1(VALU_DEP_1)
	v_bcnt_u32_b32 v6, v6, 0
	s_waitcnt lgkmcnt(0)
	v_add_co_u32 v20, vcc_lo, v14, v6
	v_add_co_ci_u32_e32 v21, vcc_lo, 0, v15, vcc_lo
	s_delay_alu instid0(VALU_DEP_1)
	v_cmpx_gt_u64_e64 s[30:31], v[20:21]
	s_cbranch_execz .LBB180_502
; %bb.501:                              ;   in Loop: Header=BB180_491 Depth=1
	v_mul_lo_u32 v6, v21, s6
	v_mul_lo_u32 v27, v20, s7
	v_mad_u64_u32 v[23:24], null, v20, s6, 0
	v_mul_lo_u32 v21, v21, s8
	v_mul_lo_u32 v28, v20, s9
	v_mad_u64_u32 v[25:26], null, v20, s8, 0
	s_mov_b32 s22, exec_lo
	s_delay_alu instid0(VALU_DEP_4) | instskip(NEXT) | instid1(VALU_DEP_2)
	v_add3_u32 v24, v24, v27, v6
	v_add3_u32 v26, v26, v28, v21
	s_delay_alu instid0(VALU_DEP_2) | instskip(NEXT) | instid1(VALU_DEP_2)
	v_lshlrev_b64 v[20:21], 3, v[23:24]
	v_lshlrev_b64 v[23:24], 3, v[25:26]
	s_delay_alu instid0(VALU_DEP_2) | instskip(NEXT) | instid1(VALU_DEP_3)
	v_add_co_u32 v20, vcc_lo, s1, v20
	v_add_co_ci_u32_e32 v21, vcc_lo, s5, v21, vcc_lo
	s_delay_alu instid0(VALU_DEP_3) | instskip(NEXT) | instid1(VALU_DEP_4)
	v_add_co_u32 v23, vcc_lo, s16, v23
	v_add_co_ci_u32_e32 v24, vcc_lo, s17, v24, vcc_lo
	s_waitcnt vmcnt(0)
	global_store_b64 v[20:21], v[4:5], off
	global_store_b64 v[23:24], v[18:19], off
.LBB180_502:                            ;   in Loop: Header=BB180_491 Depth=1
	s_or_b32 exec_lo, exec_lo, s24
	s_mov_b32 s24, -1
	s_or_not1_b32 s25, s22, exec_lo
.LBB180_503:                            ;   in Loop: Header=BB180_491 Depth=1
	s_or_b32 exec_lo, exec_lo, s23
	s_and_saveexec_b32 s22, s25
	s_cbranch_execz .LBB180_490
; %bb.504:                              ;   in Loop: Header=BB180_491 Depth=1
	v_cmp_le_u64_e32 vcc_lo, s[10:11], v[10:11]
	v_add_co_u32 v8, s0, v8, s34
	s_delay_alu instid0(VALU_DEP_1)
	v_add_co_ci_u32_e64 v9, s0, s35, v9, s0
	s_and_not1_b32 s24, s24, exec_lo
	s_or_not1_b32 s0, vcc_lo, exec_lo
	s_branch .LBB180_490
.LBB180_505:
	s_or_b32 exec_lo, exec_lo, s18
	s_delay_alu instid0(SALU_CYCLE_1)
	s_mov_b32 s18, exec_lo
	s_or_not1_b32 s21, s21, exec_lo
.LBB180_506:
	s_or_b32 exec_lo, exec_lo, s20
	s_and_saveexec_b32 s4, s21
	s_cbranch_execz .LBB180_531
; %bb.507:
	v_mov_b32_e32 v10, 0
	v_mov_b32_e32 v11, 0
	s_waitcnt vmcnt(0) lgkmcnt(0)
	s_waitcnt_vscnt null, 0x0
	s_barrier
	buffer_gl0_inv
	s_and_saveexec_b32 s0, s3
	s_cbranch_execz .LBB180_509
; %bb.508:
	global_load_b64 v[10:11], v[16:17], off
.LBB180_509:
	s_or_b32 exec_lo, exec_lo, s0
	v_mad_u64_u32 v[4:5], null, s38, v22, 0
	s_add_u32 s0, s36, s40
	s_addc_u32 s3, s37, s41
	s_mov_b32 s19, 0
                                        ; implicit-def: $sgpr20
                                        ; implicit-def: $sgpr21
                                        ; implicit-def: $vgpr8_vgpr9
	s_delay_alu instid0(VALU_DEP_1) | instskip(SKIP_1) | instid1(VALU_DEP_2)
	v_mad_u64_u32 v[6:7], null, s39, v22, v[5:6]
	v_mov_b32_e32 v7, 0
	v_mov_b32_e32 v5, v6
	s_delay_alu instid0(VALU_DEP_1) | instskip(NEXT) | instid1(VALU_DEP_1)
	v_lshlrev_b64 v[4:5], 3, v[4:5]
	v_add_co_u32 v4, vcc_lo, s0, v4
	s_delay_alu instid0(VALU_DEP_2)
	v_add_co_ci_u32_e32 v5, vcc_lo, s3, v5, vcc_lo
                                        ; implicit-def: $sgpr3
	s_branch .LBB180_512
.LBB180_510:                            ;   in Loop: Header=BB180_512 Depth=1
	s_or_b32 exec_lo, exec_lo, s24
	v_dual_mov_b32 v0, v12 :: v_dual_mov_b32 v1, v13
	v_dual_mov_b32 v10, v16 :: v_dual_mov_b32 v11, v17
	s_and_not1_b32 s21, s21, exec_lo
	s_and_b32 s23, s26, exec_lo
	s_and_not1_b32 s20, s20, exec_lo
	s_and_b32 s0, s0, exec_lo
	s_or_b32 s21, s21, s23
	s_or_b32 s20, s20, s0
.LBB180_511:                            ;   in Loop: Header=BB180_512 Depth=1
	s_or_b32 exec_lo, exec_lo, s22
	s_xor_b32 s0, s21, -1
	s_and_b32 s22, exec_lo, s20
	s_delay_alu instid0(SALU_CYCLE_1) | instskip(SKIP_2) | instid1(SALU_CYCLE_1)
	s_or_b32 s19, s22, s19
	s_and_not1_b32 s3, s3, exec_lo
	s_and_b32 s0, s0, exec_lo
	s_or_b32 s3, s3, s0
	s_and_not1_b32 exec_lo, exec_lo, s19
	s_cbranch_execz .LBB180_529
.LBB180_512:                            ; =>This Inner Loop Header: Depth=1
	s_or_b32 s21, s21, exec_lo
	s_or_b32 s20, s20, exec_lo
	s_mov_b32 s22, exec_lo
	v_cmpx_gt_u64_e64 s[10:11], v[0:1]
	s_cbranch_execz .LBB180_511
; %bb.513:                              ;   in Loop: Header=BB180_512 Depth=1
	v_add_co_u32 v12, vcc_lo, v0, s33
	v_mov_b32_e32 v14, 0
	v_add_co_ci_u32_e32 v13, vcc_lo, 0, v1, vcc_lo
	v_mov_b32_e32 v15, 0
	s_mov_b32 s0, exec_lo
	s_delay_alu instid0(VALU_DEP_2)
	v_cmpx_gt_u64_e64 s[28:29], v[12:13]
	s_cbranch_execz .LBB180_515
; %bb.514:                              ;   in Loop: Header=BB180_512 Depth=1
	global_load_b64 v[14:15], v[4:5], off
.LBB180_515:                            ;   in Loop: Header=BB180_512 Depth=1
	s_or_b32 exec_lo, exec_lo, s0
	s_mov_b32 s24, 0
	s_mov_b32 s0, exec_lo
	v_cmpx_gt_u64_e64 s[28:29], v[0:1]
	s_cbranch_execz .LBB180_517
; %bb.516:                              ;   in Loop: Header=BB180_512 Depth=1
	s_waitcnt vmcnt(0)
	v_cmp_o_f64_e32 vcc_lo, v[10:11], v[10:11]
	v_ashrrev_i32_e32 v6, 31, v11
	s_delay_alu instid0(VALU_DEP_1) | instskip(SKIP_1) | instid1(VALU_DEP_2)
	v_or_b32_e32 v16, 0x80000000, v6
	v_xor_b32_e32 v6, v6, v10
	v_xor_b32_e32 v16, v16, v11
	s_delay_alu instid0(VALU_DEP_1) | instskip(NEXT) | instid1(VALU_DEP_1)
	v_dual_cndmask_b32 v17, -1, v16 :: v_dual_cndmask_b32 v16, -1, v6
	v_cmp_eq_u64_e32 vcc_lo, v[16:17], v[2:3]
	s_and_b32 s24, vcc_lo, exec_lo
.LBB180_517:                            ;   in Loop: Header=BB180_512 Depth=1
	s_or_b32 exec_lo, exec_lo, s0
	v_cndmask_b32_e64 v6, 0, 1, s24
	s_delay_alu instid0(VALU_DEP_1) | instskip(SKIP_2) | instid1(SALU_CYCLE_1)
	v_cmp_ne_u32_e32 vcc_lo, 0, v6
	s_cmp_lg_u32 vcc_lo, 0
	s_cselect_b32 s0, -1, 0
	s_and_b32 s0, s2, s0
	s_delay_alu instid0(SALU_CYCLE_1)
	s_and_saveexec_b32 s23, s0
	s_cbranch_execz .LBB180_521
; %bb.518:                              ;   in Loop: Header=BB180_512 Depth=1
	s_mov_b32 s27, exec_lo
	s_bcnt1_i32_b32 s25, vcc_lo
	v_mbcnt_lo_u32_b32 v16, s27, 0
	s_mov_b32 s26, exec_lo
                                        ; implicit-def: $vgpr8_vgpr9
	s_delay_alu instid0(VALU_DEP_1)
	v_cmpx_eq_u32_e32 0, v16
	s_cbranch_execz .LBB180_520
; %bb.519:                              ;   in Loop: Header=BB180_512 Depth=1
	s_bcnt1_i32_b32 s0, s27
	s_delay_alu instid0(SALU_CYCLE_1) | instskip(NEXT) | instid1(SALU_CYCLE_1)
	s_mul_i32 s0, s25, s0
	v_mov_b32_e32 v6, s0
	ds_add_rtn_u64 v[8:9], v7, v[6:7] offset:5136
.LBB180_520:                            ;   in Loop: Header=BB180_512 Depth=1
	s_or_b32 exec_lo, exec_lo, s26
	s_waitcnt lgkmcnt(0)
	v_readfirstlane_b32 s27, v9
	v_readfirstlane_b32 s26, v8
	s_delay_alu instid0(VALU_DEP_1)
	v_mad_u64_u32 v[8:9], null, s25, v16, s[26:27]
.LBB180_521:                            ;   in Loop: Header=BB180_512 Depth=1
	s_or_b32 exec_lo, exec_lo, s23
	ds_bpermute_b32 v8, v7, v8
	ds_bpermute_b32 v9, v7, v9
	s_cmp_eq_u32 vcc_lo, 0
	s_mov_b32 s25, -1
	s_cselect_b32 s23, -1, 0
	s_mov_b32 s26, -1
	s_waitcnt lgkmcnt(0)
	v_cmp_gt_u64_e64 s0, s[30:31], v[8:9]
	s_delay_alu instid0(VALU_DEP_1)
	s_or_b32 s23, s23, s0
	s_mov_b32 s0, -1
	s_waitcnt vmcnt(0)
	v_cndmask_b32_e64 v17, v11, v15, s23
	v_cndmask_b32_e64 v16, v10, v14, s23
	s_and_b32 s27, s24, s23
	s_delay_alu instid0(SALU_CYCLE_1)
	s_and_saveexec_b32 s24, s27
	s_cbranch_execz .LBB180_527
; %bb.522:                              ;   in Loop: Header=BB180_512 Depth=1
	v_and_b32_e32 v6, vcc_lo, v43
	v_sub_co_u32 v16, vcc_lo, s30, v8
	v_sub_co_ci_u32_e32 v17, vcc_lo, s31, v9, vcc_lo
	s_delay_alu instid0(VALU_DEP_3) | instskip(SKIP_2) | instid1(VALU_DEP_1)
	v_bcnt_u32_b32 v6, v6, 0
	s_mov_b32 s27, -1
	s_mov_b32 s26, exec_lo
	v_cmp_le_u64_e64 s25, v[16:17], v[6:7]
	v_cmpx_gt_u64_e64 v[16:17], v[6:7]
	s_cbranch_execz .LBB180_526
; %bb.523:                              ;   in Loop: Header=BB180_512 Depth=1
	v_add_co_u32 v16, vcc_lo, v8, v6
	v_add_co_ci_u32_e32 v17, vcc_lo, 0, v9, vcc_lo
	s_delay_alu instid0(VALU_DEP_4) | instskip(SKIP_1) | instid1(VALU_DEP_1)
	s_mov_b32 s36, s25
	s_mov_b32 s27, exec_lo
	v_cmpx_gt_u64_e64 s[30:31], v[16:17]
	s_cbranch_execz .LBB180_525
; %bb.524:                              ;   in Loop: Header=BB180_512 Depth=1
	v_mul_lo_u32 v6, v17, s6
	v_mul_lo_u32 v22, v16, s7
	v_mad_u64_u32 v[18:19], null, v16, s6, 0
	v_mul_lo_u32 v17, v17, s8
	v_mul_lo_u32 v23, v16, s9
	v_mad_u64_u32 v[20:21], null, v16, s8, 0
	s_or_b32 s36, s25, exec_lo
	s_delay_alu instid0(VALU_DEP_4) | instskip(NEXT) | instid1(VALU_DEP_2)
	v_add3_u32 v19, v19, v22, v6
	v_add3_u32 v21, v21, v23, v17
	s_delay_alu instid0(VALU_DEP_2) | instskip(NEXT) | instid1(VALU_DEP_2)
	v_lshlrev_b64 v[16:17], 3, v[18:19]
	v_lshlrev_b64 v[18:19], 3, v[20:21]
	s_delay_alu instid0(VALU_DEP_2) | instskip(NEXT) | instid1(VALU_DEP_3)
	v_add_co_u32 v16, vcc_lo, s1, v16
	v_add_co_ci_u32_e32 v17, vcc_lo, s5, v17, vcc_lo
	s_delay_alu instid0(VALU_DEP_3) | instskip(NEXT) | instid1(VALU_DEP_4)
	v_add_co_u32 v18, vcc_lo, s16, v18
	v_add_co_ci_u32_e32 v19, vcc_lo, s17, v19, vcc_lo
	global_store_b64 v[16:17], v[10:11], off
	global_store_b64 v[18:19], v[0:1], off
.LBB180_525:                            ;   in Loop: Header=BB180_512 Depth=1
	s_or_b32 exec_lo, exec_lo, s27
	s_delay_alu instid0(SALU_CYCLE_1)
	s_and_not1_b32 s25, s25, exec_lo
	s_and_b32 s36, s36, exec_lo
	s_xor_b32 s27, exec_lo, -1
	s_or_b32 s25, s25, s36
.LBB180_526:                            ;   in Loop: Header=BB180_512 Depth=1
	s_or_b32 exec_lo, exec_lo, s26
	v_dual_mov_b32 v17, v15 :: v_dual_mov_b32 v16, v14
	s_or_not1_b32 s26, s27, exec_lo
	s_or_b32 s23, s23, exec_lo
	s_or_not1_b32 s25, s25, exec_lo
.LBB180_527:                            ;   in Loop: Header=BB180_512 Depth=1
	s_or_b32 exec_lo, exec_lo, s24
	s_and_saveexec_b32 s24, s25
	s_cbranch_execz .LBB180_510
; %bb.528:                              ;   in Loop: Header=BB180_512 Depth=1
	v_add_co_u32 v4, vcc_lo, v4, s34
	v_add_co_ci_u32_e32 v5, vcc_lo, s35, v5, vcc_lo
	s_xor_b32 s0, s23, -1
	s_or_b32 s26, s26, exec_lo
	s_or_not1_b32 s0, s0, exec_lo
	s_branch .LBB180_510
.LBB180_529:
	s_or_b32 exec_lo, exec_lo, s19
	s_mov_b32 s0, 0
	s_and_saveexec_b32 s1, s3
	s_delay_alu instid0(SALU_CYCLE_1)
	s_xor_b32 s1, exec_lo, s1
	s_cbranch_execnz .LBB180_561
.LBB180_530:
	s_or_b32 exec_lo, exec_lo, s1
	s_delay_alu instid0(SALU_CYCLE_1)
	s_and_b32 s19, s0, exec_lo
	s_and_not1_b32 s18, s18, exec_lo
.LBB180_531:
	s_or_b32 exec_lo, exec_lo, s4
	s_and_saveexec_b32 s0, s18
	s_delay_alu instid0(SALU_CYCLE_1)
	s_xor_b32 s0, exec_lo, s0
	s_cbranch_execnz .LBB180_557
.LBB180_532:
	s_or_b32 exec_lo, exec_lo, s0
	s_waitcnt lgkmcnt(0)
	s_and_b32 s8, s19, exec_lo
.LBB180_533:
	s_and_not1_saveexec_b32 s0, s15
	s_cbranch_execnz .LBB180_553
.LBB180_534:
	s_or_b32 exec_lo, exec_lo, s0
	s_delay_alu instid0(SALU_CYCLE_1)
	s_and_b32 s8, s8, exec_lo
.LBB180_535:
	s_and_not1_saveexec_b32 s0, s14
	s_cbranch_execnz .LBB180_549
.LBB180_536:
	s_or_b32 exec_lo, exec_lo, s0
	s_delay_alu instid0(SALU_CYCLE_1)
	s_and_b32 s8, s8, exec_lo
.LBB180_537:
	s_and_not1_saveexec_b32 s0, s13
	s_cbranch_execnz .LBB180_545
.LBB180_538:
	s_or_b32 exec_lo, exec_lo, s0
	s_delay_alu instid0(SALU_CYCLE_1)
	s_and_b32 s8, s8, exec_lo
.LBB180_539:
	s_and_not1_saveexec_b32 s0, s12
	s_cbranch_execnz .LBB180_543
; %bb.540:
	s_or_b32 exec_lo, exec_lo, s0
	s_and_saveexec_b32 s0, s8
.LBB180_541:
	; divergent unreachable
.LBB180_542:
	s_nop 0
	s_sendmsg sendmsg(MSG_DEALLOC_VGPRS)
	s_endpgm
.LBB180_543:
	s_cbranch_execnz .LBB180_547
; %bb.544:
	s_or_b32 s8, s8, exec_lo
	s_or_b32 exec_lo, exec_lo, s0
	s_and_saveexec_b32 s0, s8
	s_cbranch_execnz .LBB180_541
	s_branch .LBB180_542
.LBB180_545:
	s_cbranch_execnz .LBB180_551
; %bb.546:
	s_or_b32 s8, s8, exec_lo
	s_branch .LBB180_538
.LBB180_547:
	s_trap 2
	s_sendmsg_rtn_b32 s0, sendmsg(MSG_RTN_GET_DOORBELL)
	s_mov_b32 ttmp2, m0
	s_waitcnt lgkmcnt(0)
	s_and_b32 s0, s0, 0x3ff
	s_delay_alu instid0(SALU_CYCLE_1) | instskip(NEXT) | instid1(SALU_CYCLE_1)
	s_bitset1_b32 s0, 10
	s_mov_b32 m0, s0
	s_sendmsg sendmsg(MSG_INTERRUPT)
	s_mov_b32 m0, ttmp2
.LBB180_548:                            ; =>This Inner Loop Header: Depth=1
	s_sethalt 5
	s_branch .LBB180_548
.LBB180_549:
	s_cbranch_execnz .LBB180_555
; %bb.550:
	s_or_b32 s8, s8, exec_lo
	s_branch .LBB180_536
.LBB180_551:
	s_trap 2
	s_sendmsg_rtn_b32 s0, sendmsg(MSG_RTN_GET_DOORBELL)
	s_mov_b32 ttmp2, m0
	s_waitcnt lgkmcnt(0)
	s_and_b32 s0, s0, 0x3ff
	s_delay_alu instid0(SALU_CYCLE_1) | instskip(NEXT) | instid1(SALU_CYCLE_1)
	s_bitset1_b32 s0, 10
	s_mov_b32 m0, s0
	s_sendmsg sendmsg(MSG_INTERRUPT)
	s_mov_b32 m0, ttmp2
.LBB180_552:                            ; =>This Inner Loop Header: Depth=1
	s_sethalt 5
	s_branch .LBB180_552
.LBB180_553:
	s_cbranch_execnz .LBB180_559
; %bb.554:
	s_or_b32 s8, s8, exec_lo
	s_branch .LBB180_534
.LBB180_555:
	s_trap 2
	s_sendmsg_rtn_b32 s0, sendmsg(MSG_RTN_GET_DOORBELL)
	s_mov_b32 ttmp2, m0
	s_waitcnt lgkmcnt(0)
	s_and_b32 s0, s0, 0x3ff
	s_delay_alu instid0(SALU_CYCLE_1) | instskip(NEXT) | instid1(SALU_CYCLE_1)
	s_bitset1_b32 s0, 10
	s_mov_b32 m0, s0
	s_sendmsg sendmsg(MSG_INTERRUPT)
	s_mov_b32 m0, ttmp2
.LBB180_556:                            ; =>This Inner Loop Header: Depth=1
	s_sethalt 5
	s_branch .LBB180_556
.LBB180_557:
	s_cbranch_execnz .LBB180_563
; %bb.558:
	s_or_b32 s19, s19, exec_lo
	s_branch .LBB180_532
.LBB180_559:
	s_trap 2
	s_sendmsg_rtn_b32 s0, sendmsg(MSG_RTN_GET_DOORBELL)
	s_mov_b32 ttmp2, m0
	s_waitcnt lgkmcnt(0)
	s_and_b32 s0, s0, 0x3ff
	s_delay_alu instid0(SALU_CYCLE_1) | instskip(NEXT) | instid1(SALU_CYCLE_1)
	s_bitset1_b32 s0, 10
	s_mov_b32 m0, s0
	s_sendmsg sendmsg(MSG_INTERRUPT)
	s_mov_b32 m0, ttmp2
.LBB180_560:                            ; =>This Inner Loop Header: Depth=1
	s_sethalt 5
	s_branch .LBB180_560
.LBB180_561:
	s_cbranch_execnz .LBB180_565
; %bb.562:
	s_mov_b32 s0, exec_lo
	s_branch .LBB180_530
.LBB180_563:
	s_trap 2
	s_sendmsg_rtn_b32 s0, sendmsg(MSG_RTN_GET_DOORBELL)
	s_mov_b32 ttmp2, m0
	s_waitcnt lgkmcnt(0)
	s_and_b32 s0, s0, 0x3ff
	s_delay_alu instid0(SALU_CYCLE_1) | instskip(NEXT) | instid1(SALU_CYCLE_1)
	s_bitset1_b32 s0, 10
	s_mov_b32 m0, s0
	s_sendmsg sendmsg(MSG_INTERRUPT)
	s_mov_b32 m0, ttmp2
.LBB180_564:                            ; =>This Inner Loop Header: Depth=1
	s_sethalt 5
	s_branch .LBB180_564
.LBB180_565:
	s_trap 2
	s_sendmsg_rtn_b32 s0, sendmsg(MSG_RTN_GET_DOORBELL)
	s_mov_b32 ttmp2, m0
	s_waitcnt lgkmcnt(0)
	s_and_b32 s0, s0, 0x3ff
	s_delay_alu instid0(SALU_CYCLE_1) | instskip(NEXT) | instid1(SALU_CYCLE_1)
	s_bitset1_b32 s0, 10
	s_mov_b32 m0, s0
	s_sendmsg sendmsg(MSG_INTERRUPT)
	s_mov_b32 m0, ttmp2
.LBB180_566:                            ; =>This Inner Loop Header: Depth=1
	s_sethalt 5
	s_branch .LBB180_566
	.section	.rodata,"a",@progbits
	.p2align	6, 0x0
	.amdhsa_kernel _ZN2at6native6sbtopk10gatherTopKIdmLi1ELb0EEEvNS_4cuda6detail10TensorInfoIKT_T0_EES8_S8_bS8_S8_NS5_IS6_S8_EES8_NS5_IlS8_EES8_PS6_
		.amdhsa_group_segment_fixed_size 5152
		.amdhsa_private_segment_fixed_size 0
		.amdhsa_kernarg_size 1568
		.amdhsa_user_sgpr_count 13
		.amdhsa_user_sgpr_dispatch_ptr 0
		.amdhsa_user_sgpr_queue_ptr 0
		.amdhsa_user_sgpr_kernarg_segment_ptr 1
		.amdhsa_user_sgpr_dispatch_id 0
		.amdhsa_user_sgpr_private_segment_size 0
		.amdhsa_wavefront_size32 1
		.amdhsa_uses_dynamic_stack 0
		.amdhsa_enable_private_segment 0
		.amdhsa_system_sgpr_workgroup_id_x 1
		.amdhsa_system_sgpr_workgroup_id_y 1
		.amdhsa_system_sgpr_workgroup_id_z 1
		.amdhsa_system_sgpr_workgroup_info 0
		.amdhsa_system_vgpr_workitem_id 0
		.amdhsa_next_free_vgpr 60
		.amdhsa_next_free_sgpr 105
		.amdhsa_reserve_vcc 1
		.amdhsa_float_round_mode_32 0
		.amdhsa_float_round_mode_16_64 0
		.amdhsa_float_denorm_mode_32 3
		.amdhsa_float_denorm_mode_16_64 3
		.amdhsa_dx10_clamp 1
		.amdhsa_ieee_mode 1
		.amdhsa_fp16_overflow 0
		.amdhsa_workgroup_processor_mode 1
		.amdhsa_memory_ordered 1
		.amdhsa_forward_progress 0
		.amdhsa_shared_vgpr_count 0
		.amdhsa_exception_fp_ieee_invalid_op 0
		.amdhsa_exception_fp_denorm_src 0
		.amdhsa_exception_fp_ieee_div_zero 0
		.amdhsa_exception_fp_ieee_overflow 0
		.amdhsa_exception_fp_ieee_underflow 0
		.amdhsa_exception_fp_ieee_inexact 0
		.amdhsa_exception_int_div_zero 0
	.end_amdhsa_kernel
	.section	.text._ZN2at6native6sbtopk10gatherTopKIdmLi1ELb0EEEvNS_4cuda6detail10TensorInfoIKT_T0_EES8_S8_bS8_S8_NS5_IS6_S8_EES8_NS5_IlS8_EES8_PS6_,"axG",@progbits,_ZN2at6native6sbtopk10gatherTopKIdmLi1ELb0EEEvNS_4cuda6detail10TensorInfoIKT_T0_EES8_S8_bS8_S8_NS5_IS6_S8_EES8_NS5_IlS8_EES8_PS6_,comdat
.Lfunc_end180:
	.size	_ZN2at6native6sbtopk10gatherTopKIdmLi1ELb0EEEvNS_4cuda6detail10TensorInfoIKT_T0_EES8_S8_bS8_S8_NS5_IS6_S8_EES8_NS5_IlS8_EES8_PS6_, .Lfunc_end180-_ZN2at6native6sbtopk10gatherTopKIdmLi1ELb0EEEvNS_4cuda6detail10TensorInfoIKT_T0_EES8_S8_bS8_S8_NS5_IS6_S8_EES8_NS5_IlS8_EES8_PS6_
                                        ; -- End function
	.section	.AMDGPU.csdata,"",@progbits
; Kernel info:
; codeLenInByte = 29912
; NumSgprs: 107
; NumVgprs: 60
; ScratchSize: 0
; MemoryBound: 0
; FloatMode: 240
; IeeeMode: 1
; LDSByteSize: 5152 bytes/workgroup (compile time only)
; SGPRBlocks: 13
; VGPRBlocks: 7
; NumSGPRsForWavesPerEU: 107
; NumVGPRsForWavesPerEU: 60
; Occupancy: 16
; WaveLimiterHint : 1
; COMPUTE_PGM_RSRC2:SCRATCH_EN: 0
; COMPUTE_PGM_RSRC2:USER_SGPR: 13
; COMPUTE_PGM_RSRC2:TRAP_HANDLER: 0
; COMPUTE_PGM_RSRC2:TGID_X_EN: 1
; COMPUTE_PGM_RSRC2:TGID_Y_EN: 1
; COMPUTE_PGM_RSRC2:TGID_Z_EN: 1
; COMPUTE_PGM_RSRC2:TIDIG_COMP_CNT: 0
	.section	.text._ZN2at6native6mbtopk23computeBlockDigitCountsIdmmLi2EEEvNS_4cuda6detail10TensorInfoIKT_T0_EEjPjjS8_iijT1_PSB_Ps,"axG",@progbits,_ZN2at6native6mbtopk23computeBlockDigitCountsIdmmLi2EEEvNS_4cuda6detail10TensorInfoIKT_T0_EEjPjjS8_iijT1_PSB_Ps,comdat
	.protected	_ZN2at6native6mbtopk23computeBlockDigitCountsIdmmLi2EEEvNS_4cuda6detail10TensorInfoIKT_T0_EEjPjjS8_iijT1_PSB_Ps ; -- Begin function _ZN2at6native6mbtopk23computeBlockDigitCountsIdmmLi2EEEvNS_4cuda6detail10TensorInfoIKT_T0_EEjPjjS8_iijT1_PSB_Ps
	.globl	_ZN2at6native6mbtopk23computeBlockDigitCountsIdmmLi2EEEvNS_4cuda6detail10TensorInfoIKT_T0_EEjPjjS8_iijT1_PSB_Ps
	.p2align	8
	.type	_ZN2at6native6mbtopk23computeBlockDigitCountsIdmmLi2EEEvNS_4cuda6detail10TensorInfoIKT_T0_EEjPjjS8_iijT1_PSB_Ps,@function
_ZN2at6native6mbtopk23computeBlockDigitCountsIdmmLi2EEEvNS_4cuda6detail10TensorInfoIKT_T0_EEjPjjS8_iijT1_PSB_Ps: ; @_ZN2at6native6mbtopk23computeBlockDigitCountsIdmmLi2EEEvNS_4cuda6detail10TensorInfoIKT_T0_EEjPjjS8_iijT1_PSB_Ps
; %bb.0:
	s_clause 0x2
	s_load_b128 s[8:11], s[0:1], 0x1c0
	s_load_b32 s5, s[0:1], 0x1b0
	s_load_b64 s[2:3], s[0:1], 0x1e8
	s_waitcnt lgkmcnt(0)
	v_cvt_f32_u32_e32 v1, s10
	s_sub_i32 s6, 0, s10
	s_mul_i32 s3, s3, s15
	s_delay_alu instid0(SALU_CYCLE_1) | instskip(NEXT) | instid1(VALU_DEP_1)
	s_add_i32 s3, s3, s14
	v_rcp_iflag_f32_e32 v1, v1
	s_mul_i32 s18, s3, s2
	s_delay_alu instid0(SALU_CYCLE_1) | instskip(SKIP_3) | instid1(VALU_DEP_1)
	s_add_i32 s18, s18, s13
	s_mov_b32 s13, 0
	s_waitcnt_depctr 0xfff
	v_mul_f32_e32 v1, 0x4f7ffffe, v1
	v_cvt_u32_f32_e32 v1, v1
	s_delay_alu instid0(VALU_DEP_1) | instskip(NEXT) | instid1(VALU_DEP_1)
	v_readfirstlane_b32 s4, v1
	s_mul_i32 s6, s6, s4
	s_delay_alu instid0(SALU_CYCLE_1) | instskip(NEXT) | instid1(SALU_CYCLE_1)
	s_mul_hi_u32 s2, s4, s6
	s_add_i32 s4, s4, s2
	s_delay_alu instid0(SALU_CYCLE_1) | instskip(NEXT) | instid1(SALU_CYCLE_1)
	s_mul_hi_u32 s2, s18, s4
	s_mul_i32 s3, s2, s10
	s_add_i32 s4, s2, 1
	s_sub_i32 s3, s18, s3
	s_delay_alu instid0(SALU_CYCLE_1)
	s_sub_i32 s6, s3, s10
	s_cmp_ge_u32 s3, s10
	s_cselect_b32 s2, s4, s2
	s_cselect_b32 s3, s6, s3
	s_add_i32 s4, s2, 1
	s_cmp_ge_u32 s3, s10
	s_cselect_b32 s12, s4, s2
	s_delay_alu instid0(SALU_CYCLE_1)
	s_cmp_ge_u32 s12, s5
	s_cbranch_scc1 .LBB181_25
; %bb.1:
	s_clause 0x2
	s_load_b64 s[14:15], s[0:1], 0x10
	s_load_b128 s[4:7], s[0:1], 0x1d0
	s_load_b64 s[2:3], s[0:1], 0x1e0
	s_lshl_b64 s[16:17], s[12:13], 3
	s_waitcnt lgkmcnt(0)
	v_cmp_lt_u64_e64 s11, s[12:13], s[14:15]
	s_add_u32 s6, s6, s16
	s_addc_u32 s7, s7, s17
	s_mov_b64 s[16:17], 0
	s_delay_alu instid0(VALU_DEP_1)
	s_and_b32 vcc_lo, exec_lo, s11
	s_cbranch_vccnz .LBB181_3
; %bb.2:
	v_cvt_f32_u32_e32 v1, s14
	s_sub_i32 s13, 0, s14
	s_delay_alu instid0(VALU_DEP_1) | instskip(SKIP_2) | instid1(VALU_DEP_1)
	v_rcp_iflag_f32_e32 v1, v1
	s_waitcnt_depctr 0xfff
	v_mul_f32_e32 v1, 0x4f7ffffe, v1
	v_cvt_u32_f32_e32 v1, v1
	s_delay_alu instid0(VALU_DEP_1) | instskip(NEXT) | instid1(VALU_DEP_1)
	v_readfirstlane_b32 s11, v1
	s_mul_i32 s13, s13, s11
	s_delay_alu instid0(SALU_CYCLE_1) | instskip(NEXT) | instid1(SALU_CYCLE_1)
	s_mul_hi_u32 s13, s11, s13
	s_add_i32 s11, s11, s13
	s_delay_alu instid0(SALU_CYCLE_1) | instskip(NEXT) | instid1(SALU_CYCLE_1)
	s_mul_hi_u32 s11, s12, s11
	s_mul_i32 s13, s11, s14
	s_add_i32 s16, s11, 1
	s_sub_i32 s13, s12, s13
	s_delay_alu instid0(SALU_CYCLE_1)
	s_sub_i32 s17, s13, s14
	s_cmp_ge_u32 s13, s14
	s_cselect_b32 s11, s16, s11
	s_cselect_b32 s13, s17, s13
	s_add_i32 s16, s11, 1
	s_cmp_ge_u32 s13, s14
	s_cselect_b32 s16, s16, s11
.LBB181_3:
	v_cmp_gt_u32_e32 vcc_lo, 0x100, v0
	v_lshlrev_b32_e32 v3, 2, v0
	s_and_saveexec_b32 s11, vcc_lo
	s_cbranch_execz .LBB181_5
; %bb.4:
	v_mov_b32_e32 v1, 0
	ds_store_b32 v3, v1
.LBB181_5:
	s_or_b32 exec_lo, exec_lo, s11
	s_load_b32 s13, s[0:1], 0x1a0
	s_mul_i32 s11, s12, s10
	s_waitcnt lgkmcnt(0)
	s_sub_i32 s11, s18, s11
	s_barrier
	s_mul_i32 s17, s9, s11
	s_add_i32 s11, s11, 1
	s_lshl_b32 s19, s17, 8
	buffer_gl0_inv
	s_sub_i32 s17, s13, s19
	s_delay_alu instid0(SALU_CYCLE_1) | instskip(SKIP_3) | instid1(VALU_DEP_1)
	s_add_u32 s17, s17, 0xff
	s_addc_u32 s20, 0, 0
	s_cmp_lt_u32 s11, s10
	v_alignbit_b32 v1, s20, s17, 8
	v_readfirstlane_b32 s17, v1
	s_delay_alu instid0(VALU_DEP_1)
	s_cselect_b32 s9, s9, s17
	s_mov_b32 s17, 0
	s_cmp_lt_i32 s9, 1
	s_cbranch_scc1 .LBB181_21
; %bb.6:
	s_clause 0x1
	s_load_b128 s[20:23], s[0:1], 0xd0
	s_load_b64 s[24:25], s[0:1], 0x0
	s_load_b64 s[6:7], s[6:7], 0x0
	;; [unrolled: 1-line block ×3, first 2 shown]
	s_mul_i32 s15, s16, s15
	s_mul_hi_u32 s26, s16, s14
	s_mul_i32 s14, s16, s14
	s_add_i32 s26, s26, s15
	s_sub_u32 s0, s12, s14
	s_subb_u32 s1, 0, s26
	v_add_nc_u32_e32 v4, s19, v0
	s_waitcnt lgkmcnt(0)
	s_mul_i32 s15, s16, s21
	s_mul_hi_u32 s21, s16, s20
	s_mul_i32 s12, s0, s23
	s_mul_hi_u32 s23, s0, s22
	s_mul_i32 s14, s16, s20
	s_add_i32 s15, s21, s15
	s_mul_i32 s1, s1, s22
	s_add_i32 s12, s23, s12
	s_lshl_b64 s[14:15], s[14:15], 3
	s_mul_i32 s0, s0, s22
	s_add_i32 s1, s12, s1
	s_add_u32 s12, s24, s14
	s_addc_u32 s14, s25, s15
	s_lshl_b64 s[0:1], s[0:1], 3
	s_delay_alu instid0(SALU_CYCLE_1)
	s_add_u32 s12, s12, s0
	s_addc_u32 s14, s14, s1
	s_and_b32 s1, s8, 0xff
	s_cmp_eq_u32 s9, 1
	s_cbranch_scc1 .LBB181_16
; %bb.7:
	v_dual_mov_b32 v5, 1 :: v_dual_mov_b32 v6, v4
	s_and_b32 s8, s9, 0x7ffffffe
	s_mov_b32 s15, 0
	s_branch .LBB181_9
.LBB181_8:                              ;   in Loop: Header=BB181_9 Depth=1
	s_or_b32 exec_lo, exec_lo, s16
	v_add_nc_u32_e32 v6, 0x200, v6
	s_add_i32 s15, s15, 2
	s_delay_alu instid0(SALU_CYCLE_1)
	s_cmp_eq_u32 s8, s15
	s_cbranch_scc1 .LBB181_15
.LBB181_9:                              ; =>This Inner Loop Header: Depth=1
	s_mov_b32 s16, exec_lo
	v_cmpx_gt_u32_e64 s13, v6
	s_cbranch_execz .LBB181_12
; %bb.10:                               ;   in Loop: Header=BB181_9 Depth=1
	v_mad_u64_u32 v[1:2], null, v6, s10, 0
	s_delay_alu instid0(VALU_DEP_1) | instskip(NEXT) | instid1(VALU_DEP_1)
	v_mad_u64_u32 v[7:8], null, v6, s11, v[2:3]
	v_mov_b32_e32 v2, v7
	s_delay_alu instid0(VALU_DEP_1) | instskip(NEXT) | instid1(VALU_DEP_1)
	v_lshlrev_b64 v[1:2], 3, v[1:2]
	v_add_co_u32 v1, s0, s12, v1
	s_delay_alu instid0(VALU_DEP_1) | instskip(SKIP_4) | instid1(VALU_DEP_1)
	v_add_co_ci_u32_e64 v2, s0, s14, v2, s0
	global_load_b64 v[1:2], v[1:2], off
	s_waitcnt vmcnt(0)
	v_cmp_o_f64_e64 s0, v[1:2], v[1:2]
	v_ashrrev_i32_e32 v7, 31, v2
	v_or_b32_e32 v8, 0x80000000, v7
	v_xor_b32_e32 v1, v7, v1
	s_delay_alu instid0(VALU_DEP_2) | instskip(NEXT) | instid1(VALU_DEP_1)
	v_xor_b32_e32 v8, v8, v2
	v_cndmask_b32_e64 v2, -1, v8, s0
	s_delay_alu instid0(VALU_DEP_3) | instskip(NEXT) | instid1(VALU_DEP_2)
	v_cndmask_b32_e64 v1, -1, v1, s0
	v_xor_b32_e32 v7, s7, v2
	s_delay_alu instid0(VALU_DEP_2) | instskip(NEXT) | instid1(VALU_DEP_2)
	v_xor_b32_e32 v9, s6, v1
	v_and_b32_e32 v8, s5, v7
	s_delay_alu instid0(VALU_DEP_2) | instskip(NEXT) | instid1(VALU_DEP_1)
	v_and_b32_e32 v7, s4, v9
	v_cmp_eq_u64_e64 s0, 0, v[7:8]
	s_delay_alu instid0(VALU_DEP_1)
	s_and_b32 exec_lo, exec_lo, s0
	s_cbranch_execz .LBB181_12
; %bb.11:                               ;   in Loop: Header=BB181_9 Depth=1
	v_lshrrev_b64 v[1:2], s1, v[1:2]
	s_delay_alu instid0(VALU_DEP_1) | instskip(NEXT) | instid1(VALU_DEP_1)
	v_and_b32_e32 v1, 0xff, v1
	v_lshlrev_b32_e32 v1, 2, v1
	ds_add_u32 v1, v5
.LBB181_12:                             ;   in Loop: Header=BB181_9 Depth=1
	s_or_b32 exec_lo, exec_lo, s16
	v_add_nc_u32_e32 v1, 0x100, v6
	s_mov_b32 s16, exec_lo
	s_delay_alu instid0(VALU_DEP_1)
	v_cmpx_gt_u32_e64 s13, v1
	s_cbranch_execz .LBB181_8
; %bb.13:                               ;   in Loop: Header=BB181_9 Depth=1
	v_mad_u64_u32 v[7:8], null, v1, s10, 0
	s_delay_alu instid0(VALU_DEP_1) | instskip(NEXT) | instid1(VALU_DEP_1)
	v_mov_b32_e32 v2, v8
	v_mad_u64_u32 v[8:9], null, v1, s11, v[2:3]
	s_delay_alu instid0(VALU_DEP_1) | instskip(NEXT) | instid1(VALU_DEP_1)
	v_lshlrev_b64 v[1:2], 3, v[7:8]
	v_add_co_u32 v1, s0, s12, v1
	s_delay_alu instid0(VALU_DEP_1) | instskip(SKIP_4) | instid1(VALU_DEP_1)
	v_add_co_ci_u32_e64 v2, s0, s14, v2, s0
	global_load_b64 v[1:2], v[1:2], off
	s_waitcnt vmcnt(0)
	v_cmp_o_f64_e64 s0, v[1:2], v[1:2]
	v_ashrrev_i32_e32 v7, 31, v2
	v_or_b32_e32 v8, 0x80000000, v7
	v_xor_b32_e32 v1, v7, v1
	s_delay_alu instid0(VALU_DEP_2) | instskip(NEXT) | instid1(VALU_DEP_1)
	v_xor_b32_e32 v8, v8, v2
	v_cndmask_b32_e64 v2, -1, v8, s0
	s_delay_alu instid0(VALU_DEP_3) | instskip(NEXT) | instid1(VALU_DEP_2)
	v_cndmask_b32_e64 v1, -1, v1, s0
	v_xor_b32_e32 v7, s7, v2
	s_delay_alu instid0(VALU_DEP_2) | instskip(NEXT) | instid1(VALU_DEP_2)
	v_xor_b32_e32 v9, s6, v1
	v_and_b32_e32 v8, s5, v7
	s_delay_alu instid0(VALU_DEP_2) | instskip(NEXT) | instid1(VALU_DEP_1)
	v_and_b32_e32 v7, s4, v9
	v_cmp_eq_u64_e64 s0, 0, v[7:8]
	s_delay_alu instid0(VALU_DEP_1)
	s_and_b32 exec_lo, exec_lo, s0
	s_cbranch_execz .LBB181_8
; %bb.14:                               ;   in Loop: Header=BB181_9 Depth=1
	v_lshrrev_b64 v[1:2], s1, v[1:2]
	s_delay_alu instid0(VALU_DEP_1) | instskip(NEXT) | instid1(VALU_DEP_1)
	v_and_b32_e32 v1, 0xff, v1
	v_lshlrev_b32_e32 v1, 2, v1
	ds_add_u32 v1, v5
	s_branch .LBB181_8
.LBB181_15:
	s_lshl_b32 s17, s8, 8
.LBB181_16:
	s_bitcmp0_b32 s9, 0
	s_cbranch_scc1 .LBB181_21
; %bb.17:
	v_add_nc_u32_e32 v1, s17, v4
	s_mov_b32 s8, exec_lo
	s_delay_alu instid0(VALU_DEP_1)
	v_cmpx_gt_u32_e64 s13, v1
	s_cbranch_execz .LBB181_20
; %bb.18:
	v_mad_u64_u32 v[4:5], null, v1, s10, 0
	s_delay_alu instid0(VALU_DEP_1) | instskip(NEXT) | instid1(VALU_DEP_1)
	v_mov_b32_e32 v2, v5
	v_mad_u64_u32 v[5:6], null, v1, s11, v[2:3]
	s_delay_alu instid0(VALU_DEP_1) | instskip(NEXT) | instid1(VALU_DEP_1)
	v_lshlrev_b64 v[1:2], 3, v[4:5]
	v_add_co_u32 v1, s0, s12, v1
	s_delay_alu instid0(VALU_DEP_1) | instskip(SKIP_4) | instid1(VALU_DEP_1)
	v_add_co_ci_u32_e64 v2, s0, s14, v2, s0
	global_load_b64 v[1:2], v[1:2], off
	s_waitcnt vmcnt(0)
	v_cmp_o_f64_e64 s0, v[1:2], v[1:2]
	v_ashrrev_i32_e32 v4, 31, v2
	v_or_b32_e32 v5, 0x80000000, v4
	v_xor_b32_e32 v1, v4, v1
	s_delay_alu instid0(VALU_DEP_2) | instskip(NEXT) | instid1(VALU_DEP_1)
	v_xor_b32_e32 v5, v5, v2
	v_cndmask_b32_e64 v2, -1, v5, s0
	s_delay_alu instid0(VALU_DEP_3) | instskip(NEXT) | instid1(VALU_DEP_2)
	v_cndmask_b32_e64 v1, -1, v1, s0
	v_xor_b32_e32 v4, s7, v2
	s_delay_alu instid0(VALU_DEP_2) | instskip(NEXT) | instid1(VALU_DEP_2)
	v_xor_b32_e32 v6, s6, v1
	v_and_b32_e32 v5, s5, v4
	s_delay_alu instid0(VALU_DEP_2) | instskip(NEXT) | instid1(VALU_DEP_1)
	v_and_b32_e32 v4, s4, v6
	v_cmp_eq_u64_e64 s0, 0, v[4:5]
	s_delay_alu instid0(VALU_DEP_1)
	s_and_b32 exec_lo, exec_lo, s0
	s_cbranch_execz .LBB181_20
; %bb.19:
	v_lshrrev_b64 v[1:2], s1, v[1:2]
	s_delay_alu instid0(VALU_DEP_1) | instskip(NEXT) | instid1(VALU_DEP_1)
	v_dual_mov_b32 v2, 1 :: v_dual_and_b32 v1, 0xff, v1
	v_lshlrev_b32_e32 v1, 2, v1
	ds_add_u32 v1, v2
.LBB181_20:
	s_or_b32 exec_lo, exec_lo, s8
.LBB181_21:
	v_mov_b32_e32 v1, 0
	s_waitcnt lgkmcnt(0)
	s_barrier
	buffer_gl0_inv
	s_and_saveexec_b32 s0, vcc_lo
	s_cbranch_execz .LBB181_23
; %bb.22:
	ds_load_b32 v1, v3
.LBB181_23:
	s_or_b32 exec_lo, exec_lo, s0
	s_and_saveexec_b32 s0, vcc_lo
	s_cbranch_execz .LBB181_25
; %bb.24:
	v_lshl_or_b32 v2, s18, 8, v0
	v_mov_b32_e32 v3, 0
	s_delay_alu instid0(VALU_DEP_1) | instskip(NEXT) | instid1(VALU_DEP_1)
	v_lshlrev_b64 v[2:3], 1, v[2:3]
	v_add_co_u32 v2, vcc_lo, s2, v2
	s_delay_alu instid0(VALU_DEP_2)
	v_add_co_ci_u32_e32 v3, vcc_lo, s3, v3, vcc_lo
	s_waitcnt lgkmcnt(0)
	global_store_b16 v[2:3], v1, off
.LBB181_25:
	s_nop 0
	s_sendmsg sendmsg(MSG_DEALLOC_VGPRS)
	s_endpgm
	.section	.rodata,"a",@progbits
	.p2align	6, 0x0
	.amdhsa_kernel _ZN2at6native6mbtopk23computeBlockDigitCountsIdmmLi2EEEvNS_4cuda6detail10TensorInfoIKT_T0_EEjPjjS8_iijT1_PSB_Ps
		.amdhsa_group_segment_fixed_size 1024
		.amdhsa_private_segment_fixed_size 0
		.amdhsa_kernarg_size 744
		.amdhsa_user_sgpr_count 13
		.amdhsa_user_sgpr_dispatch_ptr 0
		.amdhsa_user_sgpr_queue_ptr 0
		.amdhsa_user_sgpr_kernarg_segment_ptr 1
		.amdhsa_user_sgpr_dispatch_id 0
		.amdhsa_user_sgpr_private_segment_size 0
		.amdhsa_wavefront_size32 1
		.amdhsa_uses_dynamic_stack 0
		.amdhsa_enable_private_segment 0
		.amdhsa_system_sgpr_workgroup_id_x 1
		.amdhsa_system_sgpr_workgroup_id_y 1
		.amdhsa_system_sgpr_workgroup_id_z 1
		.amdhsa_system_sgpr_workgroup_info 0
		.amdhsa_system_vgpr_workitem_id 0
		.amdhsa_next_free_vgpr 10
		.amdhsa_next_free_sgpr 27
		.amdhsa_reserve_vcc 1
		.amdhsa_float_round_mode_32 0
		.amdhsa_float_round_mode_16_64 0
		.amdhsa_float_denorm_mode_32 3
		.amdhsa_float_denorm_mode_16_64 3
		.amdhsa_dx10_clamp 1
		.amdhsa_ieee_mode 1
		.amdhsa_fp16_overflow 0
		.amdhsa_workgroup_processor_mode 1
		.amdhsa_memory_ordered 1
		.amdhsa_forward_progress 0
		.amdhsa_shared_vgpr_count 0
		.amdhsa_exception_fp_ieee_invalid_op 0
		.amdhsa_exception_fp_denorm_src 0
		.amdhsa_exception_fp_ieee_div_zero 0
		.amdhsa_exception_fp_ieee_overflow 0
		.amdhsa_exception_fp_ieee_underflow 0
		.amdhsa_exception_fp_ieee_inexact 0
		.amdhsa_exception_int_div_zero 0
	.end_amdhsa_kernel
	.section	.text._ZN2at6native6mbtopk23computeBlockDigitCountsIdmmLi2EEEvNS_4cuda6detail10TensorInfoIKT_T0_EEjPjjS8_iijT1_PSB_Ps,"axG",@progbits,_ZN2at6native6mbtopk23computeBlockDigitCountsIdmmLi2EEEvNS_4cuda6detail10TensorInfoIKT_T0_EEjPjjS8_iijT1_PSB_Ps,comdat
.Lfunc_end181:
	.size	_ZN2at6native6mbtopk23computeBlockDigitCountsIdmmLi2EEEvNS_4cuda6detail10TensorInfoIKT_T0_EEjPjjS8_iijT1_PSB_Ps, .Lfunc_end181-_ZN2at6native6mbtopk23computeBlockDigitCountsIdmmLi2EEEvNS_4cuda6detail10TensorInfoIKT_T0_EEjPjjS8_iijT1_PSB_Ps
                                        ; -- End function
	.section	.AMDGPU.csdata,"",@progbits
; Kernel info:
; codeLenInByte = 1488
; NumSgprs: 29
; NumVgprs: 10
; ScratchSize: 0
; MemoryBound: 0
; FloatMode: 240
; IeeeMode: 1
; LDSByteSize: 1024 bytes/workgroup (compile time only)
; SGPRBlocks: 3
; VGPRBlocks: 1
; NumSGPRsForWavesPerEU: 29
; NumVGPRsForWavesPerEU: 10
; Occupancy: 16
; WaveLimiterHint : 1
; COMPUTE_PGM_RSRC2:SCRATCH_EN: 0
; COMPUTE_PGM_RSRC2:USER_SGPR: 13
; COMPUTE_PGM_RSRC2:TRAP_HANDLER: 0
; COMPUTE_PGM_RSRC2:TGID_X_EN: 1
; COMPUTE_PGM_RSRC2:TGID_Y_EN: 1
; COMPUTE_PGM_RSRC2:TGID_Z_EN: 1
; COMPUTE_PGM_RSRC2:TIDIG_COMP_CNT: 0
	.section	.text._ZN2at6native6mbtopk10gatherTopKIdmLi2EEEvNS_4cuda6detail10TensorInfoIKT_T0_EES8_S8_bjS8_NS5_IS6_S8_EES8_NS5_IlS8_EES8_jjPS6_PjSD_j,"axG",@progbits,_ZN2at6native6mbtopk10gatherTopKIdmLi2EEEvNS_4cuda6detail10TensorInfoIKT_T0_EES8_S8_bjS8_NS5_IS6_S8_EES8_NS5_IlS8_EES8_jjPS6_PjSD_j,comdat
	.protected	_ZN2at6native6mbtopk10gatherTopKIdmLi2EEEvNS_4cuda6detail10TensorInfoIKT_T0_EES8_S8_bjS8_NS5_IS6_S8_EES8_NS5_IlS8_EES8_jjPS6_PjSD_j ; -- Begin function _ZN2at6native6mbtopk10gatherTopKIdmLi2EEEvNS_4cuda6detail10TensorInfoIKT_T0_EES8_S8_bjS8_NS5_IS6_S8_EES8_NS5_IlS8_EES8_jjPS6_PjSD_j
	.globl	_ZN2at6native6mbtopk10gatherTopKIdmLi2EEEvNS_4cuda6detail10TensorInfoIKT_T0_EES8_S8_bjS8_NS5_IS6_S8_EES8_NS5_IlS8_EES8_jjPS6_PjSD_j
	.p2align	8
	.type	_ZN2at6native6mbtopk10gatherTopKIdmLi2EEEvNS_4cuda6detail10TensorInfoIKT_T0_EES8_S8_bjS8_NS5_IS6_S8_EES8_NS5_IlS8_EES8_jjPS6_PjSD_j,@function
_ZN2at6native6mbtopk10gatherTopKIdmLi2EEEvNS_4cuda6detail10TensorInfoIKT_T0_EES8_S8_bjS8_NS5_IS6_S8_EES8_NS5_IlS8_EES8_jjPS6_PjSD_j: ; @_ZN2at6native6mbtopk10gatherTopKIdmLi2EEEvNS_4cuda6detail10TensorInfoIKT_T0_EES8_S8_bjS8_NS5_IS6_S8_EES8_NS5_IlS8_EES8_jjPS6_PjSD_j
; %bb.0:
	s_clause 0x1
	s_load_b64 s[2:3], s[0:1], 0x538
	s_load_b32 s4, s[0:1], 0x530
	s_waitcnt lgkmcnt(0)
	s_mul_i32 s3, s3, s15
	s_delay_alu instid0(SALU_CYCLE_1) | instskip(NEXT) | instid1(SALU_CYCLE_1)
	s_add_i32 s3, s3, s14
	s_mul_i32 s2, s3, s2
	s_delay_alu instid0(SALU_CYCLE_1) | instskip(NEXT) | instid1(SALU_CYCLE_1)
	s_add_i32 s2, s2, s13
	s_cmp_ge_u32 s2, s4
	s_cbranch_scc1 .LBB182_48
; %bb.1:
	s_clause 0x1
	s_load_b64 s[28:29], s[0:1], 0x510
	s_load_b64 s[40:41], s[0:1], 0x1d0
	s_mov_b32 s31, 0
	s_waitcnt lgkmcnt(0)
	v_cvt_f32_u32_e32 v1, s29
	s_sub_i32 s4, 0, s29
	s_lshl_b32 s33, s28, 8
	s_delay_alu instid0(VALU_DEP_1) | instskip(SKIP_2) | instid1(VALU_DEP_1)
	v_rcp_iflag_f32_e32 v1, v1
	s_waitcnt_depctr 0xfff
	v_mul_f32_e32 v1, 0x4f7ffffe, v1
	v_cvt_u32_f32_e32 v1, v1
	s_delay_alu instid0(VALU_DEP_1) | instskip(NEXT) | instid1(VALU_DEP_1)
	v_readfirstlane_b32 s3, v1
	s_mul_i32 s4, s4, s3
	s_delay_alu instid0(SALU_CYCLE_1) | instskip(NEXT) | instid1(SALU_CYCLE_1)
	s_mul_hi_u32 s4, s3, s4
	s_add_i32 s3, s3, s4
	s_clause 0x1
	s_load_b128 s[4:7], s[0:1], 0x1a0
	s_load_b64 s[36:37], s[0:1], 0x10
	s_mul_hi_u32 s3, s2, s3
	s_delay_alu instid0(SALU_CYCLE_1) | instskip(SKIP_2) | instid1(SALU_CYCLE_1)
	s_mul_i32 s8, s3, s29
	s_add_i32 s9, s3, 1
	s_sub_i32 s8, s2, s8
	s_sub_i32 s10, s8, s29
	s_cmp_ge_u32 s8, s29
	s_cselect_b32 s3, s9, s3
	s_cselect_b32 s8, s10, s8
	s_add_i32 s9, s3, 1
	s_cmp_ge_u32 s8, s29
	s_cselect_b32 s30, s9, s3
	s_delay_alu instid0(SALU_CYCLE_1) | instskip(NEXT) | instid1(SALU_CYCLE_1)
	s_mul_i32 s16, s30, s29
	s_sub_i32 s50, s2, s16
	s_delay_alu instid0(SALU_CYCLE_1) | instskip(NEXT) | instid1(SALU_CYCLE_1)
	s_add_i32 s2, s50, 1
	s_cmp_lt_u32 s2, s29
	s_cbranch_scc1 .LBB182_3
; %bb.2:
	s_mul_i32 s2, s50, s33
	s_waitcnt lgkmcnt(0)
	s_sub_u32 s2, s4, s2
	s_subb_u32 s3, s5, 0
	s_add_u32 s2, s2, 0xff
	s_addc_u32 s3, s3, 0
	s_delay_alu instid0(SALU_CYCLE_1) | instskip(NEXT) | instid1(SALU_CYCLE_1)
	s_ashr_i32 s8, s3, 31
	s_lshr_b32 s8, s8, 24
	s_delay_alu instid0(SALU_CYCLE_1) | instskip(SKIP_1) | instid1(SALU_CYCLE_1)
	s_add_u32 s2, s2, s8
	s_addc_u32 s3, s3, 0
	v_alignbit_b32 v1, s3, s2, 8
	s_delay_alu instid0(VALU_DEP_1)
	v_readfirstlane_b32 s28, v1
.LBB182_3:
	s_load_b64 s[42:43], s[0:1], 0x378
	s_waitcnt lgkmcnt(0)
	v_cmp_lt_u64_e64 s2, s[30:31], s[36:37]
	s_mov_b64 s[34:35], 0
	s_mov_b64 s[38:39], 0
	s_delay_alu instid0(VALU_DEP_1)
	s_and_b32 vcc_lo, exec_lo, s2
	s_cbranch_vccz .LBB182_20
; %bb.4:
	v_cmp_lt_u64_e64 s2, s[30:31], s[40:41]
	s_delay_alu instid0(VALU_DEP_1)
	s_and_b32 vcc_lo, exec_lo, s2
	s_cbranch_vccz .LBB182_21
.LBB182_5:
	v_cmp_lt_u64_e64 s2, s[30:31], s[42:43]
	s_mov_b64 s[44:45], 0
	s_delay_alu instid0(VALU_DEP_1)
	s_and_b32 vcc_lo, exec_lo, s2
	s_cbranch_vccnz .LBB182_7
.LBB182_6:
	v_cvt_f32_u32_e32 v1, s42
	s_sub_i32 s3, 0, s42
	s_waitcnt_depctr 0xfff
	v_rcp_iflag_f32_e32 v1, v1
	s_waitcnt_depctr 0xfff
	v_mul_f32_e32 v1, 0x4f7ffffe, v1
	s_delay_alu instid0(VALU_DEP_1) | instskip(NEXT) | instid1(VALU_DEP_1)
	v_cvt_u32_f32_e32 v1, v1
	v_readfirstlane_b32 s2, v1
	s_delay_alu instid0(VALU_DEP_1) | instskip(NEXT) | instid1(SALU_CYCLE_1)
	s_mul_i32 s3, s3, s2
	s_mul_hi_u32 s3, s2, s3
	s_delay_alu instid0(SALU_CYCLE_1) | instskip(NEXT) | instid1(SALU_CYCLE_1)
	s_add_i32 s2, s2, s3
	s_mul_hi_u32 s2, s30, s2
	s_delay_alu instid0(SALU_CYCLE_1) | instskip(SKIP_2) | instid1(SALU_CYCLE_1)
	s_mul_i32 s3, s2, s42
	s_add_i32 s8, s2, 1
	s_sub_i32 s3, s30, s3
	s_sub_i32 s9, s3, s42
	s_cmp_ge_u32 s3, s42
	s_cselect_b32 s2, s8, s2
	s_cselect_b32 s3, s9, s3
	s_add_i32 s8, s2, 1
	s_cmp_ge_u32 s3, s42
	s_cselect_b32 s44, s8, s2
.LBB182_7:
	s_load_b128 s[8:11], s[0:1], 0x518
	s_lshl_b64 s[2:3], s[30:31], 3
	s_mov_b32 s17, 0
	s_waitcnt lgkmcnt(0)
	s_add_u32 s2, s8, s2
	s_addc_u32 s3, s9, s3
	s_load_b64 s[48:49], s[0:1], 0x0
	s_load_b64 s[46:47], s[2:3], 0x0
	v_cmp_ne_u32_e64 s2, 0, v0
	v_cmp_eq_u32_e64 s3, 0, v0
	s_delay_alu instid0(VALU_DEP_1)
	s_and_saveexec_b32 s22, s3
	s_cbranch_execz .LBB182_25
; %bb.8:
	s_load_b64 s[8:9], s[0:1], 0x528
	s_lshl_b64 s[18:19], s[16:17], 2
	s_mov_b32 s16, 0
	s_add_u32 s12, s10, s18
	s_addc_u32 s13, s11, s19
	s_mov_b32 s23, 0
	s_waitcnt lgkmcnt(0)
	s_add_u32 s14, s8, s18
	s_addc_u32 s15, s9, s19
	s_cmp_lt_u32 s29, 4
	s_cbranch_scc1 .LBB182_22
; %bb.9:
	s_mov_b32 s24, 0
.LBB182_10:                             ; =>This Inner Loop Header: Depth=1
	s_add_u32 s12, s10, s18
	s_addc_u32 s13, s11, s19
	s_add_u32 s20, s8, s18
	s_load_b128 s[12:15], s[12:13], 0x0
	s_addc_u32 s21, s9, s19
	s_cmp_ge_u32 s24, s50
	s_cbranch_scc0 .LBB182_17
; %bb.11:                               ;   in Loop: Header=BB182_10 Depth=1
	s_add_i32 s25, s24, 1
	s_delay_alu instid0(SALU_CYCLE_1)
	s_cmp_ge_u32 s25, s50
	s_cbranch_scc0 .LBB182_18
.LBB182_12:                             ;   in Loop: Header=BB182_10 Depth=1
	s_add_i32 s25, s25, 1
	s_delay_alu instid0(SALU_CYCLE_1)
	s_cmp_ge_u32 s25, s50
	s_cbranch_scc0 .LBB182_19
.LBB182_13:                             ;   in Loop: Header=BB182_10 Depth=1
	s_add_i32 s25, s25, 1
	s_delay_alu instid0(SALU_CYCLE_1)
	s_cmp_ge_u32 s25, s50
	s_cbranch_scc1 .LBB182_15
.LBB182_14:                             ;   in Loop: Header=BB182_10 Depth=1
	s_load_b32 s20, s[20:21], 0xc
	s_waitcnt lgkmcnt(0)
	s_add_i32 s17, s17, s15
	s_add_i32 s16, s20, s16
.LBB182_15:                             ;   in Loop: Header=BB182_10 Depth=1
	s_waitcnt lgkmcnt(0)
	s_add_i32 s12, s12, s23
	s_delay_alu instid0(SALU_CYCLE_1) | instskip(NEXT) | instid1(SALU_CYCLE_1)
	s_add_i32 s12, s12, s13
	s_add_i32 s12, s12, s14
	s_delay_alu instid0(SALU_CYCLE_1)
	s_add_i32 s23, s12, s15
	s_add_u32 s10, s10, 16
	s_addc_u32 s11, s11, 0
	s_add_u32 s8, s8, 16
	s_addc_u32 s9, s9, 0
	s_add_i32 s21, s25, 4
	s_add_u32 s14, s8, s18
	s_addc_u32 s15, s9, s19
	s_add_u32 s12, s10, s18
	s_addc_u32 s13, s11, s19
	s_add_i32 s20, s25, 1
	s_cmp_ge_u32 s21, s29
	s_cbranch_scc1 .LBB182_23
; %bb.16:                               ;   in Loop: Header=BB182_10 Depth=1
	s_mov_b32 s24, s20
	s_branch .LBB182_10
.LBB182_17:                             ;   in Loop: Header=BB182_10 Depth=1
	s_load_b32 s25, s[20:21], 0x0
	s_waitcnt lgkmcnt(0)
	s_add_i32 s17, s12, s17
	s_add_i32 s16, s25, s16
	;; [unrolled: 1-line block ×3, first 2 shown]
	s_delay_alu instid0(SALU_CYCLE_1)
	s_cmp_ge_u32 s25, s50
	s_cbranch_scc1 .LBB182_12
.LBB182_18:                             ;   in Loop: Header=BB182_10 Depth=1
	s_load_b32 s26, s[20:21], 0x4
	s_waitcnt lgkmcnt(0)
	s_add_i32 s17, s17, s13
	s_add_i32 s16, s26, s16
	;; [unrolled: 1-line block ×3, first 2 shown]
	s_delay_alu instid0(SALU_CYCLE_1)
	s_cmp_ge_u32 s25, s50
	s_cbranch_scc1 .LBB182_13
.LBB182_19:                             ;   in Loop: Header=BB182_10 Depth=1
	s_load_b32 s26, s[20:21], 0x8
	s_waitcnt lgkmcnt(0)
	s_add_i32 s17, s17, s14
	s_add_i32 s16, s26, s16
	;; [unrolled: 1-line block ×3, first 2 shown]
	s_delay_alu instid0(SALU_CYCLE_1)
	s_cmp_ge_u32 s25, s50
	s_cbranch_scc0 .LBB182_14
	s_branch .LBB182_15
.LBB182_20:
	v_cvt_f32_u32_e32 v1, s36
	s_sub_i32 s3, 0, s36
	s_delay_alu instid0(VALU_DEP_1) | instskip(SKIP_2) | instid1(VALU_DEP_1)
	v_rcp_iflag_f32_e32 v1, v1
	s_waitcnt_depctr 0xfff
	v_mul_f32_e32 v1, 0x4f7ffffe, v1
	v_cvt_u32_f32_e32 v1, v1
	s_delay_alu instid0(VALU_DEP_1) | instskip(NEXT) | instid1(VALU_DEP_1)
	v_readfirstlane_b32 s2, v1
	s_mul_i32 s3, s3, s2
	s_delay_alu instid0(SALU_CYCLE_1) | instskip(NEXT) | instid1(SALU_CYCLE_1)
	s_mul_hi_u32 s3, s2, s3
	s_add_i32 s2, s2, s3
	s_delay_alu instid0(SALU_CYCLE_1) | instskip(NEXT) | instid1(SALU_CYCLE_1)
	s_mul_hi_u32 s2, s30, s2
	s_mul_i32 s3, s2, s36
	s_add_i32 s8, s2, 1
	s_sub_i32 s3, s30, s3
	s_delay_alu instid0(SALU_CYCLE_1)
	s_sub_i32 s9, s3, s36
	s_cmp_ge_u32 s3, s36
	s_cselect_b32 s2, s8, s2
	s_cselect_b32 s3, s9, s3
	s_add_i32 s8, s2, 1
	s_cmp_ge_u32 s3, s36
	s_cselect_b32 s38, s8, s2
	v_cmp_lt_u64_e64 s2, s[30:31], s[40:41]
	s_delay_alu instid0(VALU_DEP_1)
	s_and_b32 vcc_lo, exec_lo, s2
	s_cbranch_vccnz .LBB182_5
.LBB182_21:
	v_cvt_f32_u32_e32 v1, s40
	s_sub_i32 s3, 0, s40
	s_delay_alu instid0(VALU_DEP_1) | instskip(SKIP_2) | instid1(VALU_DEP_1)
	v_rcp_iflag_f32_e32 v1, v1
	s_waitcnt_depctr 0xfff
	v_mul_f32_e32 v1, 0x4f7ffffe, v1
	v_cvt_u32_f32_e32 v1, v1
	s_delay_alu instid0(VALU_DEP_1) | instskip(NEXT) | instid1(VALU_DEP_1)
	v_readfirstlane_b32 s2, v1
	s_mul_i32 s3, s3, s2
	s_delay_alu instid0(SALU_CYCLE_1) | instskip(NEXT) | instid1(SALU_CYCLE_1)
	s_mul_hi_u32 s3, s2, s3
	s_add_i32 s2, s2, s3
	s_delay_alu instid0(SALU_CYCLE_1) | instskip(NEXT) | instid1(SALU_CYCLE_1)
	s_mul_hi_u32 s2, s30, s2
	s_mul_i32 s3, s2, s40
	s_add_i32 s8, s2, 1
	s_sub_i32 s3, s30, s3
	s_delay_alu instid0(SALU_CYCLE_1)
	s_sub_i32 s9, s3, s40
	s_cmp_ge_u32 s3, s40
	s_cselect_b32 s2, s8, s2
	s_cselect_b32 s3, s9, s3
	s_add_i32 s8, s2, 1
	s_cmp_ge_u32 s3, s40
	s_cselect_b32 s34, s8, s2
	v_cmp_lt_u64_e64 s2, s[30:31], s[42:43]
	s_mov_b64 s[44:45], 0
	s_delay_alu instid0(VALU_DEP_1)
	s_and_b32 vcc_lo, exec_lo, s2
	s_cbranch_vccz .LBB182_6
	s_branch .LBB182_7
.LBB182_22:
	s_mov_b32 s8, 0
	s_delay_alu instid0(SALU_CYCLE_1)
	s_cmp_ge_u32 s8, s29
	s_cbranch_scc0 .LBB182_46
	s_branch .LBB182_24
.LBB182_23:
	s_add_i32 s8, s24, 4
	s_delay_alu instid0(SALU_CYCLE_1)
	s_cmp_ge_u32 s8, s29
	s_cbranch_scc0 .LBB182_46
.LBB182_24:
	v_dual_mov_b32 v1, s16 :: v_dual_mov_b32 v2, s23
	v_dual_mov_b32 v3, s17 :: v_dual_mov_b32 v4, 0
	ds_store_b96 v4, v[1:3] offset:1056
.LBB182_25:
	s_or_b32 exec_lo, exec_lo, s22
	s_clause 0x4
	s_load_b128 s[8:11], s[0:1], 0x1b8
	s_load_b128 s[24:27], s[0:1], 0xd0
	s_load_b128 s[12:15], s[0:1], 0x360
	s_load_b128 s[20:23], s[0:1], 0x290
	s_load_b128 s[16:19], s[0:1], 0x438
	s_cmp_eq_u32 s28, 0
	s_waitcnt lgkmcnt(0)
	s_barrier
	buffer_gl0_inv
	s_cbranch_scc1 .LBB182_48
; %bb.26:
	s_mul_i32 s29, s34, s41
	s_mul_hi_u32 s31, s34, s40
	s_mul_i32 s35, s34, s40
	s_add_i32 s31, s31, s29
	s_sub_u32 s29, s30, s35
	s_subb_u32 s31, 0, s31
	s_mul_i32 s23, s29, s23
	s_mul_hi_u32 s35, s29, s22
	s_mul_i32 s31, s31, s22
	s_add_i32 s23, s35, s23
	s_mul_i32 s35, s34, s21
	s_mul_hi_u32 s39, s34, s20
	s_add_i32 s21, s23, s31
	s_add_i32 s31, s39, s35
	s_mul_i32 s23, s38, s37
	s_mul_hi_u32 s35, s38, s36
	s_mul_i32 s36, s38, s36
	s_add_i32 s35, s35, s23
	s_sub_u32 s23, s30, s36
	s_subb_u32 s35, 0, s35
	s_mul_i32 s27, s23, s27
	s_mul_hi_u32 s36, s23, s26
	v_cmp_o_f64_e64 s37, s[46:47], s[46:47]
	s_add_i32 s27, s36, s27
	s_mul_i32 s35, s35, s26
	s_mul_i32 s25, s38, s25
	s_add_i32 s27, s27, s35
	s_mul_hi_u32 s35, s38, s24
	s_mul_i32 s26, s23, s26
	s_add_i32 s25, s35, s25
	s_mul_i32 s23, s44, s43
	s_mul_hi_u32 s35, s44, s42
	s_mul_i32 s36, s44, s42
	s_add_i32 s35, s35, s23
	s_sub_u32 s36, s30, s36
	s_subb_u32 s23, 0, s35
	s_mul_i32 s19, s36, s19
	s_mul_hi_u32 s30, s36, s18
	s_mul_i32 s23, s23, s18
	s_add_i32 s19, s30, s19
	s_mul_i32 s24, s38, s24
	s_add_i32 s23, s19, s23
	s_mul_i32 s17, s44, s17
	s_mul_hi_u32 s19, s44, s16
	s_lshl_b64 s[24:25], s[24:25], 3
	s_add_i32 s35, s19, s17
	v_dual_mov_b32 v5, 0 :: v_dual_add_nc_u32 v4, -1, v0
	s_add_u32 s17, s48, s24
	s_addc_u32 s19, s49, s25
	s_lshl_b64 s[24:25], s[26:27], 3
	s_mul_i32 s30, s34, s20
	s_add_u32 s17, s17, s24
	s_addc_u32 s19, s19, s25
	s_lshl_b64 s[24:25], s[30:31], 3
	ds_load_b96 v[1:3], v5 offset:1056
	s_mul_i32 s20, s29, s22
	s_add_u32 s22, s10, s24
	s_addc_u32 s24, s11, s25
	s_lshl_b64 s[10:11], s[20:21], 3
	s_mul_i32 s34, s44, s16
	s_add_u32 s16, s22, s10
	s_addc_u32 s20, s24, s11
	s_lshl_b64 s[10:11], s[34:35], 3
	;; [unrolled: 4-line block ×3, first 2 shown]
	s_load_b32 s22, s[0:1], 0x1b0
	s_add_u32 s18, s14, s10
	s_addc_u32 s21, s15, s11
	s_ashr_i32 s10, s47, 31
	v_lshlrev_b32_e32 v8, 3, v0
	s_or_b32 s11, s10, 0x80000000
	v_lshrrev_b32_e32 v9, 2, v0
	s_xor_b64 s[10:11], s[10:11], s[46:47]
	s_and_b32 s14, s37, exec_lo
	s_load_b64 s[14:15], s[0:1], 0x508
	s_waitcnt lgkmcnt(0)
	v_add_nc_u32_e32 v1, v1, v2
	v_lshrrev_b32_e32 v2, 5, v0
	v_lshrrev_b32_e32 v12, 5, v4
	v_mbcnt_lo_u32_b32 v10, -1, 0
	v_cmp_gt_u32_e64 s0, 32, v0
	v_mad_u64_u32 v[6:7], null, s50, s33, v[0:1]
	v_add_lshl_u32 v11, v2, v0, 2
	v_add_lshl_u32 v0, v9, v8, 2
	;; [unrolled: 1-line block ×3, first 2 shown]
	v_and_b32_e32 v13, 15, v10
	v_bfe_i32 v14, v10, 4, 1
	v_dual_mov_b32 v4, v6 :: v_dual_add_nc_u32 v15, -1, v10
	s_cselect_b32 s11, s11, -1
	s_cselect_b32 s10, s10, -1
	s_bitcmp1_b32 s22, 0
                                        ; implicit-def: $vgpr6_vgpr7
	s_cselect_b32 s1, -1, 0
	s_branch .LBB182_29
.LBB182_27:                             ;   in Loop: Header=BB182_29 Depth=1
	s_or_b32 exec_lo, exec_lo, s22
	v_add_nc_u32_e32 v1, v2, v1
.LBB182_28:                             ;   in Loop: Header=BB182_29 Depth=1
	v_add_nc_u32_e32 v3, v16, v3
	v_add_nc_u32_e32 v4, 0x100, v4
	s_add_i32 s28, s28, -1
	s_delay_alu instid0(SALU_CYCLE_1)
	s_cmp_lg_u32 s28, 0
	s_cbranch_scc0 .LBB182_48
.LBB182_29:                             ; =>This Inner Loop Header: Depth=1
	v_mov_b32_e32 v2, v5
	v_mov_b32_e32 v8, v5
	s_mov_b32 s22, exec_lo
	v_cmpx_gt_u64_e64 s[4:5], v[4:5]
	s_cbranch_execz .LBB182_31
; %bb.30:                               ;   in Loop: Header=BB182_29 Depth=1
	v_mad_u64_u32 v[6:7], null, v4, s8, 0
	s_delay_alu instid0(VALU_DEP_1) | instskip(NEXT) | instid1(VALU_DEP_1)
	v_mov_b32_e32 v2, v7
	v_mad_u64_u32 v[7:8], null, v4, s9, v[2:3]
	s_delay_alu instid0(VALU_DEP_1) | instskip(NEXT) | instid1(VALU_DEP_1)
	v_lshlrev_b64 v[6:7], 3, v[6:7]
	v_add_co_u32 v6, vcc_lo, s17, v6
	s_delay_alu instid0(VALU_DEP_2) | instskip(SKIP_4) | instid1(VALU_DEP_1)
	v_add_co_ci_u32_e32 v7, vcc_lo, s19, v7, vcc_lo
	global_load_b64 v[6:7], v[6:7], off
	s_waitcnt vmcnt(0)
	v_cmp_o_f64_e32 vcc_lo, v[6:7], v[6:7]
	v_ashrrev_i32_e32 v2, 31, v7
	v_or_b32_e32 v8, 0x80000000, v2
	v_xor_b32_e32 v2, v2, v6
	s_delay_alu instid0(VALU_DEP_2) | instskip(NEXT) | instid1(VALU_DEP_1)
	v_xor_b32_e32 v8, v8, v7
	v_dual_cndmask_b32 v9, -1, v8 :: v_dual_cndmask_b32 v8, -1, v2
	s_delay_alu instid0(VALU_DEP_1) | instskip(SKIP_4) | instid1(VALU_DEP_2)
	v_cmp_lt_u64_e32 vcc_lo, s[10:11], v[8:9]
	v_cndmask_b32_e64 v2, 0, 1, vcc_lo
	v_cmp_gt_u64_e32 vcc_lo, s[10:11], v[8:9]
	v_cndmask_b32_e64 v16, 0, 1, vcc_lo
	v_cmp_eq_u64_e32 vcc_lo, s[10:11], v[8:9]
	v_cndmask_b32_e64 v2, v16, v2, s1
	v_cndmask_b32_e64 v8, 0, 1, vcc_lo
	s_delay_alu instid0(VALU_DEP_2)
	v_and_b32_e32 v2, 1, v2
.LBB182_31:                             ;   in Loop: Header=BB182_29 Depth=1
	s_or_b32 exec_lo, exec_lo, s22
	ds_store_b32 v11, v2
	s_waitcnt lgkmcnt(0)
	s_waitcnt_vscnt null, 0x0
	s_barrier
	buffer_gl0_inv
	s_and_saveexec_b32 s22, s0
	s_cbranch_execz .LBB182_33
; %bb.32:                               ;   in Loop: Header=BB182_29 Depth=1
	ds_load_2addr_b32 v[16:17], v0 offset1:1
	ds_load_2addr_b32 v[18:19], v0 offset0:2 offset1:3
	ds_load_2addr_b32 v[20:21], v0 offset0:4 offset1:5
	;; [unrolled: 1-line block ×3, first 2 shown]
	v_cmp_ne_u32_e32 vcc_lo, 0, v13
	; wave barrier
	s_waitcnt lgkmcnt(3)
	v_add_nc_u32_e32 v9, v17, v16
	s_waitcnt lgkmcnt(2)
	s_delay_alu instid0(VALU_DEP_1) | instskip(SKIP_1) | instid1(VALU_DEP_1)
	v_add3_u32 v9, v9, v18, v19
	s_waitcnt lgkmcnt(1)
	v_add3_u32 v9, v9, v20, v21
	s_waitcnt lgkmcnt(0)
	s_delay_alu instid0(VALU_DEP_1) | instskip(NEXT) | instid1(VALU_DEP_1)
	v_add3_u32 v9, v9, v22, v23
	v_mov_b32_dpp v17, v9 row_shr:1 row_mask:0xf bank_mask:0xf
	s_delay_alu instid0(VALU_DEP_1) | instskip(SKIP_1) | instid1(VALU_DEP_2)
	v_cndmask_b32_e32 v17, 0, v17, vcc_lo
	v_cmp_lt_u32_e32 vcc_lo, 1, v13
	v_add_nc_u32_e32 v9, v17, v9
	s_delay_alu instid0(VALU_DEP_1) | instskip(NEXT) | instid1(VALU_DEP_1)
	v_mov_b32_dpp v17, v9 row_shr:2 row_mask:0xf bank_mask:0xf
	v_cndmask_b32_e32 v17, 0, v17, vcc_lo
	v_cmp_lt_u32_e32 vcc_lo, 3, v13
	s_delay_alu instid0(VALU_DEP_2) | instskip(NEXT) | instid1(VALU_DEP_1)
	v_add_nc_u32_e32 v9, v9, v17
	v_mov_b32_dpp v17, v9 row_shr:4 row_mask:0xf bank_mask:0xf
	s_delay_alu instid0(VALU_DEP_1) | instskip(SKIP_1) | instid1(VALU_DEP_2)
	v_cndmask_b32_e32 v17, 0, v17, vcc_lo
	v_cmp_lt_u32_e32 vcc_lo, 7, v13
	v_add_nc_u32_e32 v9, v9, v17
	s_delay_alu instid0(VALU_DEP_1) | instskip(NEXT) | instid1(VALU_DEP_1)
	v_mov_b32_dpp v17, v9 row_shr:8 row_mask:0xf bank_mask:0xf
	v_cndmask_b32_e32 v17, 0, v17, vcc_lo
	v_cmp_gt_i32_e32 vcc_lo, 0, v15
	s_delay_alu instid0(VALU_DEP_2) | instskip(SKIP_4) | instid1(VALU_DEP_1)
	v_dual_cndmask_b32 v18, v15, v10 :: v_dual_add_nc_u32 v9, v9, v17
	ds_swizzle_b32 v17, v9 offset:swizzle(BROADCAST,32,15)
	v_lshlrev_b32_e32 v18, 2, v18
	s_waitcnt lgkmcnt(0)
	v_and_b32_e32 v17, v14, v17
	v_add_nc_u32_e32 v9, v9, v17
	ds_bpermute_b32 v9, v18, v9
	s_waitcnt lgkmcnt(0)
	v_add_nc_u32_e32 v9, v9, v16
	s_delay_alu instid0(VALU_DEP_1)
	v_cndmask_b32_e64 v9, v9, v2, s3
	ds_store_b32 v0, v9
	; wave barrier
	ds_load_2addr_b32 v[16:17], v0 offset0:1 offset1:2
	ds_load_2addr_b32 v[18:19], v0 offset0:3 offset1:4
	;; [unrolled: 1-line block ×3, first 2 shown]
	ds_load_b32 v22, v0 offset:28
	s_waitcnt lgkmcnt(3)
	v_add_nc_u32_e32 v9, v16, v9
	s_delay_alu instid0(VALU_DEP_1) | instskip(SKIP_1) | instid1(VALU_DEP_1)
	v_add_nc_u32_e32 v16, v17, v9
	s_waitcnt lgkmcnt(2)
	v_add_nc_u32_e32 v17, v18, v16
	s_delay_alu instid0(VALU_DEP_1) | instskip(SKIP_1) | instid1(VALU_DEP_1)
	v_add_nc_u32_e32 v18, v19, v17
	;; [unrolled: 4-line block ×3, first 2 shown]
	s_waitcnt lgkmcnt(0)
	v_add_nc_u32_e32 v21, v22, v20
	ds_store_2addr_b32 v0, v9, v16 offset0:1 offset1:2
	ds_store_2addr_b32 v0, v17, v18 offset0:3 offset1:4
	;; [unrolled: 1-line block ×3, first 2 shown]
	ds_store_b32 v0, v21 offset:28
.LBB182_33:                             ;   in Loop: Header=BB182_29 Depth=1
	s_or_b32 exec_lo, exec_lo, s22
	v_mov_b32_e32 v9, 0
	s_waitcnt lgkmcnt(0)
	s_barrier
	buffer_gl0_inv
	s_and_saveexec_b32 s22, s2
	s_cbranch_execz .LBB182_35
; %bb.34:                               ;   in Loop: Header=BB182_29 Depth=1
	ds_load_b32 v9, v12
.LBB182_35:                             ;   in Loop: Header=BB182_29 Depth=1
	s_or_b32 exec_lo, exec_lo, s22
	ds_load_b32 v16, v5 offset:1048
	s_mov_b32 s22, exec_lo
	s_waitcnt lgkmcnt(0)
	s_barrier
	buffer_gl0_inv
	v_cmpx_ne_u32_e32 0, v2
	s_cbranch_execz .LBB182_37
; %bb.36:                               ;   in Loop: Header=BB182_29 Depth=1
	v_add_nc_u32_e32 v23, v9, v3
	s_delay_alu instid0(VALU_DEP_1) | instskip(NEXT) | instid1(VALU_DEP_1)
	v_mad_u64_u32 v[17:18], null, v23, s12, 0
	v_mov_b32_e32 v2, v18
	v_mad_u64_u32 v[19:20], null, v23, s14, 0
	s_delay_alu instid0(VALU_DEP_1) | instskip(NEXT) | instid1(VALU_DEP_3)
	v_mov_b32_e32 v9, v20
	v_mad_u64_u32 v[20:21], null, v23, s13, v[2:3]
	s_delay_alu instid0(VALU_DEP_2) | instskip(NEXT) | instid1(VALU_DEP_2)
	v_mad_u64_u32 v[21:22], null, v23, s15, v[9:10]
	v_mov_b32_e32 v18, v20
	s_delay_alu instid0(VALU_DEP_2) | instskip(NEXT) | instid1(VALU_DEP_2)
	v_mov_b32_e32 v20, v21
	v_lshlrev_b64 v[17:18], 3, v[17:18]
	s_delay_alu instid0(VALU_DEP_2) | instskip(NEXT) | instid1(VALU_DEP_2)
	v_lshlrev_b64 v[19:20], 3, v[19:20]
	v_add_co_u32 v17, vcc_lo, s16, v17
	s_delay_alu instid0(VALU_DEP_3) | instskip(NEXT) | instid1(VALU_DEP_3)
	v_add_co_ci_u32_e32 v18, vcc_lo, s20, v18, vcc_lo
	v_add_co_u32 v19, vcc_lo, s18, v19
	s_delay_alu instid0(VALU_DEP_4)
	v_add_co_ci_u32_e32 v20, vcc_lo, s21, v20, vcc_lo
	global_store_b64 v[17:18], v[6:7], off
	global_store_b64 v[19:20], v[4:5], off
.LBB182_37:                             ;   in Loop: Header=BB182_29 Depth=1
	s_or_b32 exec_lo, exec_lo, s22
	v_mov_b32_e32 v2, v5
	s_delay_alu instid0(VALU_DEP_1)
	v_cmp_le_u64_e32 vcc_lo, s[6:7], v[1:2]
	s_cbranch_vccnz .LBB182_28
; %bb.38:                               ;   in Loop: Header=BB182_29 Depth=1
	ds_store_b32 v11, v8
	s_waitcnt lgkmcnt(0)
	s_waitcnt_vscnt null, 0x0
	s_barrier
	buffer_gl0_inv
	s_and_saveexec_b32 s22, s0
	s_cbranch_execz .LBB182_40
; %bb.39:                               ;   in Loop: Header=BB182_29 Depth=1
	ds_load_2addr_b32 v[17:18], v0 offset1:1
	ds_load_2addr_b32 v[19:20], v0 offset0:2 offset1:3
	ds_load_2addr_b32 v[21:22], v0 offset0:4 offset1:5
	;; [unrolled: 1-line block ×3, first 2 shown]
	v_cmp_ne_u32_e32 vcc_lo, 0, v13
	; wave barrier
	s_waitcnt lgkmcnt(3)
	v_add_nc_u32_e32 v2, v18, v17
	s_waitcnt lgkmcnt(2)
	s_delay_alu instid0(VALU_DEP_1) | instskip(SKIP_1) | instid1(VALU_DEP_1)
	v_add3_u32 v2, v2, v19, v20
	s_waitcnt lgkmcnt(1)
	v_add3_u32 v2, v2, v21, v22
	s_waitcnt lgkmcnt(0)
	s_delay_alu instid0(VALU_DEP_1) | instskip(NEXT) | instid1(VALU_DEP_1)
	v_add3_u32 v2, v2, v23, v24
	v_mov_b32_dpp v9, v2 row_shr:1 row_mask:0xf bank_mask:0xf
	s_delay_alu instid0(VALU_DEP_1) | instskip(SKIP_1) | instid1(VALU_DEP_2)
	v_cndmask_b32_e32 v9, 0, v9, vcc_lo
	v_cmp_lt_u32_e32 vcc_lo, 1, v13
	v_add_nc_u32_e32 v2, v9, v2
	s_delay_alu instid0(VALU_DEP_1) | instskip(NEXT) | instid1(VALU_DEP_1)
	v_mov_b32_dpp v9, v2 row_shr:2 row_mask:0xf bank_mask:0xf
	v_cndmask_b32_e32 v9, 0, v9, vcc_lo
	v_cmp_lt_u32_e32 vcc_lo, 3, v13
	s_delay_alu instid0(VALU_DEP_2) | instskip(NEXT) | instid1(VALU_DEP_1)
	v_add_nc_u32_e32 v2, v2, v9
	v_mov_b32_dpp v9, v2 row_shr:4 row_mask:0xf bank_mask:0xf
	s_delay_alu instid0(VALU_DEP_1) | instskip(SKIP_1) | instid1(VALU_DEP_2)
	v_cndmask_b32_e32 v9, 0, v9, vcc_lo
	v_cmp_lt_u32_e32 vcc_lo, 7, v13
	v_add_nc_u32_e32 v2, v2, v9
	s_delay_alu instid0(VALU_DEP_1) | instskip(NEXT) | instid1(VALU_DEP_1)
	v_mov_b32_dpp v9, v2 row_shr:8 row_mask:0xf bank_mask:0xf
	v_cndmask_b32_e32 v9, 0, v9, vcc_lo
	v_cmp_gt_i32_e32 vcc_lo, 0, v15
	s_delay_alu instid0(VALU_DEP_2)
	v_add_nc_u32_e32 v2, v2, v9
	v_cndmask_b32_e32 v18, v15, v10, vcc_lo
	ds_swizzle_b32 v9, v2 offset:swizzle(BROADCAST,32,15)
	v_lshlrev_b32_e32 v18, 2, v18
	s_waitcnt lgkmcnt(0)
	v_and_b32_e32 v9, v14, v9
	s_delay_alu instid0(VALU_DEP_1) | instskip(SKIP_3) | instid1(VALU_DEP_1)
	v_add_nc_u32_e32 v2, v2, v9
	ds_bpermute_b32 v2, v18, v2
	s_waitcnt lgkmcnt(0)
	v_add_nc_u32_e32 v2, v2, v17
	v_cndmask_b32_e64 v2, v2, v8, s3
	ds_store_b32 v0, v2
	; wave barrier
	ds_load_2addr_b32 v[17:18], v0 offset0:1 offset1:2
	ds_load_2addr_b32 v[19:20], v0 offset0:3 offset1:4
	;; [unrolled: 1-line block ×3, first 2 shown]
	ds_load_b32 v9, v0 offset:28
	s_waitcnt lgkmcnt(3)
	v_add_nc_u32_e32 v2, v17, v2
	s_delay_alu instid0(VALU_DEP_1) | instskip(SKIP_1) | instid1(VALU_DEP_1)
	v_add_nc_u32_e32 v17, v18, v2
	s_waitcnt lgkmcnt(2)
	v_add_nc_u32_e32 v18, v19, v17
	s_delay_alu instid0(VALU_DEP_1) | instskip(SKIP_1) | instid1(VALU_DEP_1)
	v_add_nc_u32_e32 v19, v20, v18
	;; [unrolled: 4-line block ×3, first 2 shown]
	s_waitcnt lgkmcnt(0)
	v_add_nc_u32_e32 v9, v9, v21
	ds_store_2addr_b32 v0, v2, v17 offset0:1 offset1:2
	ds_store_2addr_b32 v0, v18, v19 offset0:3 offset1:4
	;; [unrolled: 1-line block ×3, first 2 shown]
	ds_store_b32 v0, v9 offset:28
.LBB182_40:                             ;   in Loop: Header=BB182_29 Depth=1
	s_or_b32 exec_lo, exec_lo, s22
	v_mov_b32_e32 v9, 0
	s_waitcnt lgkmcnt(0)
	s_barrier
	buffer_gl0_inv
	s_and_saveexec_b32 s22, s2
	s_cbranch_execz .LBB182_42
; %bb.41:                               ;   in Loop: Header=BB182_29 Depth=1
	ds_load_b32 v9, v12
.LBB182_42:                             ;   in Loop: Header=BB182_29 Depth=1
	s_or_b32 exec_lo, exec_lo, s22
	ds_load_b32 v2, v5 offset:1048
	s_mov_b32 s22, exec_lo
	s_waitcnt lgkmcnt(0)
	s_barrier
	buffer_gl0_inv
	v_cmpx_ne_u32_e32 0, v8
	s_cbranch_execz .LBB182_27
; %bb.43:                               ;   in Loop: Header=BB182_29 Depth=1
	v_add_nc_u32_e32 v8, v9, v1
	v_mov_b32_e32 v9, v5
	s_delay_alu instid0(VALU_DEP_1)
	v_cmp_gt_u64_e32 vcc_lo, s[6:7], v[8:9]
	s_and_b32 exec_lo, exec_lo, vcc_lo
	s_cbranch_execz .LBB182_27
; %bb.44:                               ;   in Loop: Header=BB182_29 Depth=1
	v_mad_u64_u32 v[17:18], null, v8, s12, 0
	v_mad_u64_u32 v[19:20], null, v8, s14, 0
	s_delay_alu instid0(VALU_DEP_1) | instskip(NEXT) | instid1(VALU_DEP_1)
	v_dual_mov_b32 v9, v18 :: v_dual_mov_b32 v18, v20
	v_mad_u64_u32 v[20:21], null, v8, s13, v[9:10]
	s_delay_alu instid0(VALU_DEP_2) | instskip(NEXT) | instid1(VALU_DEP_2)
	v_mad_u64_u32 v[21:22], null, v8, s15, v[18:19]
	v_mov_b32_e32 v18, v20
	s_delay_alu instid0(VALU_DEP_2) | instskip(NEXT) | instid1(VALU_DEP_2)
	v_mov_b32_e32 v20, v21
	v_lshlrev_b64 v[8:9], 3, v[17:18]
	s_delay_alu instid0(VALU_DEP_2) | instskip(NEXT) | instid1(VALU_DEP_2)
	v_lshlrev_b64 v[17:18], 3, v[19:20]
	v_add_co_u32 v8, vcc_lo, s16, v8
	s_delay_alu instid0(VALU_DEP_3) | instskip(NEXT) | instid1(VALU_DEP_3)
	v_add_co_ci_u32_e32 v9, vcc_lo, s20, v9, vcc_lo
	v_add_co_u32 v17, vcc_lo, s18, v17
	s_delay_alu instid0(VALU_DEP_4)
	v_add_co_ci_u32_e32 v18, vcc_lo, s21, v18, vcc_lo
	global_store_b64 v[8:9], v[6:7], off
	global_store_b64 v[17:18], v[4:5], off
	s_branch .LBB182_27
	.p2align	6
.LBB182_45:                             ;   in Loop: Header=BB182_46 Depth=1
	s_add_u32 s12, s12, 4
	s_addc_u32 s13, s13, 0
	s_waitcnt lgkmcnt(0)
	s_add_i32 s23, s9, s23
	s_add_u32 s14, s14, 4
	s_addc_u32 s15, s15, 0
	s_add_i32 s8, s8, 1
	s_delay_alu instid0(SALU_CYCLE_1)
	s_cmp_lt_u32 s8, s29
	s_cbranch_scc0 .LBB182_24
.LBB182_46:                             ; =>This Inner Loop Header: Depth=1
	s_load_b32 s9, s[12:13], 0x0
	s_cmp_ge_u32 s8, s50
	s_cbranch_scc1 .LBB182_45
; %bb.47:                               ;   in Loop: Header=BB182_46 Depth=1
	s_load_b32 s10, s[14:15], 0x0
	s_waitcnt lgkmcnt(0)
	s_add_i32 s17, s9, s17
	s_add_i32 s16, s10, s16
	s_branch .LBB182_45
.LBB182_48:
	s_nop 0
	s_sendmsg sendmsg(MSG_DEALLOC_VGPRS)
	s_endpgm
	.section	.rodata,"a",@progbits
	.p2align	6, 0x0
	.amdhsa_kernel _ZN2at6native6mbtopk10gatherTopKIdmLi2EEEvNS_4cuda6detail10TensorInfoIKT_T0_EES8_S8_bjS8_NS5_IS6_S8_EES8_NS5_IlS8_EES8_jjPS6_PjSD_j
		.amdhsa_group_segment_fixed_size 1068
		.amdhsa_private_segment_fixed_size 0
		.amdhsa_kernarg_size 1592
		.amdhsa_user_sgpr_count 13
		.amdhsa_user_sgpr_dispatch_ptr 0
		.amdhsa_user_sgpr_queue_ptr 0
		.amdhsa_user_sgpr_kernarg_segment_ptr 1
		.amdhsa_user_sgpr_dispatch_id 0
		.amdhsa_user_sgpr_private_segment_size 0
		.amdhsa_wavefront_size32 1
		.amdhsa_uses_dynamic_stack 0
		.amdhsa_enable_private_segment 0
		.amdhsa_system_sgpr_workgroup_id_x 1
		.amdhsa_system_sgpr_workgroup_id_y 1
		.amdhsa_system_sgpr_workgroup_id_z 1
		.amdhsa_system_sgpr_workgroup_info 0
		.amdhsa_system_vgpr_workitem_id 0
		.amdhsa_next_free_vgpr 25
		.amdhsa_next_free_sgpr 51
		.amdhsa_reserve_vcc 1
		.amdhsa_float_round_mode_32 0
		.amdhsa_float_round_mode_16_64 0
		.amdhsa_float_denorm_mode_32 3
		.amdhsa_float_denorm_mode_16_64 3
		.amdhsa_dx10_clamp 1
		.amdhsa_ieee_mode 1
		.amdhsa_fp16_overflow 0
		.amdhsa_workgroup_processor_mode 1
		.amdhsa_memory_ordered 1
		.amdhsa_forward_progress 0
		.amdhsa_shared_vgpr_count 0
		.amdhsa_exception_fp_ieee_invalid_op 0
		.amdhsa_exception_fp_denorm_src 0
		.amdhsa_exception_fp_ieee_div_zero 0
		.amdhsa_exception_fp_ieee_overflow 0
		.amdhsa_exception_fp_ieee_underflow 0
		.amdhsa_exception_fp_ieee_inexact 0
		.amdhsa_exception_int_div_zero 0
	.end_amdhsa_kernel
	.section	.text._ZN2at6native6mbtopk10gatherTopKIdmLi2EEEvNS_4cuda6detail10TensorInfoIKT_T0_EES8_S8_bjS8_NS5_IS6_S8_EES8_NS5_IlS8_EES8_jjPS6_PjSD_j,"axG",@progbits,_ZN2at6native6mbtopk10gatherTopKIdmLi2EEEvNS_4cuda6detail10TensorInfoIKT_T0_EES8_S8_bjS8_NS5_IS6_S8_EES8_NS5_IlS8_EES8_jjPS6_PjSD_j,comdat
.Lfunc_end182:
	.size	_ZN2at6native6mbtopk10gatherTopKIdmLi2EEEvNS_4cuda6detail10TensorInfoIKT_T0_EES8_S8_bjS8_NS5_IS6_S8_EES8_NS5_IlS8_EES8_jjPS6_PjSD_j, .Lfunc_end182-_ZN2at6native6mbtopk10gatherTopKIdmLi2EEEvNS_4cuda6detail10TensorInfoIKT_T0_EES8_S8_bjS8_NS5_IS6_S8_EES8_NS5_IlS8_EES8_jjPS6_PjSD_j
                                        ; -- End function
	.section	.AMDGPU.csdata,"",@progbits
; Kernel info:
; codeLenInByte = 3360
; NumSgprs: 53
; NumVgprs: 25
; ScratchSize: 0
; MemoryBound: 0
; FloatMode: 240
; IeeeMode: 1
; LDSByteSize: 1068 bytes/workgroup (compile time only)
; SGPRBlocks: 6
; VGPRBlocks: 3
; NumSGPRsForWavesPerEU: 53
; NumVGPRsForWavesPerEU: 25
; Occupancy: 16
; WaveLimiterHint : 1
; COMPUTE_PGM_RSRC2:SCRATCH_EN: 0
; COMPUTE_PGM_RSRC2:USER_SGPR: 13
; COMPUTE_PGM_RSRC2:TRAP_HANDLER: 0
; COMPUTE_PGM_RSRC2:TGID_X_EN: 1
; COMPUTE_PGM_RSRC2:TGID_Y_EN: 1
; COMPUTE_PGM_RSRC2:TGID_Z_EN: 1
; COMPUTE_PGM_RSRC2:TIDIG_COMP_CNT: 0
	.section	.text._ZN2at6native6sbtopk10gatherTopKIdmLi2ELb0EEEvNS_4cuda6detail10TensorInfoIKT_T0_EES8_S8_bS8_S8_NS5_IS6_S8_EES8_NS5_IlS8_EES8_PS6_,"axG",@progbits,_ZN2at6native6sbtopk10gatherTopKIdmLi2ELb0EEEvNS_4cuda6detail10TensorInfoIKT_T0_EES8_S8_bS8_S8_NS5_IS6_S8_EES8_NS5_IlS8_EES8_PS6_,comdat
	.protected	_ZN2at6native6sbtopk10gatherTopKIdmLi2ELb0EEEvNS_4cuda6detail10TensorInfoIKT_T0_EES8_S8_bS8_S8_NS5_IS6_S8_EES8_NS5_IlS8_EES8_PS6_ ; -- Begin function _ZN2at6native6sbtopk10gatherTopKIdmLi2ELb0EEEvNS_4cuda6detail10TensorInfoIKT_T0_EES8_S8_bS8_S8_NS5_IS6_S8_EES8_NS5_IlS8_EES8_PS6_
	.globl	_ZN2at6native6sbtopk10gatherTopKIdmLi2ELb0EEEvNS_4cuda6detail10TensorInfoIKT_T0_EES8_S8_bS8_S8_NS5_IS6_S8_EES8_NS5_IlS8_EES8_PS6_
	.p2align	8
	.type	_ZN2at6native6sbtopk10gatherTopKIdmLi2ELb0EEEvNS_4cuda6detail10TensorInfoIKT_T0_EES8_S8_bS8_S8_NS5_IS6_S8_EES8_NS5_IlS8_EES8_PS6_,@function
_ZN2at6native6sbtopk10gatherTopKIdmLi2ELb0EEEvNS_4cuda6detail10TensorInfoIKT_T0_EES8_S8_bS8_S8_NS5_IS6_S8_EES8_NS5_IlS8_EES8_PS6_: ; @_ZN2at6native6sbtopk10gatherTopKIdmLi2ELb0EEEvNS_4cuda6detail10TensorInfoIKT_T0_EES8_S8_bS8_S8_NS5_IS6_S8_EES8_NS5_IlS8_EES8_PS6_
; %bb.0:
	s_clause 0x1
	s_load_b64 s[18:19], s[0:1], 0x520
	s_load_b128 s[28:31], s[0:1], 0x1b8
	s_add_u32 s16, s0, 0x520
	s_addc_u32 s17, s1, 0
	s_mov_b32 s35, 0
	s_waitcnt lgkmcnt(0)
	s_mul_i32 s2, s19, s15
	s_delay_alu instid0(SALU_CYCLE_1) | instskip(NEXT) | instid1(SALU_CYCLE_1)
	s_add_i32 s2, s2, s14
	s_mul_i32 s2, s2, s18
	s_delay_alu instid0(SALU_CYCLE_1) | instskip(NEXT) | instid1(SALU_CYCLE_1)
	s_add_i32 s34, s2, s13
	v_cmp_ge_u64_e64 s2, s[34:35], s[28:29]
	s_delay_alu instid0(VALU_DEP_1)
	s_and_b32 vcc_lo, exec_lo, s2
	s_cbranch_vccnz .LBB183_548
; %bb.1:
	s_clause 0x2
	s_load_b64 s[6:7], s[0:1], 0x10
	s_load_b64 s[28:29], s[0:1], 0x380
	;; [unrolled: 1-line block ×3, first 2 shown]
	s_mov_b64 s[50:51], 0
	s_waitcnt lgkmcnt(0)
	v_cmp_lt_u64_e64 s2, s[34:35], s[6:7]
	s_delay_alu instid0(VALU_DEP_1)
	s_and_b32 vcc_lo, exec_lo, s2
	s_mov_b64 s[2:3], 0
	s_cbranch_vccnz .LBB183_3
; %bb.2:
	v_cvt_f32_u32_e32 v1, s6
	s_sub_i32 s3, 0, s6
	s_delay_alu instid0(VALU_DEP_1) | instskip(SKIP_2) | instid1(VALU_DEP_1)
	v_rcp_iflag_f32_e32 v1, v1
	s_waitcnt_depctr 0xfff
	v_mul_f32_e32 v1, 0x4f7ffffe, v1
	v_cvt_u32_f32_e32 v1, v1
	s_delay_alu instid0(VALU_DEP_1) | instskip(NEXT) | instid1(VALU_DEP_1)
	v_readfirstlane_b32 s2, v1
	s_mul_i32 s3, s3, s2
	s_delay_alu instid0(SALU_CYCLE_1) | instskip(NEXT) | instid1(SALU_CYCLE_1)
	s_mul_hi_u32 s3, s2, s3
	s_add_i32 s2, s2, s3
	s_delay_alu instid0(SALU_CYCLE_1) | instskip(NEXT) | instid1(SALU_CYCLE_1)
	s_mul_hi_u32 s2, s34, s2
	s_mul_i32 s3, s2, s6
	s_add_i32 s4, s2, 1
	s_sub_i32 s3, s34, s3
	s_delay_alu instid0(SALU_CYCLE_1)
	s_sub_i32 s5, s3, s6
	s_cmp_ge_u32 s3, s6
	s_cselect_b32 s2, s4, s2
	s_cselect_b32 s3, s5, s3
	s_add_i32 s4, s2, 1
	s_cmp_ge_u32 s3, s6
	s_cselect_b32 s2, s4, s2
.LBB183_3:
	v_cmp_lt_u64_e64 s3, s[34:35], s[48:49]
	s_delay_alu instid0(VALU_DEP_1)
	s_and_b32 vcc_lo, exec_lo, s3
	s_cbranch_vccnz .LBB183_5
; %bb.4:
	v_cvt_f32_u32_e32 v1, s48
	s_sub_i32 s4, 0, s48
	s_delay_alu instid0(VALU_DEP_1) | instskip(SKIP_2) | instid1(VALU_DEP_1)
	v_rcp_iflag_f32_e32 v1, v1
	s_waitcnt_depctr 0xfff
	v_mul_f32_e32 v1, 0x4f7ffffe, v1
	v_cvt_u32_f32_e32 v1, v1
	s_delay_alu instid0(VALU_DEP_1) | instskip(NEXT) | instid1(VALU_DEP_1)
	v_readfirstlane_b32 s3, v1
	s_mul_i32 s4, s4, s3
	s_delay_alu instid0(SALU_CYCLE_1) | instskip(NEXT) | instid1(SALU_CYCLE_1)
	s_mul_hi_u32 s4, s3, s4
	s_add_i32 s3, s3, s4
	s_delay_alu instid0(SALU_CYCLE_1) | instskip(NEXT) | instid1(SALU_CYCLE_1)
	s_mul_hi_u32 s3, s34, s3
	s_mul_i32 s4, s3, s48
	s_add_i32 s5, s3, 1
	s_sub_i32 s4, s34, s4
	s_delay_alu instid0(SALU_CYCLE_1)
	s_sub_i32 s8, s4, s48
	s_cmp_ge_u32 s4, s48
	s_cselect_b32 s3, s5, s3
	s_cselect_b32 s4, s8, s4
	s_add_i32 s5, s3, 1
	s_cmp_ge_u32 s4, s48
	s_cselect_b32 s50, s5, s3
.LBB183_5:
	s_load_b64 s[14:15], s[0:1], 0x0
	v_cmp_lt_u64_e64 s3, s[34:35], s[28:29]
	s_mov_b64 s[56:57], 0
	s_delay_alu instid0(VALU_DEP_1)
	s_and_b32 vcc_lo, exec_lo, s3
	s_cbranch_vccnz .LBB183_7
; %bb.6:
	v_cvt_f32_u32_e32 v1, s28
	s_sub_i32 s4, 0, s28
	s_delay_alu instid0(VALU_DEP_1) | instskip(SKIP_2) | instid1(VALU_DEP_1)
	v_rcp_iflag_f32_e32 v1, v1
	s_waitcnt_depctr 0xfff
	v_mul_f32_e32 v1, 0x4f7ffffe, v1
	v_cvt_u32_f32_e32 v1, v1
	s_delay_alu instid0(VALU_DEP_1) | instskip(NEXT) | instid1(VALU_DEP_1)
	v_readfirstlane_b32 s3, v1
	s_mul_i32 s4, s4, s3
	s_delay_alu instid0(SALU_CYCLE_1) | instskip(NEXT) | instid1(SALU_CYCLE_1)
	s_mul_hi_u32 s4, s3, s4
	s_add_i32 s3, s3, s4
	s_delay_alu instid0(SALU_CYCLE_1) | instskip(NEXT) | instid1(SALU_CYCLE_1)
	s_mul_hi_u32 s3, s34, s3
	s_mul_i32 s4, s3, s28
	s_add_i32 s5, s3, 1
	s_sub_i32 s4, s34, s4
	s_delay_alu instid0(SALU_CYCLE_1)
	s_sub_i32 s8, s4, s28
	s_cmp_ge_u32 s4, s28
	s_cselect_b32 s3, s5, s3
	s_cselect_b32 s4, s8, s4
	s_add_i32 s5, s3, 1
	s_cmp_ge_u32 s4, s28
	s_cselect_b32 s56, s5, s3
.LBB183_7:
	s_clause 0x2
	s_load_b64 s[4:5], s[0:1], 0x370
	; meta instruction
	s_load_b128 s[8:11], s[0:1], 0xd0
	s_load_b128 s[36:39], s[0:1], 0x1a0
	s_mov_b32 s59, 0
	s_waitcnt lgkmcnt(0)
	v_writelane_b32 v51, s4, 0
	v_writelane_b32 v51, s5, 1
	s_load_b64 s[4:5], s[0:1], 0x1c8
	s_waitcnt lgkmcnt(0)
	v_writelane_b32 v51, s4, 2
	v_writelane_b32 v51, s5, 3
	v_cmp_eq_u32_e64 s5, 0, v0
	s_delay_alu instid0(VALU_DEP_1)
	s_and_saveexec_b32 s3, s5
	s_cbranch_execz .LBB183_9
; %bb.8:
	v_dual_mov_b32 v1, 0 :: v_dual_mov_b32 v4, s37
	s_delay_alu instid0(VALU_DEP_1)
	v_dual_mov_b32 v3, s36 :: v_dual_mov_b32 v2, v1
	ds_store_b32 v1, v1 offset:5144
	ds_store_b128 v1, v[1:4] offset:5120
.LBB183_9:
	s_or_b32 exec_lo, exec_lo, s3
	s_mul_i32 s3, s2, s7
	s_mul_hi_u32 s4, s2, s6
	s_mul_i32 s6, s2, s6
	s_add_i32 s4, s4, s3
	s_sub_u32 s6, s34, s6
	s_subb_u32 s4, 0, s4
	s_mul_i32 s3, s6, s11
	s_mul_hi_u32 s7, s6, s10
	s_mul_i32 s4, s4, s10
	s_add_i32 s7, s7, s3
	s_mul_i32 s3, s2, s9
	s_mul_hi_u32 s9, s2, s8
	s_mul_i32 s2, s2, s8
	s_add_i32 s3, s9, s3
	s_clause 0x1
	s_load_b32 s11, s[0:1], 0x1b0
	s_load_b128 s[44:47], s[0:1], 0x298
	s_lshl_b64 s[2:3], s[2:3], 3
	s_add_i32 s7, s7, s4
	s_mul_i32 s6, s6, s10
	s_add_u32 s4, s14, s2
	v_mad_u64_u32 v[2:3], null, v0, s30, 0
	s_addc_u32 s8, s15, s3
	s_lshl_b64 s[2:3], s[6:7], 3
	s_waitcnt lgkmcnt(0)
	s_barrier
	buffer_gl0_inv
	s_load_b32 s7, s[16:17], 0xc
	v_dual_mov_b32 v1, v3 :: v_dual_lshlrev_b32 v20, 2, v0
	v_mbcnt_lo_u32_b32 v35, -1, 0
	s_add_u32 s33, s4, s2
	s_addc_u32 s35, s8, s3
	s_delay_alu instid0(VALU_DEP_2)
	v_mad_u64_u32 v[3:4], null, v0, s31, v[1:2]
	v_cmp_gt_u32_e32 vcc_lo, 32, v0
	v_cmp_gt_i32_e64 s4, 4, v35
	s_bitcmp1_b32 s11, 0
	s_load_b128 s[40:43], s[0:1], 0x440
	s_cselect_b32 s3, -1, 0
	v_lshrrev_b32_e32 v4, 3, v0
	s_xor_b32 s57, s3, -1
	v_lshlrev_b64 v[2:3], 3, v[2:3]
	s_and_b32 s72, vcc_lo, s4
	s_delay_alu instid0(VALU_DEP_2)
	v_dual_mov_b32 v19, 0 :: v_dual_and_b32 v36, 0x7c, v4
	v_dual_mov_b32 v6, 0 :: v_dual_lshlrev_b32 v37, 3, v0
	s_waitcnt lgkmcnt(0)
	s_and_b32 s51, s7, 0xffff
	s_bfe_u32 s8, s7, 0xb0005
	s_add_u32 s74, s51, -1
	s_addc_u32 s75, 0, -1
	s_add_u32 s76, s74, s36
	s_addc_u32 s27, s75, s37
	s_cmp_lt_u32 s13, s18
	v_add_co_u32 v16, vcc_lo, s33, v2
	s_cselect_b32 s9, 12, 18
	v_dual_mov_b32 v1, v19 :: v_dual_add_nc_u32 v38, 0xc00, v37
	v_add_co_ci_u32_e32 v17, vcc_lo, s35, v3, vcc_lo
	v_dual_mov_b32 v21, v19 :: v_dual_mov_b32 v24, 0
	v_lshlrev_b64 v[2:3], v35, -1
	s_add_u32 s60, s16, s9
	v_mov_b32_e32 v25, 0
	s_addc_u32 s61, s17, 0
	s_add_i32 s9, s8, -1
	s_bfe_u32 s77, s51, 0x30005
	s_cmp_gt_u32 s9, 6
	v_cmp_lt_u64_e64 s73, 0x180, s[36:37]
	v_cmp_gt_u64_e64 s4, s[36:37], v[0:1]
	v_dual_mov_b32 v26, s38 :: v_dual_lshlrev_b32 v39, 5, v0
	v_dual_mov_b32 v7, 0 :: v_dual_mov_b32 v22, v24
	v_cmp_eq_u32_e64 s2, 0, v35
	v_cmp_gt_u32_e64 s6, 2, v0
	v_not_b32_e32 v34, v2
	s_cselect_b32 s78, -1, 0
	s_and_b32 s79, s8, 0x7f8
	v_cmp_gt_u16_e64 s80, s7, 31
	v_lshl_or_b32 v40, v35, 3, 0xc00
	v_mov_b32_e32 v27, s39
	v_mov_b32_e32 v3, 0x3ff00000
	;; [unrolled: 1-line block ×3, first 2 shown]
	s_cmp_lg_u32 s77, 0
	s_mov_b32 s89, 62
	s_cselect_b32 s81, -1, 0
	s_lshl_b32 s82, s51, 3
	s_mov_b32 s83, 0
	s_mov_b32 s85, 0
                                        ; implicit-def: $sgpr84
                                        ; implicit-def: $sgpr88
                                        ; implicit-def: $sgpr87
                                        ; implicit-def: $sgpr90
                                        ; implicit-def: $sgpr86
                                        ; implicit-def: $sgpr91
                                        ; implicit-def: $sgpr93
                                        ; implicit-def: $sgpr92
                                        ; implicit-def: $sgpr94
                                        ; implicit-def: $sgpr95
	s_branch .LBB183_12
.LBB183_10:                             ;   in Loop: Header=BB183_12 Depth=1
	s_or_b32 exec_lo, exec_lo, s10
	v_dual_mov_b32 v23, v15 :: v_dual_mov_b32 v22, v14
	v_dual_mov_b32 v25, v13 :: v_dual_mov_b32 v24, v12
	;; [unrolled: 1-line block ×4, first 2 shown]
	s_and_not1_b32 s10, s95, exec_lo
	s_and_b32 s9, s9, exec_lo
	s_and_not1_b32 s94, s94, exec_lo
	s_or_b32 s95, s10, s9
	s_and_not1_b32 s92, s92, exec_lo
	s_and_not1_b32 s93, s93, exec_lo
	;; [unrolled: 1-line block ×3, first 2 shown]
	s_or_not1_b32 s8, s8, exec_lo
.LBB183_11:                             ;   in Loop: Header=BB183_12 Depth=1
	s_or_b32 exec_lo, exec_lo, s7
	s_delay_alu instid0(SALU_CYCLE_1) | instskip(NEXT) | instid1(SALU_CYCLE_1)
	s_and_b32 s7, exec_lo, s8
	s_or_b32 s83, s7, s83
	s_and_not1_b32 s7, s86, exec_lo
	s_and_b32 s8, s95, exec_lo
	s_and_not1_b32 s9, s90, exec_lo
	s_or_b32 s86, s7, s8
	s_and_b32 s7, s94, exec_lo
	s_and_not1_b32 s8, s87, exec_lo
	s_and_b32 s10, s92, exec_lo
	s_or_b32 s90, s9, s7
	s_or_b32 s87, s8, s10
	s_and_not1_b32 s7, s88, exec_lo
	s_and_b32 s8, s93, exec_lo
	s_and_not1_b32 s9, s84, exec_lo
	s_and_b32 s10, s91, exec_lo
	s_or_b32 s88, s7, s8
	s_or_b32 s84, s9, s10
	s_and_not1_b32 exec_lo, exec_lo, s83
	s_cbranch_execz .LBB183_484
.LBB183_12:                             ; =>This Loop Header: Depth=1
                                        ;     Child Loop BB183_20 Depth 2
                                        ;     Child Loop BB183_38 Depth 2
	;; [unrolled: 1-line block ×24, first 2 shown]
	ds_load_b128 v[8:11], v19 offset:5120
	s_waitcnt lgkmcnt(0)
	v_readfirstlane_b32 s63, v9
	v_readfirstlane_b32 s62, v8
	s_delay_alu instid0(VALU_DEP_1)
	s_cmp_lg_u64 s[62:63], 0
	s_cbranch_scc1 .LBB183_45
; %bb.13:                               ;   in Loop: Header=BB183_12 Depth=1
	s_and_b32 vcc_lo, exec_lo, s73
	s_cbranch_vccz .LBB183_28
; %bb.14:                               ;   in Loop: Header=BB183_12 Depth=1
	v_cmp_gt_u64_e32 vcc_lo, 0x181, v[10:11]
	s_mov_b32 s9, 0
	s_mov_b32 s7, 0
	s_cbranch_vccz .LBB183_29
; %bb.15:                               ;   in Loop: Header=BB183_12 Depth=1
	v_mov_b32_e32 v4, 0
	v_mov_b32_e32 v5, 0
	s_and_saveexec_b32 s7, s4
	s_cbranch_execz .LBB183_17
; %bb.16:                               ;   in Loop: Header=BB183_12 Depth=1
	global_load_b64 v[4:5], v[16:17], off
.LBB183_17:                             ;   in Loop: Header=BB183_12 Depth=1
	s_or_b32 exec_lo, exec_lo, s7
	s_and_saveexec_b32 s10, s4
	s_cbranch_execz .LBB183_30
; %bb.18:                               ;   in Loop: Header=BB183_12 Depth=1
	global_load_u16 v2, v19, s[60:61]
	s_mov_b32 s11, 0
	v_dual_mov_b32 v9, v1 :: v_dual_mov_b32 v8, v0
	s_waitcnt vmcnt(0)
	v_and_b32_e32 v2, 0xffff, v2
	s_branch .LBB183_20
.LBB183_19:                             ;   in Loop: Header=BB183_20 Depth=2
	s_or_b32 exec_lo, exec_lo, s8
	s_waitcnt vmcnt(0)
	v_dual_mov_b32 v4, v10 :: v_dual_mov_b32 v5, v11
	s_and_not1_b32 exec_lo, exec_lo, s11
	s_cbranch_execz .LBB183_30
.LBB183_20:                             ;   Parent Loop BB183_12 Depth=1
                                        ; =>  This Inner Loop Header: Depth=2
	s_delay_alu instid0(VALU_DEP_1) | instskip(SKIP_4) | instid1(VALU_DEP_3)
	v_add_co_u32 v8, vcc_lo, v8, v2
	v_add_co_ci_u32_e32 v9, vcc_lo, 0, v9, vcc_lo
	v_mov_b32_e32 v10, 0
	v_mov_b32_e32 v11, 0
	s_mov_b32 s8, exec_lo
	v_cmp_le_u64_e32 vcc_lo, s[36:37], v[8:9]
	v_cmpx_gt_u64_e64 s[36:37], v[8:9]
	s_cbranch_execz .LBB183_22
; %bb.21:                               ;   in Loop: Header=BB183_20 Depth=2
	s_waitcnt lgkmcnt(0)
	v_mul_lo_u32 v12, v9, s30
	v_mul_lo_u32 v13, v8, s31
	v_mad_u64_u32 v[10:11], null, v8, s30, 0
	s_delay_alu instid0(VALU_DEP_1) | instskip(NEXT) | instid1(VALU_DEP_1)
	v_add3_u32 v11, v11, v13, v12
	v_lshlrev_b64 v[10:11], 3, v[10:11]
	s_delay_alu instid0(VALU_DEP_1) | instskip(NEXT) | instid1(VALU_DEP_1)
	v_add_co_u32 v10, s7, s33, v10
	v_add_co_ci_u32_e64 v11, s7, s35, v11, s7
	global_load_b64 v[10:11], v[10:11], off
.LBB183_22:                             ;   in Loop: Header=BB183_20 Depth=2
	s_or_b32 exec_lo, exec_lo, s8
	v_cmp_o_f64_e64 s7, v[4:5], v[4:5]
	s_waitcnt lgkmcnt(0)
	v_ashrrev_i32_e32 v12, 31, v5
	s_delay_alu instid0(VALU_DEP_1) | instskip(SKIP_1) | instid1(VALU_DEP_2)
	v_or_b32_e32 v13, 0x80000000, v12
	v_xor_b32_e32 v12, v12, v4
	v_xor_b32_e32 v13, v13, v5
	s_delay_alu instid0(VALU_DEP_1) | instskip(NEXT) | instid1(VALU_DEP_3)
	v_cndmask_b32_e64 v13, -1, v13, s7
	v_cndmask_b32_e64 v12, -1, v12, s7
	s_delay_alu instid0(VALU_DEP_2) | instskip(NEXT) | instid1(VALU_DEP_2)
	v_and_b32_e32 v13, v13, v23
	v_and_b32_e32 v12, v12, v22
	s_delay_alu instid0(VALU_DEP_1) | instskip(SKIP_1) | instid1(VALU_DEP_2)
	v_cmp_eq_u64_e64 s7, v[12:13], v[24:25]
	v_mov_b32_e32 v12, 0
	s_cmp_lg_u32 s7, 0
	s_cselect_b32 s8, -1, 0
	s_delay_alu instid0(SALU_CYCLE_1) | instskip(NEXT) | instid1(SALU_CYCLE_1)
	s_and_b32 s8, s2, s8
	s_and_saveexec_b32 s12, s8
	s_cbranch_execz .LBB183_26
; %bb.23:                               ;   in Loop: Header=BB183_20 Depth=2
	s_mov_b32 s15, exec_lo
	s_bcnt1_i32_b32 s13, s7
	v_mbcnt_lo_u32_b32 v12, s15, 0
	s_mov_b32 s14, exec_lo
                                        ; implicit-def: $vgpr13
	s_delay_alu instid0(VALU_DEP_1)
	v_cmpx_eq_u32_e32 0, v12
	s_cbranch_execz .LBB183_25
; %bb.24:                               ;   in Loop: Header=BB183_20 Depth=2
	s_bcnt1_i32_b32 s8, s15
	s_delay_alu instid0(SALU_CYCLE_1) | instskip(NEXT) | instid1(SALU_CYCLE_1)
	s_mul_i32 s8, s13, s8
	v_mov_b32_e32 v13, s8
	ds_add_rtn_u32 v13, v19, v13 offset:5144
.LBB183_25:                             ;   in Loop: Header=BB183_20 Depth=2
	s_or_b32 exec_lo, exec_lo, s14
	s_waitcnt lgkmcnt(0)
	v_readfirstlane_b32 s8, v13
	s_delay_alu instid0(VALU_DEP_1)
	v_mad_u32_u24 v12, s13, v12, s8
.LBB183_26:                             ;   in Loop: Header=BB183_20 Depth=2
	s_or_b32 exec_lo, exec_lo, s12
	ds_bpermute_b32 v12, v19, v12
	s_and_b32 s8, exec_lo, vcc_lo
	s_delay_alu instid0(SALU_CYCLE_1)
	s_or_b32 s11, s8, s11
	s_and_saveexec_b32 s8, s7
	s_cbranch_execz .LBB183_19
; %bb.27:                               ;   in Loop: Header=BB183_20 Depth=2
	v_and_b32_e32 v13, s7, v34
	s_delay_alu instid0(VALU_DEP_1) | instskip(NEXT) | instid1(VALU_DEP_1)
	v_bcnt_u32_b32 v13, v13, 0
	v_lshlrev_b32_e32 v13, 3, v13
	s_waitcnt lgkmcnt(0)
	s_delay_alu instid0(VALU_DEP_1)
	v_lshl_add_u32 v12, v12, 3, v13
	ds_store_b64 v12, v[4:5]
	s_branch .LBB183_19
.LBB183_28:                             ;   in Loop: Header=BB183_12 Depth=1
	s_mov_b32 s7, 0
                                        ; implicit-def: $sgpr62_sgpr63
	s_cbranch_execnz .LBB183_33
	s_branch .LBB183_43
.LBB183_29:                             ;   in Loop: Header=BB183_12 Depth=1
	s_mov_b64 s[62:63], 0
	s_and_b32 vcc_lo, exec_lo, s9
	s_cbranch_vccnz .LBB183_33
	s_branch .LBB183_43
.LBB183_30:                             ;   in Loop: Header=BB183_12 Depth=1
	s_or_b32 exec_lo, exec_lo, s10
	s_waitcnt vmcnt(0) lgkmcnt(0)
	s_barrier
	buffer_gl0_inv
	s_and_saveexec_b32 s7, s5
	s_cbranch_execz .LBB183_32
; %bb.31:                               ;   in Loop: Header=BB183_12 Depth=1
	ds_load_b32 v4, v19 offset:5144
	s_waitcnt lgkmcnt(0)
	v_ashrrev_i32_e32 v5, 31, v4
	ds_store_b64 v19, v[4:5] offset:5120
.LBB183_32:                             ;   in Loop: Header=BB183_12 Depth=1
	s_or_b32 exec_lo, exec_lo, s7
	s_waitcnt lgkmcnt(0)
	s_mov_b32 s7, -1
	s_barrier
	s_mov_b64 s[62:63], 0
	s_and_b32 vcc_lo, exec_lo, s9
	s_cbranch_vccz .LBB183_43
.LBB183_33:                             ;   in Loop: Header=BB183_12 Depth=1
	v_mov_b32_e32 v4, 0
	v_mov_b32_e32 v5, 0
	s_and_saveexec_b32 s7, s4
	s_cbranch_execz .LBB183_35
; %bb.34:                               ;   in Loop: Header=BB183_12 Depth=1
	global_load_b64 v[4:5], v[16:17], off
.LBB183_35:                             ;   in Loop: Header=BB183_12 Depth=1
	s_or_b32 exec_lo, exec_lo, s7
	s_and_saveexec_b32 s8, s4
	s_cbranch_execz .LBB183_40
; %bb.36:                               ;   in Loop: Header=BB183_12 Depth=1
	global_load_u16 v2, v19, s[60:61]
	s_mov_b32 s9, 0
	v_dual_mov_b32 v9, v1 :: v_dual_mov_b32 v8, v0
	s_waitcnt vmcnt(0)
	v_and_b32_e32 v2, 0xffff, v2
	s_delay_alu instid0(VALU_DEP_1)
	v_dual_mov_b32 v12, v37 :: v_dual_lshlrev_b32 v13, 3, v2
	s_set_inst_prefetch_distance 0x1
	s_branch .LBB183_38
	.p2align	6
.LBB183_37:                             ;   in Loop: Header=BB183_38 Depth=2
	s_or_b32 exec_lo, exec_lo, s10
	ds_store_b64 v12, v[4:5]
	s_waitcnt vmcnt(0)
	v_mov_b32_e32 v4, v10
	v_dual_mov_b32 v5, v11 :: v_dual_add_nc_u32 v12, v12, v13
	s_and_b32 s7, exec_lo, vcc_lo
	s_delay_alu instid0(SALU_CYCLE_1) | instskip(NEXT) | instid1(SALU_CYCLE_1)
	s_or_b32 s9, s7, s9
	s_and_not1_b32 exec_lo, exec_lo, s9
	s_cbranch_execz .LBB183_40
.LBB183_38:                             ;   Parent Loop BB183_12 Depth=1
                                        ; =>  This Inner Loop Header: Depth=2
	v_add_co_u32 v8, vcc_lo, v8, v2
	v_add_co_ci_u32_e32 v9, vcc_lo, 0, v9, vcc_lo
	v_mov_b32_e32 v10, 0
	v_mov_b32_e32 v11, 0
	s_mov_b32 s10, exec_lo
	s_delay_alu instid0(VALU_DEP_3)
	v_cmp_le_u64_e32 vcc_lo, s[36:37], v[8:9]
	v_cmpx_gt_u64_e64 s[36:37], v[8:9]
	s_cbranch_execz .LBB183_37
; %bb.39:                               ;   in Loop: Header=BB183_38 Depth=2
	v_mul_lo_u32 v14, v9, s30
	v_mul_lo_u32 v15, v8, s31
	v_mad_u64_u32 v[10:11], null, v8, s30, 0
	s_delay_alu instid0(VALU_DEP_1) | instskip(NEXT) | instid1(VALU_DEP_1)
	v_add3_u32 v11, v11, v15, v14
	v_lshlrev_b64 v[10:11], 3, v[10:11]
	s_delay_alu instid0(VALU_DEP_1) | instskip(NEXT) | instid1(VALU_DEP_1)
	v_add_co_u32 v10, s7, s33, v10
	v_add_co_ci_u32_e64 v11, s7, s35, v11, s7
	global_load_b64 v[10:11], v[10:11], off
	s_branch .LBB183_37
.LBB183_40:                             ;   in Loop: Header=BB183_12 Depth=1
	s_set_inst_prefetch_distance 0x2
	s_or_b32 exec_lo, exec_lo, s8
	s_waitcnt vmcnt(0) lgkmcnt(0)
	s_barrier
	buffer_gl0_inv
	s_and_saveexec_b32 s7, s5
	s_cbranch_execz .LBB183_42
; %bb.41:                               ;   in Loop: Header=BB183_12 Depth=1
	v_dual_mov_b32 v4, s36 :: v_dual_mov_b32 v5, s37
	ds_store_b64 v19, v[4:5] offset:5120
.LBB183_42:                             ;   in Loop: Header=BB183_12 Depth=1
	s_or_b32 exec_lo, exec_lo, s7
	s_mov_b32 s7, -1
	s_waitcnt lgkmcnt(0)
	s_barrier
                                        ; implicit-def: $sgpr62_sgpr63
.LBB183_43:                             ;   in Loop: Header=BB183_12 Depth=1
	s_and_b32 vcc_lo, exec_lo, s7
	s_cbranch_vccz .LBB183_45
; %bb.44:                               ;   in Loop: Header=BB183_12 Depth=1
	buffer_gl0_inv
	ds_load_b64 v[4:5], v19 offset:5120
	s_waitcnt lgkmcnt(0)
	v_readfirstlane_b32 s62, v4
.LBB183_45:                             ;   in Loop: Header=BB183_12 Depth=1
	s_delay_alu instid0(VALU_DEP_1)
	s_cmp_lt_i32 s62, 1
	s_cbranch_scc0 .LBB183_60
; %bb.46:                               ;   in Loop: Header=BB183_12 Depth=1
	global_load_u16 v2, v19, s[60:61]
	s_mov_b32 s8, s59
	s_mov_b32 s9, s37
	s_waitcnt vmcnt(0)
	v_readfirstlane_b32 s7, v2
	s_delay_alu instid0(VALU_DEP_1) | instskip(NEXT) | instid1(SALU_CYCLE_1)
	s_and_b32 s7, 0xffff, s7
	s_lshl_b32 s58, s7, 2
	s_cmp_lg_u64 s[8:9], 0
	s_cbranch_scc0 .LBB183_80
; %bb.47:                               ;   in Loop: Header=BB183_12 Depth=1
	v_cvt_f32_u32_e32 v4, s58
	s_sub_u32 s9, 0, s58
	s_subb_u32 s10, 0, 0
	s_delay_alu instid0(VALU_DEP_1) | instskip(NEXT) | instid1(VALU_DEP_1)
	v_fmac_f32_e64 v4, 0, 0x4f800000
	v_rcp_f32_e32 v4, v4
	s_waitcnt_depctr 0xfff
	v_mul_f32_e32 v4, 0x5f7ffffc, v4
	s_delay_alu instid0(VALU_DEP_1) | instskip(NEXT) | instid1(VALU_DEP_1)
	v_mul_f32_e32 v5, 0x2f800000, v4
	v_trunc_f32_e32 v5, v5
	s_delay_alu instid0(VALU_DEP_1) | instskip(SKIP_1) | instid1(VALU_DEP_2)
	v_fmac_f32_e32 v4, 0xcf800000, v5
	v_cvt_u32_f32_e32 v5, v5
	v_cvt_u32_f32_e32 v4, v4
	s_delay_alu instid0(VALU_DEP_2) | instskip(NEXT) | instid1(VALU_DEP_2)
	v_readfirstlane_b32 s7, v5
	v_readfirstlane_b32 s8, v4
	s_delay_alu instid0(VALU_DEP_2) | instskip(NEXT) | instid1(VALU_DEP_1)
	s_mul_i32 s11, s9, s7
	s_mul_hi_u32 s13, s9, s8
	s_mul_i32 s12, s10, s8
	s_add_i32 s11, s13, s11
	s_mul_i32 s14, s9, s8
	s_add_i32 s11, s11, s12
	s_mul_hi_u32 s13, s8, s14
	s_mul_hi_u32 s15, s7, s14
	s_mul_i32 s12, s7, s14
	s_mul_hi_u32 s14, s8, s11
	s_mul_i32 s8, s8, s11
	s_mul_hi_u32 s16, s7, s11
	s_add_u32 s8, s13, s8
	s_addc_u32 s13, 0, s14
	s_add_u32 s8, s8, s12
	s_mul_i32 s11, s7, s11
	s_addc_u32 s8, s13, s15
	s_addc_u32 s12, s16, 0
	s_add_u32 s8, s8, s11
	s_addc_u32 s11, 0, s12
	v_add_co_u32 v4, s8, v4, s8
	s_delay_alu instid0(VALU_DEP_1) | instskip(SKIP_1) | instid1(VALU_DEP_1)
	s_cmp_lg_u32 s8, 0
	s_addc_u32 s7, s7, s11
	v_readfirstlane_b32 s8, v4
	s_mul_i32 s11, s9, s7
	s_delay_alu instid0(VALU_DEP_1)
	s_mul_hi_u32 s12, s9, s8
	s_mul_i32 s10, s10, s8
	s_add_i32 s11, s12, s11
	s_mul_i32 s9, s9, s8
	s_add_i32 s11, s11, s10
	s_mul_hi_u32 s12, s7, s9
	s_mul_i32 s13, s7, s9
	s_mul_hi_u32 s9, s8, s9
	s_mul_hi_u32 s14, s8, s11
	s_mul_i32 s8, s8, s11
	s_mul_hi_u32 s10, s7, s11
	s_add_u32 s8, s9, s8
	s_addc_u32 s9, 0, s14
	s_add_u32 s8, s8, s13
	s_mul_i32 s11, s7, s11
	s_addc_u32 s8, s9, s12
	s_addc_u32 s9, s10, 0
	s_add_u32 s8, s8, s11
	s_addc_u32 s9, 0, s9
	v_add_co_u32 v4, s8, v4, s8
	s_delay_alu instid0(VALU_DEP_1) | instskip(SKIP_1) | instid1(VALU_DEP_1)
	s_cmp_lg_u32 s8, 0
	s_addc_u32 s7, s7, s9
	v_readfirstlane_b32 s8, v4
	s_mul_i32 s10, s36, s7
	s_mul_hi_u32 s9, s36, s7
	s_mul_hi_u32 s11, s37, s7
	s_mul_i32 s7, s37, s7
	s_mul_hi_u32 s12, s36, s8
	s_mul_hi_u32 s13, s37, s8
	s_mul_i32 s8, s37, s8
	s_add_u32 s10, s12, s10
	s_addc_u32 s9, 0, s9
	s_add_u32 s8, s10, s8
	s_addc_u32 s8, s9, s13
	s_addc_u32 s9, s11, 0
	s_add_u32 s7, s8, s7
	s_addc_u32 s8, 0, s9
	s_mul_hi_u32 s9, s58, s7
	s_mul_i32 s7, s58, s7
	s_mul_i32 s8, s58, s8
	v_sub_co_u32 v4, s7, s36, s7
	s_add_i32 s9, s9, s8
	s_cmp_lg_u32 s7, 0
	s_delay_alu instid0(VALU_DEP_1) | instskip(SKIP_2) | instid1(VALU_DEP_1)
	v_sub_co_u32 v5, s7, v4, s58
	s_subb_u32 s8, s37, s9
	s_cmp_lg_u32 s7, 0
	v_cmp_le_u32_e32 vcc_lo, s58, v5
	v_sub_co_u32 v8, s7, v5, s58
	s_subb_u32 s9, s8, 0
	s_cmp_lg_u32 s7, 0
	v_cndmask_b32_e64 v9, 0, -1, vcc_lo
	s_subb_u32 s7, s9, 0
	s_cmp_eq_u32 s9, 0
	v_mov_b32_e32 v11, s7
	s_cselect_b32 vcc_lo, -1, 0
	s_cmp_eq_u32 s8, 0
	v_cndmask_b32_e32 v9, -1, v9, vcc_lo
	v_cmp_le_u32_e32 vcc_lo, s58, v4
	s_cselect_b32 s7, -1, 0
	v_cndmask_b32_e64 v10, 0, -1, vcc_lo
	s_delay_alu instid0(VALU_DEP_3) | instskip(NEXT) | instid1(VALU_DEP_2)
	v_cmp_ne_u32_e32 vcc_lo, 0, v9
	v_cndmask_b32_e64 v9, -1, v10, s7
	v_cndmask_b32_e32 v10, s9, v11, vcc_lo
	v_cndmask_b32_e32 v8, v5, v8, vcc_lo
	s_delay_alu instid0(VALU_DEP_3) | instskip(NEXT) | instid1(VALU_DEP_3)
	v_cmp_ne_u32_e32 vcc_lo, 0, v9
	v_cndmask_b32_e32 v5, s8, v10, vcc_lo
	s_delay_alu instid0(VALU_DEP_3)
	v_cndmask_b32_e32 v4, v4, v8, vcc_lo
	s_cbranch_execnz .LBB183_49
.LBB183_48:                             ;   in Loop: Header=BB183_12 Depth=1
	v_cvt_f32_u32_e32 v4, s58
	s_sub_i32 s7, 0, s58
	s_delay_alu instid0(VALU_DEP_1) | instskip(SKIP_2) | instid1(VALU_DEP_1)
	v_rcp_iflag_f32_e32 v4, v4
	s_waitcnt_depctr 0xfff
	v_mul_f32_e32 v4, 0x4f7ffffe, v4
	v_cvt_u32_f32_e32 v4, v4
	s_delay_alu instid0(VALU_DEP_1) | instskip(NEXT) | instid1(VALU_DEP_1)
	v_mul_lo_u32 v5, s7, v4
	v_mul_hi_u32 v5, v4, v5
	s_delay_alu instid0(VALU_DEP_1) | instskip(NEXT) | instid1(VALU_DEP_1)
	v_add_nc_u32_e32 v4, v4, v5
	v_mul_hi_u32 v4, s36, v4
	s_delay_alu instid0(VALU_DEP_1) | instskip(NEXT) | instid1(VALU_DEP_1)
	v_mul_lo_u32 v4, v4, s58
	v_sub_nc_u32_e32 v4, s36, v4
	s_delay_alu instid0(VALU_DEP_1) | instskip(SKIP_1) | instid1(VALU_DEP_2)
	v_subrev_nc_u32_e32 v5, s58, v4
	v_cmp_le_u32_e32 vcc_lo, s58, v4
	v_cndmask_b32_e32 v4, v4, v5, vcc_lo
	s_delay_alu instid0(VALU_DEP_1) | instskip(SKIP_1) | instid1(VALU_DEP_2)
	v_subrev_nc_u32_e32 v5, s58, v4
	v_cmp_le_u32_e32 vcc_lo, s58, v4
	v_cndmask_b32_e32 v18, v4, v5, vcc_lo
	s_delay_alu instid0(VALU_DEP_1)
	v_dual_mov_b32 v4, v18 :: v_dual_mov_b32 v5, v19
.LBB183_49:                             ;   in Loop: Header=BB183_12 Depth=1
	v_mov_b32_e32 v8, 0
	v_mov_b32_e32 v9, 0
	s_delay_alu instid0(VALU_DEP_3) | instskip(NEXT) | instid1(VALU_DEP_4)
	v_sub_co_u32 v4, vcc_lo, s36, v4
	v_sub_co_ci_u32_e32 v5, vcc_lo, s37, v5, vcc_lo
	s_delay_alu instid0(VALU_DEP_3)
	v_dual_mov_b32 v11, v9 :: v_dual_mov_b32 v10, v8
	v_dual_mov_b32 v13, v9 :: v_dual_mov_b32 v12, v8
	;; [unrolled: 1-line block ×3, first 2 shown]
	s_mov_b64 s[64:65], 0
	s_mov_b32 s63, exec_lo
	v_cmpx_gt_u64_e64 v[4:5], v[20:21]
	s_cbranch_execz .LBB183_53
; %bb.50:                               ;   in Loop: Header=BB183_12 Depth=1
	v_dual_mov_b32 v29, v21 :: v_dual_mov_b32 v28, v20
	s_and_b32 s96, s89, 0xfe
	s_mov_b32 s97, 0
	s_mov_b64 s[66:67], 0
	s_mov_b64 s[68:69], 0
	;; [unrolled: 1-line block ×3, first 2 shown]
.LBB183_51:                             ;   Parent Loop BB183_12 Depth=1
                                        ; =>  This Inner Loop Header: Depth=2
	v_mul_lo_u32 v10, v29, s30
	v_mul_lo_u32 v11, v28, s31
	v_mad_u64_u32 v[8:9], null, v28, s30, 0
	s_lshl_b64 s[8:9], s[30:31], 3
	s_delay_alu instid0(VALU_DEP_1) | instskip(NEXT) | instid1(VALU_DEP_1)
	v_add3_u32 v9, v9, v11, v10
	v_lshlrev_b64 v[8:9], 3, v[8:9]
	s_delay_alu instid0(VALU_DEP_1) | instskip(NEXT) | instid1(VALU_DEP_2)
	v_add_co_u32 v8, vcc_lo, s33, v8
	v_add_co_ci_u32_e32 v9, vcc_lo, s35, v9, vcc_lo
	s_delay_alu instid0(VALU_DEP_2) | instskip(NEXT) | instid1(VALU_DEP_2)
	v_add_co_u32 v10, vcc_lo, v8, s8
	v_add_co_ci_u32_e32 v11, vcc_lo, s9, v9, vcc_lo
	global_load_b64 v[8:9], v[8:9], off
	v_add_co_u32 v12, vcc_lo, v10, s8
	v_add_co_ci_u32_e32 v13, vcc_lo, s9, v11, vcc_lo
	s_clause 0x1
	global_load_b64 v[10:11], v[10:11], off
	global_load_b64 v[14:15], v[12:13], off
	v_add_co_u32 v12, vcc_lo, v12, s8
	v_add_co_ci_u32_e32 v13, vcc_lo, s9, v13, vcc_lo
	v_add_co_u32 v28, vcc_lo, v28, s58
	v_add_co_ci_u32_e32 v29, vcc_lo, 0, v29, vcc_lo
	global_load_b64 v[12:13], v[12:13], off
	v_cmp_ge_u64_e32 vcc_lo, v[28:29], v[4:5]
	s_waitcnt vmcnt(3)
	v_cmp_o_f64_e64 s7, v[8:9], v[8:9]
	v_ashrrev_i32_e32 v18, 31, v9
	s_delay_alu instid0(VALU_DEP_1)
	v_or_b32_e32 v30, 0x80000000, v18
	s_waitcnt vmcnt(1)
	v_cmp_o_f64_e64 s9, v[14:15], v[14:15]
	v_cmp_o_f64_e64 s8, v[10:11], v[10:11]
	v_ashrrev_i32_e32 v41, 31, v15
	v_ashrrev_i32_e32 v32, 31, v11
	v_xor_b32_e32 v30, v30, v9
	v_xor_b32_e32 v18, v18, v8
	s_delay_alu instid0(VALU_DEP_4) | instskip(NEXT) | instid1(VALU_DEP_4)
	v_or_b32_e32 v8, 0x80000000, v41
	v_or_b32_e32 v43, 0x80000000, v32
	s_waitcnt vmcnt(0)
	v_cmp_o_f64_e64 s10, v[12:13], v[12:13]
	v_xor_b32_e32 v32, v32, v10
	v_xor_b32_e32 v41, v41, v14
	;; [unrolled: 1-line block ×4, first 2 shown]
	v_cndmask_b32_e64 v9, -1, v30, s7
	v_ashrrev_i32_e32 v30, 31, v13
	s_delay_alu instid0(VALU_DEP_2) | instskip(NEXT) | instid1(VALU_DEP_2)
	v_dual_mov_b32 v31, v19 :: v_dual_and_b32 v14, v9, v23
	v_or_b32_e32 v10, 0x80000000, v30
	v_cndmask_b32_e64 v44, -1, v8, s9
	v_cndmask_b32_e64 v8, -1, v18, s7
	;; [unrolled: 1-line block ×3, first 2 shown]
	v_xor_b32_e32 v30, v30, v12
	v_xor_b32_e32 v10, v10, v13
	v_cndmask_b32_e64 v43, -1, v41, s9
	v_and_b32_e32 v13, v8, v22
	v_lshrrev_b64 v[8:9], s96, v[8:9]
	v_and_b32_e32 v46, v11, v23
	v_cndmask_b32_e64 v12, -1, v10, s10
	v_cndmask_b32_e64 v10, -1, v32, s8
	v_mov_b32_e32 v33, v19
	v_dual_mov_b32 v42, v19 :: v_dual_and_b32 v15, v44, v23
	v_cmp_eq_u64_e64 s7, v[13:14], v[24:25]
	s_delay_alu instid0(VALU_DEP_4)
	v_and_b32_e32 v45, v10, v22
	v_lshrrev_b64 v[9:10], s96, v[10:11]
	v_cndmask_b32_e64 v11, -1, v30, s10
	v_and_b32_e32 v18, 3, v8
	v_and_b32_e32 v14, v43, v22
	v_lshrrev_b64 v[43:44], s96, v[43:44]
	v_cmp_eq_u64_e64 s8, v[45:46], v[24:25]
	v_and_b32_e32 v30, 3, v9
	v_lshrrev_b64 v[8:9], s96, v[11:12]
	v_cmp_eq_u64_e64 s9, 0, v[18:19]
	v_and_b32_e32 v47, v12, v23
	v_and_b32_e32 v32, 3, v43
	v_cmp_eq_u64_e64 s14, 0, v[30:31]
	v_and_b32_e32 v46, v11, v22
	v_and_b32_e32 v41, 3, v8
	v_cmp_eq_u64_e64 s13, v[14:15], v[24:25]
	s_and_b32 s9, s7, s9
	v_cmp_eq_u64_e64 s18, 0, v[32:33]
	s_and_b32 s14, s8, s14
	v_cndmask_b32_e64 v9, 0, 1, s9
	v_cmp_eq_u64_e64 s9, v[46:47], v[24:25]
	v_cndmask_b32_e64 v8, 0, 1, s14
	v_cmp_eq_u64_e64 s14, 0, v[41:42]
	s_and_b32 s18, s13, s18
	v_cmp_ne_u32_e64 s22, 0, v9
	v_cmp_eq_u64_e64 s10, 1, v[18:19]
	v_cmp_ne_u32_e64 s26, 0, v8
	v_cndmask_b32_e64 v8, 0, 1, s18
	s_and_b32 s14, s9, s14
	s_bcnt1_i32_b32 s18, s22
	v_cndmask_b32_e64 v9, 0, 1, s14
	s_bcnt1_i32_b32 s22, s26
	v_cmp_ne_u32_e64 s14, 0, v8
	s_add_i32 s22, s22, s18
	v_cmp_eq_u64_e64 s15, 1, v[30:31]
	v_cmp_ne_u32_e64 s18, 0, v9
	v_cmp_eq_u64_e64 s19, 1, v[32:33]
	s_bcnt1_i32_b32 s14, s14
	v_cmp_eq_u64_e64 s23, 1, v[41:42]
	s_add_i32 s14, s22, s14
	s_bcnt1_i32_b32 s18, s18
	v_cmp_eq_u64_e64 s11, 2, v[18:19]
	s_add_i32 s14, s14, s18
	v_cmp_eq_u64_e64 s16, 2, v[30:31]
	s_add_u32 s70, s70, s14
	s_addc_u32 s71, s71, 0
	s_and_b32 s10, s7, s10
	v_cmp_eq_u64_e64 s20, 2, v[32:33]
	v_cndmask_b32_e64 v8, 0, 1, s10
	s_and_b32 s10, s8, s15
	v_cmp_eq_u64_e64 s24, 2, v[41:42]
	v_cndmask_b32_e64 v9, 0, 1, s10
	;; [unrolled: 3-line block ×3, first 2 shown]
	s_and_b32 s10, s9, s23
	v_cmp_ne_u32_e64 s14, 0, v9
	v_cndmask_b32_e64 v11, 0, 1, s10
	v_cmp_ne_u32_e64 s10, 0, v8
	v_cmp_ne_u32_e64 s15, 0, v10
	v_cmp_eq_u64_e64 s21, 3, v[32:33]
	s_bcnt1_i32_b32 s14, s14
	v_cmp_ne_u32_e64 s18, 0, v11
	s_bcnt1_i32_b32 s10, s10
	s_bcnt1_i32_b32 s15, s15
	s_add_i32 s10, s14, s10
	v_cmp_eq_u64_e64 s25, 3, v[41:42]
	s_bcnt1_i32_b32 s18, s18
	s_add_i32 s10, s10, s15
	s_delay_alu instid0(SALU_CYCLE_1) | instskip(NEXT) | instid1(SALU_CYCLE_1)
	s_add_i32 s10, s10, s18
	s_add_u32 s68, s68, s10
	s_addc_u32 s69, s69, 0
	s_and_b32 s10, s7, s11
	s_delay_alu instid0(SALU_CYCLE_1) | instskip(SKIP_1) | instid1(SALU_CYCLE_1)
	v_cndmask_b32_e64 v8, 0, 1, s10
	s_and_b32 s10, s8, s16
	v_cndmask_b32_e64 v9, 0, 1, s10
	s_and_b32 s10, s13, s20
	s_delay_alu instid0(SALU_CYCLE_1) | instskip(SKIP_1) | instid1(VALU_DEP_2)
	v_cndmask_b32_e64 v10, 0, 1, s10
	s_and_b32 s10, s9, s24
	v_cmp_ne_u32_e64 s11, 0, v9
	v_cndmask_b32_e64 v11, 0, 1, s10
	v_cmp_ne_u32_e64 s10, 0, v8
	v_cmp_ne_u32_e64 s14, 0, v10
	s_delay_alu instid0(VALU_DEP_4) | instskip(NEXT) | instid1(VALU_DEP_3)
	s_bcnt1_i32_b32 s11, s11
	v_cmp_ne_u32_e64 s15, 0, v11
	s_delay_alu instid0(VALU_DEP_3) | instskip(NEXT) | instid1(VALU_DEP_2)
	s_bcnt1_i32_b32 s10, s10
	s_bcnt1_i32_b32 s14, s14
	s_add_i32 s10, s11, s10
	s_delay_alu instid0(VALU_DEP_1) | instskip(SKIP_1) | instid1(SALU_CYCLE_1)
	s_bcnt1_i32_b32 s15, s15
	s_add_i32 s10, s10, s14
	s_add_i32 s10, s10, s15
	s_delay_alu instid0(SALU_CYCLE_1) | instskip(SKIP_1) | instid1(SALU_CYCLE_1)
	s_add_u32 s66, s66, s10
	s_addc_u32 s67, s67, 0
	v_dual_mov_b32 v12, s66 :: v_dual_mov_b32 v13, s67
	v_cmp_eq_u64_e64 s17, 3, v[30:31]
	s_and_b32 s7, s7, s12
	s_delay_alu instid0(SALU_CYCLE_1) | instskip(NEXT) | instid1(VALU_DEP_2)
	v_cndmask_b32_e64 v8, 0, 1, s7
	s_and_b32 s7, s8, s17
	s_delay_alu instid0(SALU_CYCLE_1) | instskip(SKIP_1) | instid1(SALU_CYCLE_1)
	v_cndmask_b32_e64 v9, 0, 1, s7
	s_and_b32 s7, s13, s21
	v_cndmask_b32_e64 v10, 0, 1, s7
	s_and_b32 s7, s9, s25
	s_delay_alu instid0(VALU_DEP_2)
	v_cmp_ne_u32_e64 s8, 0, v9
	v_cndmask_b32_e64 v11, 0, 1, s7
	v_cmp_ne_u32_e64 s7, 0, v8
	v_cmp_ne_u32_e64 s9, 0, v10
	v_mov_b32_e32 v8, s70
	s_bcnt1_i32_b32 s8, s8
	v_cmp_ne_u32_e64 s10, 0, v11
	s_bcnt1_i32_b32 s7, s7
	s_bcnt1_i32_b32 s9, s9
	s_add_i32 s7, s8, s7
	v_mov_b32_e32 v10, s68
	s_bcnt1_i32_b32 s8, s10
	s_add_i32 s7, s7, s9
	v_mov_b32_e32 v9, s71
	s_add_i32 s7, s7, s8
	v_mov_b32_e32 v11, s69
	s_add_u32 s64, s64, s7
	s_addc_u32 s65, s65, 0
	s_delay_alu instid0(SALU_CYCLE_1) | instskip(SKIP_1) | instid1(SALU_CYCLE_1)
	v_dual_mov_b32 v14, s64 :: v_dual_mov_b32 v15, s65
	s_or_b32 s97, vcc_lo, s97
	s_and_not1_b32 exec_lo, exec_lo, s97
	s_cbranch_execnz .LBB183_51
; %bb.52:                               ;   in Loop: Header=BB183_12 Depth=1
	s_or_b32 exec_lo, exec_lo, s97
.LBB183_53:                             ;   in Loop: Header=BB183_12 Depth=1
	s_delay_alu instid0(SALU_CYCLE_1) | instskip(SKIP_4) | instid1(VALU_DEP_3)
	s_or_b32 exec_lo, exec_lo, s63
	v_add_co_u32 v4, vcc_lo, v4, v0
	v_add_co_ci_u32_e32 v5, vcc_lo, 0, v5, vcc_lo
	v_mov_b32_e32 v30, 0
	v_dual_mov_b32 v31, 0 :: v_dual_and_b32 v2, 0xffff, v2
	v_cmp_gt_u64_e32 vcc_lo, s[36:37], v[4:5]
	s_and_saveexec_b32 s8, vcc_lo
	s_cbranch_execz .LBB183_55
; %bb.54:                               ;   in Loop: Header=BB183_12 Depth=1
	v_mul_lo_u32 v18, v5, s30
	v_mul_lo_u32 v30, v4, s31
	v_mad_u64_u32 v[28:29], null, v4, s30, 0
	s_delay_alu instid0(VALU_DEP_1) | instskip(NEXT) | instid1(VALU_DEP_1)
	v_add3_u32 v29, v29, v30, v18
	v_lshlrev_b64 v[28:29], 3, v[28:29]
	s_delay_alu instid0(VALU_DEP_1) | instskip(NEXT) | instid1(VALU_DEP_1)
	v_add_co_u32 v28, s7, s33, v28
	v_add_co_ci_u32_e64 v29, s7, s35, v29, s7
	global_load_b64 v[30:31], v[28:29], off
.LBB183_55:                             ;   in Loop: Header=BB183_12 Depth=1
	s_or_b32 exec_lo, exec_lo, s8
	s_and_saveexec_b32 s11, vcc_lo
	s_cbranch_execz .LBB183_62
; %bb.56:                               ;   in Loop: Header=BB183_12 Depth=1
	s_and_b32 s12, s89, 0xfe
	s_mov_b32 s13, 0
	s_branch .LBB183_58
.LBB183_57:                             ;   in Loop: Header=BB183_58 Depth=2
	s_or_b32 exec_lo, exec_lo, s8
	s_waitcnt vmcnt(0)
	v_cmp_o_f64_e64 s7, v[30:31], v[30:31]
	v_ashrrev_i32_e32 v18, 31, v31
	s_and_b32 s9, exec_lo, vcc_lo
	s_delay_alu instid0(SALU_CYCLE_1) | instskip(NEXT) | instid1(VALU_DEP_1)
	s_or_b32 s13, s9, s13
	v_or_b32_e32 v32, 0x80000000, v18
	v_xor_b32_e32 v18, v18, v30
	s_delay_alu instid0(VALU_DEP_2) | instskip(NEXT) | instid1(VALU_DEP_1)
	v_xor_b32_e32 v32, v32, v31
	v_cndmask_b32_e64 v31, -1, v32, s7
	s_delay_alu instid0(VALU_DEP_3) | instskip(NEXT) | instid1(VALU_DEP_1)
	v_cndmask_b32_e64 v30, -1, v18, s7
	v_lshrrev_b64 v[32:33], s12, v[30:31]
	v_and_b32_e32 v31, v31, v23
	v_and_b32_e32 v30, v30, v22
	s_delay_alu instid0(VALU_DEP_3) | instskip(NEXT) | instid1(VALU_DEP_2)
	v_and_b32_e32 v18, 3, v32
	v_cmp_eq_u64_e64 s7, v[30:31], v[24:25]
	s_delay_alu instid0(VALU_DEP_2) | instskip(SKIP_3) | instid1(VALU_DEP_4)
	v_cmp_eq_u64_e64 s8, 0, v[18:19]
	v_cmp_eq_u64_e32 vcc_lo, 1, v[18:19]
	v_cmp_eq_u64_e64 s9, 2, v[18:19]
	v_cmp_eq_u64_e64 s10, 3, v[18:19]
	s_and_b32 s8, s7, s8
	s_delay_alu instid0(SALU_CYCLE_1) | instskip(SKIP_1) | instid1(SALU_CYCLE_1)
	v_cndmask_b32_e64 v18, 0, 1, s8
	s_and_b32 s8, s7, vcc_lo
	v_cndmask_b32_e64 v30, 0, 1, s8
	s_and_b32 s8, s7, s9
	s_delay_alu instid0(VALU_DEP_2) | instskip(SKIP_2) | instid1(SALU_CYCLE_1)
	v_cmp_ne_u32_e32 vcc_lo, 0, v18
	v_cndmask_b32_e64 v31, 0, 1, s8
	s_and_b32 s7, s7, s10
	v_cndmask_b32_e64 v32, 0, 1, s7
	v_cmp_ne_u32_e64 s7, 0, v30
	s_bcnt1_i32_b32 s10, vcc_lo
	v_cmp_ne_u32_e64 s8, 0, v31
	v_mov_b32_e32 v31, v29
	v_add_co_u32 v8, vcc_lo, v8, s10
	s_bcnt1_i32_b32 s7, s7
	v_cmp_ne_u32_e64 s9, 0, v32
	v_add_co_ci_u32_e32 v9, vcc_lo, 0, v9, vcc_lo
	v_add_co_u32 v10, vcc_lo, v10, s7
	s_bcnt1_i32_b32 s8, s8
	v_add_co_ci_u32_e32 v11, vcc_lo, 0, v11, vcc_lo
	v_add_co_u32 v12, vcc_lo, v12, s8
	s_bcnt1_i32_b32 s9, s9
	v_add_co_ci_u32_e32 v13, vcc_lo, 0, v13, vcc_lo
	v_add_co_u32 v14, vcc_lo, v14, s9
	v_add_co_ci_u32_e32 v15, vcc_lo, 0, v15, vcc_lo
	v_mov_b32_e32 v30, v28
	s_and_not1_b32 exec_lo, exec_lo, s13
	s_cbranch_execz .LBB183_61
.LBB183_58:                             ;   Parent Loop BB183_12 Depth=1
                                        ; =>  This Inner Loop Header: Depth=2
	v_add_co_u32 v4, vcc_lo, v4, v2
	v_add_co_ci_u32_e32 v5, vcc_lo, 0, v5, vcc_lo
	v_mov_b32_e32 v28, 0
	v_mov_b32_e32 v29, 0
	s_mov_b32 s8, exec_lo
	s_delay_alu instid0(VALU_DEP_3)
	v_cmp_le_u64_e32 vcc_lo, s[36:37], v[4:5]
	v_cmpx_gt_u64_e64 s[36:37], v[4:5]
	s_cbranch_execz .LBB183_57
; %bb.59:                               ;   in Loop: Header=BB183_58 Depth=2
	v_mul_lo_u32 v18, v5, s30
	v_mul_lo_u32 v32, v4, s31
	v_mad_u64_u32 v[28:29], null, v4, s30, 0
	s_delay_alu instid0(VALU_DEP_1) | instskip(NEXT) | instid1(VALU_DEP_1)
	v_add3_u32 v29, v29, v32, v18
	v_lshlrev_b64 v[28:29], 3, v[28:29]
	s_delay_alu instid0(VALU_DEP_1) | instskip(NEXT) | instid1(VALU_DEP_1)
	v_add_co_u32 v28, s7, s33, v28
	v_add_co_ci_u32_e64 v29, s7, s35, v29, s7
	global_load_b64 v[28:29], v[28:29], off
	s_branch .LBB183_57
.LBB183_60:                             ;   in Loop: Header=BB183_12 Depth=1
                                        ; implicit-def: $vgpr14_vgpr15
                                        ; implicit-def: $vgpr10_vgpr11
	s_cbranch_execnz .LBB183_63
	s_branch .LBB183_72
.LBB183_61:                             ;   in Loop: Header=BB183_12 Depth=1
	s_or_b32 exec_lo, exec_lo, s13
.LBB183_62:                             ;   in Loop: Header=BB183_12 Depth=1
	s_delay_alu instid0(SALU_CYCLE_1)
	s_or_b32 exec_lo, exec_lo, s11
	s_branch .LBB183_72
.LBB183_63:                             ;   in Loop: Header=BB183_12 Depth=1
	global_load_u16 v2, v19, s[60:61]
	v_mov_b32_e32 v8, 0
	s_mov_b64 s[64:65], 0
	s_mov_b32 s96, exec_lo
	v_mov_b32_e32 v9, 0
	s_delay_alu instid0(VALU_DEP_1)
	v_mov_b32_e32 v15, v9
	v_dual_mov_b32 v11, v9 :: v_dual_mov_b32 v10, v8
	v_dual_mov_b32 v13, v9 :: v_dual_mov_b32 v12, v8
	v_mov_b32_e32 v14, v8
	s_waitcnt vmcnt(0)
	v_readfirstlane_b32 s7, v2
	v_and_b32_e32 v2, 0xffff, v2
	s_delay_alu instid0(VALU_DEP_2) | instskip(NEXT) | instid1(SALU_CYCLE_1)
	s_and_b32 s7, 0xffff, s7
	s_lshl_b32 s63, s7, 2
	s_delay_alu instid0(SALU_CYCLE_1) | instskip(SKIP_1) | instid1(VALU_DEP_1)
	v_cvt_f32_u32_e32 v4, s63
	s_sub_i32 s8, 0, s63
	v_rcp_iflag_f32_e32 v4, v4
	s_waitcnt_depctr 0xfff
	v_mul_f32_e32 v4, 0x4f7ffffe, v4
	s_delay_alu instid0(VALU_DEP_1) | instskip(NEXT) | instid1(VALU_DEP_1)
	v_cvt_u32_f32_e32 v4, v4
	v_readfirstlane_b32 s7, v4
	s_delay_alu instid0(VALU_DEP_1) | instskip(NEXT) | instid1(SALU_CYCLE_1)
	s_mul_i32 s8, s8, s7
	s_mul_hi_u32 s8, s7, s8
	s_delay_alu instid0(SALU_CYCLE_1) | instskip(NEXT) | instid1(SALU_CYCLE_1)
	s_add_i32 s7, s7, s8
	s_mul_hi_u32 s7, s62, s7
	s_delay_alu instid0(SALU_CYCLE_1) | instskip(NEXT) | instid1(SALU_CYCLE_1)
	s_mul_i32 s7, s7, s63
	s_sub_i32 s7, s62, s7
	s_delay_alu instid0(SALU_CYCLE_1) | instskip(SKIP_2) | instid1(SALU_CYCLE_1)
	s_sub_i32 s8, s7, s63
	s_cmp_ge_u32 s7, s63
	s_cselect_b32 s7, s8, s7
	s_sub_i32 s8, s7, s63
	s_cmp_ge_u32 s7, s63
	s_cselect_b32 s7, s8, s7
	s_delay_alu instid0(SALU_CYCLE_1) | instskip(NEXT) | instid1(SALU_CYCLE_1)
	s_sub_i32 s58, s62, s7
	v_cmpx_gt_u32_e64 s58, v20
	s_cbranch_execz .LBB183_67
; %bb.64:                               ;   in Loop: Header=BB183_12 Depth=1
	v_dual_mov_b32 v29, v39 :: v_dual_lshlrev_b32 v28, 5, v2
	v_dual_mov_b32 v4, v20 :: v_dual_mov_b32 v5, v21
	s_and_b32 s97, s89, 0xfe
	s_mov_b32 s98, 0
	s_mov_b64 s[66:67], 0
	s_mov_b64 s[68:69], 0
	;; [unrolled: 1-line block ×3, first 2 shown]
.LBB183_65:                             ;   Parent Loop BB183_12 Depth=1
                                        ; =>  This Inner Loop Header: Depth=2
	ds_load_b128 v[8:11], v29
	ds_load_b128 v[12:15], v29 offset:16
	v_dual_mov_b32 v42, v19 :: v_dual_add_nc_u32 v29, v29, v28
	v_add_co_u32 v4, vcc_lo, v4, s63
	v_add_co_ci_u32_e32 v5, vcc_lo, 0, v5, vcc_lo
	s_delay_alu instid0(VALU_DEP_1)
	v_cmp_le_u64_e32 vcc_lo, s[58:59], v[4:5]
	s_waitcnt lgkmcnt(1)
	v_cmp_o_f64_e64 s8, v[8:9], v[8:9]
	s_waitcnt lgkmcnt(0)
	v_cmp_o_f64_e64 s10, v[14:15], v[14:15]
	v_cmp_o_f64_e64 s7, v[10:11], v[10:11]
	;; [unrolled: 1-line block ×3, first 2 shown]
	v_ashrrev_i32_e32 v18, 31, v9
	v_ashrrev_i32_e32 v41, 31, v15
	;; [unrolled: 1-line block ×4, first 2 shown]
	s_delay_alu instid0(VALU_DEP_4) | instskip(NEXT) | instid1(VALU_DEP_4)
	v_or_b32_e32 v43, 0x80000000, v18
	v_or_b32_e32 v46, 0x80000000, v41
	s_delay_alu instid0(VALU_DEP_4) | instskip(NEXT) | instid1(VALU_DEP_4)
	v_or_b32_e32 v44, 0x80000000, v30
	v_or_b32_e32 v45, 0x80000000, v32
	v_xor_b32_e32 v18, v18, v8
	v_xor_b32_e32 v43, v43, v9
	;; [unrolled: 1-line block ×8, first 2 shown]
	v_cndmask_b32_e64 v9, -1, v43, s8
	v_cndmask_b32_e64 v15, -1, v8, s10
	;; [unrolled: 1-line block ×7, first 2 shown]
	v_dual_mov_b32 v31, v19 :: v_dual_and_b32 v44, v9, v23
	v_and_b32_e32 v43, v8, v22
	v_lshrrev_b64 v[8:9], s97, v[8:9]
	v_cndmask_b32_e64 v14, -1, v41, s10
	v_and_b32_e32 v45, v10, v22
	v_lshrrev_b64 v[9:10], s97, v[10:11]
	v_and_b32_e32 v46, v11, v23
	v_lshrrev_b64 v[10:11], s97, v[12:13]
	;; [unrolled: 2-line block ×3, first 2 shown]
	v_and_b32_e32 v18, 3, v8
	v_dual_mov_b32 v33, v19 :: v_dual_and_b32 v30, 3, v9
	v_and_b32_e32 v48, v13, v23
	v_and_b32_e32 v32, 3, v10
	v_cmp_eq_u64_e64 s7, v[43:44], v[24:25]
	v_cmp_eq_u64_e64 s11, 0, v[18:19]
	v_and_b32_e32 v50, v15, v23
	v_and_b32_e32 v49, v14, v22
	;; [unrolled: 1-line block ×3, first 2 shown]
	v_cmp_eq_u64_e64 s8, v[45:46], v[24:25]
	v_cmp_eq_u64_e64 s12, 0, v[30:31]
	v_cmp_eq_u64_e64 s9, v[47:48], v[24:25]
	v_cmp_eq_u64_e64 s13, 0, v[32:33]
	v_cmp_eq_u64_e64 s10, v[49:50], v[24:25]
	v_cmp_eq_u64_e64 s14, 0, v[41:42]
	s_and_b32 s11, s7, s11
	v_cmp_eq_u64_e64 s15, 1, v[18:19]
	v_cndmask_b32_e64 v8, 0, 1, s11
	s_and_b32 s11, s8, s12
	v_cmp_eq_u64_e64 s16, 1, v[30:31]
	v_cndmask_b32_e64 v9, 0, 1, s11
	;; [unrolled: 3-line block ×3, first 2 shown]
	s_and_b32 s11, s10, s14
	v_cmp_ne_u32_e64 s12, 0, v9
	v_cndmask_b32_e64 v11, 0, 1, s11
	v_cmp_ne_u32_e64 s11, 0, v8
	v_cmp_ne_u32_e64 s13, 0, v10
	v_cmp_eq_u64_e64 s18, 1, v[41:42]
	s_bcnt1_i32_b32 s12, s12
	v_cmp_ne_u32_e64 s14, 0, v11
	s_bcnt1_i32_b32 s11, s11
	s_bcnt1_i32_b32 s13, s13
	s_add_i32 s11, s12, s11
	v_cmp_eq_u64_e64 s19, 2, v[18:19]
	s_bcnt1_i32_b32 s14, s14
	s_add_i32 s11, s11, s13
	v_cmp_eq_u64_e64 s20, 2, v[30:31]
	s_add_i32 s11, s11, s14
	v_cmp_eq_u64_e64 s21, 2, v[32:33]
	s_add_u32 s70, s70, s11
	s_addc_u32 s71, s71, 0
	s_and_b32 s11, s7, s15
	v_cmp_eq_u64_e64 s22, 2, v[41:42]
	v_cndmask_b32_e64 v8, 0, 1, s11
	s_and_b32 s11, s8, s16
	v_cmp_eq_u64_e64 s24, 3, v[30:31]
	v_cndmask_b32_e64 v9, 0, 1, s11
	;; [unrolled: 3-line block ×3, first 2 shown]
	s_and_b32 s11, s10, s18
	v_cmp_ne_u32_e64 s12, 0, v9
	v_cndmask_b32_e64 v11, 0, 1, s11
	v_cmp_ne_u32_e64 s11, 0, v8
	v_cmp_ne_u32_e64 s13, 0, v10
	v_cmp_eq_u64_e64 s26, 3, v[41:42]
	s_bcnt1_i32_b32 s12, s12
	v_cmp_ne_u32_e64 s14, 0, v11
	s_bcnt1_i32_b32 s11, s11
	s_bcnt1_i32_b32 s13, s13
	s_add_i32 s11, s12, s11
	s_delay_alu instid0(VALU_DEP_1) | instskip(SKIP_1) | instid1(SALU_CYCLE_1)
	s_bcnt1_i32_b32 s14, s14
	s_add_i32 s11, s11, s13
	s_add_i32 s11, s11, s14
	s_delay_alu instid0(SALU_CYCLE_1) | instskip(SKIP_2) | instid1(SALU_CYCLE_1)
	s_add_u32 s68, s68, s11
	s_addc_u32 s69, s69, 0
	s_and_b32 s11, s7, s19
	v_cndmask_b32_e64 v8, 0, 1, s11
	s_and_b32 s11, s8, s20
	s_delay_alu instid0(SALU_CYCLE_1) | instskip(SKIP_1) | instid1(SALU_CYCLE_1)
	v_cndmask_b32_e64 v9, 0, 1, s11
	s_and_b32 s11, s9, s21
	v_cndmask_b32_e64 v10, 0, 1, s11
	s_and_b32 s11, s10, s22
	s_delay_alu instid0(VALU_DEP_2) | instskip(SKIP_3) | instid1(VALU_DEP_4)
	v_cmp_ne_u32_e64 s12, 0, v9
	v_cndmask_b32_e64 v11, 0, 1, s11
	v_cmp_ne_u32_e64 s11, 0, v8
	v_cmp_ne_u32_e64 s13, 0, v10
	s_bcnt1_i32_b32 s12, s12
	s_delay_alu instid0(VALU_DEP_3) | instskip(NEXT) | instid1(VALU_DEP_3)
	v_cmp_ne_u32_e64 s14, 0, v11
	s_bcnt1_i32_b32 s11, s11
	s_delay_alu instid0(VALU_DEP_2) | instskip(SKIP_1) | instid1(VALU_DEP_1)
	s_bcnt1_i32_b32 s13, s13
	s_add_i32 s11, s12, s11
	s_bcnt1_i32_b32 s14, s14
	s_add_i32 s11, s11, s13
	s_delay_alu instid0(SALU_CYCLE_1) | instskip(NEXT) | instid1(SALU_CYCLE_1)
	s_add_i32 s11, s11, s14
	s_add_u32 s66, s66, s11
	s_addc_u32 s67, s67, 0
	s_delay_alu instid0(SALU_CYCLE_1) | instskip(SKIP_1) | instid1(VALU_DEP_1)
	v_dual_mov_b32 v12, s66 :: v_dual_mov_b32 v13, s67
	v_cmp_eq_u64_e64 s23, 3, v[18:19]
	s_and_b32 s7, s7, s23
	s_delay_alu instid0(SALU_CYCLE_1) | instskip(SKIP_1) | instid1(SALU_CYCLE_1)
	v_cndmask_b32_e64 v8, 0, 1, s7
	s_and_b32 s7, s8, s24
	v_cndmask_b32_e64 v9, 0, 1, s7
	s_and_b32 s7, s9, s25
	s_delay_alu instid0(SALU_CYCLE_1) | instskip(SKIP_1) | instid1(VALU_DEP_2)
	v_cndmask_b32_e64 v10, 0, 1, s7
	s_and_b32 s7, s10, s26
	v_cmp_ne_u32_e64 s8, 0, v9
	v_cndmask_b32_e64 v11, 0, 1, s7
	v_cmp_ne_u32_e64 s7, 0, v8
	v_cmp_ne_u32_e64 s9, 0, v10
	v_mov_b32_e32 v8, s70
	s_bcnt1_i32_b32 s8, s8
	v_cmp_ne_u32_e64 s10, 0, v11
	s_bcnt1_i32_b32 s7, s7
	s_bcnt1_i32_b32 s9, s9
	s_add_i32 s7, s8, s7
	v_mov_b32_e32 v10, s68
	s_bcnt1_i32_b32 s8, s10
	s_add_i32 s7, s7, s9
	v_mov_b32_e32 v9, s71
	s_add_i32 s7, s7, s8
	v_mov_b32_e32 v11, s69
	s_add_u32 s64, s64, s7
	s_addc_u32 s65, s65, 0
	s_delay_alu instid0(SALU_CYCLE_1) | instskip(SKIP_1) | instid1(SALU_CYCLE_1)
	v_dual_mov_b32 v14, s64 :: v_dual_mov_b32 v15, s65
	s_or_b32 s98, vcc_lo, s98
	s_and_not1_b32 exec_lo, exec_lo, s98
	s_cbranch_execnz .LBB183_65
; %bb.66:                               ;   in Loop: Header=BB183_12 Depth=1
	s_or_b32 exec_lo, exec_lo, s98
.LBB183_67:                             ;   in Loop: Header=BB183_12 Depth=1
	s_delay_alu instid0(SALU_CYCLE_1) | instskip(SKIP_2) | instid1(VALU_DEP_1)
	s_or_b32 exec_lo, exec_lo, s96
	v_add_nc_u32_e32 v18, s58, v0
	s_mov_b32 s14, exec_lo
	v_cmpx_gt_u32_e64 s62, v18
	s_cbranch_execz .LBB183_71
; %bb.68:                               ;   in Loop: Header=BB183_12 Depth=1
	v_dual_mov_b32 v4, v18 :: v_dual_lshlrev_b32 v29, 3, v2
	v_dual_mov_b32 v5, v19 :: v_dual_lshlrev_b32 v28, 3, v18
	s_mov_b32 s13, 0
	s_and_b32 s12, s62, 0x7fffffff
	s_and_b32 s16, s89, 0xfe
	s_mov_b32 s15, s13
.LBB183_69:                             ;   Parent Loop BB183_12 Depth=1
                                        ; =>  This Inner Loop Header: Depth=2
	ds_load_b64 v[30:31], v28
	v_add_co_u32 v4, s7, v4, v2
	s_delay_alu instid0(VALU_DEP_1) | instskip(NEXT) | instid1(VALU_DEP_1)
	v_add_co_ci_u32_e64 v5, s7, 0, v5, s7
	v_cmp_le_u64_e64 s7, s[12:13], v[4:5]
	s_waitcnt lgkmcnt(0)
	v_cmp_o_f64_e32 vcc_lo, v[30:31], v[30:31]
	v_ashrrev_i32_e32 v18, 31, v31
	s_delay_alu instid0(VALU_DEP_1) | instskip(SKIP_1) | instid1(VALU_DEP_2)
	v_or_b32_e32 v32, 0x80000000, v18
	v_xor_b32_e32 v18, v18, v30
	v_xor_b32_e32 v32, v32, v31
	s_delay_alu instid0(VALU_DEP_1) | instskip(NEXT) | instid1(VALU_DEP_1)
	v_dual_cndmask_b32 v31, -1, v32 :: v_dual_add_nc_u32 v28, v28, v29
	v_dual_cndmask_b32 v30, -1, v18 :: v_dual_and_b32 v33, v31, v23
	s_delay_alu instid0(VALU_DEP_1) | instskip(SKIP_1) | instid1(VALU_DEP_2)
	v_and_b32_e32 v32, v30, v22
	v_lshrrev_b64 v[30:31], s16, v[30:31]
	v_cmp_eq_u64_e32 vcc_lo, v[32:33], v[24:25]
	s_delay_alu instid0(VALU_DEP_2) | instskip(NEXT) | instid1(VALU_DEP_1)
	v_and_b32_e32 v18, 3, v30
	v_cmp_eq_u64_e64 s8, 0, v[18:19]
	v_cmp_eq_u64_e64 s9, 1, v[18:19]
	;; [unrolled: 1-line block ×4, first 2 shown]
	s_delay_alu instid0(VALU_DEP_4) | instskip(NEXT) | instid1(SALU_CYCLE_1)
	s_and_b32 s8, vcc_lo, s8
	v_cndmask_b32_e64 v18, 0, 1, s8
	s_delay_alu instid0(VALU_DEP_4) | instskip(NEXT) | instid1(SALU_CYCLE_1)
	s_and_b32 s8, vcc_lo, s9
	v_cndmask_b32_e64 v30, 0, 1, s8
	s_and_b32 s8, vcc_lo, s10
	s_delay_alu instid0(SALU_CYCLE_1)
	v_cndmask_b32_e64 v31, 0, 1, s8
	s_and_b32 s8, vcc_lo, s11
	v_cmp_ne_u32_e32 vcc_lo, 0, v18
	v_cndmask_b32_e64 v32, 0, 1, s8
	v_cmp_ne_u32_e64 s8, 0, v30
	v_cmp_ne_u32_e64 s9, 0, v31
	s_bcnt1_i32_b32 s11, vcc_lo
	s_delay_alu instid0(VALU_DEP_3)
	v_cmp_ne_u32_e64 s10, 0, v32
	v_add_co_u32 v8, vcc_lo, v8, s11
	s_bcnt1_i32_b32 s8, s8
	v_add_co_ci_u32_e32 v9, vcc_lo, 0, v9, vcc_lo
	v_add_co_u32 v10, vcc_lo, v10, s8
	s_bcnt1_i32_b32 s9, s9
	v_add_co_ci_u32_e32 v11, vcc_lo, 0, v11, vcc_lo
	;; [unrolled: 3-line block ×3, first 2 shown]
	v_add_co_u32 v14, vcc_lo, v14, s10
	v_add_co_ci_u32_e32 v15, vcc_lo, 0, v15, vcc_lo
	s_or_b32 s15, s7, s15
	s_delay_alu instid0(SALU_CYCLE_1)
	s_and_not1_b32 exec_lo, exec_lo, s15
	s_cbranch_execnz .LBB183_69
; %bb.70:                               ;   in Loop: Header=BB183_12 Depth=1
	s_or_b32 exec_lo, exec_lo, s15
.LBB183_71:                             ;   in Loop: Header=BB183_12 Depth=1
	s_delay_alu instid0(SALU_CYCLE_1)
	s_or_b32 exec_lo, exec_lo, s14
.LBB183_72:                             ;   in Loop: Header=BB183_12 Depth=1
	s_lshl_b32 s7, s85, 7
	s_and_saveexec_b32 s8, s2
	s_cbranch_execz .LBB183_74
; %bb.73:                               ;   in Loop: Header=BB183_12 Depth=1
	v_or_b32_e32 v2, s7, v36
	s_delay_alu instid0(VALU_DEP_1)
	v_lshlrev_b32_e32 v2, 3, v2
	ds_store_b128 v2, v[8:11] offset:3072
	ds_store_b128 v2, v[12:15] offset:3088
.LBB183_74:                             ;   in Loop: Header=BB183_12 Depth=1
	s_or_b32 exec_lo, exec_lo, s8
	s_waitcnt vmcnt(0) lgkmcnt(0)
	s_barrier
	buffer_gl0_inv
	s_and_saveexec_b32 s8, s72
	s_cbranch_execz .LBB183_85
; %bb.75:                               ;   in Loop: Header=BB183_12 Depth=1
	v_mov_b32_e32 v4, 0
	v_mov_b32_e32 v5, 0
	s_and_not1_b32 vcc_lo, exec_lo, s80
	s_cbranch_vccnz .LBB183_84
; %bb.76:                               ;   in Loop: Header=BB183_12 Depth=1
	v_mov_b32_e32 v4, 0
	v_mov_b32_e32 v5, 0
	s_and_not1_b32 vcc_lo, exec_lo, s78
	s_cbranch_vccnz .LBB183_81
; %bb.77:                               ;   in Loop: Header=BB183_12 Depth=1
	v_lshl_add_u32 v2, s85, 10, v40
	s_mov_b32 s9, 0
	s_set_inst_prefetch_distance 0x1
	.p2align	6
.LBB183_78:                             ;   Parent Loop BB183_12 Depth=1
                                        ; =>  This Inner Loop Header: Depth=2
	ds_load_2addr_b64 v[8:11], v2 offset1:4
	ds_load_2addr_b64 v[12:15], v2 offset0:8 offset1:12
	ds_load_2addr_b64 v[28:31], v2 offset0:16 offset1:20
	s_add_i32 s9, s9, 8
	s_delay_alu instid0(SALU_CYCLE_1) | instskip(SKIP_3) | instid1(VALU_DEP_2)
	s_cmp_eq_u32 s79, s9
	s_waitcnt lgkmcnt(2)
	v_add_co_u32 v4, vcc_lo, v8, v4
	v_add_co_ci_u32_e32 v5, vcc_lo, v9, v5, vcc_lo
	v_add_co_u32 v4, vcc_lo, v10, v4
	s_delay_alu instid0(VALU_DEP_2)
	v_add_co_ci_u32_e32 v5, vcc_lo, v11, v5, vcc_lo
	ds_load_2addr_b64 v[8:11], v2 offset0:24 offset1:28
	s_waitcnt lgkmcnt(2)
	v_add_co_u32 v4, vcc_lo, v12, v4
	v_add_co_ci_u32_e32 v5, vcc_lo, v13, v5, vcc_lo
	v_add_nc_u32_e32 v2, 0x100, v2
	s_delay_alu instid0(VALU_DEP_3) | instskip(NEXT) | instid1(VALU_DEP_3)
	v_add_co_u32 v4, vcc_lo, v14, v4
	v_add_co_ci_u32_e32 v5, vcc_lo, v15, v5, vcc_lo
	s_waitcnt lgkmcnt(1)
	s_delay_alu instid0(VALU_DEP_2) | instskip(NEXT) | instid1(VALU_DEP_2)
	v_add_co_u32 v4, vcc_lo, v28, v4
	v_add_co_ci_u32_e32 v5, vcc_lo, v29, v5, vcc_lo
	s_delay_alu instid0(VALU_DEP_2) | instskip(NEXT) | instid1(VALU_DEP_2)
	v_add_co_u32 v4, vcc_lo, v30, v4
	v_add_co_ci_u32_e32 v5, vcc_lo, v31, v5, vcc_lo
	s_waitcnt lgkmcnt(0)
	s_delay_alu instid0(VALU_DEP_2) | instskip(NEXT) | instid1(VALU_DEP_2)
	v_add_co_u32 v4, vcc_lo, v8, v4
	v_add_co_ci_u32_e32 v5, vcc_lo, v9, v5, vcc_lo
	s_delay_alu instid0(VALU_DEP_2) | instskip(NEXT) | instid1(VALU_DEP_2)
	v_add_co_u32 v4, vcc_lo, v10, v4
	v_add_co_ci_u32_e32 v5, vcc_lo, v11, v5, vcc_lo
	s_cbranch_scc0 .LBB183_78
; %bb.79:                               ;   in Loop: Header=BB183_12 Depth=1
	s_set_inst_prefetch_distance 0x2
	s_mov_b32 s9, s79
	s_and_not1_b32 vcc_lo, exec_lo, s81
	s_cbranch_vccz .LBB183_82
	s_branch .LBB183_84
.LBB183_80:                             ;   in Loop: Header=BB183_12 Depth=1
                                        ; implicit-def: $vgpr4_vgpr5
	s_branch .LBB183_48
.LBB183_81:                             ;   in Loop: Header=BB183_12 Depth=1
	s_mov_b32 s9, 0
	s_and_not1_b32 vcc_lo, exec_lo, s81
	s_cbranch_vccnz .LBB183_84
.LBB183_82:                             ;   in Loop: Header=BB183_12 Depth=1
	s_lshl_b32 s10, s85, 10
	s_lshl_b32 s9, s9, 5
	s_delay_alu instid0(SALU_CYCLE_1)
	v_add3_u32 v2, s10, s9, v40
	s_mov_b32 s9, s77
.LBB183_83:                             ;   Parent Loop BB183_12 Depth=1
                                        ; =>  This Inner Loop Header: Depth=2
	ds_load_b64 v[8:9], v2
	v_add_nc_u32_e32 v2, 32, v2
	s_add_i32 s9, s9, -1
	s_delay_alu instid0(SALU_CYCLE_1)
	s_cmp_lg_u32 s9, 0
	s_waitcnt lgkmcnt(0)
	v_add_co_u32 v4, vcc_lo, v8, v4
	v_add_co_ci_u32_e32 v5, vcc_lo, v9, v5, vcc_lo
	s_cbranch_scc1 .LBB183_83
.LBB183_84:                             ;   in Loop: Header=BB183_12 Depth=1
	v_add_lshl_u32 v2, s7, v35, 3
	ds_store_b64 v2, v[4:5] offset:3072
.LBB183_85:                             ;   in Loop: Header=BB183_12 Depth=1
	s_or_b32 exec_lo, exec_lo, s8
	s_lshl_b32 s7, s7, 3
	s_waitcnt lgkmcnt(0)
	v_mov_b32_e32 v2, s7
	s_barrier
	buffer_gl0_inv
	s_and_b32 s24, s89, 0xfe
	v_cmp_eq_u64_e64 s7, 1, v[26:27]
	ds_load_b128 v[8:11], v2 offset:3072
	ds_load_b128 v[12:15], v2 offset:3088
	s_lshl_b64 s[12:13], 3, s24
	s_mov_b32 s62, 0
	s_and_not1_b32 vcc_lo, exec_lo, s57
	s_not_b64 s[14:15], s[12:13]
	s_waitcnt lgkmcnt(1)
	v_readfirstlane_b32 s11, v9
	v_readfirstlane_b32 s10, v8
	;; [unrolled: 1-line block ×4, first 2 shown]
	s_waitcnt lgkmcnt(0)
	v_readfirstlane_b32 s19, v13
	v_readfirstlane_b32 s18, v12
	;; [unrolled: 1-line block ×4, first 2 shown]
	s_cbranch_vccnz .LBB183_101
; %bb.86:                               ;   in Loop: Header=BB183_12 Depth=1
	s_cmp_eq_u64 s[10:11], 1
	v_dual_mov_b32 v12, v24 :: v_dual_mov_b32 v13, v25
	v_dual_mov_b32 v14, v22 :: v_dual_mov_b32 v15, v23
	;; [unrolled: 1-line block ×3, first 2 shown]
	s_cselect_b32 s8, -1, 0
                                        ; implicit-def: $sgpr25
                                        ; implicit-def: $sgpr64
                                        ; implicit-def: $sgpr63
	s_delay_alu instid0(SALU_CYCLE_1)
	s_and_b32 s67, s8, s7
	s_mov_b32 s8, -1
	s_and_saveexec_b32 s58, s67
	s_cbranch_execz .LBB183_120
; %bb.87:                               ;   in Loop: Header=BB183_12 Depth=1
	ds_load_b64 v[4:5], v19 offset:5120
	s_waitcnt lgkmcnt(0)
	s_barrier
	buffer_gl0_inv
	v_readfirstlane_b32 s22, v4
	v_readfirstlane_b32 s23, v5
	s_and_saveexec_b32 s8, s6
	s_cbranch_execz .LBB183_89
; %bb.88:                               ;   in Loop: Header=BB183_12 Depth=1
	v_mov_b32_e32 v18, v19
	ds_store_b64 v38, v[18:19]
.LBB183_89:                             ;   in Loop: Header=BB183_12 Depth=1
	s_or_b32 exec_lo, exec_lo, s8
	v_and_b32_e32 v13, s15, v25
	v_and_b32_e32 v12, s14, v24
	v_or_b32_e32 v15, s13, v23
	v_or_b32_e32 v14, s12, v22
	s_cmp_eq_u64 s[22:23], 0
	s_waitcnt lgkmcnt(0)
	s_barrier
	buffer_gl0_inv
	s_cbranch_scc1 .LBB183_103
; %bb.90:                               ;   in Loop: Header=BB183_12 Depth=1
	s_add_u32 s25, s74, s22
	s_addc_u32 s9, s75, s23
	s_mov_b32 s8, s59
	s_delay_alu instid0(SALU_CYCLE_1)
	s_cmp_lg_u64 s[8:9], 0
	s_cbranch_scc0 .LBB183_147
; %bb.91:                               ;   in Loop: Header=BB183_12 Depth=1
	v_cvt_f32_u32_e32 v2, s51
	s_sub_u32 s52, 0, s51
	s_subb_u32 s53, 0, 0
	s_delay_alu instid0(VALU_DEP_1) | instskip(NEXT) | instid1(VALU_DEP_1)
	v_fmac_f32_e64 v2, 0, 0x4f800000
	v_rcp_f32_e32 v2, v2
	s_waitcnt_depctr 0xfff
	v_mul_f32_e32 v2, 0x5f7ffffc, v2
	s_delay_alu instid0(VALU_DEP_1) | instskip(NEXT) | instid1(VALU_DEP_1)
	v_mul_f32_e32 v4, 0x2f800000, v2
	v_trunc_f32_e32 v4, v4
	s_delay_alu instid0(VALU_DEP_1) | instskip(SKIP_1) | instid1(VALU_DEP_2)
	v_fmac_f32_e32 v2, 0xcf800000, v4
	v_cvt_u32_f32_e32 v4, v4
	v_cvt_u32_f32_e32 v2, v2
	s_delay_alu instid0(VALU_DEP_2) | instskip(NEXT) | instid1(VALU_DEP_2)
	v_readfirstlane_b32 s8, v4
	v_readfirstlane_b32 s26, v2
	s_delay_alu instid0(VALU_DEP_2) | instskip(NEXT) | instid1(VALU_DEP_1)
	s_mul_i32 s54, s52, s8
	s_mul_hi_u32 s62, s52, s26
	s_mul_i32 s55, s53, s26
	s_add_i32 s54, s62, s54
	s_mul_i32 s63, s52, s26
	s_add_i32 s54, s54, s55
	s_mul_hi_u32 s62, s26, s63
	s_mul_hi_u32 s64, s8, s63
	s_mul_i32 s55, s8, s63
	s_mul_hi_u32 s63, s26, s54
	s_mul_i32 s26, s26, s54
	s_mul_hi_u32 s65, s8, s54
	s_add_u32 s26, s62, s26
	s_addc_u32 s62, 0, s63
	s_add_u32 s26, s26, s55
	s_mul_i32 s54, s8, s54
	s_addc_u32 s26, s62, s64
	s_addc_u32 s55, s65, 0
	s_add_u32 s26, s26, s54
	s_addc_u32 s54, 0, s55
	v_add_co_u32 v2, s26, v2, s26
	s_delay_alu instid0(VALU_DEP_1) | instskip(SKIP_1) | instid1(VALU_DEP_1)
	s_cmp_lg_u32 s26, 0
	s_addc_u32 s8, s8, s54
	v_readfirstlane_b32 s26, v2
	s_mul_i32 s54, s52, s8
	s_delay_alu instid0(VALU_DEP_1)
	s_mul_hi_u32 s55, s52, s26
	s_mul_i32 s53, s53, s26
	s_add_i32 s54, s55, s54
	s_mul_i32 s52, s52, s26
	s_add_i32 s54, s54, s53
	s_mul_hi_u32 s55, s8, s52
	s_mul_i32 s62, s8, s52
	s_mul_hi_u32 s52, s26, s52
	s_mul_hi_u32 s63, s26, s54
	s_mul_i32 s26, s26, s54
	s_mul_hi_u32 s53, s8, s54
	s_add_u32 s26, s52, s26
	s_addc_u32 s52, 0, s63
	s_add_u32 s26, s26, s62
	s_mul_i32 s54, s8, s54
	s_addc_u32 s26, s52, s55
	s_addc_u32 s52, s53, 0
	s_add_u32 s26, s26, s54
	s_addc_u32 s52, 0, s52
	v_add_co_u32 v2, s26, v2, s26
	s_delay_alu instid0(VALU_DEP_1) | instskip(SKIP_1) | instid1(VALU_DEP_1)
	s_cmp_lg_u32 s26, 0
	s_addc_u32 s8, s8, s52
	v_readfirstlane_b32 s26, v2
	s_mul_i32 s53, s25, s8
	s_mul_hi_u32 s52, s25, s8
	s_mul_hi_u32 s54, s9, s8
	s_mul_i32 s8, s9, s8
	s_mul_hi_u32 s55, s25, s26
	s_mul_hi_u32 s62, s9, s26
	s_mul_i32 s26, s9, s26
	s_add_u32 s53, s55, s53
	s_addc_u32 s52, 0, s52
	s_add_u32 s26, s53, s26
	s_addc_u32 s26, s52, s62
	s_addc_u32 s52, s54, 0
	s_add_u32 s8, s26, s8
	s_addc_u32 s26, 0, s52
	s_mul_hi_u32 s52, s51, s8
	s_mul_i32 s8, s51, s8
	s_mul_i32 s26, s51, s26
	v_sub_co_u32 v2, s8, s25, s8
	s_add_i32 s52, s52, s26
	s_cmp_lg_u32 s8, 0
	s_delay_alu instid0(VALU_DEP_1) | instskip(SKIP_2) | instid1(VALU_DEP_1)
	v_sub_co_u32 v4, s8, v2, s51
	s_subb_u32 s26, s9, s52
	s_cmp_lg_u32 s8, 0
	v_cmp_le_u32_e32 vcc_lo, s51, v4
	v_sub_co_u32 v5, s8, v4, s51
	s_subb_u32 s52, s26, 0
	s_cmp_lg_u32 s8, 0
	v_cndmask_b32_e64 v8, 0, -1, vcc_lo
	s_subb_u32 s8, s52, 0
	s_cmp_eq_u32 s52, 0
	v_mov_b32_e32 v10, s8
	s_cselect_b32 vcc_lo, -1, 0
	s_cmp_eq_u32 s26, 0
	v_cndmask_b32_e32 v8, -1, v8, vcc_lo
	v_cmp_le_u32_e32 vcc_lo, s51, v2
	s_cselect_b32 s8, -1, 0
	v_cndmask_b32_e64 v9, 0, -1, vcc_lo
	s_delay_alu instid0(VALU_DEP_3) | instskip(NEXT) | instid1(VALU_DEP_2)
	v_cmp_ne_u32_e32 vcc_lo, 0, v8
	v_cndmask_b32_e64 v8, -1, v9, s8
	v_cndmask_b32_e32 v9, s52, v10, vcc_lo
	v_cndmask_b32_e32 v4, v4, v5, vcc_lo
	s_delay_alu instid0(VALU_DEP_3) | instskip(NEXT) | instid1(VALU_DEP_3)
	v_cmp_ne_u32_e32 vcc_lo, 0, v8
	v_cndmask_b32_e32 v5, s26, v9, vcc_lo
	s_delay_alu instid0(VALU_DEP_3)
	v_cndmask_b32_e32 v4, v2, v4, vcc_lo
	s_cbranch_execnz .LBB183_93
.LBB183_92:                             ;   in Loop: Header=BB183_12 Depth=1
	v_cvt_f32_u32_e32 v2, s51
	s_sub_i32 s8, 0, s51
	s_delay_alu instid0(VALU_DEP_1) | instskip(SKIP_2) | instid1(VALU_DEP_1)
	v_rcp_iflag_f32_e32 v2, v2
	s_waitcnt_depctr 0xfff
	v_mul_f32_e32 v2, 0x4f7ffffe, v2
	v_cvt_u32_f32_e32 v2, v2
	s_delay_alu instid0(VALU_DEP_1) | instskip(NEXT) | instid1(VALU_DEP_1)
	v_mul_lo_u32 v4, s8, v2
	v_mul_hi_u32 v4, v2, v4
	s_delay_alu instid0(VALU_DEP_1) | instskip(NEXT) | instid1(VALU_DEP_1)
	v_add_nc_u32_e32 v2, v2, v4
	v_mul_hi_u32 v2, s25, v2
	s_delay_alu instid0(VALU_DEP_1) | instskip(NEXT) | instid1(VALU_DEP_1)
	v_mul_lo_u32 v2, v2, s51
	v_sub_nc_u32_e32 v2, s25, v2
	s_delay_alu instid0(VALU_DEP_1) | instskip(SKIP_1) | instid1(VALU_DEP_2)
	v_subrev_nc_u32_e32 v4, s51, v2
	v_cmp_le_u32_e32 vcc_lo, s51, v2
	v_cndmask_b32_e32 v2, v2, v4, vcc_lo
	s_delay_alu instid0(VALU_DEP_1) | instskip(SKIP_1) | instid1(VALU_DEP_2)
	v_subrev_nc_u32_e32 v4, s51, v2
	v_cmp_le_u32_e32 vcc_lo, s51, v2
	v_cndmask_b32_e32 v18, v2, v4, vcc_lo
	s_delay_alu instid0(VALU_DEP_1)
	v_dual_mov_b32 v4, v18 :: v_dual_mov_b32 v5, v19
.LBB183_93:                             ;   in Loop: Header=BB183_12 Depth=1
	s_delay_alu instid0(VALU_DEP_1) | instskip(NEXT) | instid1(VALU_DEP_2)
	v_sub_co_u32 v28, vcc_lo, s25, v4
	v_sub_co_ci_u32_e32 v29, vcc_lo, s9, v5, vcc_lo
	s_mov_b32 s8, 0
	s_mov_b32 s9, exec_lo
                                        ; implicit-def: $vgpr10_vgpr11
	s_delay_alu instid0(VALU_DEP_1)
	v_cmpx_gt_u64_e64 v[28:29], v[0:1]
	s_cbranch_execz .LBB183_105
; %bb.94:                               ;   in Loop: Header=BB183_12 Depth=1
	v_mov_b32_e32 v18, v37
	v_dual_mov_b32 v31, v1 :: v_dual_mov_b32 v30, v0
	s_mov_b32 s26, 0
                                        ; implicit-def: $sgpr25
	s_set_inst_prefetch_distance 0x1
	s_branch .LBB183_96
	.p2align	6
.LBB183_95:                             ;   in Loop: Header=BB183_96 Depth=2
	s_or_b32 exec_lo, exec_lo, s8
	s_waitcnt lgkmcnt(0)
	s_barrier
	buffer_gl0_inv
	ds_load_b128 v[8:11], v19 offset:3072
	v_add_co_u32 v30, s8, v30, s51
	s_delay_alu instid0(VALU_DEP_1) | instskip(SKIP_3) | instid1(VALU_DEP_2)
	v_add_co_ci_u32_e64 v31, s8, 0, v31, s8
	v_add_nc_u32_e32 v18, s82, v18
	s_waitcnt lgkmcnt(0)
	s_barrier
	v_cmp_ge_u64_e64 s8, v[30:31], v[28:29]
	buffer_gl0_inv
	v_cmp_neq_f64_e32 vcc_lo, 0, v[8:9]
	s_or_b32 s8, s8, vcc_lo
	s_delay_alu instid0(SALU_CYCLE_1) | instskip(NEXT) | instid1(SALU_CYCLE_1)
	s_and_b32 s8, exec_lo, s8
	s_or_b32 s26, s8, s26
	s_and_not1_b32 s8, s25, exec_lo
	s_and_b32 s25, vcc_lo, exec_lo
	s_delay_alu instid0(SALU_CYCLE_1)
	s_or_b32 s25, s8, s25
	s_and_not1_b32 exec_lo, exec_lo, s26
	s_cbranch_execz .LBB183_104
.LBB183_96:                             ;   Parent Loop BB183_12 Depth=1
                                        ; =>  This Inner Loop Header: Depth=2
	s_delay_alu instid0(VALU_DEP_1)
	v_cmp_gt_u64_e32 vcc_lo, s[22:23], v[30:31]
	v_mov_b32_e32 v4, 0
	v_mov_b32_e32 v5, 0
	s_and_saveexec_b32 s8, vcc_lo
	s_cbranch_execz .LBB183_98
; %bb.97:                               ;   in Loop: Header=BB183_96 Depth=2
	ds_load_b64 v[4:5], v18
.LBB183_98:                             ;   in Loop: Header=BB183_96 Depth=2
	s_or_b32 exec_lo, exec_lo, s8
	s_and_saveexec_b32 s8, vcc_lo
	s_cbranch_execz .LBB183_95
; %bb.99:                               ;   in Loop: Header=BB183_96 Depth=2
	s_waitcnt lgkmcnt(0)
	v_cmp_o_f64_e32 vcc_lo, v[4:5], v[4:5]
	v_ashrrev_i32_e32 v2, 31, v5
	s_delay_alu instid0(VALU_DEP_1) | instskip(SKIP_1) | instid1(VALU_DEP_2)
	v_or_b32_e32 v8, 0x80000000, v2
	v_xor_b32_e32 v2, v2, v4
	v_xor_b32_e32 v8, v8, v5
	s_delay_alu instid0(VALU_DEP_1) | instskip(NEXT) | instid1(VALU_DEP_1)
	v_cndmask_b32_e32 v8, -1, v8, vcc_lo
	v_dual_cndmask_b32 v2, -1, v2 :: v_dual_and_b32 v9, v8, v15
	s_delay_alu instid0(VALU_DEP_1) | instskip(NEXT) | instid1(VALU_DEP_1)
	v_and_b32_e32 v8, v2, v14
	v_cmp_eq_u64_e32 vcc_lo, v[8:9], v[12:13]
	s_and_b32 exec_lo, exec_lo, vcc_lo
	s_cbranch_execz .LBB183_95
; %bb.100:                              ;   in Loop: Header=BB183_96 Depth=2
	v_mov_b32_e32 v2, v19
	ds_store_b128 v19, v[2:5] offset:3072
	s_branch .LBB183_95
.LBB183_101:                            ;   in Loop: Header=BB183_12 Depth=1
	s_mov_b32 s58, 0
                                        ; implicit-def: $sgpr63
                                        ; implicit-def: $sgpr64
                                        ; implicit-def: $sgpr25
                                        ; implicit-def: $vgpr2
                                        ; implicit-def: $vgpr28_vgpr29
                                        ; implicit-def: $vgpr12_vgpr13
                                        ; implicit-def: $vgpr14_vgpr15
                                        ; implicit-def: $vgpr10_vgpr11
	s_cbranch_execnz .LBB183_284
.LBB183_102:                            ;   in Loop: Header=BB183_12 Depth=1
	s_mov_b32 s22, s25
	s_mov_b32 s23, s25
	s_and_saveexec_b32 s7, s62
	s_cbranch_execnz .LBB183_480
	s_branch .LBB183_481
.LBB183_103:                            ;   in Loop: Header=BB183_12 Depth=1
	s_mov_b32 s25, -1
	s_mov_b32 s8, 0
                                        ; implicit-def: $sgpr63
                                        ; implicit-def: $vgpr10_vgpr11
	s_mov_b32 s64, s25
	s_cbranch_execnz .LBB183_106
	s_branch .LBB183_119
.LBB183_104:                            ;   in Loop: Header=BB183_12 Depth=1
	s_set_inst_prefetch_distance 0x2
	s_or_b32 exec_lo, exec_lo, s26
	s_delay_alu instid0(SALU_CYCLE_1)
	s_and_b32 s8, s25, exec_lo
.LBB183_105:                            ;   in Loop: Header=BB183_12 Depth=1
	s_or_b32 exec_lo, exec_lo, s9
	s_mov_b32 s63, -1
	s_mov_b32 s25, 0
	s_delay_alu instid0(SALU_CYCLE_1)
	s_mov_b32 s64, s25
	s_branch .LBB183_119
.LBB183_106:                            ;   in Loop: Header=BB183_12 Depth=1
	s_mov_b32 s26, s59
	s_delay_alu instid0(SALU_CYCLE_1)
	s_cmp_lg_u64 s[26:27], 0
	s_cbranch_scc0 .LBB183_148
; %bb.107:                              ;   in Loop: Header=BB183_12 Depth=1
	v_cvt_f32_u32_e32 v2, s51
	s_sub_u32 s22, 0, s51
	s_subb_u32 s23, 0, 0
	s_delay_alu instid0(VALU_DEP_1) | instskip(NEXT) | instid1(VALU_DEP_1)
	v_fmac_f32_e64 v2, 0, 0x4f800000
	v_rcp_f32_e32 v2, v2
	s_waitcnt_depctr 0xfff
	v_mul_f32_e32 v2, 0x5f7ffffc, v2
	s_delay_alu instid0(VALU_DEP_1) | instskip(NEXT) | instid1(VALU_DEP_1)
	v_mul_f32_e32 v4, 0x2f800000, v2
	v_trunc_f32_e32 v4, v4
	s_delay_alu instid0(VALU_DEP_1) | instskip(SKIP_1) | instid1(VALU_DEP_2)
	v_fmac_f32_e32 v2, 0xcf800000, v4
	v_cvt_u32_f32_e32 v4, v4
	v_cvt_u32_f32_e32 v2, v2
	s_delay_alu instid0(VALU_DEP_2) | instskip(NEXT) | instid1(VALU_DEP_2)
	v_readfirstlane_b32 s8, v4
	v_readfirstlane_b32 s9, v2
	s_delay_alu instid0(VALU_DEP_2) | instskip(NEXT) | instid1(VALU_DEP_1)
	s_mul_i32 s25, s22, s8
	s_mul_hi_u32 s52, s22, s9
	s_mul_i32 s26, s23, s9
	s_add_i32 s25, s52, s25
	s_mul_i32 s53, s22, s9
	s_add_i32 s25, s25, s26
	s_mul_hi_u32 s52, s9, s53
	s_mul_hi_u32 s54, s8, s53
	s_mul_i32 s26, s8, s53
	s_mul_hi_u32 s53, s9, s25
	s_mul_i32 s9, s9, s25
	s_mul_hi_u32 s55, s8, s25
	s_add_u32 s9, s52, s9
	s_addc_u32 s52, 0, s53
	s_add_u32 s9, s9, s26
	s_mul_i32 s25, s8, s25
	s_addc_u32 s9, s52, s54
	s_addc_u32 s26, s55, 0
	s_add_u32 s9, s9, s25
	s_addc_u32 s25, 0, s26
	v_add_co_u32 v2, s9, v2, s9
	s_delay_alu instid0(VALU_DEP_1) | instskip(SKIP_1) | instid1(VALU_DEP_1)
	s_cmp_lg_u32 s9, 0
	s_addc_u32 s8, s8, s25
	v_readfirstlane_b32 s9, v2
	s_mul_i32 s25, s22, s8
	s_delay_alu instid0(VALU_DEP_1)
	s_mul_hi_u32 s26, s22, s9
	s_mul_i32 s23, s23, s9
	s_add_i32 s25, s26, s25
	s_mul_i32 s22, s22, s9
	s_add_i32 s25, s25, s23
	s_mul_hi_u32 s26, s8, s22
	s_mul_i32 s52, s8, s22
	s_mul_hi_u32 s22, s9, s22
	s_mul_hi_u32 s53, s9, s25
	s_mul_i32 s9, s9, s25
	s_mul_hi_u32 s23, s8, s25
	s_add_u32 s9, s22, s9
	s_addc_u32 s22, 0, s53
	s_add_u32 s9, s9, s52
	s_mul_i32 s25, s8, s25
	s_addc_u32 s9, s22, s26
	s_addc_u32 s22, s23, 0
	s_add_u32 s9, s9, s25
	s_addc_u32 s22, 0, s22
	v_add_co_u32 v2, s9, v2, s9
	s_delay_alu instid0(VALU_DEP_1) | instskip(SKIP_1) | instid1(VALU_DEP_1)
	s_cmp_lg_u32 s9, 0
	s_addc_u32 s8, s8, s22
	v_readfirstlane_b32 s9, v2
	s_mul_i32 s23, s76, s8
	s_mul_hi_u32 s22, s76, s8
	s_mul_hi_u32 s25, s27, s8
	s_mul_i32 s8, s27, s8
	s_mul_hi_u32 s26, s76, s9
	s_mul_hi_u32 s52, s27, s9
	s_mul_i32 s9, s27, s9
	s_add_u32 s23, s26, s23
	s_addc_u32 s22, 0, s22
	s_add_u32 s9, s23, s9
	s_addc_u32 s9, s22, s52
	s_addc_u32 s22, s25, 0
	s_add_u32 s8, s9, s8
	s_addc_u32 s9, 0, s22
	s_mul_hi_u32 s22, s51, s8
	s_mul_i32 s8, s51, s8
	s_mul_i32 s9, s51, s9
	v_sub_co_u32 v2, s8, s76, s8
	s_add_i32 s22, s22, s9
	s_cmp_lg_u32 s8, 0
	s_delay_alu instid0(VALU_DEP_1) | instskip(SKIP_2) | instid1(VALU_DEP_1)
	v_sub_co_u32 v4, s8, v2, s51
	s_subb_u32 s9, s27, s22
	s_cmp_lg_u32 s8, 0
	v_cmp_le_u32_e32 vcc_lo, s51, v4
	v_sub_co_u32 v5, s8, v4, s51
	s_subb_u32 s22, s9, 0
	s_cmp_lg_u32 s8, 0
	v_cndmask_b32_e64 v8, 0, -1, vcc_lo
	s_subb_u32 s8, s22, 0
	s_cmp_eq_u32 s22, 0
	v_mov_b32_e32 v10, s8
	s_cselect_b32 vcc_lo, -1, 0
	s_cmp_eq_u32 s9, 0
	v_cndmask_b32_e32 v8, -1, v8, vcc_lo
	v_cmp_le_u32_e32 vcc_lo, s51, v2
	s_cselect_b32 s8, -1, 0
	v_cndmask_b32_e64 v9, 0, -1, vcc_lo
	s_delay_alu instid0(VALU_DEP_3) | instskip(NEXT) | instid1(VALU_DEP_2)
	v_cmp_ne_u32_e32 vcc_lo, 0, v8
	v_cndmask_b32_e64 v8, -1, v9, s8
	v_cndmask_b32_e32 v9, s22, v10, vcc_lo
	v_cndmask_b32_e32 v4, v4, v5, vcc_lo
	s_delay_alu instid0(VALU_DEP_3) | instskip(NEXT) | instid1(VALU_DEP_3)
	v_cmp_ne_u32_e32 vcc_lo, 0, v8
	v_cndmask_b32_e32 v5, s9, v9, vcc_lo
	s_delay_alu instid0(VALU_DEP_3)
	v_cndmask_b32_e32 v4, v2, v4, vcc_lo
	s_cbranch_execnz .LBB183_109
.LBB183_108:                            ;   in Loop: Header=BB183_12 Depth=1
	v_cvt_f32_u32_e32 v2, s51
	s_sub_i32 s8, 0, s51
	s_delay_alu instid0(VALU_DEP_1) | instskip(SKIP_2) | instid1(VALU_DEP_1)
	v_rcp_iflag_f32_e32 v2, v2
	s_waitcnt_depctr 0xfff
	v_mul_f32_e32 v2, 0x4f7ffffe, v2
	v_cvt_u32_f32_e32 v2, v2
	s_delay_alu instid0(VALU_DEP_1) | instskip(NEXT) | instid1(VALU_DEP_1)
	v_mul_lo_u32 v4, s8, v2
	v_mul_hi_u32 v4, v2, v4
	s_delay_alu instid0(VALU_DEP_1) | instskip(NEXT) | instid1(VALU_DEP_1)
	v_add_nc_u32_e32 v2, v2, v4
	v_mul_hi_u32 v2, s76, v2
	s_delay_alu instid0(VALU_DEP_1) | instskip(NEXT) | instid1(VALU_DEP_1)
	v_mul_lo_u32 v2, v2, s51
	v_sub_nc_u32_e32 v2, s76, v2
	s_delay_alu instid0(VALU_DEP_1) | instskip(SKIP_1) | instid1(VALU_DEP_2)
	v_subrev_nc_u32_e32 v4, s51, v2
	v_cmp_le_u32_e32 vcc_lo, s51, v2
	v_cndmask_b32_e32 v2, v2, v4, vcc_lo
	s_delay_alu instid0(VALU_DEP_1) | instskip(SKIP_1) | instid1(VALU_DEP_2)
	v_subrev_nc_u32_e32 v4, s51, v2
	v_cmp_le_u32_e32 vcc_lo, s51, v2
	v_cndmask_b32_e32 v18, v2, v4, vcc_lo
	s_delay_alu instid0(VALU_DEP_1)
	v_dual_mov_b32 v4, v18 :: v_dual_mov_b32 v5, v19
.LBB183_109:                            ;   in Loop: Header=BB183_12 Depth=1
	s_delay_alu instid0(VALU_DEP_1) | instskip(NEXT) | instid1(VALU_DEP_2)
	v_sub_co_u32 v28, vcc_lo, s76, v4
	v_sub_co_ci_u32_e32 v29, vcc_lo, s27, v5, vcc_lo
	s_mov_b32 s8, 0
	s_mov_b32 s9, exec_lo
                                        ; implicit-def: $vgpr10_vgpr11
	s_delay_alu instid0(VALU_DEP_1)
	v_cmpx_gt_u64_e64 v[28:29], v[0:1]
	s_cbranch_execz .LBB183_118
; %bb.110:                              ;   in Loop: Header=BB183_12 Depth=1
	v_dual_mov_b32 v31, v1 :: v_dual_mov_b32 v30, v0
	s_mov_b32 s23, 0
                                        ; implicit-def: $sgpr22
	s_branch .LBB183_112
.LBB183_111:                            ;   in Loop: Header=BB183_112 Depth=2
	s_or_b32 exec_lo, exec_lo, s8
	s_waitcnt vmcnt(0) lgkmcnt(0)
	s_barrier
	buffer_gl0_inv
	ds_load_b128 v[8:11], v19 offset:3072
	v_add_co_u32 v30, s8, v30, s51
	s_delay_alu instid0(VALU_DEP_1)
	v_add_co_ci_u32_e64 v31, s8, 0, v31, s8
	s_waitcnt lgkmcnt(0)
	s_barrier
	buffer_gl0_inv
	v_cmp_ge_u64_e64 s8, v[30:31], v[28:29]
	v_cmp_neq_f64_e32 vcc_lo, 0, v[8:9]
	s_delay_alu instid0(VALU_DEP_2) | instskip(NEXT) | instid1(SALU_CYCLE_1)
	s_or_b32 s8, s8, vcc_lo
	s_and_b32 s8, exec_lo, s8
	s_delay_alu instid0(SALU_CYCLE_1) | instskip(SKIP_2) | instid1(SALU_CYCLE_1)
	s_or_b32 s23, s8, s23
	s_and_not1_b32 s8, s22, exec_lo
	s_and_b32 s22, vcc_lo, exec_lo
	s_or_b32 s22, s8, s22
	s_and_not1_b32 exec_lo, exec_lo, s23
	s_cbranch_execz .LBB183_117
.LBB183_112:                            ;   Parent Loop BB183_12 Depth=1
                                        ; =>  This Inner Loop Header: Depth=2
	s_delay_alu instid0(VALU_DEP_1)
	v_cmp_gt_u64_e32 vcc_lo, s[36:37], v[30:31]
	v_mov_b32_e32 v4, 0
	v_mov_b32_e32 v5, 0
	s_and_saveexec_b32 s25, vcc_lo
	s_cbranch_execz .LBB183_114
; %bb.113:                              ;   in Loop: Header=BB183_112 Depth=2
	v_mul_lo_u32 v2, v31, s30
	v_mul_lo_u32 v8, v30, s31
	v_mad_u64_u32 v[4:5], null, v30, s30, 0
	s_delay_alu instid0(VALU_DEP_1) | instskip(NEXT) | instid1(VALU_DEP_1)
	v_add3_u32 v5, v5, v8, v2
	v_lshlrev_b64 v[4:5], 3, v[4:5]
	s_delay_alu instid0(VALU_DEP_1) | instskip(NEXT) | instid1(VALU_DEP_1)
	v_add_co_u32 v4, s8, s33, v4
	v_add_co_ci_u32_e64 v5, s8, s35, v5, s8
	global_load_b64 v[4:5], v[4:5], off
.LBB183_114:                            ;   in Loop: Header=BB183_112 Depth=2
	s_or_b32 exec_lo, exec_lo, s25
	s_and_saveexec_b32 s8, vcc_lo
	s_cbranch_execz .LBB183_111
; %bb.115:                              ;   in Loop: Header=BB183_112 Depth=2
	s_waitcnt vmcnt(0)
	v_cmp_o_f64_e32 vcc_lo, v[4:5], v[4:5]
	v_ashrrev_i32_e32 v2, 31, v5
	s_delay_alu instid0(VALU_DEP_1) | instskip(SKIP_1) | instid1(VALU_DEP_2)
	v_or_b32_e32 v8, 0x80000000, v2
	v_xor_b32_e32 v2, v2, v4
	v_xor_b32_e32 v8, v8, v5
	s_delay_alu instid0(VALU_DEP_1) | instskip(NEXT) | instid1(VALU_DEP_1)
	v_cndmask_b32_e32 v8, -1, v8, vcc_lo
	v_dual_cndmask_b32 v2, -1, v2 :: v_dual_and_b32 v9, v8, v15
	s_delay_alu instid0(VALU_DEP_1) | instskip(NEXT) | instid1(VALU_DEP_1)
	v_and_b32_e32 v8, v2, v14
	v_cmp_eq_u64_e32 vcc_lo, v[8:9], v[12:13]
	s_and_b32 exec_lo, exec_lo, vcc_lo
	s_cbranch_execz .LBB183_111
; %bb.116:                              ;   in Loop: Header=BB183_112 Depth=2
	v_mov_b32_e32 v2, v19
	ds_store_b128 v19, v[2:5] offset:3072
	s_branch .LBB183_111
.LBB183_117:                            ;   in Loop: Header=BB183_12 Depth=1
	s_or_b32 exec_lo, exec_lo, s23
	s_delay_alu instid0(SALU_CYCLE_1)
	s_and_b32 s8, s22, exec_lo
.LBB183_118:                            ;   in Loop: Header=BB183_12 Depth=1
	s_or_b32 exec_lo, exec_lo, s9
	s_mov_b32 s64, -1
	s_mov_b32 s25, 0
	s_mov_b32 s63, 0
.LBB183_119:                            ;   in Loop: Header=BB183_12 Depth=1
	s_or_not1_b32 s8, s8, exec_lo
.LBB183_120:                            ;   in Loop: Header=BB183_12 Depth=1
	s_or_b32 exec_lo, exec_lo, s58
	s_mov_b32 s65, 0
	s_mov_b32 s62, 0
	;; [unrolled: 1-line block ×3, first 2 shown]
                                        ; implicit-def: $vgpr2
                                        ; implicit-def: $vgpr28_vgpr29
	s_and_saveexec_b32 s66, s8
	s_cbranch_execz .LBB183_283
; %bb.121:                              ;   in Loop: Header=BB183_12 Depth=1
	v_mov_b32_e32 v28, 1
	v_dual_mov_b32 v29, 0 :: v_dual_mov_b32 v2, 1
	s_xor_b32 s9, s67, -1
	s_mov_b32 s26, 0
	s_and_saveexec_b32 s8, s9
	s_cbranch_execz .LBB183_131
; %bb.122:                              ;   in Loop: Header=BB183_12 Depth=1
	s_mov_b32 s22, exec_lo
                                        ; implicit-def: $sgpr23
                                        ; implicit-def: $sgpr9
	v_cmpx_ge_u64_e64 s[10:11], v[26:27]
	s_xor_b32 s22, exec_lo, s22
	s_cbranch_execz .LBB183_128
; %bb.123:                              ;   in Loop: Header=BB183_12 Depth=1
	ds_load_b64 v[4:5], v19 offset:5120
	s_waitcnt lgkmcnt(0)
	v_cmp_ne_u64_e32 vcc_lo, 0, v[4:5]
	s_cbranch_vccnz .LBB183_127
; %bb.124:                              ;   in Loop: Header=BB183_12 Depth=1
	s_and_saveexec_b32 s9, s5
	s_cbranch_execz .LBB183_126
; %bb.125:                              ;   in Loop: Header=BB183_12 Depth=1
	v_dual_mov_b32 v4, s10 :: v_dual_mov_b32 v5, s11
	ds_store_b64 v19, v[4:5] offset:5128
.LBB183_126:                            ;   in Loop: Header=BB183_12 Depth=1
	s_or_b32 exec_lo, exec_lo, s9
	s_waitcnt lgkmcnt(0)
	s_barrier
	buffer_gl0_inv
.LBB183_127:                            ;   in Loop: Header=BB183_12 Depth=1
	v_and_b32_e32 v13, s15, v13
	v_and_b32_e32 v12, s14, v12
	v_or_b32_e32 v15, s13, v15
	v_or_b32_e32 v14, s12, v14
	s_mov_b32 s9, 0
	s_mov_b32 s23, 8
.LBB183_128:                            ;   in Loop: Header=BB183_12 Depth=1
	s_or_saveexec_b32 s22, s22
	v_dual_mov_b32 v2, s23 :: v_dual_mov_b32 v29, v27
	v_mov_b32_e32 v28, v26
	s_xor_b32 exec_lo, exec_lo, s22
; %bb.129:                              ;   in Loop: Header=BB183_12 Depth=1
	v_sub_co_u32 v28, vcc_lo, v26, s10
	v_subrev_co_ci_u32_e32 v29, vcc_lo, s11, v27, vcc_lo
	v_mov_b32_e32 v2, 0
	s_or_b32 s9, s9, exec_lo
; %bb.130:                              ;   in Loop: Header=BB183_12 Depth=1
	s_or_b32 exec_lo, exec_lo, s22
	s_delay_alu instid0(SALU_CYCLE_1)
	s_and_b32 s26, s9, exec_lo
.LBB183_131:                            ;   in Loop: Header=BB183_12 Depth=1
	s_or_b32 exec_lo, exec_lo, s8
	s_mov_b32 s62, -1
                                        ; implicit-def: $sgpr9
                                        ; implicit-def: $sgpr22
                                        ; implicit-def: $sgpr23
	s_and_saveexec_b32 s8, s26
	s_delay_alu instid0(SALU_CYCLE_1)
	s_xor_b32 s58, exec_lo, s8
	s_cbranch_execz .LBB183_280
; %bb.132:                              ;   in Loop: Header=BB183_12 Depth=1
	v_cmp_eq_u64_e32 vcc_lo, 1, v[28:29]
	s_cmp_eq_u64 s[16:17], 1
                                        ; implicit-def: $sgpr62
                                        ; implicit-def: $sgpr68
                                        ; implicit-def: $sgpr67
	s_cselect_b32 s8, -1, 0
	s_delay_alu instid0(SALU_CYCLE_1)
	s_and_b32 s70, s8, vcc_lo
	s_mov_b32 s8, -1
	s_and_saveexec_b32 s69, s70
	s_cbranch_execz .LBB183_166
; %bb.133:                              ;   in Loop: Header=BB183_12 Depth=1
	ds_load_b64 v[4:5], v19 offset:5120
	s_waitcnt lgkmcnt(0)
	s_barrier
	buffer_gl0_inv
	v_readfirstlane_b32 s22, v4
	v_readfirstlane_b32 s23, v5
	s_and_saveexec_b32 s8, s6
	s_cbranch_execz .LBB183_135
; %bb.134:                              ;   in Loop: Header=BB183_12 Depth=1
	v_mov_b32_e32 v18, v19
	ds_store_b64 v38, v[18:19]
.LBB183_135:                            ;   in Loop: Header=BB183_12 Depth=1
	s_or_b32 exec_lo, exec_lo, s8
	v_and_b32_e32 v2, s15, v13
	v_and_b32_e32 v4, s14, v12
	s_lshl_b64 s[8:9], 1, s24
	v_or_b32_e32 v15, s13, v15
	v_or_b32_e32 v14, s12, v14
	;; [unrolled: 1-line block ×4, first 2 shown]
	s_cmp_eq_u64 s[22:23], 0
	s_waitcnt lgkmcnt(0)
	s_barrier
	buffer_gl0_inv
	s_cbranch_scc1 .LBB183_149
; %bb.136:                              ;   in Loop: Header=BB183_12 Depth=1
	s_add_u32 s26, s74, s22
	s_addc_u32 s9, s75, s23
	s_mov_b32 s8, s59
	s_delay_alu instid0(SALU_CYCLE_1)
	s_cmp_lg_u64 s[8:9], 0
	s_cbranch_scc0 .LBB183_193
; %bb.137:                              ;   in Loop: Header=BB183_12 Depth=1
	v_cvt_f32_u32_e32 v2, s51
	s_sub_u32 s67, 0, s51
	s_subb_u32 s68, 0, 0
	s_delay_alu instid0(VALU_DEP_1) | instskip(NEXT) | instid1(VALU_DEP_1)
	v_fmac_f32_e64 v2, 0, 0x4f800000
	v_rcp_f32_e32 v2, v2
	s_waitcnt_depctr 0xfff
	v_mul_f32_e32 v2, 0x5f7ffffc, v2
	s_delay_alu instid0(VALU_DEP_1) | instskip(NEXT) | instid1(VALU_DEP_1)
	v_mul_f32_e32 v4, 0x2f800000, v2
	v_trunc_f32_e32 v4, v4
	s_delay_alu instid0(VALU_DEP_1) | instskip(SKIP_1) | instid1(VALU_DEP_2)
	v_fmac_f32_e32 v2, 0xcf800000, v4
	v_cvt_u32_f32_e32 v4, v4
	v_cvt_u32_f32_e32 v2, v2
	s_delay_alu instid0(VALU_DEP_2) | instskip(NEXT) | instid1(VALU_DEP_2)
	v_readfirstlane_b32 s8, v4
	v_readfirstlane_b32 s62, v2
	s_delay_alu instid0(VALU_DEP_2) | instskip(NEXT) | instid1(VALU_DEP_1)
	s_mul_i32 s71, s67, s8
	s_mul_hi_u32 s97, s67, s62
	s_mul_i32 s96, s68, s62
	s_add_i32 s71, s97, s71
	s_mul_i32 s98, s67, s62
	s_add_i32 s71, s71, s96
	s_mul_hi_u32 s97, s62, s98
	s_mul_hi_u32 s99, s8, s98
	s_mul_i32 s96, s8, s98
	s_mul_hi_u32 s98, s62, s71
	s_mul_i32 s62, s62, s71
	s_mul_hi_u32 s100, s8, s71
	s_add_u32 s62, s97, s62
	s_addc_u32 s97, 0, s98
	s_add_u32 s62, s62, s96
	s_mul_i32 s71, s8, s71
	s_addc_u32 s62, s97, s99
	s_addc_u32 s96, s100, 0
	s_add_u32 s62, s62, s71
	s_addc_u32 s71, 0, s96
	v_add_co_u32 v2, s62, v2, s62
	s_delay_alu instid0(VALU_DEP_1) | instskip(SKIP_1) | instid1(VALU_DEP_1)
	s_cmp_lg_u32 s62, 0
	s_addc_u32 s8, s8, s71
	v_readfirstlane_b32 s62, v2
	s_mul_i32 s71, s67, s8
	s_delay_alu instid0(VALU_DEP_1)
	s_mul_hi_u32 s96, s67, s62
	s_mul_i32 s68, s68, s62
	s_add_i32 s71, s96, s71
	s_mul_i32 s67, s67, s62
	s_add_i32 s71, s71, s68
	s_mul_hi_u32 s96, s8, s67
	s_mul_i32 s97, s8, s67
	s_mul_hi_u32 s67, s62, s67
	s_mul_hi_u32 s98, s62, s71
	s_mul_i32 s62, s62, s71
	s_mul_hi_u32 s68, s8, s71
	s_add_u32 s62, s67, s62
	s_addc_u32 s67, 0, s98
	s_add_u32 s62, s62, s97
	s_mul_i32 s71, s8, s71
	s_addc_u32 s62, s67, s96
	s_addc_u32 s67, s68, 0
	s_add_u32 s62, s62, s71
	s_addc_u32 s67, 0, s67
	v_add_co_u32 v2, s62, v2, s62
	s_delay_alu instid0(VALU_DEP_1) | instskip(SKIP_1) | instid1(VALU_DEP_1)
	s_cmp_lg_u32 s62, 0
	s_addc_u32 s8, s8, s67
	v_readfirstlane_b32 s62, v2
	s_mul_i32 s68, s26, s8
	s_mul_hi_u32 s67, s26, s8
	s_mul_hi_u32 s71, s9, s8
	s_mul_i32 s8, s9, s8
	s_mul_hi_u32 s96, s26, s62
	s_mul_hi_u32 s97, s9, s62
	s_mul_i32 s62, s9, s62
	s_add_u32 s68, s96, s68
	s_addc_u32 s67, 0, s67
	s_add_u32 s62, s68, s62
	s_addc_u32 s62, s67, s97
	s_addc_u32 s67, s71, 0
	s_add_u32 s8, s62, s8
	s_addc_u32 s62, 0, s67
	s_mul_hi_u32 s67, s51, s8
	s_mul_i32 s8, s51, s8
	s_mul_i32 s62, s51, s62
	v_sub_co_u32 v2, s8, s26, s8
	s_add_i32 s67, s67, s62
	s_cmp_lg_u32 s8, 0
	s_delay_alu instid0(VALU_DEP_1) | instskip(SKIP_2) | instid1(VALU_DEP_1)
	v_sub_co_u32 v4, s8, v2, s51
	s_subb_u32 s62, s9, s67
	s_cmp_lg_u32 s8, 0
	v_cmp_le_u32_e32 vcc_lo, s51, v4
	v_sub_co_u32 v5, s8, v4, s51
	s_subb_u32 s67, s62, 0
	s_cmp_lg_u32 s8, 0
	v_cndmask_b32_e64 v8, 0, -1, vcc_lo
	s_subb_u32 s8, s67, 0
	s_cmp_eq_u32 s67, 0
	v_mov_b32_e32 v10, s8
	s_cselect_b32 vcc_lo, -1, 0
	s_cmp_eq_u32 s62, 0
	v_cndmask_b32_e32 v8, -1, v8, vcc_lo
	v_cmp_le_u32_e32 vcc_lo, s51, v2
	s_cselect_b32 s8, -1, 0
	v_cndmask_b32_e64 v9, 0, -1, vcc_lo
	s_delay_alu instid0(VALU_DEP_3) | instskip(NEXT) | instid1(VALU_DEP_2)
	v_cmp_ne_u32_e32 vcc_lo, 0, v8
	v_cndmask_b32_e64 v8, -1, v9, s8
	v_cndmask_b32_e32 v9, s67, v10, vcc_lo
	v_cndmask_b32_e32 v4, v4, v5, vcc_lo
	s_delay_alu instid0(VALU_DEP_3) | instskip(NEXT) | instid1(VALU_DEP_3)
	v_cmp_ne_u32_e32 vcc_lo, 0, v8
	v_cndmask_b32_e32 v5, s62, v9, vcc_lo
	s_delay_alu instid0(VALU_DEP_3)
	v_cndmask_b32_e32 v4, v2, v4, vcc_lo
	s_cbranch_execnz .LBB183_139
.LBB183_138:                            ;   in Loop: Header=BB183_12 Depth=1
	v_cvt_f32_u32_e32 v2, s51
	s_sub_i32 s8, 0, s51
	s_delay_alu instid0(VALU_DEP_1) | instskip(SKIP_2) | instid1(VALU_DEP_1)
	v_rcp_iflag_f32_e32 v2, v2
	s_waitcnt_depctr 0xfff
	v_mul_f32_e32 v2, 0x4f7ffffe, v2
	v_cvt_u32_f32_e32 v2, v2
	s_delay_alu instid0(VALU_DEP_1) | instskip(NEXT) | instid1(VALU_DEP_1)
	v_mul_lo_u32 v4, s8, v2
	v_mul_hi_u32 v4, v2, v4
	s_delay_alu instid0(VALU_DEP_1) | instskip(NEXT) | instid1(VALU_DEP_1)
	v_add_nc_u32_e32 v2, v2, v4
	v_mul_hi_u32 v2, s26, v2
	s_delay_alu instid0(VALU_DEP_1) | instskip(NEXT) | instid1(VALU_DEP_1)
	v_mul_lo_u32 v2, v2, s51
	v_sub_nc_u32_e32 v2, s26, v2
	s_delay_alu instid0(VALU_DEP_1) | instskip(SKIP_1) | instid1(VALU_DEP_2)
	v_subrev_nc_u32_e32 v4, s51, v2
	v_cmp_le_u32_e32 vcc_lo, s51, v2
	v_cndmask_b32_e32 v2, v2, v4, vcc_lo
	s_delay_alu instid0(VALU_DEP_1) | instskip(SKIP_1) | instid1(VALU_DEP_2)
	v_subrev_nc_u32_e32 v4, s51, v2
	v_cmp_le_u32_e32 vcc_lo, s51, v2
	v_cndmask_b32_e32 v18, v2, v4, vcc_lo
	s_delay_alu instid0(VALU_DEP_1)
	v_dual_mov_b32 v4, v18 :: v_dual_mov_b32 v5, v19
.LBB183_139:                            ;   in Loop: Header=BB183_12 Depth=1
	s_delay_alu instid0(VALU_DEP_1) | instskip(NEXT) | instid1(VALU_DEP_2)
	v_sub_co_u32 v30, vcc_lo, s26, v4
	v_sub_co_ci_u32_e32 v31, vcc_lo, s9, v5, vcc_lo
	s_mov_b32 s8, 0
	s_mov_b32 s9, exec_lo
                                        ; implicit-def: $vgpr10_vgpr11
	s_delay_alu instid0(VALU_DEP_1)
	v_cmpx_gt_u64_e64 v[30:31], v[0:1]
	s_cbranch_execz .LBB183_151
; %bb.140:                              ;   in Loop: Header=BB183_12 Depth=1
	v_mov_b32_e32 v18, v37
	v_dual_mov_b32 v33, v1 :: v_dual_mov_b32 v32, v0
	s_mov_b32 s62, 0
                                        ; implicit-def: $sgpr26
	s_set_inst_prefetch_distance 0x1
	s_branch .LBB183_142
	.p2align	6
.LBB183_141:                            ;   in Loop: Header=BB183_142 Depth=2
	s_or_b32 exec_lo, exec_lo, s8
	s_waitcnt lgkmcnt(0)
	s_barrier
	buffer_gl0_inv
	ds_load_b128 v[8:11], v19 offset:3072
	v_add_co_u32 v32, s8, v32, s51
	s_delay_alu instid0(VALU_DEP_1) | instskip(SKIP_3) | instid1(VALU_DEP_2)
	v_add_co_ci_u32_e64 v33, s8, 0, v33, s8
	v_add_nc_u32_e32 v18, s82, v18
	s_waitcnt lgkmcnt(0)
	s_barrier
	v_cmp_ge_u64_e64 s8, v[32:33], v[30:31]
	buffer_gl0_inv
	v_cmp_neq_f64_e32 vcc_lo, 0, v[8:9]
	s_or_b32 s8, s8, vcc_lo
	s_delay_alu instid0(SALU_CYCLE_1) | instskip(NEXT) | instid1(SALU_CYCLE_1)
	s_and_b32 s8, exec_lo, s8
	s_or_b32 s62, s8, s62
	s_and_not1_b32 s8, s26, exec_lo
	s_and_b32 s26, vcc_lo, exec_lo
	s_delay_alu instid0(SALU_CYCLE_1)
	s_or_b32 s26, s8, s26
	s_and_not1_b32 exec_lo, exec_lo, s62
	s_cbranch_execz .LBB183_150
.LBB183_142:                            ;   Parent Loop BB183_12 Depth=1
                                        ; =>  This Inner Loop Header: Depth=2
	s_delay_alu instid0(VALU_DEP_1)
	v_cmp_gt_u64_e32 vcc_lo, s[22:23], v[32:33]
	v_mov_b32_e32 v4, 0
	v_mov_b32_e32 v5, 0
	s_and_saveexec_b32 s8, vcc_lo
	s_cbranch_execz .LBB183_144
; %bb.143:                              ;   in Loop: Header=BB183_142 Depth=2
	ds_load_b64 v[4:5], v18
.LBB183_144:                            ;   in Loop: Header=BB183_142 Depth=2
	s_or_b32 exec_lo, exec_lo, s8
	s_and_saveexec_b32 s8, vcc_lo
	s_cbranch_execz .LBB183_141
; %bb.145:                              ;   in Loop: Header=BB183_142 Depth=2
	s_waitcnt lgkmcnt(0)
	v_cmp_o_f64_e32 vcc_lo, v[4:5], v[4:5]
	v_ashrrev_i32_e32 v2, 31, v5
	s_delay_alu instid0(VALU_DEP_1) | instskip(SKIP_1) | instid1(VALU_DEP_2)
	v_or_b32_e32 v8, 0x80000000, v2
	v_xor_b32_e32 v2, v2, v4
	v_xor_b32_e32 v8, v8, v5
	s_delay_alu instid0(VALU_DEP_1) | instskip(NEXT) | instid1(VALU_DEP_1)
	v_cndmask_b32_e32 v8, -1, v8, vcc_lo
	v_dual_cndmask_b32 v2, -1, v2 :: v_dual_and_b32 v9, v8, v15
	s_delay_alu instid0(VALU_DEP_1) | instskip(NEXT) | instid1(VALU_DEP_1)
	v_and_b32_e32 v8, v2, v14
	v_cmp_eq_u64_e32 vcc_lo, v[8:9], v[12:13]
	s_and_b32 exec_lo, exec_lo, vcc_lo
	s_cbranch_execz .LBB183_141
; %bb.146:                              ;   in Loop: Header=BB183_142 Depth=2
	v_mov_b32_e32 v2, v19
	ds_store_b128 v19, v[2:5] offset:3072
	s_branch .LBB183_141
.LBB183_147:                            ;   in Loop: Header=BB183_12 Depth=1
                                        ; implicit-def: $vgpr4_vgpr5
	s_branch .LBB183_92
.LBB183_148:                            ;   in Loop: Header=BB183_12 Depth=1
                                        ; implicit-def: $vgpr4_vgpr5
	s_branch .LBB183_108
.LBB183_149:                            ;   in Loop: Header=BB183_12 Depth=1
	s_mov_b32 s62, -1
	s_mov_b32 s8, 0
                                        ; implicit-def: $sgpr67
                                        ; implicit-def: $vgpr10_vgpr11
	s_mov_b32 s68, s62
	s_cbranch_execnz .LBB183_152
	s_branch .LBB183_165
.LBB183_150:                            ;   in Loop: Header=BB183_12 Depth=1
	s_set_inst_prefetch_distance 0x2
	s_or_b32 exec_lo, exec_lo, s62
	s_delay_alu instid0(SALU_CYCLE_1)
	s_and_b32 s8, s26, exec_lo
.LBB183_151:                            ;   in Loop: Header=BB183_12 Depth=1
	s_or_b32 exec_lo, exec_lo, s9
	s_mov_b32 s67, -1
	s_mov_b32 s62, 0
	s_delay_alu instid0(SALU_CYCLE_1)
	s_mov_b32 s68, s62
	s_branch .LBB183_165
.LBB183_152:                            ;   in Loop: Header=BB183_12 Depth=1
	s_mov_b32 s26, s59
	s_delay_alu instid0(SALU_CYCLE_1)
	s_cmp_lg_u64 s[26:27], 0
	s_cbranch_scc0 .LBB183_194
; %bb.153:                              ;   in Loop: Header=BB183_12 Depth=1
	v_cvt_f32_u32_e32 v2, s51
	s_sub_u32 s22, 0, s51
	s_subb_u32 s23, 0, 0
	s_delay_alu instid0(VALU_DEP_1) | instskip(NEXT) | instid1(VALU_DEP_1)
	v_fmac_f32_e64 v2, 0, 0x4f800000
	v_rcp_f32_e32 v2, v2
	s_waitcnt_depctr 0xfff
	v_mul_f32_e32 v2, 0x5f7ffffc, v2
	s_delay_alu instid0(VALU_DEP_1) | instskip(NEXT) | instid1(VALU_DEP_1)
	v_mul_f32_e32 v4, 0x2f800000, v2
	v_trunc_f32_e32 v4, v4
	s_delay_alu instid0(VALU_DEP_1) | instskip(SKIP_1) | instid1(VALU_DEP_2)
	v_fmac_f32_e32 v2, 0xcf800000, v4
	v_cvt_u32_f32_e32 v4, v4
	v_cvt_u32_f32_e32 v2, v2
	s_delay_alu instid0(VALU_DEP_2) | instskip(NEXT) | instid1(VALU_DEP_2)
	v_readfirstlane_b32 s8, v4
	v_readfirstlane_b32 s9, v2
	s_delay_alu instid0(VALU_DEP_2) | instskip(NEXT) | instid1(VALU_DEP_1)
	s_mul_i32 s26, s22, s8
	s_mul_hi_u32 s67, s22, s9
	s_mul_i32 s62, s23, s9
	s_add_i32 s26, s67, s26
	s_mul_i32 s68, s22, s9
	s_add_i32 s26, s26, s62
	s_mul_hi_u32 s67, s9, s68
	s_mul_hi_u32 s71, s8, s68
	s_mul_i32 s62, s8, s68
	s_mul_hi_u32 s68, s9, s26
	s_mul_i32 s9, s9, s26
	s_mul_hi_u32 s96, s8, s26
	s_add_u32 s9, s67, s9
	s_addc_u32 s67, 0, s68
	s_add_u32 s9, s9, s62
	s_mul_i32 s26, s8, s26
	s_addc_u32 s9, s67, s71
	s_addc_u32 s62, s96, 0
	s_add_u32 s9, s9, s26
	s_addc_u32 s26, 0, s62
	v_add_co_u32 v2, s9, v2, s9
	s_delay_alu instid0(VALU_DEP_1) | instskip(SKIP_1) | instid1(VALU_DEP_1)
	s_cmp_lg_u32 s9, 0
	s_addc_u32 s8, s8, s26
	v_readfirstlane_b32 s9, v2
	s_mul_i32 s26, s22, s8
	s_delay_alu instid0(VALU_DEP_1)
	s_mul_hi_u32 s62, s22, s9
	s_mul_i32 s23, s23, s9
	s_add_i32 s26, s62, s26
	s_mul_i32 s22, s22, s9
	s_add_i32 s26, s26, s23
	s_mul_hi_u32 s62, s8, s22
	s_mul_i32 s67, s8, s22
	s_mul_hi_u32 s22, s9, s22
	s_mul_hi_u32 s68, s9, s26
	s_mul_i32 s9, s9, s26
	s_mul_hi_u32 s23, s8, s26
	s_add_u32 s9, s22, s9
	s_addc_u32 s22, 0, s68
	s_add_u32 s9, s9, s67
	s_mul_i32 s26, s8, s26
	s_addc_u32 s9, s22, s62
	s_addc_u32 s22, s23, 0
	s_add_u32 s9, s9, s26
	s_addc_u32 s22, 0, s22
	v_add_co_u32 v2, s9, v2, s9
	s_delay_alu instid0(VALU_DEP_1) | instskip(SKIP_1) | instid1(VALU_DEP_1)
	s_cmp_lg_u32 s9, 0
	s_addc_u32 s8, s8, s22
	v_readfirstlane_b32 s9, v2
	s_mul_i32 s23, s76, s8
	s_mul_hi_u32 s22, s76, s8
	s_mul_hi_u32 s26, s27, s8
	s_mul_i32 s8, s27, s8
	s_mul_hi_u32 s62, s76, s9
	s_mul_hi_u32 s67, s27, s9
	s_mul_i32 s9, s27, s9
	s_add_u32 s23, s62, s23
	s_addc_u32 s22, 0, s22
	s_add_u32 s9, s23, s9
	s_addc_u32 s9, s22, s67
	s_addc_u32 s22, s26, 0
	s_add_u32 s8, s9, s8
	s_addc_u32 s9, 0, s22
	s_mul_hi_u32 s22, s51, s8
	s_mul_i32 s8, s51, s8
	s_mul_i32 s9, s51, s9
	v_sub_co_u32 v2, s8, s76, s8
	s_add_i32 s22, s22, s9
	s_cmp_lg_u32 s8, 0
	s_delay_alu instid0(VALU_DEP_1) | instskip(SKIP_2) | instid1(VALU_DEP_1)
	v_sub_co_u32 v4, s8, v2, s51
	s_subb_u32 s9, s27, s22
	s_cmp_lg_u32 s8, 0
	v_cmp_le_u32_e32 vcc_lo, s51, v4
	v_sub_co_u32 v5, s8, v4, s51
	s_subb_u32 s22, s9, 0
	s_cmp_lg_u32 s8, 0
	v_cndmask_b32_e64 v8, 0, -1, vcc_lo
	s_subb_u32 s8, s22, 0
	s_cmp_eq_u32 s22, 0
	v_mov_b32_e32 v10, s8
	s_cselect_b32 vcc_lo, -1, 0
	s_cmp_eq_u32 s9, 0
	v_cndmask_b32_e32 v8, -1, v8, vcc_lo
	v_cmp_le_u32_e32 vcc_lo, s51, v2
	s_cselect_b32 s8, -1, 0
	v_cndmask_b32_e64 v9, 0, -1, vcc_lo
	s_delay_alu instid0(VALU_DEP_3) | instskip(NEXT) | instid1(VALU_DEP_2)
	v_cmp_ne_u32_e32 vcc_lo, 0, v8
	v_cndmask_b32_e64 v8, -1, v9, s8
	v_cndmask_b32_e32 v9, s22, v10, vcc_lo
	v_cndmask_b32_e32 v4, v4, v5, vcc_lo
	s_delay_alu instid0(VALU_DEP_3) | instskip(NEXT) | instid1(VALU_DEP_3)
	v_cmp_ne_u32_e32 vcc_lo, 0, v8
	v_cndmask_b32_e32 v5, s9, v9, vcc_lo
	s_delay_alu instid0(VALU_DEP_3)
	v_cndmask_b32_e32 v4, v2, v4, vcc_lo
	s_cbranch_execnz .LBB183_155
.LBB183_154:                            ;   in Loop: Header=BB183_12 Depth=1
	v_cvt_f32_u32_e32 v2, s51
	s_sub_i32 s8, 0, s51
	s_delay_alu instid0(VALU_DEP_1) | instskip(SKIP_2) | instid1(VALU_DEP_1)
	v_rcp_iflag_f32_e32 v2, v2
	s_waitcnt_depctr 0xfff
	v_mul_f32_e32 v2, 0x4f7ffffe, v2
	v_cvt_u32_f32_e32 v2, v2
	s_delay_alu instid0(VALU_DEP_1) | instskip(NEXT) | instid1(VALU_DEP_1)
	v_mul_lo_u32 v4, s8, v2
	v_mul_hi_u32 v4, v2, v4
	s_delay_alu instid0(VALU_DEP_1) | instskip(NEXT) | instid1(VALU_DEP_1)
	v_add_nc_u32_e32 v2, v2, v4
	v_mul_hi_u32 v2, s76, v2
	s_delay_alu instid0(VALU_DEP_1) | instskip(NEXT) | instid1(VALU_DEP_1)
	v_mul_lo_u32 v2, v2, s51
	v_sub_nc_u32_e32 v2, s76, v2
	s_delay_alu instid0(VALU_DEP_1) | instskip(SKIP_1) | instid1(VALU_DEP_2)
	v_subrev_nc_u32_e32 v4, s51, v2
	v_cmp_le_u32_e32 vcc_lo, s51, v2
	v_cndmask_b32_e32 v2, v2, v4, vcc_lo
	s_delay_alu instid0(VALU_DEP_1) | instskip(SKIP_1) | instid1(VALU_DEP_2)
	v_subrev_nc_u32_e32 v4, s51, v2
	v_cmp_le_u32_e32 vcc_lo, s51, v2
	v_cndmask_b32_e32 v18, v2, v4, vcc_lo
	s_delay_alu instid0(VALU_DEP_1)
	v_dual_mov_b32 v4, v18 :: v_dual_mov_b32 v5, v19
.LBB183_155:                            ;   in Loop: Header=BB183_12 Depth=1
	s_delay_alu instid0(VALU_DEP_1) | instskip(NEXT) | instid1(VALU_DEP_2)
	v_sub_co_u32 v30, vcc_lo, s76, v4
	v_sub_co_ci_u32_e32 v31, vcc_lo, s27, v5, vcc_lo
	s_mov_b32 s8, 0
	s_mov_b32 s9, exec_lo
                                        ; implicit-def: $vgpr10_vgpr11
	s_delay_alu instid0(VALU_DEP_1)
	v_cmpx_gt_u64_e64 v[30:31], v[0:1]
	s_cbranch_execz .LBB183_164
; %bb.156:                              ;   in Loop: Header=BB183_12 Depth=1
	v_dual_mov_b32 v33, v1 :: v_dual_mov_b32 v32, v0
	s_mov_b32 s23, 0
                                        ; implicit-def: $sgpr22
	s_branch .LBB183_158
.LBB183_157:                            ;   in Loop: Header=BB183_158 Depth=2
	s_or_b32 exec_lo, exec_lo, s8
	s_waitcnt vmcnt(0) lgkmcnt(0)
	s_barrier
	buffer_gl0_inv
	ds_load_b128 v[8:11], v19 offset:3072
	v_add_co_u32 v32, s8, v32, s51
	s_delay_alu instid0(VALU_DEP_1)
	v_add_co_ci_u32_e64 v33, s8, 0, v33, s8
	s_waitcnt lgkmcnt(0)
	s_barrier
	buffer_gl0_inv
	v_cmp_ge_u64_e64 s8, v[32:33], v[30:31]
	v_cmp_neq_f64_e32 vcc_lo, 0, v[8:9]
	s_delay_alu instid0(VALU_DEP_2) | instskip(NEXT) | instid1(SALU_CYCLE_1)
	s_or_b32 s8, s8, vcc_lo
	s_and_b32 s8, exec_lo, s8
	s_delay_alu instid0(SALU_CYCLE_1) | instskip(SKIP_2) | instid1(SALU_CYCLE_1)
	s_or_b32 s23, s8, s23
	s_and_not1_b32 s8, s22, exec_lo
	s_and_b32 s22, vcc_lo, exec_lo
	s_or_b32 s22, s8, s22
	s_and_not1_b32 exec_lo, exec_lo, s23
	s_cbranch_execz .LBB183_163
.LBB183_158:                            ;   Parent Loop BB183_12 Depth=1
                                        ; =>  This Inner Loop Header: Depth=2
	s_delay_alu instid0(VALU_DEP_1)
	v_cmp_gt_u64_e32 vcc_lo, s[36:37], v[32:33]
	v_mov_b32_e32 v4, 0
	v_mov_b32_e32 v5, 0
	s_and_saveexec_b32 s26, vcc_lo
	s_cbranch_execz .LBB183_160
; %bb.159:                              ;   in Loop: Header=BB183_158 Depth=2
	v_mul_lo_u32 v2, v33, s30
	v_mul_lo_u32 v8, v32, s31
	v_mad_u64_u32 v[4:5], null, v32, s30, 0
	s_delay_alu instid0(VALU_DEP_1) | instskip(NEXT) | instid1(VALU_DEP_1)
	v_add3_u32 v5, v5, v8, v2
	v_lshlrev_b64 v[4:5], 3, v[4:5]
	s_delay_alu instid0(VALU_DEP_1) | instskip(NEXT) | instid1(VALU_DEP_1)
	v_add_co_u32 v4, s8, s33, v4
	v_add_co_ci_u32_e64 v5, s8, s35, v5, s8
	global_load_b64 v[4:5], v[4:5], off
.LBB183_160:                            ;   in Loop: Header=BB183_158 Depth=2
	s_or_b32 exec_lo, exec_lo, s26
	s_and_saveexec_b32 s8, vcc_lo
	s_cbranch_execz .LBB183_157
; %bb.161:                              ;   in Loop: Header=BB183_158 Depth=2
	s_waitcnt vmcnt(0)
	v_cmp_o_f64_e32 vcc_lo, v[4:5], v[4:5]
	v_ashrrev_i32_e32 v2, 31, v5
	s_delay_alu instid0(VALU_DEP_1) | instskip(SKIP_1) | instid1(VALU_DEP_2)
	v_or_b32_e32 v8, 0x80000000, v2
	v_xor_b32_e32 v2, v2, v4
	v_xor_b32_e32 v8, v8, v5
	s_delay_alu instid0(VALU_DEP_1) | instskip(NEXT) | instid1(VALU_DEP_1)
	v_cndmask_b32_e32 v8, -1, v8, vcc_lo
	v_dual_cndmask_b32 v2, -1, v2 :: v_dual_and_b32 v9, v8, v15
	s_delay_alu instid0(VALU_DEP_1) | instskip(NEXT) | instid1(VALU_DEP_1)
	v_and_b32_e32 v8, v2, v14
	v_cmp_eq_u64_e32 vcc_lo, v[8:9], v[12:13]
	s_and_b32 exec_lo, exec_lo, vcc_lo
	s_cbranch_execz .LBB183_157
; %bb.162:                              ;   in Loop: Header=BB183_158 Depth=2
	v_mov_b32_e32 v2, v19
	ds_store_b128 v19, v[2:5] offset:3072
	s_branch .LBB183_157
.LBB183_163:                            ;   in Loop: Header=BB183_12 Depth=1
	s_or_b32 exec_lo, exec_lo, s23
	s_delay_alu instid0(SALU_CYCLE_1)
	s_and_b32 s8, s22, exec_lo
.LBB183_164:                            ;   in Loop: Header=BB183_12 Depth=1
	s_or_b32 exec_lo, exec_lo, s9
	s_mov_b32 s68, -1
	s_mov_b32 s62, 0
	s_mov_b32 s67, 0
.LBB183_165:                            ;   in Loop: Header=BB183_12 Depth=1
	s_or_not1_b32 s8, s8, exec_lo
.LBB183_166:                            ;   in Loop: Header=BB183_12 Depth=1
	s_or_b32 exec_lo, exec_lo, s69
	s_mov_b32 s26, 0
                                        ; implicit-def: $vgpr2
	s_and_saveexec_b32 s69, s8
	s_cbranch_execz .LBB183_279
; %bb.167:                              ;   in Loop: Header=BB183_12 Depth=1
	v_mov_b32_e32 v30, 1
	v_dual_mov_b32 v31, 0 :: v_dual_mov_b32 v2, 1
	s_xor_b32 s9, s70, -1
	s_delay_alu instid0(SALU_CYCLE_1)
	s_and_saveexec_b32 s8, s9
	s_cbranch_execz .LBB183_177
; %bb.168:                              ;   in Loop: Header=BB183_12 Depth=1
	s_mov_b32 s22, exec_lo
                                        ; implicit-def: $sgpr23
                                        ; implicit-def: $sgpr9
	v_cmpx_ge_u64_e64 s[16:17], v[28:29]
	s_xor_b32 s22, exec_lo, s22
	s_cbranch_execz .LBB183_174
; %bb.169:                              ;   in Loop: Header=BB183_12 Depth=1
	ds_load_b64 v[4:5], v19 offset:5120
	s_waitcnt lgkmcnt(0)
	v_cmp_ne_u64_e32 vcc_lo, 0, v[4:5]
	s_cbranch_vccnz .LBB183_173
; %bb.170:                              ;   in Loop: Header=BB183_12 Depth=1
	s_and_saveexec_b32 s9, s5
	s_cbranch_execz .LBB183_172
; %bb.171:                              ;   in Loop: Header=BB183_12 Depth=1
	v_dual_mov_b32 v4, s16 :: v_dual_mov_b32 v5, s17
	ds_store_b64 v19, v[4:5] offset:5128
.LBB183_172:                            ;   in Loop: Header=BB183_12 Depth=1
	s_or_b32 exec_lo, exec_lo, s9
	s_waitcnt lgkmcnt(0)
	s_barrier
	buffer_gl0_inv
.LBB183_173:                            ;   in Loop: Header=BB183_12 Depth=1
	v_and_b32_e32 v2, s15, v13
	v_and_b32_e32 v4, s14, v12
	s_lshl_b64 s[70:71], 1, s24
	v_or_b32_e32 v15, s13, v15
	v_or_b32_e32 v14, s12, v14
	;; [unrolled: 1-line block ×4, first 2 shown]
	s_mov_b32 s9, 0
	s_mov_b32 s23, 8
.LBB183_174:                            ;   in Loop: Header=BB183_12 Depth=1
	s_or_saveexec_b32 s22, s22
	v_mov_b32_e32 v2, s23
	s_xor_b32 exec_lo, exec_lo, s22
; %bb.175:                              ;   in Loop: Header=BB183_12 Depth=1
	v_sub_co_u32 v28, vcc_lo, v28, s16
	v_subrev_co_ci_u32_e32 v29, vcc_lo, s17, v29, vcc_lo
	v_mov_b32_e32 v2, 0
	s_or_b32 s9, s9, exec_lo
; %bb.176:                              ;   in Loop: Header=BB183_12 Depth=1
	s_or_b32 exec_lo, exec_lo, s22
	s_delay_alu instid0(VALU_DEP_2)
	v_dual_mov_b32 v31, v29 :: v_dual_mov_b32 v30, v28
	s_and_b32 s26, s9, exec_lo
.LBB183_177:                            ;   in Loop: Header=BB183_12 Depth=1
	s_or_b32 exec_lo, exec_lo, s8
	s_mov_b32 s8, -1
                                        ; implicit-def: $sgpr9
                                        ; implicit-def: $sgpr22
                                        ; implicit-def: $sgpr23
	s_and_saveexec_b32 s70, s26
	s_cbranch_execz .LBB183_278
; %bb.178:                              ;   in Loop: Header=BB183_12 Depth=1
	v_cmp_eq_u64_e32 vcc_lo, 1, v[30:31]
	s_cmp_eq_u64 s[18:19], 1
                                        ; implicit-def: $sgpr71
                                        ; implicit-def: $sgpr97
                                        ; implicit-def: $sgpr96
	s_cselect_b32 s8, -1, 0
	s_delay_alu instid0(SALU_CYCLE_1)
	s_and_b32 s99, s8, vcc_lo
	s_mov_b32 s8, -1
	s_and_saveexec_b32 s98, s99
	s_cbranch_execz .LBB183_212
; %bb.179:                              ;   in Loop: Header=BB183_12 Depth=1
	ds_load_b64 v[4:5], v19 offset:5120
	s_waitcnt lgkmcnt(0)
	s_barrier
	buffer_gl0_inv
	v_readfirstlane_b32 s22, v4
	v_readfirstlane_b32 s23, v5
	s_and_saveexec_b32 s8, s6
	s_cbranch_execz .LBB183_181
; %bb.180:                              ;   in Loop: Header=BB183_12 Depth=1
	v_mov_b32_e32 v18, v19
	ds_store_b64 v38, v[18:19]
.LBB183_181:                            ;   in Loop: Header=BB183_12 Depth=1
	s_or_b32 exec_lo, exec_lo, s8
	v_and_b32_e32 v2, s15, v13
	v_and_b32_e32 v4, s14, v12
	s_lshl_b64 s[8:9], 2, s24
	v_or_b32_e32 v15, s13, v15
	v_or_b32_e32 v14, s12, v14
	;; [unrolled: 1-line block ×4, first 2 shown]
	s_cmp_eq_u64 s[22:23], 0
	s_waitcnt lgkmcnt(0)
	s_barrier
	buffer_gl0_inv
	s_cbranch_scc1 .LBB183_195
; %bb.182:                              ;   in Loop: Header=BB183_12 Depth=1
	s_add_u32 s26, s74, s22
	s_addc_u32 s9, s75, s23
	s_mov_b32 s8, s59
	s_delay_alu instid0(SALU_CYCLE_1)
	s_cmp_lg_u64 s[8:9], 0
	s_cbranch_scc0 .LBB183_230
; %bb.183:                              ;   in Loop: Header=BB183_12 Depth=1
	v_cvt_f32_u32_e32 v2, s51
	s_sub_u32 s96, 0, s51
	s_subb_u32 s97, 0, 0
	s_delay_alu instid0(VALU_DEP_1) | instskip(NEXT) | instid1(VALU_DEP_1)
	v_fmac_f32_e64 v2, 0, 0x4f800000
	v_rcp_f32_e32 v2, v2
	s_waitcnt_depctr 0xfff
	v_mul_f32_e32 v2, 0x5f7ffffc, v2
	s_delay_alu instid0(VALU_DEP_1) | instskip(NEXT) | instid1(VALU_DEP_1)
	v_mul_f32_e32 v4, 0x2f800000, v2
	v_trunc_f32_e32 v4, v4
	s_delay_alu instid0(VALU_DEP_1) | instskip(SKIP_1) | instid1(VALU_DEP_2)
	v_fmac_f32_e32 v2, 0xcf800000, v4
	v_cvt_u32_f32_e32 v4, v4
	v_cvt_u32_f32_e32 v2, v2
	s_delay_alu instid0(VALU_DEP_2) | instskip(NEXT) | instid1(VALU_DEP_2)
	v_readfirstlane_b32 s8, v4
	v_readfirstlane_b32 s71, v2
	s_delay_alu instid0(VALU_DEP_2) | instskip(NEXT) | instid1(VALU_DEP_1)
	s_mul_i32 s100, s96, s8
	s_mul_hi_u32 s102, s96, s71
	s_mul_i32 s101, s97, s71
	s_add_i32 s100, s102, s100
	s_mul_i32 s103, s96, s71
	s_add_i32 s100, s100, s101
	s_mul_hi_u32 s102, s71, s103
	s_mul_hi_u32 s104, s8, s103
	s_mul_i32 s101, s8, s103
	s_mul_hi_u32 s103, s71, s100
	s_mul_i32 s71, s71, s100
	s_mul_hi_u32 vcc_lo, s8, s100
	s_add_u32 s71, s102, s71
	s_addc_u32 s102, 0, s103
	s_add_u32 s71, s71, s101
	s_mul_i32 s100, s8, s100
	s_addc_u32 s71, s102, s104
	s_addc_u32 s101, vcc_lo, 0
	s_add_u32 s71, s71, s100
	s_addc_u32 s100, 0, s101
	v_add_co_u32 v2, s71, v2, s71
	s_delay_alu instid0(VALU_DEP_1) | instskip(SKIP_1) | instid1(VALU_DEP_1)
	s_cmp_lg_u32 s71, 0
	s_addc_u32 s8, s8, s100
	v_readfirstlane_b32 s71, v2
	s_mul_i32 s100, s96, s8
	s_delay_alu instid0(VALU_DEP_1)
	s_mul_hi_u32 s101, s96, s71
	s_mul_i32 s97, s97, s71
	s_add_i32 s100, s101, s100
	s_mul_i32 s96, s96, s71
	s_add_i32 s100, s100, s97
	s_mul_hi_u32 s101, s8, s96
	s_mul_i32 s102, s8, s96
	s_mul_hi_u32 s96, s71, s96
	s_mul_hi_u32 s103, s71, s100
	s_mul_i32 s71, s71, s100
	s_mul_hi_u32 s97, s8, s100
	s_add_u32 s71, s96, s71
	s_addc_u32 s96, 0, s103
	s_add_u32 s71, s71, s102
	s_mul_i32 s100, s8, s100
	s_addc_u32 s71, s96, s101
	s_addc_u32 s96, s97, 0
	s_add_u32 s71, s71, s100
	s_addc_u32 s96, 0, s96
	v_add_co_u32 v2, s71, v2, s71
	s_delay_alu instid0(VALU_DEP_1) | instskip(SKIP_1) | instid1(VALU_DEP_1)
	s_cmp_lg_u32 s71, 0
	s_addc_u32 s8, s8, s96
	v_readfirstlane_b32 s71, v2
	s_mul_i32 s97, s26, s8
	s_mul_hi_u32 s96, s26, s8
	s_mul_hi_u32 s100, s9, s8
	s_mul_i32 s8, s9, s8
	s_mul_hi_u32 s101, s26, s71
	s_mul_hi_u32 s102, s9, s71
	s_mul_i32 s71, s9, s71
	s_add_u32 s97, s101, s97
	s_addc_u32 s96, 0, s96
	s_add_u32 s71, s97, s71
	s_addc_u32 s71, s96, s102
	s_addc_u32 s96, s100, 0
	s_add_u32 s8, s71, s8
	s_addc_u32 s71, 0, s96
	s_mul_hi_u32 s96, s51, s8
	s_mul_i32 s8, s51, s8
	s_mul_i32 s71, s51, s71
	v_sub_co_u32 v2, s8, s26, s8
	s_add_i32 s96, s96, s71
	s_cmp_lg_u32 s8, 0
	s_delay_alu instid0(VALU_DEP_1) | instskip(SKIP_2) | instid1(VALU_DEP_1)
	v_sub_co_u32 v4, s8, v2, s51
	s_subb_u32 s71, s9, s96
	s_cmp_lg_u32 s8, 0
	v_cmp_le_u32_e32 vcc_lo, s51, v4
	v_sub_co_u32 v5, s8, v4, s51
	s_subb_u32 s96, s71, 0
	s_cmp_lg_u32 s8, 0
	v_cndmask_b32_e64 v8, 0, -1, vcc_lo
	s_subb_u32 s8, s96, 0
	s_cmp_eq_u32 s96, 0
	v_mov_b32_e32 v10, s8
	s_cselect_b32 vcc_lo, -1, 0
	s_cmp_eq_u32 s71, 0
	v_cndmask_b32_e32 v8, -1, v8, vcc_lo
	v_cmp_le_u32_e32 vcc_lo, s51, v2
	s_cselect_b32 s8, -1, 0
	v_cndmask_b32_e64 v9, 0, -1, vcc_lo
	s_delay_alu instid0(VALU_DEP_3) | instskip(NEXT) | instid1(VALU_DEP_2)
	v_cmp_ne_u32_e32 vcc_lo, 0, v8
	v_cndmask_b32_e64 v8, -1, v9, s8
	v_cndmask_b32_e32 v9, s96, v10, vcc_lo
	v_cndmask_b32_e32 v4, v4, v5, vcc_lo
	s_delay_alu instid0(VALU_DEP_3) | instskip(NEXT) | instid1(VALU_DEP_3)
	v_cmp_ne_u32_e32 vcc_lo, 0, v8
	v_cndmask_b32_e32 v5, s71, v9, vcc_lo
	s_delay_alu instid0(VALU_DEP_3)
	v_cndmask_b32_e32 v4, v2, v4, vcc_lo
	s_cbranch_execnz .LBB183_185
.LBB183_184:                            ;   in Loop: Header=BB183_12 Depth=1
	v_cvt_f32_u32_e32 v2, s51
	s_sub_i32 s8, 0, s51
	s_delay_alu instid0(VALU_DEP_1) | instskip(SKIP_2) | instid1(VALU_DEP_1)
	v_rcp_iflag_f32_e32 v2, v2
	s_waitcnt_depctr 0xfff
	v_mul_f32_e32 v2, 0x4f7ffffe, v2
	v_cvt_u32_f32_e32 v2, v2
	s_delay_alu instid0(VALU_DEP_1) | instskip(NEXT) | instid1(VALU_DEP_1)
	v_mul_lo_u32 v4, s8, v2
	v_mul_hi_u32 v4, v2, v4
	s_delay_alu instid0(VALU_DEP_1) | instskip(NEXT) | instid1(VALU_DEP_1)
	v_add_nc_u32_e32 v2, v2, v4
	v_mul_hi_u32 v2, s26, v2
	s_delay_alu instid0(VALU_DEP_1) | instskip(NEXT) | instid1(VALU_DEP_1)
	v_mul_lo_u32 v2, v2, s51
	v_sub_nc_u32_e32 v2, s26, v2
	s_delay_alu instid0(VALU_DEP_1) | instskip(SKIP_1) | instid1(VALU_DEP_2)
	v_subrev_nc_u32_e32 v4, s51, v2
	v_cmp_le_u32_e32 vcc_lo, s51, v2
	v_cndmask_b32_e32 v2, v2, v4, vcc_lo
	s_delay_alu instid0(VALU_DEP_1) | instskip(SKIP_1) | instid1(VALU_DEP_2)
	v_subrev_nc_u32_e32 v4, s51, v2
	v_cmp_le_u32_e32 vcc_lo, s51, v2
	v_cndmask_b32_e32 v18, v2, v4, vcc_lo
	s_delay_alu instid0(VALU_DEP_1)
	v_dual_mov_b32 v4, v18 :: v_dual_mov_b32 v5, v19
.LBB183_185:                            ;   in Loop: Header=BB183_12 Depth=1
	s_delay_alu instid0(VALU_DEP_1) | instskip(NEXT) | instid1(VALU_DEP_2)
	v_sub_co_u32 v28, vcc_lo, s26, v4
	v_sub_co_ci_u32_e32 v29, vcc_lo, s9, v5, vcc_lo
	s_mov_b32 s8, 0
	s_mov_b32 s9, exec_lo
                                        ; implicit-def: $vgpr10_vgpr11
	s_delay_alu instid0(VALU_DEP_1)
	v_cmpx_gt_u64_e64 v[28:29], v[0:1]
	s_cbranch_execz .LBB183_197
; %bb.186:                              ;   in Loop: Header=BB183_12 Depth=1
	v_mov_b32_e32 v18, v37
	v_dual_mov_b32 v33, v1 :: v_dual_mov_b32 v32, v0
	s_mov_b32 s71, 0
                                        ; implicit-def: $sgpr26
	s_set_inst_prefetch_distance 0x1
	s_branch .LBB183_188
	.p2align	6
.LBB183_187:                            ;   in Loop: Header=BB183_188 Depth=2
	s_or_b32 exec_lo, exec_lo, s8
	s_waitcnt lgkmcnt(0)
	s_barrier
	buffer_gl0_inv
	ds_load_b128 v[8:11], v19 offset:3072
	v_add_co_u32 v32, s8, v32, s51
	s_delay_alu instid0(VALU_DEP_1) | instskip(SKIP_3) | instid1(VALU_DEP_2)
	v_add_co_ci_u32_e64 v33, s8, 0, v33, s8
	v_add_nc_u32_e32 v18, s82, v18
	s_waitcnt lgkmcnt(0)
	s_barrier
	v_cmp_ge_u64_e64 s8, v[32:33], v[28:29]
	buffer_gl0_inv
	v_cmp_neq_f64_e32 vcc_lo, 0, v[8:9]
	s_or_b32 s8, s8, vcc_lo
	s_delay_alu instid0(SALU_CYCLE_1) | instskip(NEXT) | instid1(SALU_CYCLE_1)
	s_and_b32 s8, exec_lo, s8
	s_or_b32 s71, s8, s71
	s_and_not1_b32 s8, s26, exec_lo
	s_and_b32 s26, vcc_lo, exec_lo
	s_delay_alu instid0(SALU_CYCLE_1)
	s_or_b32 s26, s8, s26
	s_and_not1_b32 exec_lo, exec_lo, s71
	s_cbranch_execz .LBB183_196
.LBB183_188:                            ;   Parent Loop BB183_12 Depth=1
                                        ; =>  This Inner Loop Header: Depth=2
	s_delay_alu instid0(VALU_DEP_1)
	v_cmp_gt_u64_e32 vcc_lo, s[22:23], v[32:33]
	v_mov_b32_e32 v4, 0
	v_mov_b32_e32 v5, 0
	s_and_saveexec_b32 s8, vcc_lo
	s_cbranch_execz .LBB183_190
; %bb.189:                              ;   in Loop: Header=BB183_188 Depth=2
	ds_load_b64 v[4:5], v18
.LBB183_190:                            ;   in Loop: Header=BB183_188 Depth=2
	s_or_b32 exec_lo, exec_lo, s8
	s_and_saveexec_b32 s8, vcc_lo
	s_cbranch_execz .LBB183_187
; %bb.191:                              ;   in Loop: Header=BB183_188 Depth=2
	s_waitcnt lgkmcnt(0)
	v_cmp_o_f64_e32 vcc_lo, v[4:5], v[4:5]
	v_ashrrev_i32_e32 v2, 31, v5
	s_delay_alu instid0(VALU_DEP_1) | instskip(SKIP_1) | instid1(VALU_DEP_2)
	v_or_b32_e32 v8, 0x80000000, v2
	v_xor_b32_e32 v2, v2, v4
	v_xor_b32_e32 v8, v8, v5
	s_delay_alu instid0(VALU_DEP_1) | instskip(NEXT) | instid1(VALU_DEP_1)
	v_cndmask_b32_e32 v8, -1, v8, vcc_lo
	v_dual_cndmask_b32 v2, -1, v2 :: v_dual_and_b32 v9, v8, v15
	s_delay_alu instid0(VALU_DEP_1) | instskip(NEXT) | instid1(VALU_DEP_1)
	v_and_b32_e32 v8, v2, v14
	v_cmp_eq_u64_e32 vcc_lo, v[8:9], v[12:13]
	s_and_b32 exec_lo, exec_lo, vcc_lo
	s_cbranch_execz .LBB183_187
; %bb.192:                              ;   in Loop: Header=BB183_188 Depth=2
	v_mov_b32_e32 v2, v19
	ds_store_b128 v19, v[2:5] offset:3072
	s_branch .LBB183_187
.LBB183_193:                            ;   in Loop: Header=BB183_12 Depth=1
                                        ; implicit-def: $vgpr4_vgpr5
	s_branch .LBB183_138
.LBB183_194:                            ;   in Loop: Header=BB183_12 Depth=1
                                        ; implicit-def: $vgpr4_vgpr5
	s_branch .LBB183_154
.LBB183_195:                            ;   in Loop: Header=BB183_12 Depth=1
	s_mov_b32 s71, -1
	s_mov_b32 s8, 0
                                        ; implicit-def: $sgpr96
                                        ; implicit-def: $vgpr10_vgpr11
	s_mov_b32 s97, s71
	s_cbranch_execnz .LBB183_198
	s_branch .LBB183_211
.LBB183_196:                            ;   in Loop: Header=BB183_12 Depth=1
	s_set_inst_prefetch_distance 0x2
	s_or_b32 exec_lo, exec_lo, s71
	s_delay_alu instid0(SALU_CYCLE_1)
	s_and_b32 s8, s26, exec_lo
.LBB183_197:                            ;   in Loop: Header=BB183_12 Depth=1
	s_or_b32 exec_lo, exec_lo, s9
	s_mov_b32 s96, -1
	s_mov_b32 s71, 0
	s_delay_alu instid0(SALU_CYCLE_1)
	s_mov_b32 s97, s71
	s_branch .LBB183_211
.LBB183_198:                            ;   in Loop: Header=BB183_12 Depth=1
	s_mov_b32 s26, s59
	s_delay_alu instid0(SALU_CYCLE_1)
	s_cmp_lg_u64 s[26:27], 0
	s_cbranch_scc0 .LBB183_231
; %bb.199:                              ;   in Loop: Header=BB183_12 Depth=1
	v_cvt_f32_u32_e32 v2, s51
	s_sub_u32 s22, 0, s51
	s_subb_u32 s23, 0, 0
	s_delay_alu instid0(VALU_DEP_1) | instskip(NEXT) | instid1(VALU_DEP_1)
	v_fmac_f32_e64 v2, 0, 0x4f800000
	v_rcp_f32_e32 v2, v2
	s_waitcnt_depctr 0xfff
	v_mul_f32_e32 v2, 0x5f7ffffc, v2
	s_delay_alu instid0(VALU_DEP_1) | instskip(NEXT) | instid1(VALU_DEP_1)
	v_mul_f32_e32 v4, 0x2f800000, v2
	v_trunc_f32_e32 v4, v4
	s_delay_alu instid0(VALU_DEP_1) | instskip(SKIP_1) | instid1(VALU_DEP_2)
	v_fmac_f32_e32 v2, 0xcf800000, v4
	v_cvt_u32_f32_e32 v4, v4
	v_cvt_u32_f32_e32 v2, v2
	s_delay_alu instid0(VALU_DEP_2) | instskip(NEXT) | instid1(VALU_DEP_2)
	v_readfirstlane_b32 s8, v4
	v_readfirstlane_b32 s9, v2
	s_delay_alu instid0(VALU_DEP_2) | instskip(NEXT) | instid1(VALU_DEP_1)
	s_mul_i32 s26, s22, s8
	s_mul_hi_u32 s96, s22, s9
	s_mul_i32 s71, s23, s9
	s_add_i32 s26, s96, s26
	s_mul_i32 s97, s22, s9
	s_add_i32 s26, s26, s71
	s_mul_hi_u32 s96, s9, s97
	s_mul_hi_u32 s100, s8, s97
	s_mul_i32 s71, s8, s97
	s_mul_hi_u32 s97, s9, s26
	s_mul_i32 s9, s9, s26
	s_mul_hi_u32 s101, s8, s26
	s_add_u32 s9, s96, s9
	s_addc_u32 s96, 0, s97
	s_add_u32 s9, s9, s71
	s_mul_i32 s26, s8, s26
	s_addc_u32 s9, s96, s100
	s_addc_u32 s71, s101, 0
	s_add_u32 s9, s9, s26
	s_addc_u32 s26, 0, s71
	v_add_co_u32 v2, s9, v2, s9
	s_delay_alu instid0(VALU_DEP_1) | instskip(SKIP_1) | instid1(VALU_DEP_1)
	s_cmp_lg_u32 s9, 0
	s_addc_u32 s8, s8, s26
	v_readfirstlane_b32 s9, v2
	s_mul_i32 s26, s22, s8
	s_delay_alu instid0(VALU_DEP_1)
	s_mul_hi_u32 s71, s22, s9
	s_mul_i32 s23, s23, s9
	s_add_i32 s26, s71, s26
	s_mul_i32 s22, s22, s9
	s_add_i32 s26, s26, s23
	s_mul_hi_u32 s71, s8, s22
	s_mul_i32 s96, s8, s22
	s_mul_hi_u32 s22, s9, s22
	s_mul_hi_u32 s97, s9, s26
	s_mul_i32 s9, s9, s26
	s_mul_hi_u32 s23, s8, s26
	s_add_u32 s9, s22, s9
	s_addc_u32 s22, 0, s97
	s_add_u32 s9, s9, s96
	s_mul_i32 s26, s8, s26
	s_addc_u32 s9, s22, s71
	s_addc_u32 s22, s23, 0
	s_add_u32 s9, s9, s26
	s_addc_u32 s22, 0, s22
	v_add_co_u32 v2, s9, v2, s9
	s_delay_alu instid0(VALU_DEP_1) | instskip(SKIP_1) | instid1(VALU_DEP_1)
	s_cmp_lg_u32 s9, 0
	s_addc_u32 s8, s8, s22
	v_readfirstlane_b32 s9, v2
	s_mul_i32 s23, s76, s8
	s_mul_hi_u32 s22, s76, s8
	s_mul_hi_u32 s26, s27, s8
	s_mul_i32 s8, s27, s8
	s_mul_hi_u32 s71, s76, s9
	s_mul_hi_u32 s96, s27, s9
	s_mul_i32 s9, s27, s9
	s_add_u32 s23, s71, s23
	s_addc_u32 s22, 0, s22
	s_add_u32 s9, s23, s9
	s_addc_u32 s9, s22, s96
	s_addc_u32 s22, s26, 0
	s_add_u32 s8, s9, s8
	s_addc_u32 s9, 0, s22
	s_mul_hi_u32 s22, s51, s8
	s_mul_i32 s8, s51, s8
	s_mul_i32 s9, s51, s9
	v_sub_co_u32 v2, s8, s76, s8
	s_add_i32 s22, s22, s9
	s_cmp_lg_u32 s8, 0
	s_delay_alu instid0(VALU_DEP_1) | instskip(SKIP_2) | instid1(VALU_DEP_1)
	v_sub_co_u32 v4, s8, v2, s51
	s_subb_u32 s9, s27, s22
	s_cmp_lg_u32 s8, 0
	v_cmp_le_u32_e32 vcc_lo, s51, v4
	v_sub_co_u32 v5, s8, v4, s51
	s_subb_u32 s22, s9, 0
	s_cmp_lg_u32 s8, 0
	v_cndmask_b32_e64 v8, 0, -1, vcc_lo
	s_subb_u32 s8, s22, 0
	s_cmp_eq_u32 s22, 0
	v_mov_b32_e32 v10, s8
	s_cselect_b32 vcc_lo, -1, 0
	s_cmp_eq_u32 s9, 0
	v_cndmask_b32_e32 v8, -1, v8, vcc_lo
	v_cmp_le_u32_e32 vcc_lo, s51, v2
	s_cselect_b32 s8, -1, 0
	v_cndmask_b32_e64 v9, 0, -1, vcc_lo
	s_delay_alu instid0(VALU_DEP_3) | instskip(NEXT) | instid1(VALU_DEP_2)
	v_cmp_ne_u32_e32 vcc_lo, 0, v8
	v_cndmask_b32_e64 v8, -1, v9, s8
	v_cndmask_b32_e32 v9, s22, v10, vcc_lo
	v_cndmask_b32_e32 v4, v4, v5, vcc_lo
	s_delay_alu instid0(VALU_DEP_3) | instskip(NEXT) | instid1(VALU_DEP_3)
	v_cmp_ne_u32_e32 vcc_lo, 0, v8
	v_cndmask_b32_e32 v5, s9, v9, vcc_lo
	s_delay_alu instid0(VALU_DEP_3)
	v_cndmask_b32_e32 v4, v2, v4, vcc_lo
	s_cbranch_execnz .LBB183_201
.LBB183_200:                            ;   in Loop: Header=BB183_12 Depth=1
	v_cvt_f32_u32_e32 v2, s51
	s_sub_i32 s8, 0, s51
	s_delay_alu instid0(VALU_DEP_1) | instskip(SKIP_2) | instid1(VALU_DEP_1)
	v_rcp_iflag_f32_e32 v2, v2
	s_waitcnt_depctr 0xfff
	v_mul_f32_e32 v2, 0x4f7ffffe, v2
	v_cvt_u32_f32_e32 v2, v2
	s_delay_alu instid0(VALU_DEP_1) | instskip(NEXT) | instid1(VALU_DEP_1)
	v_mul_lo_u32 v4, s8, v2
	v_mul_hi_u32 v4, v2, v4
	s_delay_alu instid0(VALU_DEP_1) | instskip(NEXT) | instid1(VALU_DEP_1)
	v_add_nc_u32_e32 v2, v2, v4
	v_mul_hi_u32 v2, s76, v2
	s_delay_alu instid0(VALU_DEP_1) | instskip(NEXT) | instid1(VALU_DEP_1)
	v_mul_lo_u32 v2, v2, s51
	v_sub_nc_u32_e32 v2, s76, v2
	s_delay_alu instid0(VALU_DEP_1) | instskip(SKIP_1) | instid1(VALU_DEP_2)
	v_subrev_nc_u32_e32 v4, s51, v2
	v_cmp_le_u32_e32 vcc_lo, s51, v2
	v_cndmask_b32_e32 v2, v2, v4, vcc_lo
	s_delay_alu instid0(VALU_DEP_1) | instskip(SKIP_1) | instid1(VALU_DEP_2)
	v_subrev_nc_u32_e32 v4, s51, v2
	v_cmp_le_u32_e32 vcc_lo, s51, v2
	v_cndmask_b32_e32 v18, v2, v4, vcc_lo
	s_delay_alu instid0(VALU_DEP_1)
	v_dual_mov_b32 v4, v18 :: v_dual_mov_b32 v5, v19
.LBB183_201:                            ;   in Loop: Header=BB183_12 Depth=1
	s_delay_alu instid0(VALU_DEP_1) | instskip(NEXT) | instid1(VALU_DEP_2)
	v_sub_co_u32 v28, vcc_lo, s76, v4
	v_sub_co_ci_u32_e32 v29, vcc_lo, s27, v5, vcc_lo
	s_mov_b32 s8, 0
	s_mov_b32 s9, exec_lo
                                        ; implicit-def: $vgpr10_vgpr11
	s_delay_alu instid0(VALU_DEP_1)
	v_cmpx_gt_u64_e64 v[28:29], v[0:1]
	s_cbranch_execz .LBB183_210
; %bb.202:                              ;   in Loop: Header=BB183_12 Depth=1
	v_dual_mov_b32 v33, v1 :: v_dual_mov_b32 v32, v0
	s_mov_b32 s23, 0
                                        ; implicit-def: $sgpr22
	s_branch .LBB183_204
.LBB183_203:                            ;   in Loop: Header=BB183_204 Depth=2
	s_or_b32 exec_lo, exec_lo, s8
	s_waitcnt vmcnt(0) lgkmcnt(0)
	s_barrier
	buffer_gl0_inv
	ds_load_b128 v[8:11], v19 offset:3072
	v_add_co_u32 v32, s8, v32, s51
	s_delay_alu instid0(VALU_DEP_1)
	v_add_co_ci_u32_e64 v33, s8, 0, v33, s8
	s_waitcnt lgkmcnt(0)
	s_barrier
	buffer_gl0_inv
	v_cmp_ge_u64_e64 s8, v[32:33], v[28:29]
	v_cmp_neq_f64_e32 vcc_lo, 0, v[8:9]
	s_delay_alu instid0(VALU_DEP_2) | instskip(NEXT) | instid1(SALU_CYCLE_1)
	s_or_b32 s8, s8, vcc_lo
	s_and_b32 s8, exec_lo, s8
	s_delay_alu instid0(SALU_CYCLE_1) | instskip(SKIP_2) | instid1(SALU_CYCLE_1)
	s_or_b32 s23, s8, s23
	s_and_not1_b32 s8, s22, exec_lo
	s_and_b32 s22, vcc_lo, exec_lo
	s_or_b32 s22, s8, s22
	s_and_not1_b32 exec_lo, exec_lo, s23
	s_cbranch_execz .LBB183_209
.LBB183_204:                            ;   Parent Loop BB183_12 Depth=1
                                        ; =>  This Inner Loop Header: Depth=2
	s_delay_alu instid0(VALU_DEP_1)
	v_cmp_gt_u64_e32 vcc_lo, s[36:37], v[32:33]
	v_mov_b32_e32 v4, 0
	v_mov_b32_e32 v5, 0
	s_and_saveexec_b32 s26, vcc_lo
	s_cbranch_execz .LBB183_206
; %bb.205:                              ;   in Loop: Header=BB183_204 Depth=2
	v_mul_lo_u32 v2, v33, s30
	v_mul_lo_u32 v8, v32, s31
	v_mad_u64_u32 v[4:5], null, v32, s30, 0
	s_delay_alu instid0(VALU_DEP_1) | instskip(NEXT) | instid1(VALU_DEP_1)
	v_add3_u32 v5, v5, v8, v2
	v_lshlrev_b64 v[4:5], 3, v[4:5]
	s_delay_alu instid0(VALU_DEP_1) | instskip(NEXT) | instid1(VALU_DEP_1)
	v_add_co_u32 v4, s8, s33, v4
	v_add_co_ci_u32_e64 v5, s8, s35, v5, s8
	global_load_b64 v[4:5], v[4:5], off
.LBB183_206:                            ;   in Loop: Header=BB183_204 Depth=2
	s_or_b32 exec_lo, exec_lo, s26
	s_and_saveexec_b32 s8, vcc_lo
	s_cbranch_execz .LBB183_203
; %bb.207:                              ;   in Loop: Header=BB183_204 Depth=2
	s_waitcnt vmcnt(0)
	v_cmp_o_f64_e32 vcc_lo, v[4:5], v[4:5]
	v_ashrrev_i32_e32 v2, 31, v5
	s_delay_alu instid0(VALU_DEP_1) | instskip(SKIP_1) | instid1(VALU_DEP_2)
	v_or_b32_e32 v8, 0x80000000, v2
	v_xor_b32_e32 v2, v2, v4
	v_xor_b32_e32 v8, v8, v5
	s_delay_alu instid0(VALU_DEP_1) | instskip(NEXT) | instid1(VALU_DEP_1)
	v_cndmask_b32_e32 v8, -1, v8, vcc_lo
	v_dual_cndmask_b32 v2, -1, v2 :: v_dual_and_b32 v9, v8, v15
	s_delay_alu instid0(VALU_DEP_1) | instskip(NEXT) | instid1(VALU_DEP_1)
	v_and_b32_e32 v8, v2, v14
	v_cmp_eq_u64_e32 vcc_lo, v[8:9], v[12:13]
	s_and_b32 exec_lo, exec_lo, vcc_lo
	s_cbranch_execz .LBB183_203
; %bb.208:                              ;   in Loop: Header=BB183_204 Depth=2
	v_mov_b32_e32 v2, v19
	ds_store_b128 v19, v[2:5] offset:3072
	s_branch .LBB183_203
.LBB183_209:                            ;   in Loop: Header=BB183_12 Depth=1
	s_or_b32 exec_lo, exec_lo, s23
	s_delay_alu instid0(SALU_CYCLE_1)
	s_and_b32 s8, s22, exec_lo
.LBB183_210:                            ;   in Loop: Header=BB183_12 Depth=1
	s_or_b32 exec_lo, exec_lo, s9
	s_mov_b32 s97, -1
	s_mov_b32 s71, 0
	s_mov_b32 s96, 0
.LBB183_211:                            ;   in Loop: Header=BB183_12 Depth=1
	s_or_not1_b32 s8, s8, exec_lo
.LBB183_212:                            ;   in Loop: Header=BB183_12 Depth=1
	s_or_b32 exec_lo, exec_lo, s98
	s_mov_b32 s26, 0
                                        ; implicit-def: $vgpr2
	s_and_saveexec_b32 s98, s8
	s_cbranch_execz .LBB183_277
; %bb.213:                              ;   in Loop: Header=BB183_12 Depth=1
	v_mov_b32_e32 v28, 1
	v_dual_mov_b32 v29, 0 :: v_dual_mov_b32 v2, 1
	s_xor_b32 s9, s99, -1
	s_delay_alu instid0(SALU_CYCLE_1)
	s_and_saveexec_b32 s8, s9
	s_cbranch_execz .LBB183_223
; %bb.214:                              ;   in Loop: Header=BB183_12 Depth=1
	s_mov_b32 s22, exec_lo
                                        ; implicit-def: $sgpr23
                                        ; implicit-def: $sgpr9
	v_cmpx_ge_u64_e64 s[18:19], v[30:31]
	s_xor_b32 s22, exec_lo, s22
	s_cbranch_execz .LBB183_220
; %bb.215:                              ;   in Loop: Header=BB183_12 Depth=1
	ds_load_b64 v[4:5], v19 offset:5120
	s_waitcnt lgkmcnt(0)
	v_cmp_ne_u64_e32 vcc_lo, 0, v[4:5]
	s_cbranch_vccnz .LBB183_219
; %bb.216:                              ;   in Loop: Header=BB183_12 Depth=1
	s_and_saveexec_b32 s9, s5
	s_cbranch_execz .LBB183_218
; %bb.217:                              ;   in Loop: Header=BB183_12 Depth=1
	v_dual_mov_b32 v4, s18 :: v_dual_mov_b32 v5, s19
	ds_store_b64 v19, v[4:5] offset:5128
.LBB183_218:                            ;   in Loop: Header=BB183_12 Depth=1
	s_or_b32 exec_lo, exec_lo, s9
	s_waitcnt lgkmcnt(0)
	s_barrier
	buffer_gl0_inv
.LBB183_219:                            ;   in Loop: Header=BB183_12 Depth=1
	v_and_b32_e32 v2, s15, v13
	v_and_b32_e32 v4, s14, v12
	s_lshl_b64 s[100:101], 2, s24
	v_or_b32_e32 v15, s13, v15
	v_or_b32_e32 v14, s12, v14
	;; [unrolled: 1-line block ×4, first 2 shown]
	s_mov_b32 s9, 0
	s_mov_b32 s23, 8
.LBB183_220:                            ;   in Loop: Header=BB183_12 Depth=1
	s_or_saveexec_b32 s22, s22
	v_mov_b32_e32 v2, s23
	s_xor_b32 exec_lo, exec_lo, s22
; %bb.221:                              ;   in Loop: Header=BB183_12 Depth=1
	v_sub_co_u32 v30, vcc_lo, v30, s18
	v_subrev_co_ci_u32_e32 v31, vcc_lo, s19, v31, vcc_lo
	v_mov_b32_e32 v2, 0
	s_or_b32 s9, s9, exec_lo
; %bb.222:                              ;   in Loop: Header=BB183_12 Depth=1
	s_or_b32 exec_lo, exec_lo, s22
	s_delay_alu instid0(VALU_DEP_2)
	v_dual_mov_b32 v28, v30 :: v_dual_mov_b32 v29, v31
	s_and_b32 s26, s9, exec_lo
.LBB183_223:                            ;   in Loop: Header=BB183_12 Depth=1
	s_or_b32 exec_lo, exec_lo, s8
	s_mov_b32 s23, -1
                                        ; implicit-def: $sgpr8
                                        ; implicit-def: $sgpr22
                                        ; implicit-def: $sgpr9
	s_and_saveexec_b32 s99, s26
	s_cbranch_execz .LBB183_276
; %bb.224:                              ;   in Loop: Header=BB183_12 Depth=1
	v_cmp_eq_u64_e32 vcc_lo, 1, v[28:29]
	s_cmp_eq_u64 s[20:21], 1
	s_mov_b32 s26, -1
	s_cselect_b32 s8, -1, 0
                                        ; implicit-def: $sgpr22
                                        ; implicit-def: $sgpr9
	s_delay_alu instid0(SALU_CYCLE_1) | instskip(NEXT) | instid1(SALU_CYCLE_1)
	s_and_b32 s100, s8, vcc_lo
                                        ; implicit-def: $sgpr8
	s_and_saveexec_b32 s101, s100
	s_cbranch_execz .LBB183_263
; %bb.225:                              ;   in Loop: Header=BB183_12 Depth=1
	ds_load_b64 v[4:5], v19 offset:5120
	s_waitcnt lgkmcnt(0)
	s_barrier
	buffer_gl0_inv
	v_readfirstlane_b32 s22, v4
	v_readfirstlane_b32 s23, v5
	s_and_saveexec_b32 s8, s6
	s_cbranch_execz .LBB183_227
; %bb.226:                              ;   in Loop: Header=BB183_12 Depth=1
	v_mov_b32_e32 v18, v19
	ds_store_b64 v38, v[18:19]
.LBB183_227:                            ;   in Loop: Header=BB183_12 Depth=1
	s_or_b32 exec_lo, exec_lo, s8
	v_or_b32_e32 v13, s13, v13
	v_or_b32_e32 v12, s12, v12
	;; [unrolled: 1-line block ×4, first 2 shown]
	s_cmp_eq_u64 s[22:23], 0
	s_waitcnt lgkmcnt(0)
	s_barrier
	buffer_gl0_inv
	s_cbranch_scc1 .LBB183_232
; %bb.228:                              ;   in Loop: Header=BB183_12 Depth=1
	s_add_u32 s26, s74, s22
	s_addc_u32 s9, s75, s23
	s_mov_b32 s8, s59
	s_delay_alu instid0(SALU_CYCLE_1)
	s_cmp_lg_u64 s[8:9], 0
	s_cbranch_scc0 .LBB183_233
; %bb.229:                              ;   in Loop: Header=BB183_12 Depth=1
	v_cvt_f32_u32_e32 v2, s51
	s_sub_u32 s103, 0, s51
	s_subb_u32 s104, 0, 0
	s_delay_alu instid0(VALU_DEP_1) | instskip(NEXT) | instid1(VALU_DEP_1)
	v_fmac_f32_e64 v2, 0, 0x4f800000
	v_rcp_f32_e32 v2, v2
	s_waitcnt_depctr 0xfff
	v_mul_f32_e32 v2, 0x5f7ffffc, v2
	s_delay_alu instid0(VALU_DEP_1) | instskip(NEXT) | instid1(VALU_DEP_1)
	v_mul_f32_e32 v4, 0x2f800000, v2
	v_trunc_f32_e32 v4, v4
	s_delay_alu instid0(VALU_DEP_1) | instskip(SKIP_1) | instid1(VALU_DEP_2)
	v_fmac_f32_e32 v2, 0xcf800000, v4
	v_cvt_u32_f32_e32 v4, v4
	v_cvt_u32_f32_e32 v2, v2
	s_delay_alu instid0(VALU_DEP_2) | instskip(NEXT) | instid1(VALU_DEP_2)
	v_readfirstlane_b32 s8, v4
	v_readfirstlane_b32 s102, v2
	s_delay_alu instid0(VALU_DEP_2) | instskip(NEXT) | instid1(VALU_DEP_1)
	s_mul_i32 vcc_lo, s103, s8
	s_mul_hi_u32 s52, s103, s102
	s_mul_i32 vcc_hi, s104, s102
	s_add_i32 s52, s52, vcc_lo
	s_mul_i32 s53, s103, s102
	s_add_i32 s52, s52, vcc_hi
	s_mul_hi_u32 vcc_lo, s102, s53
	s_mul_hi_u32 s55, s102, s52
	s_mul_i32 s102, s102, s52
	s_mul_hi_u32 s54, s8, s53
	s_mul_i32 s53, s8, s53
	s_add_u32 s102, vcc_lo, s102
	s_addc_u32 s55, 0, s55
	s_mul_hi_u32 vcc_hi, s8, s52
	s_add_u32 s53, s102, s53
	s_mul_i32 s52, s8, s52
	s_addc_u32 s53, s55, s54
	s_addc_u32 s54, vcc_hi, 0
	s_add_u32 s52, s53, s52
	s_addc_u32 s53, 0, s54
	v_add_co_u32 v2, s52, v2, s52
	s_delay_alu instid0(VALU_DEP_1) | instskip(SKIP_1) | instid1(VALU_DEP_1)
	s_cmp_lg_u32 s52, 0
	s_addc_u32 s8, s8, s53
	v_readfirstlane_b32 s52, v2
	s_mul_i32 s53, s103, s8
	s_delay_alu instid0(VALU_DEP_1)
	s_mul_hi_u32 s54, s103, s52
	s_mul_i32 s104, s104, s52
	s_add_i32 s53, s54, s53
	s_mul_i32 s103, s103, s52
	s_add_i32 s53, s53, s104
	s_mul_hi_u32 s102, s52, s103
	s_mul_hi_u32 s104, s52, s53
	s_mul_i32 s52, s52, s53
	s_mul_i32 s55, s8, s103
	s_add_u32 s52, s102, s52
	s_mul_hi_u32 s54, s8, s103
	s_addc_u32 s102, 0, s104
	s_mul_hi_u32 s103, s8, s53
	s_add_u32 s52, s52, s55
	s_mul_i32 s53, s8, s53
	s_addc_u32 s52, s102, s54
	s_addc_u32 s54, s103, 0
	s_add_u32 s52, s52, s53
	s_addc_u32 s53, 0, s54
	v_add_co_u32 v2, s52, v2, s52
	s_delay_alu instid0(VALU_DEP_1) | instskip(SKIP_1) | instid1(VALU_DEP_1)
	s_cmp_lg_u32 s52, 0
	s_addc_u32 s8, s8, s53
	v_readfirstlane_b32 s52, v2
	s_mul_i32 s54, s26, s8
	s_mul_hi_u32 s53, s26, s8
	s_mul_hi_u32 s55, s9, s8
	s_mul_i32 s8, s9, s8
	s_mul_hi_u32 s102, s26, s52
	s_mul_hi_u32 s103, s9, s52
	s_mul_i32 s52, s9, s52
	s_add_u32 s54, s102, s54
	s_addc_u32 s53, 0, s53
	s_add_u32 s52, s54, s52
	s_addc_u32 s52, s53, s103
	s_addc_u32 s53, s55, 0
	s_add_u32 s8, s52, s8
	s_addc_u32 s52, 0, s53
	s_mul_hi_u32 s53, s51, s8
	s_mul_i32 s8, s51, s8
	s_mul_i32 s52, s51, s52
	v_sub_co_u32 v2, s8, s26, s8
	s_add_i32 s53, s53, s52
	s_cmp_lg_u32 s8, 0
	s_delay_alu instid0(VALU_DEP_1) | instskip(SKIP_3) | instid1(VALU_DEP_2)
	v_sub_co_u32 v4, s8, v2, s51
	s_subb_u32 s52, s9, s53
	s_cmp_lg_u32 s8, 0
	v_cmp_le_u32_e32 vcc_lo, s51, v2
	v_cmp_le_u32_e64 s8, s51, v4
	v_sub_co_u32 v5, s53, v4, s51
	s_subb_u32 s54, s52, 0
	s_cmp_lg_u32 s53, 0
	s_delay_alu instid0(VALU_DEP_2)
	v_cndmask_b32_e64 v8, 0, -1, s8
	s_subb_u32 s53, s54, 0
	s_cmp_eq_u32 s54, 0
	v_cndmask_b32_e64 v9, 0, -1, vcc_lo
	s_cselect_b32 vcc_lo, -1, 0
	s_cmp_eq_u32 s52, 0
	v_cndmask_b32_e32 v8, -1, v8, vcc_lo
	s_cselect_b32 vcc_lo, -1, 0
	v_dual_mov_b32 v10, s53 :: v_dual_cndmask_b32 v9, -1, v9
	s_delay_alu instid0(VALU_DEP_2) | instskip(NEXT) | instid1(VALU_DEP_2)
	v_cmp_ne_u32_e32 vcc_lo, 0, v8
	v_cmp_ne_u32_e64 s8, 0, v9
	s_delay_alu instid0(VALU_DEP_3) | instskip(SKIP_1) | instid1(VALU_DEP_2)
	v_cndmask_b32_e32 v8, s54, v10, vcc_lo
	v_cndmask_b32_e32 v4, v4, v5, vcc_lo
	v_cndmask_b32_e64 v5, s52, v8, s8
	s_delay_alu instid0(VALU_DEP_2)
	v_cndmask_b32_e64 v4, v2, v4, s8
	s_mov_b32 s8, 0
	s_branch .LBB183_234
.LBB183_230:                            ;   in Loop: Header=BB183_12 Depth=1
                                        ; implicit-def: $vgpr4_vgpr5
	s_branch .LBB183_184
.LBB183_231:                            ;   in Loop: Header=BB183_12 Depth=1
                                        ; implicit-def: $vgpr4_vgpr5
	s_branch .LBB183_200
.LBB183_232:                            ;   in Loop: Header=BB183_12 Depth=1
	s_mov_b32 s8, -1
	s_mov_b32 s26, 0
                                        ; implicit-def: $sgpr9
                                        ; implicit-def: $vgpr10_vgpr11
	s_branch .LBB183_246
.LBB183_233:                            ;   in Loop: Header=BB183_12 Depth=1
	s_mov_b32 s8, -1
                                        ; implicit-def: $vgpr4_vgpr5
.LBB183_234:                            ;   in Loop: Header=BB183_12 Depth=1
	s_delay_alu instid0(SALU_CYCLE_1)
	s_and_not1_b32 vcc_lo, exec_lo, s8
	s_cbranch_vccnz .LBB183_236
; %bb.235:                              ;   in Loop: Header=BB183_12 Depth=1
	v_cvt_f32_u32_e32 v2, s51
	s_sub_i32 s8, 0, s51
	s_delay_alu instid0(VALU_DEP_1) | instskip(SKIP_2) | instid1(VALU_DEP_1)
	v_rcp_iflag_f32_e32 v2, v2
	s_waitcnt_depctr 0xfff
	v_mul_f32_e32 v2, 0x4f7ffffe, v2
	v_cvt_u32_f32_e32 v2, v2
	s_delay_alu instid0(VALU_DEP_1) | instskip(NEXT) | instid1(VALU_DEP_1)
	v_mul_lo_u32 v4, s8, v2
	v_mul_hi_u32 v4, v2, v4
	s_delay_alu instid0(VALU_DEP_1) | instskip(NEXT) | instid1(VALU_DEP_1)
	v_add_nc_u32_e32 v2, v2, v4
	v_mul_hi_u32 v2, s26, v2
	s_delay_alu instid0(VALU_DEP_1) | instskip(NEXT) | instid1(VALU_DEP_1)
	v_mul_lo_u32 v2, v2, s51
	v_sub_nc_u32_e32 v2, s26, v2
	s_delay_alu instid0(VALU_DEP_1) | instskip(SKIP_1) | instid1(VALU_DEP_2)
	v_subrev_nc_u32_e32 v4, s51, v2
	v_cmp_le_u32_e32 vcc_lo, s51, v2
	v_cndmask_b32_e32 v2, v2, v4, vcc_lo
	s_delay_alu instid0(VALU_DEP_1) | instskip(SKIP_1) | instid1(VALU_DEP_2)
	v_subrev_nc_u32_e32 v4, s51, v2
	v_cmp_le_u32_e32 vcc_lo, s51, v2
	v_cndmask_b32_e32 v18, v2, v4, vcc_lo
	s_delay_alu instid0(VALU_DEP_1)
	v_dual_mov_b32 v4, v18 :: v_dual_mov_b32 v5, v19
.LBB183_236:                            ;   in Loop: Header=BB183_12 Depth=1
	s_delay_alu instid0(VALU_DEP_1) | instskip(NEXT) | instid1(VALU_DEP_2)
	v_sub_co_u32 v30, vcc_lo, s26, v4
	v_sub_co_ci_u32_e32 v31, vcc_lo, s9, v5, vcc_lo
	s_mov_b32 s26, 0
	s_mov_b32 s9, exec_lo
                                        ; implicit-def: $vgpr10_vgpr11
	s_delay_alu instid0(VALU_DEP_1)
	v_cmpx_gt_u64_e64 v[30:31], v[0:1]
	s_cbranch_execz .LBB183_245
; %bb.237:                              ;   in Loop: Header=BB183_12 Depth=1
	v_mov_b32_e32 v18, v37
	v_dual_mov_b32 v33, v1 :: v_dual_mov_b32 v32, v0
	s_mov_b32 s102, 0
                                        ; implicit-def: $sgpr26
	s_set_inst_prefetch_distance 0x1
	s_branch .LBB183_239
	.p2align	6
.LBB183_238:                            ;   in Loop: Header=BB183_239 Depth=2
	s_or_b32 exec_lo, exec_lo, s8
	s_waitcnt lgkmcnt(0)
	s_barrier
	buffer_gl0_inv
	ds_load_b128 v[8:11], v19 offset:3072
	v_add_co_u32 v32, s8, v32, s51
	s_delay_alu instid0(VALU_DEP_1) | instskip(SKIP_3) | instid1(VALU_DEP_2)
	v_add_co_ci_u32_e64 v33, s8, 0, v33, s8
	v_add_nc_u32_e32 v18, s82, v18
	s_waitcnt lgkmcnt(0)
	s_barrier
	v_cmp_ge_u64_e64 s8, v[32:33], v[30:31]
	buffer_gl0_inv
	v_cmp_neq_f64_e32 vcc_lo, 0, v[8:9]
	s_or_b32 s8, s8, vcc_lo
	s_delay_alu instid0(SALU_CYCLE_1) | instskip(NEXT) | instid1(SALU_CYCLE_1)
	s_and_b32 s8, exec_lo, s8
	s_or_b32 s102, s8, s102
	s_and_not1_b32 s8, s26, exec_lo
	s_and_b32 s26, vcc_lo, exec_lo
	s_delay_alu instid0(SALU_CYCLE_1)
	s_or_b32 s26, s8, s26
	s_and_not1_b32 exec_lo, exec_lo, s102
	s_cbranch_execz .LBB183_244
.LBB183_239:                            ;   Parent Loop BB183_12 Depth=1
                                        ; =>  This Inner Loop Header: Depth=2
	s_delay_alu instid0(VALU_DEP_1)
	v_cmp_gt_u64_e32 vcc_lo, s[22:23], v[32:33]
	v_mov_b32_e32 v4, 0
	v_mov_b32_e32 v5, 0
	s_and_saveexec_b32 s8, vcc_lo
	s_cbranch_execz .LBB183_241
; %bb.240:                              ;   in Loop: Header=BB183_239 Depth=2
	ds_load_b64 v[4:5], v18
.LBB183_241:                            ;   in Loop: Header=BB183_239 Depth=2
	s_or_b32 exec_lo, exec_lo, s8
	s_and_saveexec_b32 s8, vcc_lo
	s_cbranch_execz .LBB183_238
; %bb.242:                              ;   in Loop: Header=BB183_239 Depth=2
	s_waitcnt lgkmcnt(0)
	v_cmp_o_f64_e32 vcc_lo, v[4:5], v[4:5]
	v_ashrrev_i32_e32 v2, 31, v5
	s_delay_alu instid0(VALU_DEP_1) | instskip(SKIP_1) | instid1(VALU_DEP_2)
	v_or_b32_e32 v8, 0x80000000, v2
	v_xor_b32_e32 v2, v2, v4
	v_xor_b32_e32 v8, v8, v5
	s_delay_alu instid0(VALU_DEP_1) | instskip(NEXT) | instid1(VALU_DEP_1)
	v_cndmask_b32_e32 v8, -1, v8, vcc_lo
	v_dual_cndmask_b32 v2, -1, v2 :: v_dual_and_b32 v9, v8, v15
	s_delay_alu instid0(VALU_DEP_1) | instskip(NEXT) | instid1(VALU_DEP_1)
	v_and_b32_e32 v8, v2, v14
	v_cmp_eq_u64_e32 vcc_lo, v[8:9], v[12:13]
	s_and_b32 exec_lo, exec_lo, vcc_lo
	s_cbranch_execz .LBB183_238
; %bb.243:                              ;   in Loop: Header=BB183_239 Depth=2
	v_mov_b32_e32 v2, v19
	ds_store_b128 v19, v[2:5] offset:3072
	s_branch .LBB183_238
.LBB183_244:                            ;   in Loop: Header=BB183_12 Depth=1
	s_set_inst_prefetch_distance 0x2
	s_or_b32 exec_lo, exec_lo, s102
	s_delay_alu instid0(SALU_CYCLE_1)
	s_and_b32 s26, s26, exec_lo
.LBB183_245:                            ;   in Loop: Header=BB183_12 Depth=1
	s_or_b32 exec_lo, exec_lo, s9
	s_mov_b32 s9, -1
	s_mov_b32 s8, 0
.LBB183_246:                            ;   in Loop: Header=BB183_12 Depth=1
	s_delay_alu instid0(SALU_CYCLE_1)
	s_and_b32 vcc_lo, exec_lo, s8
	s_mov_b32 s22, s8
	s_cbranch_vccz .LBB183_262
; %bb.247:                              ;   in Loop: Header=BB183_12 Depth=1
	s_mov_b32 s26, s59
	s_delay_alu instid0(SALU_CYCLE_1)
	s_cmp_lg_u64 s[26:27], 0
	s_cbranch_scc0 .LBB183_249
; %bb.248:                              ;   in Loop: Header=BB183_12 Depth=1
	v_cvt_f32_u32_e32 v2, s51
	s_sub_u32 s22, 0, s51
	s_subb_u32 s23, 0, 0
	s_delay_alu instid0(VALU_DEP_1) | instskip(NEXT) | instid1(VALU_DEP_1)
	v_fmac_f32_e64 v2, 0, 0x4f800000
	v_rcp_f32_e32 v2, v2
	s_waitcnt_depctr 0xfff
	v_mul_f32_e32 v2, 0x5f7ffffc, v2
	s_delay_alu instid0(VALU_DEP_1) | instskip(NEXT) | instid1(VALU_DEP_1)
	v_mul_f32_e32 v4, 0x2f800000, v2
	v_trunc_f32_e32 v4, v4
	s_delay_alu instid0(VALU_DEP_1) | instskip(SKIP_1) | instid1(VALU_DEP_2)
	v_fmac_f32_e32 v2, 0xcf800000, v4
	v_cvt_u32_f32_e32 v4, v4
	v_cvt_u32_f32_e32 v2, v2
	s_delay_alu instid0(VALU_DEP_2) | instskip(NEXT) | instid1(VALU_DEP_2)
	v_readfirstlane_b32 s8, v4
	v_readfirstlane_b32 s9, v2
	s_delay_alu instid0(VALU_DEP_2) | instskip(NEXT) | instid1(VALU_DEP_1)
	s_mul_i32 s26, s22, s8
	s_mul_hi_u32 s53, s22, s9
	s_mul_i32 s52, s23, s9
	s_add_i32 s26, s53, s26
	s_mul_i32 s54, s22, s9
	s_add_i32 s26, s26, s52
	s_mul_hi_u32 s53, s9, s54
	s_mul_hi_u32 s55, s8, s54
	s_mul_i32 s52, s8, s54
	s_mul_hi_u32 s54, s9, s26
	s_mul_i32 s9, s9, s26
	s_mul_hi_u32 s102, s8, s26
	s_add_u32 s9, s53, s9
	s_addc_u32 s53, 0, s54
	s_add_u32 s9, s9, s52
	s_mul_i32 s26, s8, s26
	s_addc_u32 s9, s53, s55
	s_addc_u32 s52, s102, 0
	s_add_u32 s9, s9, s26
	s_addc_u32 s26, 0, s52
	v_add_co_u32 v2, s9, v2, s9
	s_delay_alu instid0(VALU_DEP_1) | instskip(SKIP_1) | instid1(VALU_DEP_1)
	s_cmp_lg_u32 s9, 0
	s_addc_u32 s8, s8, s26
	v_readfirstlane_b32 s9, v2
	s_mul_i32 s26, s22, s8
	s_delay_alu instid0(VALU_DEP_1)
	s_mul_hi_u32 s52, s22, s9
	s_mul_i32 s23, s23, s9
	s_add_i32 s26, s52, s26
	s_mul_i32 s22, s22, s9
	s_add_i32 s26, s26, s23
	s_mul_hi_u32 s52, s8, s22
	s_mul_i32 s53, s8, s22
	s_mul_hi_u32 s22, s9, s22
	s_mul_hi_u32 s54, s9, s26
	s_mul_i32 s9, s9, s26
	s_mul_hi_u32 s23, s8, s26
	s_add_u32 s9, s22, s9
	s_addc_u32 s22, 0, s54
	s_add_u32 s9, s9, s53
	s_mul_i32 s26, s8, s26
	s_addc_u32 s9, s22, s52
	s_addc_u32 s22, s23, 0
	s_add_u32 s9, s9, s26
	s_addc_u32 s22, 0, s22
	v_add_co_u32 v2, s9, v2, s9
	s_delay_alu instid0(VALU_DEP_1) | instskip(SKIP_1) | instid1(VALU_DEP_1)
	s_cmp_lg_u32 s9, 0
	s_addc_u32 s8, s8, s22
	v_readfirstlane_b32 s9, v2
	s_mul_i32 s23, s76, s8
	s_mul_hi_u32 s22, s76, s8
	s_mul_hi_u32 s26, s27, s8
	s_mul_i32 s8, s27, s8
	s_mul_hi_u32 s52, s76, s9
	s_mul_hi_u32 s53, s27, s9
	s_mul_i32 s9, s27, s9
	s_add_u32 s23, s52, s23
	s_addc_u32 s22, 0, s22
	s_add_u32 s9, s23, s9
	s_addc_u32 s9, s22, s53
	s_addc_u32 s22, s26, 0
	s_add_u32 s8, s9, s8
	s_addc_u32 s9, 0, s22
	s_mul_hi_u32 s22, s51, s8
	s_mul_i32 s8, s51, s8
	s_mul_i32 s9, s51, s9
	v_sub_co_u32 v2, s8, s76, s8
	s_add_i32 s22, s22, s9
	s_cmp_lg_u32 s8, 0
	s_delay_alu instid0(VALU_DEP_1) | instskip(SKIP_3) | instid1(VALU_DEP_2)
	v_sub_co_u32 v4, s8, v2, s51
	s_subb_u32 s9, s27, s22
	s_cmp_lg_u32 s8, 0
	v_cmp_le_u32_e32 vcc_lo, s51, v2
	v_cmp_le_u32_e64 s8, s51, v4
	v_sub_co_u32 v5, s22, v4, s51
	s_subb_u32 s23, s9, 0
	s_cmp_lg_u32 s22, 0
	s_delay_alu instid0(VALU_DEP_2)
	v_cndmask_b32_e64 v8, 0, -1, s8
	s_subb_u32 s22, s23, 0
	s_cmp_eq_u32 s23, 0
	v_cndmask_b32_e64 v9, 0, -1, vcc_lo
	s_cselect_b32 vcc_lo, -1, 0
	s_cmp_eq_u32 s9, 0
	v_cndmask_b32_e32 v8, -1, v8, vcc_lo
	s_cselect_b32 vcc_lo, -1, 0
	v_dual_mov_b32 v10, s22 :: v_dual_cndmask_b32 v9, -1, v9
	s_delay_alu instid0(VALU_DEP_2) | instskip(NEXT) | instid1(VALU_DEP_2)
	v_cmp_ne_u32_e32 vcc_lo, 0, v8
	v_cmp_ne_u32_e64 s8, 0, v9
	s_delay_alu instid0(VALU_DEP_3) | instskip(SKIP_1) | instid1(VALU_DEP_2)
	v_cndmask_b32_e32 v8, s23, v10, vcc_lo
	v_cndmask_b32_e32 v4, v4, v5, vcc_lo
	v_cndmask_b32_e64 v5, s9, v8, s8
	s_delay_alu instid0(VALU_DEP_2)
	v_cndmask_b32_e64 v4, v2, v4, s8
	s_mov_b32 s8, 0
	s_branch .LBB183_250
.LBB183_249:                            ;   in Loop: Header=BB183_12 Depth=1
	s_mov_b32 s8, -1
                                        ; implicit-def: $vgpr4_vgpr5
.LBB183_250:                            ;   in Loop: Header=BB183_12 Depth=1
	s_delay_alu instid0(SALU_CYCLE_1)
	s_and_not1_b32 vcc_lo, exec_lo, s8
	s_cbranch_vccnz .LBB183_252
; %bb.251:                              ;   in Loop: Header=BB183_12 Depth=1
	v_cvt_f32_u32_e32 v2, s51
	s_sub_i32 s8, 0, s51
	s_delay_alu instid0(VALU_DEP_1) | instskip(SKIP_2) | instid1(VALU_DEP_1)
	v_rcp_iflag_f32_e32 v2, v2
	s_waitcnt_depctr 0xfff
	v_mul_f32_e32 v2, 0x4f7ffffe, v2
	v_cvt_u32_f32_e32 v2, v2
	s_delay_alu instid0(VALU_DEP_1) | instskip(NEXT) | instid1(VALU_DEP_1)
	v_mul_lo_u32 v4, s8, v2
	v_mul_hi_u32 v4, v2, v4
	s_delay_alu instid0(VALU_DEP_1) | instskip(NEXT) | instid1(VALU_DEP_1)
	v_add_nc_u32_e32 v2, v2, v4
	v_mul_hi_u32 v2, s76, v2
	s_delay_alu instid0(VALU_DEP_1) | instskip(NEXT) | instid1(VALU_DEP_1)
	v_mul_lo_u32 v2, v2, s51
	v_sub_nc_u32_e32 v2, s76, v2
	s_delay_alu instid0(VALU_DEP_1) | instskip(SKIP_1) | instid1(VALU_DEP_2)
	v_subrev_nc_u32_e32 v4, s51, v2
	v_cmp_le_u32_e32 vcc_lo, s51, v2
	v_cndmask_b32_e32 v2, v2, v4, vcc_lo
	s_delay_alu instid0(VALU_DEP_1) | instskip(SKIP_1) | instid1(VALU_DEP_2)
	v_subrev_nc_u32_e32 v4, s51, v2
	v_cmp_le_u32_e32 vcc_lo, s51, v2
	v_cndmask_b32_e32 v18, v2, v4, vcc_lo
	s_delay_alu instid0(VALU_DEP_1)
	v_dual_mov_b32 v4, v18 :: v_dual_mov_b32 v5, v19
.LBB183_252:                            ;   in Loop: Header=BB183_12 Depth=1
	s_delay_alu instid0(VALU_DEP_1) | instskip(NEXT) | instid1(VALU_DEP_2)
	v_sub_co_u32 v30, vcc_lo, s76, v4
	v_sub_co_ci_u32_e32 v31, vcc_lo, s27, v5, vcc_lo
	s_mov_b32 s26, 0
	s_mov_b32 s9, exec_lo
                                        ; implicit-def: $vgpr10_vgpr11
	s_delay_alu instid0(VALU_DEP_1)
	v_cmpx_gt_u64_e64 v[30:31], v[0:1]
	s_cbranch_execz .LBB183_261
; %bb.253:                              ;   in Loop: Header=BB183_12 Depth=1
	v_dual_mov_b32 v33, v1 :: v_dual_mov_b32 v32, v0
	s_mov_b32 s23, 0
                                        ; implicit-def: $sgpr22
	s_branch .LBB183_255
.LBB183_254:                            ;   in Loop: Header=BB183_255 Depth=2
	s_or_b32 exec_lo, exec_lo, s8
	s_waitcnt vmcnt(0) lgkmcnt(0)
	s_barrier
	buffer_gl0_inv
	ds_load_b128 v[8:11], v19 offset:3072
	v_add_co_u32 v32, s8, v32, s51
	s_delay_alu instid0(VALU_DEP_1)
	v_add_co_ci_u32_e64 v33, s8, 0, v33, s8
	s_waitcnt lgkmcnt(0)
	s_barrier
	buffer_gl0_inv
	v_cmp_ge_u64_e64 s8, v[32:33], v[30:31]
	v_cmp_neq_f64_e32 vcc_lo, 0, v[8:9]
	s_delay_alu instid0(VALU_DEP_2) | instskip(NEXT) | instid1(SALU_CYCLE_1)
	s_or_b32 s8, s8, vcc_lo
	s_and_b32 s8, exec_lo, s8
	s_delay_alu instid0(SALU_CYCLE_1) | instskip(SKIP_2) | instid1(SALU_CYCLE_1)
	s_or_b32 s23, s8, s23
	s_and_not1_b32 s8, s22, exec_lo
	s_and_b32 s22, vcc_lo, exec_lo
	s_or_b32 s22, s8, s22
	s_and_not1_b32 exec_lo, exec_lo, s23
	s_cbranch_execz .LBB183_260
.LBB183_255:                            ;   Parent Loop BB183_12 Depth=1
                                        ; =>  This Inner Loop Header: Depth=2
	s_delay_alu instid0(VALU_DEP_1)
	v_cmp_gt_u64_e32 vcc_lo, s[36:37], v[32:33]
	v_mov_b32_e32 v4, 0
	v_mov_b32_e32 v5, 0
	s_and_saveexec_b32 s26, vcc_lo
	s_cbranch_execz .LBB183_257
; %bb.256:                              ;   in Loop: Header=BB183_255 Depth=2
	v_mul_lo_u32 v2, v33, s30
	v_mul_lo_u32 v8, v32, s31
	v_mad_u64_u32 v[4:5], null, v32, s30, 0
	s_delay_alu instid0(VALU_DEP_1) | instskip(NEXT) | instid1(VALU_DEP_1)
	v_add3_u32 v5, v5, v8, v2
	v_lshlrev_b64 v[4:5], 3, v[4:5]
	s_delay_alu instid0(VALU_DEP_1) | instskip(NEXT) | instid1(VALU_DEP_1)
	v_add_co_u32 v4, s8, s33, v4
	v_add_co_ci_u32_e64 v5, s8, s35, v5, s8
	global_load_b64 v[4:5], v[4:5], off
.LBB183_257:                            ;   in Loop: Header=BB183_255 Depth=2
	s_or_b32 exec_lo, exec_lo, s26
	s_and_saveexec_b32 s8, vcc_lo
	s_cbranch_execz .LBB183_254
; %bb.258:                              ;   in Loop: Header=BB183_255 Depth=2
	s_waitcnt vmcnt(0)
	v_cmp_o_f64_e32 vcc_lo, v[4:5], v[4:5]
	v_ashrrev_i32_e32 v2, 31, v5
	s_delay_alu instid0(VALU_DEP_1) | instskip(SKIP_1) | instid1(VALU_DEP_2)
	v_or_b32_e32 v8, 0x80000000, v2
	v_xor_b32_e32 v2, v2, v4
	v_xor_b32_e32 v8, v8, v5
	s_delay_alu instid0(VALU_DEP_1) | instskip(NEXT) | instid1(VALU_DEP_1)
	v_cndmask_b32_e32 v8, -1, v8, vcc_lo
	v_dual_cndmask_b32 v2, -1, v2 :: v_dual_and_b32 v9, v8, v15
	s_delay_alu instid0(VALU_DEP_1) | instskip(NEXT) | instid1(VALU_DEP_1)
	v_and_b32_e32 v8, v2, v14
	v_cmp_eq_u64_e32 vcc_lo, v[8:9], v[12:13]
	s_and_b32 exec_lo, exec_lo, vcc_lo
	s_cbranch_execz .LBB183_254
; %bb.259:                              ;   in Loop: Header=BB183_255 Depth=2
	v_mov_b32_e32 v2, v19
	ds_store_b128 v19, v[2:5] offset:3072
	s_branch .LBB183_254
.LBB183_260:                            ;   in Loop: Header=BB183_12 Depth=1
	s_or_b32 exec_lo, exec_lo, s23
	s_delay_alu instid0(SALU_CYCLE_1)
	s_and_b32 s26, s22, exec_lo
.LBB183_261:                            ;   in Loop: Header=BB183_12 Depth=1
	s_or_b32 exec_lo, exec_lo, s9
	s_mov_b32 s22, -1
	s_mov_b32 s8, 0
	s_mov_b32 s9, 0
.LBB183_262:                            ;   in Loop: Header=BB183_12 Depth=1
	s_or_not1_b32 s26, s26, exec_lo
.LBB183_263:                            ;   in Loop: Header=BB183_12 Depth=1
	s_or_b32 exec_lo, exec_lo, s101
	s_mov_b32 s101, 0
                                        ; implicit-def: $vgpr2
                                        ; implicit-def: $vgpr4_vgpr5
	s_and_saveexec_b32 s23, s26
	s_cbranch_execz .LBB183_275
; %bb.264:                              ;   in Loop: Header=BB183_12 Depth=1
	v_mov_b32_e32 v4, 1
	v_dual_mov_b32 v5, 0 :: v_dual_mov_b32 v2, 1
	s_xor_b32 s52, s100, -1
	s_delay_alu instid0(SALU_CYCLE_1)
	s_and_saveexec_b32 s26, s52
	s_cbranch_execz .LBB183_274
; %bb.265:                              ;   in Loop: Header=BB183_12 Depth=1
                                        ; implicit-def: $sgpr101
	s_mov_b32 s52, exec_lo
	v_cmpx_ge_u64_e64 s[20:21], v[28:29]
	s_xor_b32 s100, exec_lo, s52
	s_cbranch_execz .LBB183_271
; %bb.266:                              ;   in Loop: Header=BB183_12 Depth=1
	ds_load_b64 v[4:5], v19 offset:5120
	s_waitcnt lgkmcnt(0)
	v_cmp_ne_u64_e32 vcc_lo, 0, v[4:5]
	s_cbranch_vccnz .LBB183_270
; %bb.267:                              ;   in Loop: Header=BB183_12 Depth=1
	s_and_saveexec_b32 s101, s5
	s_cbranch_execz .LBB183_269
; %bb.268:                              ;   in Loop: Header=BB183_12 Depth=1
	v_dual_mov_b32 v4, s20 :: v_dual_mov_b32 v5, s21
	ds_store_b64 v19, v[4:5] offset:5128
.LBB183_269:                            ;   in Loop: Header=BB183_12 Depth=1
	s_or_b32 exec_lo, exec_lo, s101
	s_waitcnt lgkmcnt(0)
	s_barrier
	buffer_gl0_inv
.LBB183_270:                            ;   in Loop: Header=BB183_12 Depth=1
	v_or_b32_e32 v13, s13, v13
	v_or_b32_e32 v12, s12, v12
	;; [unrolled: 1-line block ×4, first 2 shown]
	s_mov_b32 s101, 8
.LBB183_271:                            ;   in Loop: Header=BB183_12 Depth=1
	s_or_saveexec_b32 s100, s100
	v_mov_b32_e32 v2, s101
	s_xor_b32 exec_lo, exec_lo, s100
; %bb.272:                              ;   in Loop: Header=BB183_12 Depth=1
	v_sub_co_u32 v28, vcc_lo, v28, s20
	v_subrev_co_ci_u32_e32 v29, vcc_lo, s21, v29, vcc_lo
	v_mov_b32_e32 v2, 8
; %bb.273:                              ;   in Loop: Header=BB183_12 Depth=1
	s_or_b32 exec_lo, exec_lo, s100
	s_delay_alu instid0(VALU_DEP_2)
	v_dual_mov_b32 v4, v28 :: v_dual_mov_b32 v5, v29
.LBB183_274:                            ;   in Loop: Header=BB183_12 Depth=1
	s_or_b32 exec_lo, exec_lo, s26
	s_delay_alu instid0(SALU_CYCLE_1)
	s_mov_b32 s101, exec_lo
.LBB183_275:                            ;   in Loop: Header=BB183_12 Depth=1
	s_or_b32 exec_lo, exec_lo, s23
	s_delay_alu instid0(VALU_DEP_1)
	v_dual_mov_b32 v29, v5 :: v_dual_mov_b32 v28, v4
	s_or_not1_b32 s23, s101, exec_lo
.LBB183_276:                            ;   in Loop: Header=BB183_12 Depth=1
	s_or_b32 exec_lo, exec_lo, s99
	s_delay_alu instid0(SALU_CYCLE_1)
	s_and_not1_b32 s26, s71, exec_lo
	s_and_b32 s8, s8, exec_lo
	v_dual_mov_b32 v31, v29 :: v_dual_mov_b32 v30, v28
	s_or_b32 s71, s26, s8
	s_and_not1_b32 s8, s97, exec_lo
	s_and_b32 s22, s22, exec_lo
	s_and_not1_b32 s26, s96, exec_lo
	s_and_b32 s9, s9, exec_lo
	s_or_b32 s97, s8, s22
	s_or_b32 s96, s26, s9
	s_and_b32 s26, s23, exec_lo
.LBB183_277:                            ;   in Loop: Header=BB183_12 Depth=1
	s_or_b32 exec_lo, exec_lo, s98
	s_delay_alu instid0(SALU_CYCLE_1)
	s_and_b32 s23, s71, exec_lo
	s_and_b32 s22, s97, exec_lo
	;; [unrolled: 1-line block ×3, first 2 shown]
	s_or_not1_b32 s8, s26, exec_lo
.LBB183_278:                            ;   in Loop: Header=BB183_12 Depth=1
	s_or_b32 exec_lo, exec_lo, s70
	s_delay_alu instid0(SALU_CYCLE_1)
	s_and_not1_b32 s26, s62, exec_lo
	s_and_b32 s23, s23, exec_lo
	v_dual_mov_b32 v28, v30 :: v_dual_mov_b32 v29, v31
	s_or_b32 s62, s26, s23
	s_and_not1_b32 s23, s68, exec_lo
	s_and_b32 s22, s22, exec_lo
	s_and_not1_b32 s26, s67, exec_lo
	s_and_b32 s9, s9, exec_lo
	s_or_b32 s68, s23, s22
	s_or_b32 s67, s26, s9
	s_and_b32 s26, s8, exec_lo
.LBB183_279:                            ;   in Loop: Header=BB183_12 Depth=1
	s_or_b32 exec_lo, exec_lo, s69
	s_delay_alu instid0(SALU_CYCLE_1)
	s_and_b32 s23, s62, exec_lo
	s_and_b32 s22, s68, exec_lo
	s_and_b32 s9, s67, exec_lo
	s_or_not1_b32 s62, s26, exec_lo
.LBB183_280:                            ;   in Loop: Header=BB183_12 Depth=1
	s_or_b32 exec_lo, exec_lo, s58
	s_mov_b32 s8, 0
	s_mov_b32 s26, 0
	s_and_saveexec_b32 s58, s62
	s_delay_alu instid0(SALU_CYCLE_1)
	s_xor_b32 s58, exec_lo, s58
; %bb.281:                              ;   in Loop: Header=BB183_12 Depth=1
	v_cmp_ne_u32_e32 vcc_lo, 8, v2
	v_cmp_eq_u32_e64 s8, 8, v2
	s_and_not1_b32 s23, s23, exec_lo
	s_and_not1_b32 s22, s22, exec_lo
	;; [unrolled: 1-line block ×3, first 2 shown]
	s_and_b32 s26, vcc_lo, exec_lo
	s_and_b32 s8, s8, exec_lo
; %bb.282:                              ;   in Loop: Header=BB183_12 Depth=1
	s_or_b32 exec_lo, exec_lo, s58
	s_delay_alu instid0(SALU_CYCLE_1)
	s_and_not1_b32 s25, s25, exec_lo
	s_and_b32 s23, s23, exec_lo
	s_and_b32 s22, s22, exec_lo
	s_or_b32 s25, s25, s23
	s_and_not1_b32 s23, s64, exec_lo
	s_and_not1_b32 s58, s63, exec_lo
	s_and_b32 s9, s9, exec_lo
	s_or_b32 s64, s23, s22
	s_or_b32 s63, s58, s9
	s_and_b32 s58, s26, exec_lo
	s_and_b32 s62, s8, exec_lo
.LBB183_283:                            ;   in Loop: Header=BB183_12 Depth=1
	s_or_b32 exec_lo, exec_lo, s66
	s_delay_alu instid0(SALU_CYCLE_1)
	s_and_b32 vcc_lo, exec_lo, s65
	s_cbranch_vccz .LBB183_102
.LBB183_284:                            ;   in Loop: Header=BB183_12 Depth=1
	s_delay_alu instid0(VALU_DEP_1) | instskip(SKIP_1) | instid1(SALU_CYCLE_1)
	s_cmp_eq_u64 s[20:21], 1
                                        ; implicit-def: $sgpr22
                                        ; implicit-def: $sgpr23
                                        ; implicit-def: $sgpr25
	s_cselect_b32 s8, -1, 0
	s_and_b32 s64, s8, s7
	s_mov_b32 s7, -1
	s_and_saveexec_b32 s63, s64
	s_cbranch_execz .LBB183_316
; %bb.285:                              ;   in Loop: Header=BB183_12 Depth=1
	ds_load_b64 v[4:5], v19 offset:5120
	s_waitcnt lgkmcnt(0)
	s_barrier
	buffer_gl0_inv
	v_readfirstlane_b32 s8, v4
	v_readfirstlane_b32 s9, v5
	s_and_saveexec_b32 s7, s6
	s_cbranch_execz .LBB183_287
; %bb.286:                              ;   in Loop: Header=BB183_12 Depth=1
	v_mov_b32_e32 v18, v19
	ds_store_b64 v38, v[18:19]
.LBB183_287:                            ;   in Loop: Header=BB183_12 Depth=1
	s_or_b32 exec_lo, exec_lo, s7
	v_or_b32_e32 v25, s13, v25
	v_or_b32_e32 v24, s12, v24
	;; [unrolled: 1-line block ×4, first 2 shown]
	s_cmp_eq_u64 s[8:9], 0
	s_waitcnt lgkmcnt(0)
	s_barrier
	buffer_gl0_inv
	s_cbranch_scc1 .LBB183_299
; %bb.288:                              ;   in Loop: Header=BB183_12 Depth=1
	s_add_u32 s25, s74, s8
	s_addc_u32 s23, s75, s9
	s_mov_b32 s22, s59
	s_delay_alu instid0(SALU_CYCLE_1)
	s_cmp_lg_u64 s[22:23], 0
	s_cbranch_scc0 .LBB183_343
; %bb.289:                              ;   in Loop: Header=BB183_12 Depth=1
	v_cvt_f32_u32_e32 v2, s51
	s_sub_u32 s26, 0, s51
	s_subb_u32 s65, 0, 0
	s_delay_alu instid0(VALU_DEP_1) | instskip(NEXT) | instid1(VALU_DEP_1)
	v_fmac_f32_e64 v2, 0, 0x4f800000
	v_rcp_f32_e32 v2, v2
	s_waitcnt_depctr 0xfff
	v_mul_f32_e32 v2, 0x5f7ffffc, v2
	s_delay_alu instid0(VALU_DEP_1) | instskip(NEXT) | instid1(VALU_DEP_1)
	v_mul_f32_e32 v4, 0x2f800000, v2
	v_trunc_f32_e32 v4, v4
	s_delay_alu instid0(VALU_DEP_1) | instskip(SKIP_1) | instid1(VALU_DEP_2)
	v_fmac_f32_e32 v2, 0xcf800000, v4
	v_cvt_u32_f32_e32 v4, v4
	v_cvt_u32_f32_e32 v2, v2
	s_delay_alu instid0(VALU_DEP_2) | instskip(NEXT) | instid1(VALU_DEP_2)
	v_readfirstlane_b32 s7, v4
	v_readfirstlane_b32 s22, v2
	s_delay_alu instid0(VALU_DEP_2) | instskip(NEXT) | instid1(VALU_DEP_1)
	s_mul_i32 s66, s26, s7
	s_mul_hi_u32 s68, s26, s22
	s_mul_i32 s67, s65, s22
	s_add_i32 s66, s68, s66
	s_mul_i32 s69, s26, s22
	s_add_i32 s66, s66, s67
	s_mul_hi_u32 s68, s22, s69
	s_mul_hi_u32 s70, s7, s69
	s_mul_i32 s67, s7, s69
	s_mul_hi_u32 s69, s22, s66
	s_mul_i32 s22, s22, s66
	s_mul_hi_u32 s71, s7, s66
	s_add_u32 s22, s68, s22
	s_addc_u32 s68, 0, s69
	s_add_u32 s22, s22, s67
	s_mul_i32 s66, s7, s66
	s_addc_u32 s22, s68, s70
	s_addc_u32 s67, s71, 0
	s_add_u32 s22, s22, s66
	s_addc_u32 s66, 0, s67
	v_add_co_u32 v2, s22, v2, s22
	s_delay_alu instid0(VALU_DEP_1) | instskip(SKIP_1) | instid1(VALU_DEP_1)
	s_cmp_lg_u32 s22, 0
	s_addc_u32 s7, s7, s66
	v_readfirstlane_b32 s22, v2
	s_mul_i32 s66, s26, s7
	s_delay_alu instid0(VALU_DEP_1)
	s_mul_hi_u32 s67, s26, s22
	s_mul_i32 s65, s65, s22
	s_add_i32 s66, s67, s66
	s_mul_i32 s26, s26, s22
	s_add_i32 s66, s66, s65
	s_mul_hi_u32 s67, s7, s26
	s_mul_i32 s68, s7, s26
	s_mul_hi_u32 s26, s22, s26
	s_mul_hi_u32 s69, s22, s66
	s_mul_i32 s22, s22, s66
	s_mul_hi_u32 s65, s7, s66
	s_add_u32 s22, s26, s22
	s_addc_u32 s26, 0, s69
	s_add_u32 s22, s22, s68
	s_mul_i32 s66, s7, s66
	s_addc_u32 s22, s26, s67
	s_addc_u32 s26, s65, 0
	s_add_u32 s22, s22, s66
	s_addc_u32 s26, 0, s26
	v_add_co_u32 v2, s22, v2, s22
	s_delay_alu instid0(VALU_DEP_1) | instskip(SKIP_1) | instid1(VALU_DEP_1)
	s_cmp_lg_u32 s22, 0
	s_addc_u32 s7, s7, s26
	v_readfirstlane_b32 s22, v2
	s_mul_i32 s65, s25, s7
	s_mul_hi_u32 s26, s25, s7
	s_mul_hi_u32 s66, s23, s7
	s_mul_i32 s7, s23, s7
	s_mul_hi_u32 s67, s25, s22
	s_mul_hi_u32 s68, s23, s22
	s_mul_i32 s22, s23, s22
	s_add_u32 s65, s67, s65
	s_addc_u32 s26, 0, s26
	s_add_u32 s22, s65, s22
	s_addc_u32 s22, s26, s68
	s_addc_u32 s26, s66, 0
	s_add_u32 s7, s22, s7
	s_addc_u32 s22, 0, s26
	s_mul_hi_u32 s26, s51, s7
	s_mul_i32 s7, s51, s7
	s_mul_i32 s22, s51, s22
	v_sub_co_u32 v2, s7, s25, s7
	s_add_i32 s26, s26, s22
	s_cmp_lg_u32 s7, 0
	s_delay_alu instid0(VALU_DEP_1) | instskip(SKIP_2) | instid1(VALU_DEP_1)
	v_sub_co_u32 v4, s7, v2, s51
	s_subb_u32 s22, s23, s26
	s_cmp_lg_u32 s7, 0
	v_cmp_le_u32_e32 vcc_lo, s51, v4
	v_sub_co_u32 v5, s7, v4, s51
	s_subb_u32 s26, s22, 0
	s_cmp_lg_u32 s7, 0
	v_cndmask_b32_e64 v6, 0, -1, vcc_lo
	s_subb_u32 s7, s26, 0
	s_cmp_eq_u32 s26, 0
	v_mov_b32_e32 v8, s7
	s_cselect_b32 vcc_lo, -1, 0
	s_cmp_eq_u32 s22, 0
	v_cndmask_b32_e32 v6, -1, v6, vcc_lo
	v_cmp_le_u32_e32 vcc_lo, s51, v2
	s_cselect_b32 s7, -1, 0
	v_cndmask_b32_e64 v7, 0, -1, vcc_lo
	s_delay_alu instid0(VALU_DEP_3) | instskip(NEXT) | instid1(VALU_DEP_2)
	v_cmp_ne_u32_e32 vcc_lo, 0, v6
	v_cndmask_b32_e64 v6, -1, v7, s7
	v_cndmask_b32_e32 v7, s26, v8, vcc_lo
	v_cndmask_b32_e32 v4, v4, v5, vcc_lo
	s_delay_alu instid0(VALU_DEP_3) | instskip(NEXT) | instid1(VALU_DEP_3)
	v_cmp_ne_u32_e32 vcc_lo, 0, v6
	v_cndmask_b32_e32 v5, s22, v7, vcc_lo
	s_delay_alu instid0(VALU_DEP_3)
	v_cndmask_b32_e32 v4, v2, v4, vcc_lo
	s_cbranch_execnz .LBB183_291
.LBB183_290:                            ;   in Loop: Header=BB183_12 Depth=1
	v_cvt_f32_u32_e32 v2, s51
	s_sub_i32 s7, 0, s51
	s_delay_alu instid0(VALU_DEP_1) | instskip(SKIP_2) | instid1(VALU_DEP_1)
	v_rcp_iflag_f32_e32 v2, v2
	s_waitcnt_depctr 0xfff
	v_mul_f32_e32 v2, 0x4f7ffffe, v2
	v_cvt_u32_f32_e32 v2, v2
	s_delay_alu instid0(VALU_DEP_1) | instskip(NEXT) | instid1(VALU_DEP_1)
	v_mul_lo_u32 v4, s7, v2
	v_mul_hi_u32 v4, v2, v4
	s_delay_alu instid0(VALU_DEP_1) | instskip(NEXT) | instid1(VALU_DEP_1)
	v_add_nc_u32_e32 v2, v2, v4
	v_mul_hi_u32 v2, s25, v2
	s_delay_alu instid0(VALU_DEP_1) | instskip(NEXT) | instid1(VALU_DEP_1)
	v_mul_lo_u32 v2, v2, s51
	v_sub_nc_u32_e32 v2, s25, v2
	s_delay_alu instid0(VALU_DEP_1) | instskip(SKIP_1) | instid1(VALU_DEP_2)
	v_subrev_nc_u32_e32 v4, s51, v2
	v_cmp_le_u32_e32 vcc_lo, s51, v2
	v_cndmask_b32_e32 v2, v2, v4, vcc_lo
	s_delay_alu instid0(VALU_DEP_1) | instskip(SKIP_1) | instid1(VALU_DEP_2)
	v_subrev_nc_u32_e32 v4, s51, v2
	v_cmp_le_u32_e32 vcc_lo, s51, v2
	v_cndmask_b32_e32 v18, v2, v4, vcc_lo
	s_delay_alu instid0(VALU_DEP_1)
	v_dual_mov_b32 v4, v18 :: v_dual_mov_b32 v5, v19
.LBB183_291:                            ;   in Loop: Header=BB183_12 Depth=1
	s_delay_alu instid0(VALU_DEP_1) | instskip(NEXT) | instid1(VALU_DEP_2)
	v_sub_co_u32 v8, vcc_lo, s25, v4
	v_sub_co_ci_u32_e32 v9, vcc_lo, s23, v5, vcc_lo
	s_mov_b32 s7, 0
	s_mov_b32 s22, exec_lo
                                        ; implicit-def: $vgpr6_vgpr7
	s_delay_alu instid0(VALU_DEP_1)
	v_cmpx_gt_u64_e64 v[8:9], v[0:1]
	s_cbranch_execz .LBB183_301
; %bb.292:                              ;   in Loop: Header=BB183_12 Depth=1
	v_mov_b32_e32 v12, v37
	v_dual_mov_b32 v11, v1 :: v_dual_mov_b32 v10, v0
	s_mov_b32 s25, 0
                                        ; implicit-def: $sgpr23
	s_set_inst_prefetch_distance 0x1
	s_branch .LBB183_294
	.p2align	6
.LBB183_293:                            ;   in Loop: Header=BB183_294 Depth=2
	s_or_b32 exec_lo, exec_lo, s7
	s_waitcnt lgkmcnt(0)
	s_barrier
	buffer_gl0_inv
	ds_load_b128 v[4:7], v19 offset:3072
	v_add_co_u32 v10, s7, v10, s51
	s_delay_alu instid0(VALU_DEP_1) | instskip(SKIP_3) | instid1(VALU_DEP_2)
	v_add_co_ci_u32_e64 v11, s7, 0, v11, s7
	v_add_nc_u32_e32 v12, s82, v12
	s_waitcnt lgkmcnt(0)
	s_barrier
	v_cmp_ge_u64_e64 s7, v[10:11], v[8:9]
	buffer_gl0_inv
	v_cmp_neq_f64_e32 vcc_lo, 0, v[4:5]
	s_or_b32 s7, s7, vcc_lo
	s_delay_alu instid0(SALU_CYCLE_1) | instskip(NEXT) | instid1(SALU_CYCLE_1)
	s_and_b32 s7, exec_lo, s7
	s_or_b32 s25, s7, s25
	s_and_not1_b32 s7, s23, exec_lo
	s_and_b32 s23, vcc_lo, exec_lo
	s_delay_alu instid0(SALU_CYCLE_1)
	s_or_b32 s23, s7, s23
	s_and_not1_b32 exec_lo, exec_lo, s25
	s_cbranch_execz .LBB183_300
.LBB183_294:                            ;   Parent Loop BB183_12 Depth=1
                                        ; =>  This Inner Loop Header: Depth=2
	s_delay_alu instid0(VALU_DEP_1)
	v_cmp_gt_u64_e32 vcc_lo, s[8:9], v[10:11]
	v_mov_b32_e32 v4, 0
	v_mov_b32_e32 v5, 0
	s_and_saveexec_b32 s7, vcc_lo
	s_cbranch_execz .LBB183_296
; %bb.295:                              ;   in Loop: Header=BB183_294 Depth=2
	ds_load_b64 v[4:5], v12
.LBB183_296:                            ;   in Loop: Header=BB183_294 Depth=2
	s_or_b32 exec_lo, exec_lo, s7
	s_and_saveexec_b32 s7, vcc_lo
	s_cbranch_execz .LBB183_293
; %bb.297:                              ;   in Loop: Header=BB183_294 Depth=2
	s_waitcnt lgkmcnt(0)
	v_cmp_o_f64_e32 vcc_lo, v[4:5], v[4:5]
	v_ashrrev_i32_e32 v2, 31, v5
	s_delay_alu instid0(VALU_DEP_1) | instskip(SKIP_1) | instid1(VALU_DEP_2)
	v_or_b32_e32 v6, 0x80000000, v2
	v_xor_b32_e32 v2, v2, v4
	v_xor_b32_e32 v6, v6, v5
	s_delay_alu instid0(VALU_DEP_1) | instskip(NEXT) | instid1(VALU_DEP_1)
	v_cndmask_b32_e32 v6, -1, v6, vcc_lo
	v_dual_cndmask_b32 v2, -1, v2 :: v_dual_and_b32 v7, v6, v23
	s_delay_alu instid0(VALU_DEP_1) | instskip(NEXT) | instid1(VALU_DEP_1)
	v_and_b32_e32 v6, v2, v22
	v_cmp_eq_u64_e32 vcc_lo, v[6:7], v[24:25]
	s_and_b32 exec_lo, exec_lo, vcc_lo
	s_cbranch_execz .LBB183_293
; %bb.298:                              ;   in Loop: Header=BB183_294 Depth=2
	v_mov_b32_e32 v2, v19
	ds_store_b128 v19, v[2:5] offset:3072
	s_branch .LBB183_293
.LBB183_299:                            ;   in Loop: Header=BB183_12 Depth=1
	s_mov_b32 s22, -1
	s_mov_b32 s7, 0
                                        ; implicit-def: $sgpr23
                                        ; implicit-def: $vgpr6_vgpr7
	s_mov_b32 s25, s22
	s_cbranch_execnz .LBB183_302
	s_branch .LBB183_315
.LBB183_300:                            ;   in Loop: Header=BB183_12 Depth=1
	s_set_inst_prefetch_distance 0x2
	s_or_b32 exec_lo, exec_lo, s25
	s_delay_alu instid0(SALU_CYCLE_1)
	s_and_b32 s7, s23, exec_lo
.LBB183_301:                            ;   in Loop: Header=BB183_12 Depth=1
	s_or_b32 exec_lo, exec_lo, s22
	s_mov_b32 s22, 0
	s_mov_b32 s23, -1
	s_mov_b32 s25, s22
	s_branch .LBB183_315
.LBB183_302:                            ;   in Loop: Header=BB183_12 Depth=1
	s_mov_b32 s26, s59
	s_delay_alu instid0(SALU_CYCLE_1)
	s_cmp_lg_u64 s[26:27], 0
	s_cbranch_scc0 .LBB183_344
; %bb.303:                              ;   in Loop: Header=BB183_12 Depth=1
	v_cvt_f32_u32_e32 v2, s51
	s_sub_u32 s9, 0, s51
	s_subb_u32 s22, 0, 0
	s_delay_alu instid0(VALU_DEP_1) | instskip(NEXT) | instid1(VALU_DEP_1)
	v_fmac_f32_e64 v2, 0, 0x4f800000
	v_rcp_f32_e32 v2, v2
	s_waitcnt_depctr 0xfff
	v_mul_f32_e32 v2, 0x5f7ffffc, v2
	s_delay_alu instid0(VALU_DEP_1) | instskip(NEXT) | instid1(VALU_DEP_1)
	v_mul_f32_e32 v4, 0x2f800000, v2
	v_trunc_f32_e32 v4, v4
	s_delay_alu instid0(VALU_DEP_1) | instskip(SKIP_1) | instid1(VALU_DEP_2)
	v_fmac_f32_e32 v2, 0xcf800000, v4
	v_cvt_u32_f32_e32 v4, v4
	v_cvt_u32_f32_e32 v2, v2
	s_delay_alu instid0(VALU_DEP_2) | instskip(NEXT) | instid1(VALU_DEP_2)
	v_readfirstlane_b32 s7, v4
	v_readfirstlane_b32 s8, v2
	s_delay_alu instid0(VALU_DEP_2) | instskip(NEXT) | instid1(VALU_DEP_1)
	s_mul_i32 s23, s9, s7
	s_mul_hi_u32 s26, s9, s8
	s_mul_i32 s25, s22, s8
	s_add_i32 s23, s26, s23
	s_mul_i32 s65, s9, s8
	s_add_i32 s23, s23, s25
	s_mul_hi_u32 s26, s8, s65
	s_mul_hi_u32 s66, s7, s65
	s_mul_i32 s25, s7, s65
	s_mul_hi_u32 s65, s8, s23
	s_mul_i32 s8, s8, s23
	s_mul_hi_u32 s67, s7, s23
	s_add_u32 s8, s26, s8
	s_addc_u32 s26, 0, s65
	s_add_u32 s8, s8, s25
	s_mul_i32 s23, s7, s23
	s_addc_u32 s8, s26, s66
	s_addc_u32 s25, s67, 0
	s_add_u32 s8, s8, s23
	s_addc_u32 s23, 0, s25
	v_add_co_u32 v2, s8, v2, s8
	s_delay_alu instid0(VALU_DEP_1) | instskip(SKIP_1) | instid1(VALU_DEP_1)
	s_cmp_lg_u32 s8, 0
	s_addc_u32 s7, s7, s23
	v_readfirstlane_b32 s8, v2
	s_mul_i32 s23, s9, s7
	s_delay_alu instid0(VALU_DEP_1)
	s_mul_hi_u32 s25, s9, s8
	s_mul_i32 s22, s22, s8
	s_add_i32 s23, s25, s23
	s_mul_i32 s9, s9, s8
	s_add_i32 s23, s23, s22
	s_mul_hi_u32 s25, s7, s9
	s_mul_i32 s26, s7, s9
	s_mul_hi_u32 s9, s8, s9
	s_mul_hi_u32 s65, s8, s23
	s_mul_i32 s8, s8, s23
	s_mul_hi_u32 s22, s7, s23
	s_add_u32 s8, s9, s8
	s_addc_u32 s9, 0, s65
	s_add_u32 s8, s8, s26
	s_mul_i32 s23, s7, s23
	s_addc_u32 s8, s9, s25
	s_addc_u32 s9, s22, 0
	s_add_u32 s8, s8, s23
	s_addc_u32 s9, 0, s9
	v_add_co_u32 v2, s8, v2, s8
	s_delay_alu instid0(VALU_DEP_1) | instskip(SKIP_1) | instid1(VALU_DEP_1)
	s_cmp_lg_u32 s8, 0
	s_addc_u32 s7, s7, s9
	v_readfirstlane_b32 s8, v2
	s_mul_i32 s22, s76, s7
	s_mul_hi_u32 s9, s76, s7
	s_mul_hi_u32 s23, s27, s7
	s_mul_i32 s7, s27, s7
	s_mul_hi_u32 s25, s76, s8
	s_mul_hi_u32 s26, s27, s8
	s_mul_i32 s8, s27, s8
	s_add_u32 s22, s25, s22
	s_addc_u32 s9, 0, s9
	s_add_u32 s8, s22, s8
	s_addc_u32 s8, s9, s26
	s_addc_u32 s9, s23, 0
	s_add_u32 s7, s8, s7
	s_addc_u32 s8, 0, s9
	s_mul_hi_u32 s9, s51, s7
	s_mul_i32 s7, s51, s7
	s_mul_i32 s8, s51, s8
	v_sub_co_u32 v2, s7, s76, s7
	s_add_i32 s9, s9, s8
	s_cmp_lg_u32 s7, 0
	s_delay_alu instid0(VALU_DEP_1) | instskip(SKIP_2) | instid1(VALU_DEP_1)
	v_sub_co_u32 v4, s7, v2, s51
	s_subb_u32 s8, s27, s9
	s_cmp_lg_u32 s7, 0
	v_cmp_le_u32_e32 vcc_lo, s51, v4
	v_sub_co_u32 v5, s7, v4, s51
	s_subb_u32 s9, s8, 0
	s_cmp_lg_u32 s7, 0
	v_cndmask_b32_e64 v6, 0, -1, vcc_lo
	s_subb_u32 s7, s9, 0
	s_cmp_eq_u32 s9, 0
	v_mov_b32_e32 v8, s7
	s_cselect_b32 vcc_lo, -1, 0
	s_cmp_eq_u32 s8, 0
	v_cndmask_b32_e32 v6, -1, v6, vcc_lo
	v_cmp_le_u32_e32 vcc_lo, s51, v2
	s_cselect_b32 s7, -1, 0
	v_cndmask_b32_e64 v7, 0, -1, vcc_lo
	s_delay_alu instid0(VALU_DEP_3) | instskip(NEXT) | instid1(VALU_DEP_2)
	v_cmp_ne_u32_e32 vcc_lo, 0, v6
	v_cndmask_b32_e64 v6, -1, v7, s7
	v_cndmask_b32_e32 v7, s9, v8, vcc_lo
	v_cndmask_b32_e32 v4, v4, v5, vcc_lo
	s_delay_alu instid0(VALU_DEP_3) | instskip(NEXT) | instid1(VALU_DEP_3)
	v_cmp_ne_u32_e32 vcc_lo, 0, v6
	v_cndmask_b32_e32 v5, s8, v7, vcc_lo
	s_delay_alu instid0(VALU_DEP_3)
	v_cndmask_b32_e32 v4, v2, v4, vcc_lo
	s_cbranch_execnz .LBB183_305
.LBB183_304:                            ;   in Loop: Header=BB183_12 Depth=1
	v_cvt_f32_u32_e32 v2, s51
	s_sub_i32 s7, 0, s51
	s_delay_alu instid0(VALU_DEP_1) | instskip(SKIP_2) | instid1(VALU_DEP_1)
	v_rcp_iflag_f32_e32 v2, v2
	s_waitcnt_depctr 0xfff
	v_mul_f32_e32 v2, 0x4f7ffffe, v2
	v_cvt_u32_f32_e32 v2, v2
	s_delay_alu instid0(VALU_DEP_1) | instskip(NEXT) | instid1(VALU_DEP_1)
	v_mul_lo_u32 v4, s7, v2
	v_mul_hi_u32 v4, v2, v4
	s_delay_alu instid0(VALU_DEP_1) | instskip(NEXT) | instid1(VALU_DEP_1)
	v_add_nc_u32_e32 v2, v2, v4
	v_mul_hi_u32 v2, s76, v2
	s_delay_alu instid0(VALU_DEP_1) | instskip(NEXT) | instid1(VALU_DEP_1)
	v_mul_lo_u32 v2, v2, s51
	v_sub_nc_u32_e32 v2, s76, v2
	s_delay_alu instid0(VALU_DEP_1) | instskip(SKIP_1) | instid1(VALU_DEP_2)
	v_subrev_nc_u32_e32 v4, s51, v2
	v_cmp_le_u32_e32 vcc_lo, s51, v2
	v_cndmask_b32_e32 v2, v2, v4, vcc_lo
	s_delay_alu instid0(VALU_DEP_1) | instskip(SKIP_1) | instid1(VALU_DEP_2)
	v_subrev_nc_u32_e32 v4, s51, v2
	v_cmp_le_u32_e32 vcc_lo, s51, v2
	v_cndmask_b32_e32 v18, v2, v4, vcc_lo
	s_delay_alu instid0(VALU_DEP_1)
	v_dual_mov_b32 v4, v18 :: v_dual_mov_b32 v5, v19
.LBB183_305:                            ;   in Loop: Header=BB183_12 Depth=1
	s_delay_alu instid0(VALU_DEP_1) | instskip(NEXT) | instid1(VALU_DEP_2)
	v_sub_co_u32 v8, vcc_lo, s76, v4
	v_sub_co_ci_u32_e32 v9, vcc_lo, s27, v5, vcc_lo
	s_mov_b32 s7, 0
	s_mov_b32 s8, exec_lo
                                        ; implicit-def: $vgpr6_vgpr7
	s_delay_alu instid0(VALU_DEP_1)
	v_cmpx_gt_u64_e64 v[8:9], v[0:1]
	s_cbranch_execz .LBB183_314
; %bb.306:                              ;   in Loop: Header=BB183_12 Depth=1
	v_dual_mov_b32 v11, v1 :: v_dual_mov_b32 v10, v0
	s_mov_b32 s22, 0
                                        ; implicit-def: $sgpr9
	s_branch .LBB183_308
.LBB183_307:                            ;   in Loop: Header=BB183_308 Depth=2
	s_or_b32 exec_lo, exec_lo, s7
	s_waitcnt vmcnt(0) lgkmcnt(0)
	s_barrier
	buffer_gl0_inv
	ds_load_b128 v[4:7], v19 offset:3072
	v_add_co_u32 v10, s7, v10, s51
	s_delay_alu instid0(VALU_DEP_1)
	v_add_co_ci_u32_e64 v11, s7, 0, v11, s7
	s_waitcnt lgkmcnt(0)
	s_barrier
	buffer_gl0_inv
	v_cmp_ge_u64_e64 s7, v[10:11], v[8:9]
	v_cmp_neq_f64_e32 vcc_lo, 0, v[4:5]
	s_delay_alu instid0(VALU_DEP_2) | instskip(NEXT) | instid1(SALU_CYCLE_1)
	s_or_b32 s7, s7, vcc_lo
	s_and_b32 s7, exec_lo, s7
	s_delay_alu instid0(SALU_CYCLE_1) | instskip(SKIP_2) | instid1(SALU_CYCLE_1)
	s_or_b32 s22, s7, s22
	s_and_not1_b32 s7, s9, exec_lo
	s_and_b32 s9, vcc_lo, exec_lo
	s_or_b32 s9, s7, s9
	s_and_not1_b32 exec_lo, exec_lo, s22
	s_cbranch_execz .LBB183_313
.LBB183_308:                            ;   Parent Loop BB183_12 Depth=1
                                        ; =>  This Inner Loop Header: Depth=2
	s_delay_alu instid0(VALU_DEP_1)
	v_cmp_gt_u64_e32 vcc_lo, s[36:37], v[10:11]
	v_mov_b32_e32 v4, 0
	v_mov_b32_e32 v5, 0
	s_and_saveexec_b32 s23, vcc_lo
	s_cbranch_execz .LBB183_310
; %bb.309:                              ;   in Loop: Header=BB183_308 Depth=2
	v_mul_lo_u32 v2, v11, s30
	v_mul_lo_u32 v6, v10, s31
	v_mad_u64_u32 v[4:5], null, v10, s30, 0
	s_delay_alu instid0(VALU_DEP_1) | instskip(NEXT) | instid1(VALU_DEP_1)
	v_add3_u32 v5, v5, v6, v2
	v_lshlrev_b64 v[4:5], 3, v[4:5]
	s_delay_alu instid0(VALU_DEP_1) | instskip(NEXT) | instid1(VALU_DEP_1)
	v_add_co_u32 v4, s7, s33, v4
	v_add_co_ci_u32_e64 v5, s7, s35, v5, s7
	global_load_b64 v[4:5], v[4:5], off
.LBB183_310:                            ;   in Loop: Header=BB183_308 Depth=2
	s_or_b32 exec_lo, exec_lo, s23
	s_and_saveexec_b32 s7, vcc_lo
	s_cbranch_execz .LBB183_307
; %bb.311:                              ;   in Loop: Header=BB183_308 Depth=2
	s_waitcnt vmcnt(0)
	v_cmp_o_f64_e32 vcc_lo, v[4:5], v[4:5]
	v_ashrrev_i32_e32 v2, 31, v5
	s_delay_alu instid0(VALU_DEP_1) | instskip(SKIP_1) | instid1(VALU_DEP_2)
	v_or_b32_e32 v6, 0x80000000, v2
	v_xor_b32_e32 v2, v2, v4
	v_xor_b32_e32 v6, v6, v5
	s_delay_alu instid0(VALU_DEP_1) | instskip(NEXT) | instid1(VALU_DEP_1)
	v_cndmask_b32_e32 v6, -1, v6, vcc_lo
	v_dual_cndmask_b32 v2, -1, v2 :: v_dual_and_b32 v7, v6, v23
	s_delay_alu instid0(VALU_DEP_1) | instskip(NEXT) | instid1(VALU_DEP_1)
	v_and_b32_e32 v6, v2, v22
	v_cmp_eq_u64_e32 vcc_lo, v[6:7], v[24:25]
	s_and_b32 exec_lo, exec_lo, vcc_lo
	s_cbranch_execz .LBB183_307
; %bb.312:                              ;   in Loop: Header=BB183_308 Depth=2
	v_mov_b32_e32 v2, v19
	ds_store_b128 v19, v[2:5] offset:3072
	s_branch .LBB183_307
.LBB183_313:                            ;   in Loop: Header=BB183_12 Depth=1
	s_or_b32 exec_lo, exec_lo, s22
	s_delay_alu instid0(SALU_CYCLE_1)
	s_and_b32 s7, s9, exec_lo
.LBB183_314:                            ;   in Loop: Header=BB183_12 Depth=1
	s_or_b32 exec_lo, exec_lo, s8
	s_mov_b32 s23, 0
	s_mov_b32 s22, -1
	s_mov_b32 s25, 0
.LBB183_315:                            ;   in Loop: Header=BB183_12 Depth=1
	s_or_not1_b32 s7, s7, exec_lo
.LBB183_316:                            ;   in Loop: Header=BB183_12 Depth=1
	s_or_b32 exec_lo, exec_lo, s63
                                        ; implicit-def: $vgpr2
                                        ; implicit-def: $vgpr28_vgpr29
                                        ; implicit-def: $vgpr12_vgpr13
                                        ; implicit-def: $vgpr14_vgpr15
                                        ; implicit-def: $vgpr10_vgpr11
	s_and_saveexec_b32 s63, s7
	s_cbranch_execz .LBB183_479
; %bb.317:                              ;   in Loop: Header=BB183_12 Depth=1
	v_mov_b32_e32 v28, 1
	v_dual_mov_b32 v29, 0 :: v_dual_mov_b32 v2, 1
	s_xor_b32 s8, s64, -1
	s_mov_b32 s26, 0
	s_and_saveexec_b32 s7, s8
	s_cbranch_execz .LBB183_327
; %bb.318:                              ;   in Loop: Header=BB183_12 Depth=1
	s_mov_b32 s9, exec_lo
                                        ; implicit-def: $sgpr26
                                        ; implicit-def: $sgpr8
	v_cmpx_ge_u64_e64 s[20:21], v[26:27]
	s_xor_b32 s9, exec_lo, s9
	s_cbranch_execz .LBB183_324
; %bb.319:                              ;   in Loop: Header=BB183_12 Depth=1
	ds_load_b64 v[4:5], v19 offset:5120
	s_waitcnt lgkmcnt(0)
	v_cmp_ne_u64_e32 vcc_lo, 0, v[4:5]
	s_cbranch_vccnz .LBB183_323
; %bb.320:                              ;   in Loop: Header=BB183_12 Depth=1
	s_and_saveexec_b32 s8, s5
	s_cbranch_execz .LBB183_322
; %bb.321:                              ;   in Loop: Header=BB183_12 Depth=1
	v_dual_mov_b32 v4, s20 :: v_dual_mov_b32 v5, s21
	ds_store_b64 v19, v[4:5] offset:5128
.LBB183_322:                            ;   in Loop: Header=BB183_12 Depth=1
	s_or_b32 exec_lo, exec_lo, s8
	s_waitcnt lgkmcnt(0)
	s_barrier
	buffer_gl0_inv
.LBB183_323:                            ;   in Loop: Header=BB183_12 Depth=1
	v_or_b32_e32 v25, s13, v25
	v_or_b32_e32 v24, s12, v24
	;; [unrolled: 1-line block ×4, first 2 shown]
	s_mov_b32 s8, 0
	s_mov_b32 s26, 5
.LBB183_324:                            ;   in Loop: Header=BB183_12 Depth=1
	s_or_saveexec_b32 s9, s9
	v_mov_b32_e32 v2, s26
	s_xor_b32 exec_lo, exec_lo, s9
; %bb.325:                              ;   in Loop: Header=BB183_12 Depth=1
	v_sub_co_u32 v26, vcc_lo, v26, s20
	v_subrev_co_ci_u32_e32 v27, vcc_lo, s21, v27, vcc_lo
	v_mov_b32_e32 v2, 0
	s_or_b32 s8, s8, exec_lo
; %bb.326:                              ;   in Loop: Header=BB183_12 Depth=1
	s_or_b32 exec_lo, exec_lo, s9
	s_delay_alu instid0(VALU_DEP_2)
	v_dual_mov_b32 v29, v27 :: v_dual_mov_b32 v28, v26
	s_and_b32 s26, s8, exec_lo
.LBB183_327:                            ;   in Loop: Header=BB183_12 Depth=1
	s_or_b32 exec_lo, exec_lo, s7
	s_mov_b32 s21, -1
                                        ; implicit-def: $sgpr8
                                        ; implicit-def: $sgpr9
                                        ; implicit-def: $sgpr20
	s_and_saveexec_b32 s7, s26
	s_delay_alu instid0(SALU_CYCLE_1)
	s_xor_b32 s64, exec_lo, s7
	s_cbranch_execz .LBB183_476
; %bb.328:                              ;   in Loop: Header=BB183_12 Depth=1
	v_cmp_eq_u64_e32 vcc_lo, 1, v[28:29]
	s_cmp_eq_u64 s[18:19], 1
                                        ; implicit-def: $sgpr20
                                        ; implicit-def: $sgpr21
                                        ; implicit-def: $sgpr65
	s_cselect_b32 s7, -1, 0
	s_delay_alu instid0(SALU_CYCLE_1)
	s_and_b32 s67, s7, vcc_lo
	s_mov_b32 s7, -1
	s_and_saveexec_b32 s66, s67
	s_cbranch_execz .LBB183_362
; %bb.329:                              ;   in Loop: Header=BB183_12 Depth=1
	ds_load_b64 v[4:5], v19 offset:5120
	s_waitcnt lgkmcnt(0)
	s_barrier
	buffer_gl0_inv
	v_readfirstlane_b32 s8, v4
	v_readfirstlane_b32 s9, v5
	s_and_saveexec_b32 s7, s6
	s_cbranch_execz .LBB183_331
; %bb.330:                              ;   in Loop: Header=BB183_12 Depth=1
	v_mov_b32_e32 v18, v19
	ds_store_b64 v38, v[18:19]
.LBB183_331:                            ;   in Loop: Header=BB183_12 Depth=1
	s_or_b32 exec_lo, exec_lo, s7
	v_and_b32_e32 v2, s15, v25
	v_and_b32_e32 v4, s14, v24
	s_lshl_b64 s[20:21], 2, s24
	v_or_b32_e32 v23, s13, v23
	v_or_b32_e32 v22, s12, v22
	;; [unrolled: 1-line block ×4, first 2 shown]
	s_cmp_eq_u64 s[8:9], 0
	s_waitcnt lgkmcnt(0)
	s_barrier
	buffer_gl0_inv
	s_cbranch_scc1 .LBB183_345
; %bb.332:                              ;   in Loop: Header=BB183_12 Depth=1
	s_add_u32 s26, s74, s8
	s_addc_u32 s21, s75, s9
	s_mov_b32 s20, s59
	s_delay_alu instid0(SALU_CYCLE_1)
	s_cmp_lg_u64 s[20:21], 0
	s_cbranch_scc0 .LBB183_389
; %bb.333:                              ;   in Loop: Header=BB183_12 Depth=1
	v_cvt_f32_u32_e32 v2, s51
	s_sub_u32 s65, 0, s51
	s_subb_u32 s68, 0, 0
	s_delay_alu instid0(VALU_DEP_1) | instskip(NEXT) | instid1(VALU_DEP_1)
	v_fmac_f32_e64 v2, 0, 0x4f800000
	v_rcp_f32_e32 v2, v2
	s_waitcnt_depctr 0xfff
	v_mul_f32_e32 v2, 0x5f7ffffc, v2
	s_delay_alu instid0(VALU_DEP_1) | instskip(NEXT) | instid1(VALU_DEP_1)
	v_mul_f32_e32 v4, 0x2f800000, v2
	v_trunc_f32_e32 v4, v4
	s_delay_alu instid0(VALU_DEP_1) | instskip(SKIP_1) | instid1(VALU_DEP_2)
	v_fmac_f32_e32 v2, 0xcf800000, v4
	v_cvt_u32_f32_e32 v4, v4
	v_cvt_u32_f32_e32 v2, v2
	s_delay_alu instid0(VALU_DEP_2) | instskip(NEXT) | instid1(VALU_DEP_2)
	v_readfirstlane_b32 s7, v4
	v_readfirstlane_b32 s20, v2
	s_delay_alu instid0(VALU_DEP_2) | instskip(NEXT) | instid1(VALU_DEP_1)
	s_mul_i32 s69, s65, s7
	s_mul_hi_u32 s71, s65, s20
	s_mul_i32 s70, s68, s20
	s_add_i32 s69, s71, s69
	s_mul_i32 s96, s65, s20
	s_add_i32 s69, s69, s70
	s_mul_hi_u32 s71, s20, s96
	s_mul_hi_u32 s97, s7, s96
	s_mul_i32 s70, s7, s96
	s_mul_hi_u32 s96, s20, s69
	s_mul_i32 s20, s20, s69
	s_mul_hi_u32 s98, s7, s69
	s_add_u32 s20, s71, s20
	s_addc_u32 s71, 0, s96
	s_add_u32 s20, s20, s70
	s_mul_i32 s69, s7, s69
	s_addc_u32 s20, s71, s97
	s_addc_u32 s70, s98, 0
	s_add_u32 s20, s20, s69
	s_addc_u32 s69, 0, s70
	v_add_co_u32 v2, s20, v2, s20
	s_delay_alu instid0(VALU_DEP_1) | instskip(SKIP_1) | instid1(VALU_DEP_1)
	s_cmp_lg_u32 s20, 0
	s_addc_u32 s7, s7, s69
	v_readfirstlane_b32 s20, v2
	s_mul_i32 s69, s65, s7
	s_delay_alu instid0(VALU_DEP_1)
	s_mul_hi_u32 s70, s65, s20
	s_mul_i32 s68, s68, s20
	s_add_i32 s69, s70, s69
	s_mul_i32 s65, s65, s20
	s_add_i32 s69, s69, s68
	s_mul_hi_u32 s70, s7, s65
	s_mul_i32 s71, s7, s65
	s_mul_hi_u32 s65, s20, s65
	s_mul_hi_u32 s96, s20, s69
	s_mul_i32 s20, s20, s69
	s_mul_hi_u32 s68, s7, s69
	s_add_u32 s20, s65, s20
	s_addc_u32 s65, 0, s96
	s_add_u32 s20, s20, s71
	s_mul_i32 s69, s7, s69
	s_addc_u32 s20, s65, s70
	s_addc_u32 s65, s68, 0
	s_add_u32 s20, s20, s69
	s_addc_u32 s65, 0, s65
	v_add_co_u32 v2, s20, v2, s20
	s_delay_alu instid0(VALU_DEP_1) | instskip(SKIP_1) | instid1(VALU_DEP_1)
	s_cmp_lg_u32 s20, 0
	s_addc_u32 s7, s7, s65
	v_readfirstlane_b32 s20, v2
	s_mul_i32 s68, s26, s7
	s_mul_hi_u32 s65, s26, s7
	s_mul_hi_u32 s69, s21, s7
	s_mul_i32 s7, s21, s7
	s_mul_hi_u32 s70, s26, s20
	s_mul_hi_u32 s71, s21, s20
	s_mul_i32 s20, s21, s20
	s_add_u32 s68, s70, s68
	s_addc_u32 s65, 0, s65
	s_add_u32 s20, s68, s20
	s_addc_u32 s20, s65, s71
	s_addc_u32 s65, s69, 0
	s_add_u32 s7, s20, s7
	s_addc_u32 s20, 0, s65
	s_mul_hi_u32 s65, s51, s7
	s_mul_i32 s7, s51, s7
	s_mul_i32 s20, s51, s20
	v_sub_co_u32 v2, s7, s26, s7
	s_add_i32 s65, s65, s20
	s_cmp_lg_u32 s7, 0
	s_delay_alu instid0(VALU_DEP_1) | instskip(SKIP_2) | instid1(VALU_DEP_1)
	v_sub_co_u32 v4, s7, v2, s51
	s_subb_u32 s20, s21, s65
	s_cmp_lg_u32 s7, 0
	v_cmp_le_u32_e32 vcc_lo, s51, v4
	v_sub_co_u32 v5, s7, v4, s51
	s_subb_u32 s65, s20, 0
	s_cmp_lg_u32 s7, 0
	v_cndmask_b32_e64 v6, 0, -1, vcc_lo
	s_subb_u32 s7, s65, 0
	s_cmp_eq_u32 s65, 0
	v_mov_b32_e32 v8, s7
	s_cselect_b32 vcc_lo, -1, 0
	s_cmp_eq_u32 s20, 0
	v_cndmask_b32_e32 v6, -1, v6, vcc_lo
	v_cmp_le_u32_e32 vcc_lo, s51, v2
	s_cselect_b32 s7, -1, 0
	v_cndmask_b32_e64 v7, 0, -1, vcc_lo
	s_delay_alu instid0(VALU_DEP_3) | instskip(NEXT) | instid1(VALU_DEP_2)
	v_cmp_ne_u32_e32 vcc_lo, 0, v6
	v_cndmask_b32_e64 v6, -1, v7, s7
	v_cndmask_b32_e32 v7, s65, v8, vcc_lo
	v_cndmask_b32_e32 v4, v4, v5, vcc_lo
	s_delay_alu instid0(VALU_DEP_3) | instskip(NEXT) | instid1(VALU_DEP_3)
	v_cmp_ne_u32_e32 vcc_lo, 0, v6
	v_cndmask_b32_e32 v5, s20, v7, vcc_lo
	s_delay_alu instid0(VALU_DEP_3)
	v_cndmask_b32_e32 v4, v2, v4, vcc_lo
	s_cbranch_execnz .LBB183_335
.LBB183_334:                            ;   in Loop: Header=BB183_12 Depth=1
	v_cvt_f32_u32_e32 v2, s51
	s_sub_i32 s7, 0, s51
	s_delay_alu instid0(VALU_DEP_1) | instskip(SKIP_2) | instid1(VALU_DEP_1)
	v_rcp_iflag_f32_e32 v2, v2
	s_waitcnt_depctr 0xfff
	v_mul_f32_e32 v2, 0x4f7ffffe, v2
	v_cvt_u32_f32_e32 v2, v2
	s_delay_alu instid0(VALU_DEP_1) | instskip(NEXT) | instid1(VALU_DEP_1)
	v_mul_lo_u32 v4, s7, v2
	v_mul_hi_u32 v4, v2, v4
	s_delay_alu instid0(VALU_DEP_1) | instskip(NEXT) | instid1(VALU_DEP_1)
	v_add_nc_u32_e32 v2, v2, v4
	v_mul_hi_u32 v2, s26, v2
	s_delay_alu instid0(VALU_DEP_1) | instskip(NEXT) | instid1(VALU_DEP_1)
	v_mul_lo_u32 v2, v2, s51
	v_sub_nc_u32_e32 v2, s26, v2
	s_delay_alu instid0(VALU_DEP_1) | instskip(SKIP_1) | instid1(VALU_DEP_2)
	v_subrev_nc_u32_e32 v4, s51, v2
	v_cmp_le_u32_e32 vcc_lo, s51, v2
	v_cndmask_b32_e32 v2, v2, v4, vcc_lo
	s_delay_alu instid0(VALU_DEP_1) | instskip(SKIP_1) | instid1(VALU_DEP_2)
	v_subrev_nc_u32_e32 v4, s51, v2
	v_cmp_le_u32_e32 vcc_lo, s51, v2
	v_cndmask_b32_e32 v18, v2, v4, vcc_lo
	s_delay_alu instid0(VALU_DEP_1)
	v_dual_mov_b32 v4, v18 :: v_dual_mov_b32 v5, v19
.LBB183_335:                            ;   in Loop: Header=BB183_12 Depth=1
	s_delay_alu instid0(VALU_DEP_1) | instskip(NEXT) | instid1(VALU_DEP_2)
	v_sub_co_u32 v8, vcc_lo, s26, v4
	v_sub_co_ci_u32_e32 v9, vcc_lo, s21, v5, vcc_lo
	s_mov_b32 s7, 0
	s_mov_b32 s20, exec_lo
                                        ; implicit-def: $vgpr6_vgpr7
	s_delay_alu instid0(VALU_DEP_1)
	v_cmpx_gt_u64_e64 v[8:9], v[0:1]
	s_cbranch_execz .LBB183_347
; %bb.336:                              ;   in Loop: Header=BB183_12 Depth=1
	v_mov_b32_e32 v12, v37
	v_dual_mov_b32 v11, v1 :: v_dual_mov_b32 v10, v0
	s_mov_b32 s26, 0
                                        ; implicit-def: $sgpr21
	s_set_inst_prefetch_distance 0x1
	s_branch .LBB183_338
	.p2align	6
.LBB183_337:                            ;   in Loop: Header=BB183_338 Depth=2
	s_or_b32 exec_lo, exec_lo, s7
	s_waitcnt lgkmcnt(0)
	s_barrier
	buffer_gl0_inv
	ds_load_b128 v[4:7], v19 offset:3072
	v_add_co_u32 v10, s7, v10, s51
	s_delay_alu instid0(VALU_DEP_1) | instskip(SKIP_3) | instid1(VALU_DEP_2)
	v_add_co_ci_u32_e64 v11, s7, 0, v11, s7
	v_add_nc_u32_e32 v12, s82, v12
	s_waitcnt lgkmcnt(0)
	s_barrier
	v_cmp_ge_u64_e64 s7, v[10:11], v[8:9]
	buffer_gl0_inv
	v_cmp_neq_f64_e32 vcc_lo, 0, v[4:5]
	s_or_b32 s7, s7, vcc_lo
	s_delay_alu instid0(SALU_CYCLE_1) | instskip(NEXT) | instid1(SALU_CYCLE_1)
	s_and_b32 s7, exec_lo, s7
	s_or_b32 s26, s7, s26
	s_and_not1_b32 s7, s21, exec_lo
	s_and_b32 s21, vcc_lo, exec_lo
	s_delay_alu instid0(SALU_CYCLE_1)
	s_or_b32 s21, s7, s21
	s_and_not1_b32 exec_lo, exec_lo, s26
	s_cbranch_execz .LBB183_346
.LBB183_338:                            ;   Parent Loop BB183_12 Depth=1
                                        ; =>  This Inner Loop Header: Depth=2
	s_delay_alu instid0(VALU_DEP_1)
	v_cmp_gt_u64_e32 vcc_lo, s[8:9], v[10:11]
	v_mov_b32_e32 v4, 0
	v_mov_b32_e32 v5, 0
	s_and_saveexec_b32 s7, vcc_lo
	s_cbranch_execz .LBB183_340
; %bb.339:                              ;   in Loop: Header=BB183_338 Depth=2
	ds_load_b64 v[4:5], v12
.LBB183_340:                            ;   in Loop: Header=BB183_338 Depth=2
	s_or_b32 exec_lo, exec_lo, s7
	s_and_saveexec_b32 s7, vcc_lo
	s_cbranch_execz .LBB183_337
; %bb.341:                              ;   in Loop: Header=BB183_338 Depth=2
	s_waitcnt lgkmcnt(0)
	v_cmp_o_f64_e32 vcc_lo, v[4:5], v[4:5]
	v_ashrrev_i32_e32 v2, 31, v5
	s_delay_alu instid0(VALU_DEP_1) | instskip(SKIP_1) | instid1(VALU_DEP_2)
	v_or_b32_e32 v6, 0x80000000, v2
	v_xor_b32_e32 v2, v2, v4
	v_xor_b32_e32 v6, v6, v5
	s_delay_alu instid0(VALU_DEP_1) | instskip(NEXT) | instid1(VALU_DEP_1)
	v_cndmask_b32_e32 v6, -1, v6, vcc_lo
	v_dual_cndmask_b32 v2, -1, v2 :: v_dual_and_b32 v7, v6, v23
	s_delay_alu instid0(VALU_DEP_1) | instskip(NEXT) | instid1(VALU_DEP_1)
	v_and_b32_e32 v6, v2, v22
	v_cmp_eq_u64_e32 vcc_lo, v[6:7], v[24:25]
	s_and_b32 exec_lo, exec_lo, vcc_lo
	s_cbranch_execz .LBB183_337
; %bb.342:                              ;   in Loop: Header=BB183_338 Depth=2
	v_mov_b32_e32 v2, v19
	ds_store_b128 v19, v[2:5] offset:3072
	s_branch .LBB183_337
.LBB183_343:                            ;   in Loop: Header=BB183_12 Depth=1
                                        ; implicit-def: $vgpr4_vgpr5
	s_branch .LBB183_290
.LBB183_344:                            ;   in Loop: Header=BB183_12 Depth=1
                                        ; implicit-def: $vgpr4_vgpr5
	s_branch .LBB183_304
.LBB183_345:                            ;   in Loop: Header=BB183_12 Depth=1
	s_mov_b32 s20, -1
	s_mov_b32 s7, 0
                                        ; implicit-def: $sgpr21
                                        ; implicit-def: $vgpr6_vgpr7
	s_mov_b32 s65, s20
	s_cbranch_execnz .LBB183_348
	s_branch .LBB183_361
.LBB183_346:                            ;   in Loop: Header=BB183_12 Depth=1
	s_set_inst_prefetch_distance 0x2
	s_or_b32 exec_lo, exec_lo, s26
	s_delay_alu instid0(SALU_CYCLE_1)
	s_and_b32 s7, s21, exec_lo
.LBB183_347:                            ;   in Loop: Header=BB183_12 Depth=1
	s_or_b32 exec_lo, exec_lo, s20
	s_mov_b32 s20, 0
	s_mov_b32 s21, -1
	s_mov_b32 s65, s20
	s_branch .LBB183_361
.LBB183_348:                            ;   in Loop: Header=BB183_12 Depth=1
	s_mov_b32 s26, s59
	s_delay_alu instid0(SALU_CYCLE_1)
	s_cmp_lg_u64 s[26:27], 0
	s_cbranch_scc0 .LBB183_390
; %bb.349:                              ;   in Loop: Header=BB183_12 Depth=1
	v_cvt_f32_u32_e32 v2, s51
	s_sub_u32 s9, 0, s51
	s_subb_u32 s20, 0, 0
	s_delay_alu instid0(VALU_DEP_1) | instskip(NEXT) | instid1(VALU_DEP_1)
	v_fmac_f32_e64 v2, 0, 0x4f800000
	v_rcp_f32_e32 v2, v2
	s_waitcnt_depctr 0xfff
	v_mul_f32_e32 v2, 0x5f7ffffc, v2
	s_delay_alu instid0(VALU_DEP_1) | instskip(NEXT) | instid1(VALU_DEP_1)
	v_mul_f32_e32 v4, 0x2f800000, v2
	v_trunc_f32_e32 v4, v4
	s_delay_alu instid0(VALU_DEP_1) | instskip(SKIP_1) | instid1(VALU_DEP_2)
	v_fmac_f32_e32 v2, 0xcf800000, v4
	v_cvt_u32_f32_e32 v4, v4
	v_cvt_u32_f32_e32 v2, v2
	s_delay_alu instid0(VALU_DEP_2) | instskip(NEXT) | instid1(VALU_DEP_2)
	v_readfirstlane_b32 s7, v4
	v_readfirstlane_b32 s8, v2
	s_delay_alu instid0(VALU_DEP_2) | instskip(NEXT) | instid1(VALU_DEP_1)
	s_mul_i32 s21, s9, s7
	s_mul_hi_u32 s65, s9, s8
	s_mul_i32 s26, s20, s8
	s_add_i32 s21, s65, s21
	s_mul_i32 s68, s9, s8
	s_add_i32 s21, s21, s26
	s_mul_hi_u32 s65, s8, s68
	s_mul_hi_u32 s69, s7, s68
	s_mul_i32 s26, s7, s68
	s_mul_hi_u32 s68, s8, s21
	s_mul_i32 s8, s8, s21
	s_mul_hi_u32 s70, s7, s21
	s_add_u32 s8, s65, s8
	s_addc_u32 s65, 0, s68
	s_add_u32 s8, s8, s26
	s_mul_i32 s21, s7, s21
	s_addc_u32 s8, s65, s69
	s_addc_u32 s26, s70, 0
	s_add_u32 s8, s8, s21
	s_addc_u32 s21, 0, s26
	v_add_co_u32 v2, s8, v2, s8
	s_delay_alu instid0(VALU_DEP_1) | instskip(SKIP_1) | instid1(VALU_DEP_1)
	s_cmp_lg_u32 s8, 0
	s_addc_u32 s7, s7, s21
	v_readfirstlane_b32 s8, v2
	s_mul_i32 s21, s9, s7
	s_delay_alu instid0(VALU_DEP_1)
	s_mul_hi_u32 s26, s9, s8
	s_mul_i32 s20, s20, s8
	s_add_i32 s21, s26, s21
	s_mul_i32 s9, s9, s8
	s_add_i32 s21, s21, s20
	s_mul_hi_u32 s26, s7, s9
	s_mul_i32 s65, s7, s9
	s_mul_hi_u32 s9, s8, s9
	s_mul_hi_u32 s68, s8, s21
	s_mul_i32 s8, s8, s21
	s_mul_hi_u32 s20, s7, s21
	s_add_u32 s8, s9, s8
	s_addc_u32 s9, 0, s68
	s_add_u32 s8, s8, s65
	s_mul_i32 s21, s7, s21
	s_addc_u32 s8, s9, s26
	s_addc_u32 s9, s20, 0
	s_add_u32 s8, s8, s21
	s_addc_u32 s9, 0, s9
	v_add_co_u32 v2, s8, v2, s8
	s_delay_alu instid0(VALU_DEP_1) | instskip(SKIP_1) | instid1(VALU_DEP_1)
	s_cmp_lg_u32 s8, 0
	s_addc_u32 s7, s7, s9
	v_readfirstlane_b32 s8, v2
	s_mul_i32 s20, s76, s7
	s_mul_hi_u32 s9, s76, s7
	s_mul_hi_u32 s21, s27, s7
	s_mul_i32 s7, s27, s7
	s_mul_hi_u32 s26, s76, s8
	s_mul_hi_u32 s65, s27, s8
	s_mul_i32 s8, s27, s8
	s_add_u32 s20, s26, s20
	s_addc_u32 s9, 0, s9
	s_add_u32 s8, s20, s8
	s_addc_u32 s8, s9, s65
	s_addc_u32 s9, s21, 0
	s_add_u32 s7, s8, s7
	s_addc_u32 s8, 0, s9
	s_mul_hi_u32 s9, s51, s7
	s_mul_i32 s7, s51, s7
	s_mul_i32 s8, s51, s8
	v_sub_co_u32 v2, s7, s76, s7
	s_add_i32 s9, s9, s8
	s_cmp_lg_u32 s7, 0
	s_delay_alu instid0(VALU_DEP_1) | instskip(SKIP_2) | instid1(VALU_DEP_1)
	v_sub_co_u32 v4, s7, v2, s51
	s_subb_u32 s8, s27, s9
	s_cmp_lg_u32 s7, 0
	v_cmp_le_u32_e32 vcc_lo, s51, v4
	v_sub_co_u32 v5, s7, v4, s51
	s_subb_u32 s9, s8, 0
	s_cmp_lg_u32 s7, 0
	v_cndmask_b32_e64 v6, 0, -1, vcc_lo
	s_subb_u32 s7, s9, 0
	s_cmp_eq_u32 s9, 0
	v_mov_b32_e32 v8, s7
	s_cselect_b32 vcc_lo, -1, 0
	s_cmp_eq_u32 s8, 0
	v_cndmask_b32_e32 v6, -1, v6, vcc_lo
	v_cmp_le_u32_e32 vcc_lo, s51, v2
	s_cselect_b32 s7, -1, 0
	v_cndmask_b32_e64 v7, 0, -1, vcc_lo
	s_delay_alu instid0(VALU_DEP_3) | instskip(NEXT) | instid1(VALU_DEP_2)
	v_cmp_ne_u32_e32 vcc_lo, 0, v6
	v_cndmask_b32_e64 v6, -1, v7, s7
	v_cndmask_b32_e32 v7, s9, v8, vcc_lo
	v_cndmask_b32_e32 v4, v4, v5, vcc_lo
	s_delay_alu instid0(VALU_DEP_3) | instskip(NEXT) | instid1(VALU_DEP_3)
	v_cmp_ne_u32_e32 vcc_lo, 0, v6
	v_cndmask_b32_e32 v5, s8, v7, vcc_lo
	s_delay_alu instid0(VALU_DEP_3)
	v_cndmask_b32_e32 v4, v2, v4, vcc_lo
	s_cbranch_execnz .LBB183_351
.LBB183_350:                            ;   in Loop: Header=BB183_12 Depth=1
	v_cvt_f32_u32_e32 v2, s51
	s_sub_i32 s7, 0, s51
	s_delay_alu instid0(VALU_DEP_1) | instskip(SKIP_2) | instid1(VALU_DEP_1)
	v_rcp_iflag_f32_e32 v2, v2
	s_waitcnt_depctr 0xfff
	v_mul_f32_e32 v2, 0x4f7ffffe, v2
	v_cvt_u32_f32_e32 v2, v2
	s_delay_alu instid0(VALU_DEP_1) | instskip(NEXT) | instid1(VALU_DEP_1)
	v_mul_lo_u32 v4, s7, v2
	v_mul_hi_u32 v4, v2, v4
	s_delay_alu instid0(VALU_DEP_1) | instskip(NEXT) | instid1(VALU_DEP_1)
	v_add_nc_u32_e32 v2, v2, v4
	v_mul_hi_u32 v2, s76, v2
	s_delay_alu instid0(VALU_DEP_1) | instskip(NEXT) | instid1(VALU_DEP_1)
	v_mul_lo_u32 v2, v2, s51
	v_sub_nc_u32_e32 v2, s76, v2
	s_delay_alu instid0(VALU_DEP_1) | instskip(SKIP_1) | instid1(VALU_DEP_2)
	v_subrev_nc_u32_e32 v4, s51, v2
	v_cmp_le_u32_e32 vcc_lo, s51, v2
	v_cndmask_b32_e32 v2, v2, v4, vcc_lo
	s_delay_alu instid0(VALU_DEP_1) | instskip(SKIP_1) | instid1(VALU_DEP_2)
	v_subrev_nc_u32_e32 v4, s51, v2
	v_cmp_le_u32_e32 vcc_lo, s51, v2
	v_cndmask_b32_e32 v18, v2, v4, vcc_lo
	s_delay_alu instid0(VALU_DEP_1)
	v_dual_mov_b32 v4, v18 :: v_dual_mov_b32 v5, v19
.LBB183_351:                            ;   in Loop: Header=BB183_12 Depth=1
	s_delay_alu instid0(VALU_DEP_1) | instskip(NEXT) | instid1(VALU_DEP_2)
	v_sub_co_u32 v8, vcc_lo, s76, v4
	v_sub_co_ci_u32_e32 v9, vcc_lo, s27, v5, vcc_lo
	s_mov_b32 s7, 0
	s_mov_b32 s8, exec_lo
                                        ; implicit-def: $vgpr6_vgpr7
	s_delay_alu instid0(VALU_DEP_1)
	v_cmpx_gt_u64_e64 v[8:9], v[0:1]
	s_cbranch_execz .LBB183_360
; %bb.352:                              ;   in Loop: Header=BB183_12 Depth=1
	v_dual_mov_b32 v11, v1 :: v_dual_mov_b32 v10, v0
	s_mov_b32 s20, 0
                                        ; implicit-def: $sgpr9
	s_branch .LBB183_354
.LBB183_353:                            ;   in Loop: Header=BB183_354 Depth=2
	s_or_b32 exec_lo, exec_lo, s7
	s_waitcnt vmcnt(0) lgkmcnt(0)
	s_barrier
	buffer_gl0_inv
	ds_load_b128 v[4:7], v19 offset:3072
	v_add_co_u32 v10, s7, v10, s51
	s_delay_alu instid0(VALU_DEP_1)
	v_add_co_ci_u32_e64 v11, s7, 0, v11, s7
	s_waitcnt lgkmcnt(0)
	s_barrier
	buffer_gl0_inv
	v_cmp_ge_u64_e64 s7, v[10:11], v[8:9]
	v_cmp_neq_f64_e32 vcc_lo, 0, v[4:5]
	s_delay_alu instid0(VALU_DEP_2) | instskip(NEXT) | instid1(SALU_CYCLE_1)
	s_or_b32 s7, s7, vcc_lo
	s_and_b32 s7, exec_lo, s7
	s_delay_alu instid0(SALU_CYCLE_1) | instskip(SKIP_2) | instid1(SALU_CYCLE_1)
	s_or_b32 s20, s7, s20
	s_and_not1_b32 s7, s9, exec_lo
	s_and_b32 s9, vcc_lo, exec_lo
	s_or_b32 s9, s7, s9
	s_and_not1_b32 exec_lo, exec_lo, s20
	s_cbranch_execz .LBB183_359
.LBB183_354:                            ;   Parent Loop BB183_12 Depth=1
                                        ; =>  This Inner Loop Header: Depth=2
	s_delay_alu instid0(VALU_DEP_1)
	v_cmp_gt_u64_e32 vcc_lo, s[36:37], v[10:11]
	v_mov_b32_e32 v4, 0
	v_mov_b32_e32 v5, 0
	s_and_saveexec_b32 s21, vcc_lo
	s_cbranch_execz .LBB183_356
; %bb.355:                              ;   in Loop: Header=BB183_354 Depth=2
	v_mul_lo_u32 v2, v11, s30
	v_mul_lo_u32 v6, v10, s31
	v_mad_u64_u32 v[4:5], null, v10, s30, 0
	s_delay_alu instid0(VALU_DEP_1) | instskip(NEXT) | instid1(VALU_DEP_1)
	v_add3_u32 v5, v5, v6, v2
	v_lshlrev_b64 v[4:5], 3, v[4:5]
	s_delay_alu instid0(VALU_DEP_1) | instskip(NEXT) | instid1(VALU_DEP_1)
	v_add_co_u32 v4, s7, s33, v4
	v_add_co_ci_u32_e64 v5, s7, s35, v5, s7
	global_load_b64 v[4:5], v[4:5], off
.LBB183_356:                            ;   in Loop: Header=BB183_354 Depth=2
	s_or_b32 exec_lo, exec_lo, s21
	s_and_saveexec_b32 s7, vcc_lo
	s_cbranch_execz .LBB183_353
; %bb.357:                              ;   in Loop: Header=BB183_354 Depth=2
	s_waitcnt vmcnt(0)
	v_cmp_o_f64_e32 vcc_lo, v[4:5], v[4:5]
	v_ashrrev_i32_e32 v2, 31, v5
	s_delay_alu instid0(VALU_DEP_1) | instskip(SKIP_1) | instid1(VALU_DEP_2)
	v_or_b32_e32 v6, 0x80000000, v2
	v_xor_b32_e32 v2, v2, v4
	v_xor_b32_e32 v6, v6, v5
	s_delay_alu instid0(VALU_DEP_1) | instskip(NEXT) | instid1(VALU_DEP_1)
	v_cndmask_b32_e32 v6, -1, v6, vcc_lo
	v_dual_cndmask_b32 v2, -1, v2 :: v_dual_and_b32 v7, v6, v23
	s_delay_alu instid0(VALU_DEP_1) | instskip(NEXT) | instid1(VALU_DEP_1)
	v_and_b32_e32 v6, v2, v22
	v_cmp_eq_u64_e32 vcc_lo, v[6:7], v[24:25]
	s_and_b32 exec_lo, exec_lo, vcc_lo
	s_cbranch_execz .LBB183_353
; %bb.358:                              ;   in Loop: Header=BB183_354 Depth=2
	v_mov_b32_e32 v2, v19
	ds_store_b128 v19, v[2:5] offset:3072
	s_branch .LBB183_353
.LBB183_359:                            ;   in Loop: Header=BB183_12 Depth=1
	s_or_b32 exec_lo, exec_lo, s20
	s_delay_alu instid0(SALU_CYCLE_1)
	s_and_b32 s7, s9, exec_lo
.LBB183_360:                            ;   in Loop: Header=BB183_12 Depth=1
	s_or_b32 exec_lo, exec_lo, s8
	s_mov_b32 s21, 0
	s_mov_b32 s20, -1
	s_mov_b32 s65, 0
.LBB183_361:                            ;   in Loop: Header=BB183_12 Depth=1
	s_or_not1_b32 s7, s7, exec_lo
.LBB183_362:                            ;   in Loop: Header=BB183_12 Depth=1
	s_or_b32 exec_lo, exec_lo, s66
	s_mov_b32 s26, 0
                                        ; implicit-def: $vgpr2
	s_and_saveexec_b32 s66, s7
	s_cbranch_execz .LBB183_475
; %bb.363:                              ;   in Loop: Header=BB183_12 Depth=1
	v_mov_b32_e32 v8, 1
	v_dual_mov_b32 v9, 0 :: v_dual_mov_b32 v2, 1
	s_xor_b32 s8, s67, -1
	s_delay_alu instid0(SALU_CYCLE_1)
	s_and_saveexec_b32 s7, s8
	s_cbranch_execz .LBB183_373
; %bb.364:                              ;   in Loop: Header=BB183_12 Depth=1
	s_mov_b32 s9, exec_lo
                                        ; implicit-def: $sgpr26
                                        ; implicit-def: $sgpr8
	v_cmpx_ge_u64_e64 s[18:19], v[28:29]
	s_xor_b32 s9, exec_lo, s9
	s_cbranch_execz .LBB183_370
; %bb.365:                              ;   in Loop: Header=BB183_12 Depth=1
	ds_load_b64 v[4:5], v19 offset:5120
	s_waitcnt lgkmcnt(0)
	v_cmp_ne_u64_e32 vcc_lo, 0, v[4:5]
	s_cbranch_vccnz .LBB183_369
; %bb.366:                              ;   in Loop: Header=BB183_12 Depth=1
	s_and_saveexec_b32 s8, s5
	s_cbranch_execz .LBB183_368
; %bb.367:                              ;   in Loop: Header=BB183_12 Depth=1
	v_dual_mov_b32 v4, s18 :: v_dual_mov_b32 v5, s19
	ds_store_b64 v19, v[4:5] offset:5128
.LBB183_368:                            ;   in Loop: Header=BB183_12 Depth=1
	s_or_b32 exec_lo, exec_lo, s8
	s_waitcnt lgkmcnt(0)
	s_barrier
	buffer_gl0_inv
.LBB183_369:                            ;   in Loop: Header=BB183_12 Depth=1
	v_and_b32_e32 v2, s15, v25
	v_and_b32_e32 v4, s14, v24
	s_lshl_b64 s[68:69], 2, s24
	v_or_b32_e32 v23, s13, v23
	v_or_b32_e32 v22, s12, v22
	;; [unrolled: 1-line block ×4, first 2 shown]
	s_mov_b32 s8, 0
	s_mov_b32 s26, 5
.LBB183_370:                            ;   in Loop: Header=BB183_12 Depth=1
	s_or_saveexec_b32 s9, s9
	v_mov_b32_e32 v2, s26
	s_xor_b32 exec_lo, exec_lo, s9
; %bb.371:                              ;   in Loop: Header=BB183_12 Depth=1
	v_sub_co_u32 v28, vcc_lo, v28, s18
	v_subrev_co_ci_u32_e32 v29, vcc_lo, s19, v29, vcc_lo
	v_mov_b32_e32 v2, 0
	s_or_b32 s8, s8, exec_lo
; %bb.372:                              ;   in Loop: Header=BB183_12 Depth=1
	s_or_b32 exec_lo, exec_lo, s9
	s_delay_alu instid0(VALU_DEP_2)
	v_dual_mov_b32 v8, v28 :: v_dual_mov_b32 v9, v29
	s_and_b32 s26, s8, exec_lo
.LBB183_373:                            ;   in Loop: Header=BB183_12 Depth=1
	s_or_b32 exec_lo, exec_lo, s7
	s_mov_b32 s7, -1
                                        ; implicit-def: $sgpr8
                                        ; implicit-def: $sgpr9
                                        ; implicit-def: $sgpr18
	s_and_saveexec_b32 s67, s26
	s_cbranch_execz .LBB183_474
; %bb.374:                              ;   in Loop: Header=BB183_12 Depth=1
	v_cmp_eq_u64_e32 vcc_lo, 1, v[8:9]
	s_cmp_eq_u64 s[16:17], 1
                                        ; implicit-def: $sgpr18
                                        ; implicit-def: $sgpr19
                                        ; implicit-def: $sgpr68
	s_cselect_b32 s7, -1, 0
	s_delay_alu instid0(SALU_CYCLE_1)
	s_and_b32 s70, s7, vcc_lo
	s_mov_b32 s7, -1
	s_and_saveexec_b32 s69, s70
	s_cbranch_execz .LBB183_408
; %bb.375:                              ;   in Loop: Header=BB183_12 Depth=1
	ds_load_b64 v[4:5], v19 offset:5120
	s_waitcnt lgkmcnt(0)
	s_barrier
	buffer_gl0_inv
	v_readfirstlane_b32 s8, v4
	v_readfirstlane_b32 s9, v5
	s_and_saveexec_b32 s7, s6
	s_cbranch_execz .LBB183_377
; %bb.376:                              ;   in Loop: Header=BB183_12 Depth=1
	v_mov_b32_e32 v18, v19
	ds_store_b64 v38, v[18:19]
.LBB183_377:                            ;   in Loop: Header=BB183_12 Depth=1
	s_or_b32 exec_lo, exec_lo, s7
	v_and_b32_e32 v2, s15, v25
	v_and_b32_e32 v4, s14, v24
	s_lshl_b64 s[18:19], 1, s24
	v_or_b32_e32 v23, s13, v23
	v_or_b32_e32 v22, s12, v22
	;; [unrolled: 1-line block ×4, first 2 shown]
	s_cmp_eq_u64 s[8:9], 0
	s_waitcnt lgkmcnt(0)
	s_barrier
	buffer_gl0_inv
	s_cbranch_scc1 .LBB183_391
; %bb.378:                              ;   in Loop: Header=BB183_12 Depth=1
	s_add_u32 s26, s74, s8
	s_addc_u32 s19, s75, s9
	s_mov_b32 s18, s59
	s_delay_alu instid0(SALU_CYCLE_1)
	s_cmp_lg_u64 s[18:19], 0
	s_cbranch_scc0 .LBB183_426
; %bb.379:                              ;   in Loop: Header=BB183_12 Depth=1
	v_cvt_f32_u32_e32 v2, s51
	s_sub_u32 s68, 0, s51
	s_subb_u32 s71, 0, 0
	s_delay_alu instid0(VALU_DEP_1) | instskip(NEXT) | instid1(VALU_DEP_1)
	v_fmac_f32_e64 v2, 0, 0x4f800000
	v_rcp_f32_e32 v2, v2
	s_waitcnt_depctr 0xfff
	v_mul_f32_e32 v2, 0x5f7ffffc, v2
	s_delay_alu instid0(VALU_DEP_1) | instskip(NEXT) | instid1(VALU_DEP_1)
	v_mul_f32_e32 v4, 0x2f800000, v2
	v_trunc_f32_e32 v4, v4
	s_delay_alu instid0(VALU_DEP_1) | instskip(SKIP_1) | instid1(VALU_DEP_2)
	v_fmac_f32_e32 v2, 0xcf800000, v4
	v_cvt_u32_f32_e32 v4, v4
	v_cvt_u32_f32_e32 v2, v2
	s_delay_alu instid0(VALU_DEP_2) | instskip(NEXT) | instid1(VALU_DEP_2)
	v_readfirstlane_b32 s7, v4
	v_readfirstlane_b32 s18, v2
	s_delay_alu instid0(VALU_DEP_2) | instskip(NEXT) | instid1(VALU_DEP_1)
	s_mul_i32 s96, s68, s7
	s_mul_hi_u32 s98, s68, s18
	s_mul_i32 s97, s71, s18
	s_add_i32 s96, s98, s96
	s_mul_i32 s99, s68, s18
	s_add_i32 s96, s96, s97
	s_mul_hi_u32 s98, s18, s99
	s_mul_hi_u32 s100, s7, s99
	s_mul_i32 s97, s7, s99
	s_mul_hi_u32 s99, s18, s96
	s_mul_i32 s18, s18, s96
	s_mul_hi_u32 s101, s7, s96
	s_add_u32 s18, s98, s18
	s_addc_u32 s98, 0, s99
	s_add_u32 s18, s18, s97
	s_mul_i32 s96, s7, s96
	s_addc_u32 s18, s98, s100
	s_addc_u32 s97, s101, 0
	s_add_u32 s18, s18, s96
	s_addc_u32 s96, 0, s97
	v_add_co_u32 v2, s18, v2, s18
	s_delay_alu instid0(VALU_DEP_1) | instskip(SKIP_1) | instid1(VALU_DEP_1)
	s_cmp_lg_u32 s18, 0
	s_addc_u32 s7, s7, s96
	v_readfirstlane_b32 s18, v2
	s_mul_i32 s96, s68, s7
	s_delay_alu instid0(VALU_DEP_1)
	s_mul_hi_u32 s97, s68, s18
	s_mul_i32 s71, s71, s18
	s_add_i32 s96, s97, s96
	s_mul_i32 s68, s68, s18
	s_add_i32 s96, s96, s71
	s_mul_hi_u32 s97, s7, s68
	s_mul_i32 s98, s7, s68
	s_mul_hi_u32 s68, s18, s68
	s_mul_hi_u32 s99, s18, s96
	s_mul_i32 s18, s18, s96
	s_mul_hi_u32 s71, s7, s96
	s_add_u32 s18, s68, s18
	s_addc_u32 s68, 0, s99
	s_add_u32 s18, s18, s98
	s_mul_i32 s96, s7, s96
	s_addc_u32 s18, s68, s97
	s_addc_u32 s68, s71, 0
	s_add_u32 s18, s18, s96
	s_addc_u32 s68, 0, s68
	v_add_co_u32 v2, s18, v2, s18
	s_delay_alu instid0(VALU_DEP_1) | instskip(SKIP_1) | instid1(VALU_DEP_1)
	s_cmp_lg_u32 s18, 0
	s_addc_u32 s7, s7, s68
	v_readfirstlane_b32 s18, v2
	s_mul_i32 s71, s26, s7
	s_mul_hi_u32 s68, s26, s7
	s_mul_hi_u32 s96, s19, s7
	s_mul_i32 s7, s19, s7
	s_mul_hi_u32 s97, s26, s18
	s_mul_hi_u32 s98, s19, s18
	s_mul_i32 s18, s19, s18
	s_add_u32 s71, s97, s71
	s_addc_u32 s68, 0, s68
	s_add_u32 s18, s71, s18
	s_addc_u32 s18, s68, s98
	s_addc_u32 s68, s96, 0
	s_add_u32 s7, s18, s7
	s_addc_u32 s18, 0, s68
	s_mul_hi_u32 s68, s51, s7
	s_mul_i32 s7, s51, s7
	s_mul_i32 s18, s51, s18
	v_sub_co_u32 v2, s7, s26, s7
	s_add_i32 s68, s68, s18
	s_cmp_lg_u32 s7, 0
	s_delay_alu instid0(VALU_DEP_1) | instskip(SKIP_2) | instid1(VALU_DEP_1)
	v_sub_co_u32 v4, s7, v2, s51
	s_subb_u32 s18, s19, s68
	s_cmp_lg_u32 s7, 0
	v_cmp_le_u32_e32 vcc_lo, s51, v4
	v_sub_co_u32 v5, s7, v4, s51
	s_subb_u32 s68, s18, 0
	s_cmp_lg_u32 s7, 0
	v_cndmask_b32_e64 v6, 0, -1, vcc_lo
	s_subb_u32 s7, s68, 0
	s_cmp_eq_u32 s68, 0
	v_mov_b32_e32 v10, s7
	s_cselect_b32 vcc_lo, -1, 0
	s_cmp_eq_u32 s18, 0
	v_cndmask_b32_e32 v6, -1, v6, vcc_lo
	v_cmp_le_u32_e32 vcc_lo, s51, v2
	s_cselect_b32 s7, -1, 0
	v_cndmask_b32_e64 v7, 0, -1, vcc_lo
	s_delay_alu instid0(VALU_DEP_3) | instskip(NEXT) | instid1(VALU_DEP_2)
	v_cmp_ne_u32_e32 vcc_lo, 0, v6
	v_cndmask_b32_e64 v6, -1, v7, s7
	v_cndmask_b32_e32 v7, s68, v10, vcc_lo
	v_cndmask_b32_e32 v4, v4, v5, vcc_lo
	s_delay_alu instid0(VALU_DEP_3) | instskip(NEXT) | instid1(VALU_DEP_3)
	v_cmp_ne_u32_e32 vcc_lo, 0, v6
	v_cndmask_b32_e32 v5, s18, v7, vcc_lo
	s_delay_alu instid0(VALU_DEP_3)
	v_cndmask_b32_e32 v4, v2, v4, vcc_lo
	s_cbranch_execnz .LBB183_381
.LBB183_380:                            ;   in Loop: Header=BB183_12 Depth=1
	v_cvt_f32_u32_e32 v2, s51
	s_sub_i32 s7, 0, s51
	s_delay_alu instid0(VALU_DEP_1) | instskip(SKIP_2) | instid1(VALU_DEP_1)
	v_rcp_iflag_f32_e32 v2, v2
	s_waitcnt_depctr 0xfff
	v_mul_f32_e32 v2, 0x4f7ffffe, v2
	v_cvt_u32_f32_e32 v2, v2
	s_delay_alu instid0(VALU_DEP_1) | instskip(NEXT) | instid1(VALU_DEP_1)
	v_mul_lo_u32 v4, s7, v2
	v_mul_hi_u32 v4, v2, v4
	s_delay_alu instid0(VALU_DEP_1) | instskip(NEXT) | instid1(VALU_DEP_1)
	v_add_nc_u32_e32 v2, v2, v4
	v_mul_hi_u32 v2, s26, v2
	s_delay_alu instid0(VALU_DEP_1) | instskip(NEXT) | instid1(VALU_DEP_1)
	v_mul_lo_u32 v2, v2, s51
	v_sub_nc_u32_e32 v2, s26, v2
	s_delay_alu instid0(VALU_DEP_1) | instskip(SKIP_1) | instid1(VALU_DEP_2)
	v_subrev_nc_u32_e32 v4, s51, v2
	v_cmp_le_u32_e32 vcc_lo, s51, v2
	v_cndmask_b32_e32 v2, v2, v4, vcc_lo
	s_delay_alu instid0(VALU_DEP_1) | instskip(SKIP_1) | instid1(VALU_DEP_2)
	v_subrev_nc_u32_e32 v4, s51, v2
	v_cmp_le_u32_e32 vcc_lo, s51, v2
	v_cndmask_b32_e32 v18, v2, v4, vcc_lo
	s_delay_alu instid0(VALU_DEP_1)
	v_dual_mov_b32 v4, v18 :: v_dual_mov_b32 v5, v19
.LBB183_381:                            ;   in Loop: Header=BB183_12 Depth=1
	s_delay_alu instid0(VALU_DEP_1) | instskip(NEXT) | instid1(VALU_DEP_2)
	v_sub_co_u32 v10, vcc_lo, s26, v4
	v_sub_co_ci_u32_e32 v11, vcc_lo, s19, v5, vcc_lo
	s_mov_b32 s7, 0
	s_mov_b32 s18, exec_lo
                                        ; implicit-def: $vgpr6_vgpr7
	s_delay_alu instid0(VALU_DEP_1)
	v_cmpx_gt_u64_e64 v[10:11], v[0:1]
	s_cbranch_execz .LBB183_393
; %bb.382:                              ;   in Loop: Header=BB183_12 Depth=1
	v_mov_b32_e32 v14, v37
	v_dual_mov_b32 v13, v1 :: v_dual_mov_b32 v12, v0
	s_mov_b32 s26, 0
                                        ; implicit-def: $sgpr19
	s_set_inst_prefetch_distance 0x1
	s_branch .LBB183_384
	.p2align	6
.LBB183_383:                            ;   in Loop: Header=BB183_384 Depth=2
	s_or_b32 exec_lo, exec_lo, s7
	s_waitcnt lgkmcnt(0)
	s_barrier
	buffer_gl0_inv
	ds_load_b128 v[4:7], v19 offset:3072
	v_add_co_u32 v12, s7, v12, s51
	s_delay_alu instid0(VALU_DEP_1) | instskip(SKIP_3) | instid1(VALU_DEP_2)
	v_add_co_ci_u32_e64 v13, s7, 0, v13, s7
	v_add_nc_u32_e32 v14, s82, v14
	s_waitcnt lgkmcnt(0)
	s_barrier
	v_cmp_ge_u64_e64 s7, v[12:13], v[10:11]
	buffer_gl0_inv
	v_cmp_neq_f64_e32 vcc_lo, 0, v[4:5]
	s_or_b32 s7, s7, vcc_lo
	s_delay_alu instid0(SALU_CYCLE_1) | instskip(NEXT) | instid1(SALU_CYCLE_1)
	s_and_b32 s7, exec_lo, s7
	s_or_b32 s26, s7, s26
	s_and_not1_b32 s7, s19, exec_lo
	s_and_b32 s19, vcc_lo, exec_lo
	s_delay_alu instid0(SALU_CYCLE_1)
	s_or_b32 s19, s7, s19
	s_and_not1_b32 exec_lo, exec_lo, s26
	s_cbranch_execz .LBB183_392
.LBB183_384:                            ;   Parent Loop BB183_12 Depth=1
                                        ; =>  This Inner Loop Header: Depth=2
	s_delay_alu instid0(VALU_DEP_1)
	v_cmp_gt_u64_e32 vcc_lo, s[8:9], v[12:13]
	v_mov_b32_e32 v4, 0
	v_mov_b32_e32 v5, 0
	s_and_saveexec_b32 s7, vcc_lo
	s_cbranch_execz .LBB183_386
; %bb.385:                              ;   in Loop: Header=BB183_384 Depth=2
	ds_load_b64 v[4:5], v14
.LBB183_386:                            ;   in Loop: Header=BB183_384 Depth=2
	s_or_b32 exec_lo, exec_lo, s7
	s_and_saveexec_b32 s7, vcc_lo
	s_cbranch_execz .LBB183_383
; %bb.387:                              ;   in Loop: Header=BB183_384 Depth=2
	s_waitcnt lgkmcnt(0)
	v_cmp_o_f64_e32 vcc_lo, v[4:5], v[4:5]
	v_ashrrev_i32_e32 v2, 31, v5
	s_delay_alu instid0(VALU_DEP_1) | instskip(SKIP_1) | instid1(VALU_DEP_2)
	v_or_b32_e32 v6, 0x80000000, v2
	v_xor_b32_e32 v2, v2, v4
	v_xor_b32_e32 v6, v6, v5
	s_delay_alu instid0(VALU_DEP_1) | instskip(NEXT) | instid1(VALU_DEP_1)
	v_cndmask_b32_e32 v6, -1, v6, vcc_lo
	v_dual_cndmask_b32 v2, -1, v2 :: v_dual_and_b32 v7, v6, v23
	s_delay_alu instid0(VALU_DEP_1) | instskip(NEXT) | instid1(VALU_DEP_1)
	v_and_b32_e32 v6, v2, v22
	v_cmp_eq_u64_e32 vcc_lo, v[6:7], v[24:25]
	s_and_b32 exec_lo, exec_lo, vcc_lo
	s_cbranch_execz .LBB183_383
; %bb.388:                              ;   in Loop: Header=BB183_384 Depth=2
	v_mov_b32_e32 v2, v19
	ds_store_b128 v19, v[2:5] offset:3072
	s_branch .LBB183_383
.LBB183_389:                            ;   in Loop: Header=BB183_12 Depth=1
                                        ; implicit-def: $vgpr4_vgpr5
	s_branch .LBB183_334
.LBB183_390:                            ;   in Loop: Header=BB183_12 Depth=1
                                        ; implicit-def: $vgpr4_vgpr5
	s_branch .LBB183_350
.LBB183_391:                            ;   in Loop: Header=BB183_12 Depth=1
	s_mov_b32 s18, -1
	s_mov_b32 s7, 0
                                        ; implicit-def: $sgpr19
                                        ; implicit-def: $vgpr6_vgpr7
	s_mov_b32 s68, s18
	s_cbranch_execnz .LBB183_394
	s_branch .LBB183_407
.LBB183_392:                            ;   in Loop: Header=BB183_12 Depth=1
	s_set_inst_prefetch_distance 0x2
	s_or_b32 exec_lo, exec_lo, s26
	s_delay_alu instid0(SALU_CYCLE_1)
	s_and_b32 s7, s19, exec_lo
.LBB183_393:                            ;   in Loop: Header=BB183_12 Depth=1
	s_or_b32 exec_lo, exec_lo, s18
	s_mov_b32 s18, 0
	s_mov_b32 s19, -1
	s_mov_b32 s68, s18
	s_branch .LBB183_407
.LBB183_394:                            ;   in Loop: Header=BB183_12 Depth=1
	s_mov_b32 s26, s59
	s_delay_alu instid0(SALU_CYCLE_1)
	s_cmp_lg_u64 s[26:27], 0
	s_cbranch_scc0 .LBB183_427
; %bb.395:                              ;   in Loop: Header=BB183_12 Depth=1
	v_cvt_f32_u32_e32 v2, s51
	s_sub_u32 s9, 0, s51
	s_subb_u32 s18, 0, 0
	s_delay_alu instid0(VALU_DEP_1) | instskip(NEXT) | instid1(VALU_DEP_1)
	v_fmac_f32_e64 v2, 0, 0x4f800000
	v_rcp_f32_e32 v2, v2
	s_waitcnt_depctr 0xfff
	v_mul_f32_e32 v2, 0x5f7ffffc, v2
	s_delay_alu instid0(VALU_DEP_1) | instskip(NEXT) | instid1(VALU_DEP_1)
	v_mul_f32_e32 v4, 0x2f800000, v2
	v_trunc_f32_e32 v4, v4
	s_delay_alu instid0(VALU_DEP_1) | instskip(SKIP_1) | instid1(VALU_DEP_2)
	v_fmac_f32_e32 v2, 0xcf800000, v4
	v_cvt_u32_f32_e32 v4, v4
	v_cvt_u32_f32_e32 v2, v2
	s_delay_alu instid0(VALU_DEP_2) | instskip(NEXT) | instid1(VALU_DEP_2)
	v_readfirstlane_b32 s7, v4
	v_readfirstlane_b32 s8, v2
	s_delay_alu instid0(VALU_DEP_2) | instskip(NEXT) | instid1(VALU_DEP_1)
	s_mul_i32 s19, s9, s7
	s_mul_hi_u32 s68, s9, s8
	s_mul_i32 s26, s18, s8
	s_add_i32 s19, s68, s19
	s_mul_i32 s71, s9, s8
	s_add_i32 s19, s19, s26
	s_mul_hi_u32 s68, s8, s71
	s_mul_hi_u32 s96, s7, s71
	s_mul_i32 s26, s7, s71
	s_mul_hi_u32 s71, s8, s19
	s_mul_i32 s8, s8, s19
	s_mul_hi_u32 s97, s7, s19
	s_add_u32 s8, s68, s8
	s_addc_u32 s68, 0, s71
	s_add_u32 s8, s8, s26
	s_mul_i32 s19, s7, s19
	s_addc_u32 s8, s68, s96
	s_addc_u32 s26, s97, 0
	s_add_u32 s8, s8, s19
	s_addc_u32 s19, 0, s26
	v_add_co_u32 v2, s8, v2, s8
	s_delay_alu instid0(VALU_DEP_1) | instskip(SKIP_1) | instid1(VALU_DEP_1)
	s_cmp_lg_u32 s8, 0
	s_addc_u32 s7, s7, s19
	v_readfirstlane_b32 s8, v2
	s_mul_i32 s19, s9, s7
	s_delay_alu instid0(VALU_DEP_1)
	s_mul_hi_u32 s26, s9, s8
	s_mul_i32 s18, s18, s8
	s_add_i32 s19, s26, s19
	s_mul_i32 s9, s9, s8
	s_add_i32 s19, s19, s18
	s_mul_hi_u32 s26, s7, s9
	s_mul_i32 s68, s7, s9
	s_mul_hi_u32 s9, s8, s9
	s_mul_hi_u32 s71, s8, s19
	s_mul_i32 s8, s8, s19
	s_mul_hi_u32 s18, s7, s19
	s_add_u32 s8, s9, s8
	s_addc_u32 s9, 0, s71
	s_add_u32 s8, s8, s68
	s_mul_i32 s19, s7, s19
	s_addc_u32 s8, s9, s26
	s_addc_u32 s9, s18, 0
	s_add_u32 s8, s8, s19
	s_addc_u32 s9, 0, s9
	v_add_co_u32 v2, s8, v2, s8
	s_delay_alu instid0(VALU_DEP_1) | instskip(SKIP_1) | instid1(VALU_DEP_1)
	s_cmp_lg_u32 s8, 0
	s_addc_u32 s7, s7, s9
	v_readfirstlane_b32 s8, v2
	s_mul_i32 s18, s76, s7
	s_mul_hi_u32 s9, s76, s7
	s_mul_hi_u32 s19, s27, s7
	s_mul_i32 s7, s27, s7
	s_mul_hi_u32 s26, s76, s8
	s_mul_hi_u32 s68, s27, s8
	s_mul_i32 s8, s27, s8
	s_add_u32 s18, s26, s18
	s_addc_u32 s9, 0, s9
	s_add_u32 s8, s18, s8
	s_addc_u32 s8, s9, s68
	s_addc_u32 s9, s19, 0
	s_add_u32 s7, s8, s7
	s_addc_u32 s8, 0, s9
	s_mul_hi_u32 s9, s51, s7
	s_mul_i32 s7, s51, s7
	s_mul_i32 s8, s51, s8
	v_sub_co_u32 v2, s7, s76, s7
	s_add_i32 s9, s9, s8
	s_cmp_lg_u32 s7, 0
	s_delay_alu instid0(VALU_DEP_1) | instskip(SKIP_2) | instid1(VALU_DEP_1)
	v_sub_co_u32 v4, s7, v2, s51
	s_subb_u32 s8, s27, s9
	s_cmp_lg_u32 s7, 0
	v_cmp_le_u32_e32 vcc_lo, s51, v4
	v_sub_co_u32 v5, s7, v4, s51
	s_subb_u32 s9, s8, 0
	s_cmp_lg_u32 s7, 0
	v_cndmask_b32_e64 v6, 0, -1, vcc_lo
	s_subb_u32 s7, s9, 0
	s_cmp_eq_u32 s9, 0
	v_mov_b32_e32 v10, s7
	s_cselect_b32 vcc_lo, -1, 0
	s_cmp_eq_u32 s8, 0
	v_cndmask_b32_e32 v6, -1, v6, vcc_lo
	v_cmp_le_u32_e32 vcc_lo, s51, v2
	s_cselect_b32 s7, -1, 0
	v_cndmask_b32_e64 v7, 0, -1, vcc_lo
	s_delay_alu instid0(VALU_DEP_3) | instskip(NEXT) | instid1(VALU_DEP_2)
	v_cmp_ne_u32_e32 vcc_lo, 0, v6
	v_cndmask_b32_e64 v6, -1, v7, s7
	v_cndmask_b32_e32 v7, s9, v10, vcc_lo
	v_cndmask_b32_e32 v4, v4, v5, vcc_lo
	s_delay_alu instid0(VALU_DEP_3) | instskip(NEXT) | instid1(VALU_DEP_3)
	v_cmp_ne_u32_e32 vcc_lo, 0, v6
	v_cndmask_b32_e32 v5, s8, v7, vcc_lo
	s_delay_alu instid0(VALU_DEP_3)
	v_cndmask_b32_e32 v4, v2, v4, vcc_lo
	s_cbranch_execnz .LBB183_397
.LBB183_396:                            ;   in Loop: Header=BB183_12 Depth=1
	v_cvt_f32_u32_e32 v2, s51
	s_sub_i32 s7, 0, s51
	s_delay_alu instid0(VALU_DEP_1) | instskip(SKIP_2) | instid1(VALU_DEP_1)
	v_rcp_iflag_f32_e32 v2, v2
	s_waitcnt_depctr 0xfff
	v_mul_f32_e32 v2, 0x4f7ffffe, v2
	v_cvt_u32_f32_e32 v2, v2
	s_delay_alu instid0(VALU_DEP_1) | instskip(NEXT) | instid1(VALU_DEP_1)
	v_mul_lo_u32 v4, s7, v2
	v_mul_hi_u32 v4, v2, v4
	s_delay_alu instid0(VALU_DEP_1) | instskip(NEXT) | instid1(VALU_DEP_1)
	v_add_nc_u32_e32 v2, v2, v4
	v_mul_hi_u32 v2, s76, v2
	s_delay_alu instid0(VALU_DEP_1) | instskip(NEXT) | instid1(VALU_DEP_1)
	v_mul_lo_u32 v2, v2, s51
	v_sub_nc_u32_e32 v2, s76, v2
	s_delay_alu instid0(VALU_DEP_1) | instskip(SKIP_1) | instid1(VALU_DEP_2)
	v_subrev_nc_u32_e32 v4, s51, v2
	v_cmp_le_u32_e32 vcc_lo, s51, v2
	v_cndmask_b32_e32 v2, v2, v4, vcc_lo
	s_delay_alu instid0(VALU_DEP_1) | instskip(SKIP_1) | instid1(VALU_DEP_2)
	v_subrev_nc_u32_e32 v4, s51, v2
	v_cmp_le_u32_e32 vcc_lo, s51, v2
	v_cndmask_b32_e32 v18, v2, v4, vcc_lo
	s_delay_alu instid0(VALU_DEP_1)
	v_dual_mov_b32 v4, v18 :: v_dual_mov_b32 v5, v19
.LBB183_397:                            ;   in Loop: Header=BB183_12 Depth=1
	s_delay_alu instid0(VALU_DEP_1) | instskip(NEXT) | instid1(VALU_DEP_2)
	v_sub_co_u32 v10, vcc_lo, s76, v4
	v_sub_co_ci_u32_e32 v11, vcc_lo, s27, v5, vcc_lo
	s_mov_b32 s7, 0
	s_mov_b32 s8, exec_lo
                                        ; implicit-def: $vgpr6_vgpr7
	s_delay_alu instid0(VALU_DEP_1)
	v_cmpx_gt_u64_e64 v[10:11], v[0:1]
	s_cbranch_execz .LBB183_406
; %bb.398:                              ;   in Loop: Header=BB183_12 Depth=1
	v_dual_mov_b32 v13, v1 :: v_dual_mov_b32 v12, v0
	s_mov_b32 s18, 0
                                        ; implicit-def: $sgpr9
	s_branch .LBB183_400
.LBB183_399:                            ;   in Loop: Header=BB183_400 Depth=2
	s_or_b32 exec_lo, exec_lo, s7
	s_waitcnt vmcnt(0) lgkmcnt(0)
	s_barrier
	buffer_gl0_inv
	ds_load_b128 v[4:7], v19 offset:3072
	v_add_co_u32 v12, s7, v12, s51
	s_delay_alu instid0(VALU_DEP_1)
	v_add_co_ci_u32_e64 v13, s7, 0, v13, s7
	s_waitcnt lgkmcnt(0)
	s_barrier
	buffer_gl0_inv
	v_cmp_ge_u64_e64 s7, v[12:13], v[10:11]
	v_cmp_neq_f64_e32 vcc_lo, 0, v[4:5]
	s_delay_alu instid0(VALU_DEP_2) | instskip(NEXT) | instid1(SALU_CYCLE_1)
	s_or_b32 s7, s7, vcc_lo
	s_and_b32 s7, exec_lo, s7
	s_delay_alu instid0(SALU_CYCLE_1) | instskip(SKIP_2) | instid1(SALU_CYCLE_1)
	s_or_b32 s18, s7, s18
	s_and_not1_b32 s7, s9, exec_lo
	s_and_b32 s9, vcc_lo, exec_lo
	s_or_b32 s9, s7, s9
	s_and_not1_b32 exec_lo, exec_lo, s18
	s_cbranch_execz .LBB183_405
.LBB183_400:                            ;   Parent Loop BB183_12 Depth=1
                                        ; =>  This Inner Loop Header: Depth=2
	s_delay_alu instid0(VALU_DEP_1)
	v_cmp_gt_u64_e32 vcc_lo, s[36:37], v[12:13]
	v_mov_b32_e32 v4, 0
	v_mov_b32_e32 v5, 0
	s_and_saveexec_b32 s19, vcc_lo
	s_cbranch_execz .LBB183_402
; %bb.401:                              ;   in Loop: Header=BB183_400 Depth=2
	v_mul_lo_u32 v2, v13, s30
	v_mul_lo_u32 v6, v12, s31
	v_mad_u64_u32 v[4:5], null, v12, s30, 0
	s_delay_alu instid0(VALU_DEP_1) | instskip(NEXT) | instid1(VALU_DEP_1)
	v_add3_u32 v5, v5, v6, v2
	v_lshlrev_b64 v[4:5], 3, v[4:5]
	s_delay_alu instid0(VALU_DEP_1) | instskip(NEXT) | instid1(VALU_DEP_1)
	v_add_co_u32 v4, s7, s33, v4
	v_add_co_ci_u32_e64 v5, s7, s35, v5, s7
	global_load_b64 v[4:5], v[4:5], off
.LBB183_402:                            ;   in Loop: Header=BB183_400 Depth=2
	s_or_b32 exec_lo, exec_lo, s19
	s_and_saveexec_b32 s7, vcc_lo
	s_cbranch_execz .LBB183_399
; %bb.403:                              ;   in Loop: Header=BB183_400 Depth=2
	s_waitcnt vmcnt(0)
	v_cmp_o_f64_e32 vcc_lo, v[4:5], v[4:5]
	v_ashrrev_i32_e32 v2, 31, v5
	s_delay_alu instid0(VALU_DEP_1) | instskip(SKIP_1) | instid1(VALU_DEP_2)
	v_or_b32_e32 v6, 0x80000000, v2
	v_xor_b32_e32 v2, v2, v4
	v_xor_b32_e32 v6, v6, v5
	s_delay_alu instid0(VALU_DEP_1) | instskip(NEXT) | instid1(VALU_DEP_1)
	v_cndmask_b32_e32 v6, -1, v6, vcc_lo
	v_dual_cndmask_b32 v2, -1, v2 :: v_dual_and_b32 v7, v6, v23
	s_delay_alu instid0(VALU_DEP_1) | instskip(NEXT) | instid1(VALU_DEP_1)
	v_and_b32_e32 v6, v2, v22
	v_cmp_eq_u64_e32 vcc_lo, v[6:7], v[24:25]
	s_and_b32 exec_lo, exec_lo, vcc_lo
	s_cbranch_execz .LBB183_399
; %bb.404:                              ;   in Loop: Header=BB183_400 Depth=2
	v_mov_b32_e32 v2, v19
	ds_store_b128 v19, v[2:5] offset:3072
	s_branch .LBB183_399
.LBB183_405:                            ;   in Loop: Header=BB183_12 Depth=1
	s_or_b32 exec_lo, exec_lo, s18
	s_delay_alu instid0(SALU_CYCLE_1)
	s_and_b32 s7, s9, exec_lo
.LBB183_406:                            ;   in Loop: Header=BB183_12 Depth=1
	s_or_b32 exec_lo, exec_lo, s8
	s_mov_b32 s19, 0
	s_mov_b32 s18, -1
	s_mov_b32 s68, 0
.LBB183_407:                            ;   in Loop: Header=BB183_12 Depth=1
	s_or_not1_b32 s7, s7, exec_lo
.LBB183_408:                            ;   in Loop: Header=BB183_12 Depth=1
	s_or_b32 exec_lo, exec_lo, s69
	s_mov_b32 s26, 0
                                        ; implicit-def: $vgpr2
	s_and_saveexec_b32 s69, s7
	s_cbranch_execz .LBB183_473
; %bb.409:                              ;   in Loop: Header=BB183_12 Depth=1
	v_mov_b32_e32 v10, 1
	v_dual_mov_b32 v11, 0 :: v_dual_mov_b32 v2, 1
	s_xor_b32 s8, s70, -1
	s_delay_alu instid0(SALU_CYCLE_1)
	s_and_saveexec_b32 s7, s8
	s_cbranch_execz .LBB183_419
; %bb.410:                              ;   in Loop: Header=BB183_12 Depth=1
	s_mov_b32 s9, exec_lo
                                        ; implicit-def: $sgpr26
                                        ; implicit-def: $sgpr8
	v_cmpx_ge_u64_e64 s[16:17], v[8:9]
	s_xor_b32 s9, exec_lo, s9
	s_cbranch_execz .LBB183_416
; %bb.411:                              ;   in Loop: Header=BB183_12 Depth=1
	ds_load_b64 v[4:5], v19 offset:5120
	s_waitcnt lgkmcnt(0)
	v_cmp_ne_u64_e32 vcc_lo, 0, v[4:5]
	s_cbranch_vccnz .LBB183_415
; %bb.412:                              ;   in Loop: Header=BB183_12 Depth=1
	s_and_saveexec_b32 s8, s5
	s_cbranch_execz .LBB183_414
; %bb.413:                              ;   in Loop: Header=BB183_12 Depth=1
	v_dual_mov_b32 v4, s16 :: v_dual_mov_b32 v5, s17
	ds_store_b64 v19, v[4:5] offset:5128
.LBB183_414:                            ;   in Loop: Header=BB183_12 Depth=1
	s_or_b32 exec_lo, exec_lo, s8
	s_waitcnt lgkmcnt(0)
	s_barrier
	buffer_gl0_inv
.LBB183_415:                            ;   in Loop: Header=BB183_12 Depth=1
	v_and_b32_e32 v2, s15, v25
	v_and_b32_e32 v4, s14, v24
	s_lshl_b64 s[70:71], 1, s24
	v_or_b32_e32 v23, s13, v23
	v_or_b32_e32 v22, s12, v22
	;; [unrolled: 1-line block ×4, first 2 shown]
	s_mov_b32 s8, 0
	s_mov_b32 s26, 5
.LBB183_416:                            ;   in Loop: Header=BB183_12 Depth=1
	s_or_saveexec_b32 s9, s9
	v_mov_b32_e32 v2, s26
	s_xor_b32 exec_lo, exec_lo, s9
; %bb.417:                              ;   in Loop: Header=BB183_12 Depth=1
	v_sub_co_u32 v8, vcc_lo, v8, s16
	v_subrev_co_ci_u32_e32 v9, vcc_lo, s17, v9, vcc_lo
	v_mov_b32_e32 v2, 0
	s_or_b32 s8, s8, exec_lo
; %bb.418:                              ;   in Loop: Header=BB183_12 Depth=1
	s_or_b32 exec_lo, exec_lo, s9
	s_delay_alu instid0(VALU_DEP_2)
	v_dual_mov_b32 v11, v9 :: v_dual_mov_b32 v10, v8
	s_and_b32 s26, s8, exec_lo
.LBB183_419:                            ;   in Loop: Header=BB183_12 Depth=1
	s_or_b32 exec_lo, exec_lo, s7
	s_mov_b32 s16, -1
                                        ; implicit-def: $sgpr7
                                        ; implicit-def: $sgpr8
                                        ; implicit-def: $sgpr9
	s_and_saveexec_b32 s24, s26
	s_cbranch_execz .LBB183_472
; %bb.420:                              ;   in Loop: Header=BB183_12 Depth=1
	v_cmp_eq_u64_e32 vcc_lo, 1, v[10:11]
	s_cmp_eq_u64 s[10:11], 1
	s_mov_b32 s17, -1
	s_cselect_b32 s7, -1, 0
                                        ; implicit-def: $sgpr8
                                        ; implicit-def: $sgpr9
	s_delay_alu instid0(SALU_CYCLE_1) | instskip(NEXT) | instid1(SALU_CYCLE_1)
	s_and_b32 s70, s7, vcc_lo
                                        ; implicit-def: $sgpr7
	s_and_saveexec_b32 s71, s70
	s_cbranch_execz .LBB183_459
; %bb.421:                              ;   in Loop: Header=BB183_12 Depth=1
	ds_load_b64 v[4:5], v19 offset:5120
	s_waitcnt lgkmcnt(0)
	s_barrier
	buffer_gl0_inv
	v_readfirstlane_b32 s8, v4
	v_readfirstlane_b32 s9, v5
	s_and_saveexec_b32 s7, s6
	s_cbranch_execz .LBB183_423
; %bb.422:                              ;   in Loop: Header=BB183_12 Depth=1
	v_mov_b32_e32 v18, v19
	ds_store_b64 v38, v[18:19]
.LBB183_423:                            ;   in Loop: Header=BB183_12 Depth=1
	s_or_b32 exec_lo, exec_lo, s7
	v_and_b32_e32 v25, s15, v25
	v_and_b32_e32 v24, s14, v24
	v_or_b32_e32 v23, s13, v23
	v_or_b32_e32 v22, s12, v22
	s_cmp_eq_u64 s[8:9], 0
	s_waitcnt lgkmcnt(0)
	s_barrier
	buffer_gl0_inv
	s_cbranch_scc1 .LBB183_428
; %bb.424:                              ;   in Loop: Header=BB183_12 Depth=1
	s_add_u32 s26, s74, s8
	s_addc_u32 s17, s75, s9
	s_mov_b32 s16, s59
	s_delay_alu instid0(SALU_CYCLE_1)
	s_cmp_lg_u64 s[16:17], 0
	s_cbranch_scc0 .LBB183_429
; %bb.425:                              ;   in Loop: Header=BB183_12 Depth=1
	v_cvt_f32_u32_e32 v2, s51
	s_sub_u32 s96, 0, s51
	s_subb_u32 s97, 0, 0
	s_delay_alu instid0(VALU_DEP_1) | instskip(NEXT) | instid1(VALU_DEP_1)
	v_fmac_f32_e64 v2, 0, 0x4f800000
	v_rcp_f32_e32 v2, v2
	s_waitcnt_depctr 0xfff
	v_mul_f32_e32 v2, 0x5f7ffffc, v2
	s_delay_alu instid0(VALU_DEP_1) | instskip(NEXT) | instid1(VALU_DEP_1)
	v_mul_f32_e32 v4, 0x2f800000, v2
	v_trunc_f32_e32 v4, v4
	s_delay_alu instid0(VALU_DEP_1) | instskip(SKIP_1) | instid1(VALU_DEP_2)
	v_fmac_f32_e32 v2, 0xcf800000, v4
	v_cvt_u32_f32_e32 v4, v4
	v_cvt_u32_f32_e32 v2, v2
	s_delay_alu instid0(VALU_DEP_2) | instskip(NEXT) | instid1(VALU_DEP_2)
	v_readfirstlane_b32 s7, v4
	v_readfirstlane_b32 s16, v2
	s_delay_alu instid0(VALU_DEP_2) | instskip(NEXT) | instid1(VALU_DEP_1)
	s_mul_i32 s98, s96, s7
	s_mul_hi_u32 s100, s96, s16
	s_mul_i32 s99, s97, s16
	s_add_i32 s98, s100, s98
	s_mul_i32 s101, s96, s16
	s_add_i32 s98, s98, s99
	s_mul_hi_u32 s100, s16, s101
	s_mul_hi_u32 s102, s7, s101
	s_mul_i32 s99, s7, s101
	s_mul_hi_u32 s101, s16, s98
	s_mul_i32 s16, s16, s98
	s_mul_hi_u32 s103, s7, s98
	s_add_u32 s16, s100, s16
	s_addc_u32 s100, 0, s101
	s_add_u32 s16, s16, s99
	s_mul_i32 s98, s7, s98
	s_addc_u32 s16, s100, s102
	s_addc_u32 s99, s103, 0
	s_add_u32 s16, s16, s98
	s_addc_u32 s98, 0, s99
	v_add_co_u32 v2, s16, v2, s16
	s_delay_alu instid0(VALU_DEP_1) | instskip(SKIP_1) | instid1(VALU_DEP_1)
	s_cmp_lg_u32 s16, 0
	s_addc_u32 s7, s7, s98
	v_readfirstlane_b32 s16, v2
	s_mul_i32 s98, s96, s7
	s_delay_alu instid0(VALU_DEP_1)
	s_mul_hi_u32 s99, s96, s16
	s_mul_i32 s97, s97, s16
	s_add_i32 s98, s99, s98
	s_mul_i32 s96, s96, s16
	s_add_i32 s98, s98, s97
	s_mul_hi_u32 s99, s7, s96
	s_mul_i32 s100, s7, s96
	s_mul_hi_u32 s96, s16, s96
	s_mul_hi_u32 s101, s16, s98
	s_mul_i32 s16, s16, s98
	s_mul_hi_u32 s97, s7, s98
	s_add_u32 s16, s96, s16
	s_addc_u32 s96, 0, s101
	s_add_u32 s16, s16, s100
	s_mul_i32 s98, s7, s98
	s_addc_u32 s16, s96, s99
	s_addc_u32 s96, s97, 0
	s_add_u32 s16, s16, s98
	s_addc_u32 s96, 0, s96
	v_add_co_u32 v2, s16, v2, s16
	s_delay_alu instid0(VALU_DEP_1) | instskip(SKIP_1) | instid1(VALU_DEP_1)
	s_cmp_lg_u32 s16, 0
	s_addc_u32 s7, s7, s96
	v_readfirstlane_b32 s16, v2
	s_mul_i32 s97, s26, s7
	s_mul_hi_u32 s96, s26, s7
	s_mul_hi_u32 s98, s17, s7
	s_mul_i32 s7, s17, s7
	s_mul_hi_u32 s99, s26, s16
	s_mul_hi_u32 s100, s17, s16
	s_mul_i32 s16, s17, s16
	s_add_u32 s97, s99, s97
	s_addc_u32 s96, 0, s96
	s_add_u32 s16, s97, s16
	s_addc_u32 s16, s96, s100
	s_addc_u32 s96, s98, 0
	s_add_u32 s7, s16, s7
	s_addc_u32 s16, 0, s96
	s_mul_hi_u32 s96, s51, s7
	s_mul_i32 s7, s51, s7
	s_mul_i32 s16, s51, s16
	v_sub_co_u32 v2, s7, s26, s7
	s_add_i32 s96, s96, s16
	s_cmp_lg_u32 s7, 0
	s_delay_alu instid0(VALU_DEP_1) | instskip(SKIP_2) | instid1(VALU_DEP_1)
	v_sub_co_u32 v4, s7, v2, s51
	s_subb_u32 s16, s17, s96
	s_cmp_lg_u32 s7, 0
	v_cmp_le_u32_e32 vcc_lo, s51, v4
	v_sub_co_u32 v5, s7, v4, s51
	s_subb_u32 s96, s16, 0
	s_cmp_lg_u32 s7, 0
	v_cndmask_b32_e64 v6, 0, -1, vcc_lo
	s_subb_u32 s7, s96, 0
	s_cmp_eq_u32 s96, 0
	v_mov_b32_e32 v8, s7
	s_cselect_b32 vcc_lo, -1, 0
	s_cmp_eq_u32 s16, 0
	v_cndmask_b32_e32 v6, -1, v6, vcc_lo
	v_cmp_le_u32_e32 vcc_lo, s51, v2
	s_cselect_b32 s7, -1, 0
	v_cndmask_b32_e64 v7, 0, -1, vcc_lo
	s_delay_alu instid0(VALU_DEP_3) | instskip(NEXT) | instid1(VALU_DEP_2)
	v_cmp_ne_u32_e32 vcc_lo, 0, v6
	v_cndmask_b32_e64 v6, -1, v7, s7
	v_cndmask_b32_e32 v7, s96, v8, vcc_lo
	v_cndmask_b32_e32 v4, v4, v5, vcc_lo
	s_mov_b32 s7, 0
	s_delay_alu instid0(VALU_DEP_3) | instskip(NEXT) | instid1(VALU_DEP_3)
	v_cmp_ne_u32_e32 vcc_lo, 0, v6
	v_cndmask_b32_e32 v5, s16, v7, vcc_lo
	s_delay_alu instid0(VALU_DEP_3)
	v_cndmask_b32_e32 v4, v2, v4, vcc_lo
	s_branch .LBB183_430
.LBB183_426:                            ;   in Loop: Header=BB183_12 Depth=1
                                        ; implicit-def: $vgpr4_vgpr5
	s_branch .LBB183_380
.LBB183_427:                            ;   in Loop: Header=BB183_12 Depth=1
                                        ; implicit-def: $vgpr4_vgpr5
	s_branch .LBB183_396
.LBB183_428:                            ;   in Loop: Header=BB183_12 Depth=1
	s_mov_b32 s7, -1
	s_mov_b32 s17, 0
                                        ; implicit-def: $sgpr8
                                        ; implicit-def: $vgpr6_vgpr7
	s_branch .LBB183_442
.LBB183_429:                            ;   in Loop: Header=BB183_12 Depth=1
	s_mov_b32 s7, -1
                                        ; implicit-def: $vgpr4_vgpr5
.LBB183_430:                            ;   in Loop: Header=BB183_12 Depth=1
	s_delay_alu instid0(SALU_CYCLE_1)
	s_and_not1_b32 vcc_lo, exec_lo, s7
	s_cbranch_vccnz .LBB183_432
; %bb.431:                              ;   in Loop: Header=BB183_12 Depth=1
	v_cvt_f32_u32_e32 v2, s51
	s_sub_i32 s7, 0, s51
	s_delay_alu instid0(VALU_DEP_1) | instskip(SKIP_2) | instid1(VALU_DEP_1)
	v_rcp_iflag_f32_e32 v2, v2
	s_waitcnt_depctr 0xfff
	v_mul_f32_e32 v2, 0x4f7ffffe, v2
	v_cvt_u32_f32_e32 v2, v2
	s_delay_alu instid0(VALU_DEP_1) | instskip(NEXT) | instid1(VALU_DEP_1)
	v_mul_lo_u32 v4, s7, v2
	v_mul_hi_u32 v4, v2, v4
	s_delay_alu instid0(VALU_DEP_1) | instskip(NEXT) | instid1(VALU_DEP_1)
	v_add_nc_u32_e32 v2, v2, v4
	v_mul_hi_u32 v2, s26, v2
	s_delay_alu instid0(VALU_DEP_1) | instskip(NEXT) | instid1(VALU_DEP_1)
	v_mul_lo_u32 v2, v2, s51
	v_sub_nc_u32_e32 v2, s26, v2
	s_delay_alu instid0(VALU_DEP_1) | instskip(SKIP_1) | instid1(VALU_DEP_2)
	v_subrev_nc_u32_e32 v4, s51, v2
	v_cmp_le_u32_e32 vcc_lo, s51, v2
	v_cndmask_b32_e32 v2, v2, v4, vcc_lo
	s_delay_alu instid0(VALU_DEP_1) | instskip(SKIP_1) | instid1(VALU_DEP_2)
	v_subrev_nc_u32_e32 v4, s51, v2
	v_cmp_le_u32_e32 vcc_lo, s51, v2
	v_cndmask_b32_e32 v18, v2, v4, vcc_lo
	s_delay_alu instid0(VALU_DEP_1)
	v_dual_mov_b32 v4, v18 :: v_dual_mov_b32 v5, v19
.LBB183_432:                            ;   in Loop: Header=BB183_12 Depth=1
	s_delay_alu instid0(VALU_DEP_1) | instskip(NEXT) | instid1(VALU_DEP_2)
	v_sub_co_u32 v8, vcc_lo, s26, v4
	v_sub_co_ci_u32_e32 v9, vcc_lo, s17, v5, vcc_lo
	s_mov_b32 s17, 0
	s_mov_b32 s16, exec_lo
                                        ; implicit-def: $vgpr6_vgpr7
	s_delay_alu instid0(VALU_DEP_1)
	v_cmpx_gt_u64_e64 v[8:9], v[0:1]
	s_cbranch_execz .LBB183_441
; %bb.433:                              ;   in Loop: Header=BB183_12 Depth=1
	v_mov_b32_e32 v14, v37
	v_dual_mov_b32 v13, v1 :: v_dual_mov_b32 v12, v0
	s_mov_b32 s26, 0
                                        ; implicit-def: $sgpr17
	s_set_inst_prefetch_distance 0x1
	s_branch .LBB183_435
	.p2align	6
.LBB183_434:                            ;   in Loop: Header=BB183_435 Depth=2
	s_or_b32 exec_lo, exec_lo, s7
	s_waitcnt lgkmcnt(0)
	s_barrier
	buffer_gl0_inv
	ds_load_b128 v[4:7], v19 offset:3072
	v_add_co_u32 v12, s7, v12, s51
	s_delay_alu instid0(VALU_DEP_1) | instskip(SKIP_3) | instid1(VALU_DEP_2)
	v_add_co_ci_u32_e64 v13, s7, 0, v13, s7
	v_add_nc_u32_e32 v14, s82, v14
	s_waitcnt lgkmcnt(0)
	s_barrier
	v_cmp_ge_u64_e64 s7, v[12:13], v[8:9]
	buffer_gl0_inv
	v_cmp_neq_f64_e32 vcc_lo, 0, v[4:5]
	s_or_b32 s7, s7, vcc_lo
	s_delay_alu instid0(SALU_CYCLE_1) | instskip(NEXT) | instid1(SALU_CYCLE_1)
	s_and_b32 s7, exec_lo, s7
	s_or_b32 s26, s7, s26
	s_and_not1_b32 s7, s17, exec_lo
	s_and_b32 s17, vcc_lo, exec_lo
	s_delay_alu instid0(SALU_CYCLE_1)
	s_or_b32 s17, s7, s17
	s_and_not1_b32 exec_lo, exec_lo, s26
	s_cbranch_execz .LBB183_440
.LBB183_435:                            ;   Parent Loop BB183_12 Depth=1
                                        ; =>  This Inner Loop Header: Depth=2
	s_delay_alu instid0(VALU_DEP_1)
	v_cmp_gt_u64_e32 vcc_lo, s[8:9], v[12:13]
	v_mov_b32_e32 v4, 0
	v_mov_b32_e32 v5, 0
	s_and_saveexec_b32 s7, vcc_lo
	s_cbranch_execz .LBB183_437
; %bb.436:                              ;   in Loop: Header=BB183_435 Depth=2
	ds_load_b64 v[4:5], v14
.LBB183_437:                            ;   in Loop: Header=BB183_435 Depth=2
	s_or_b32 exec_lo, exec_lo, s7
	s_and_saveexec_b32 s7, vcc_lo
	s_cbranch_execz .LBB183_434
; %bb.438:                              ;   in Loop: Header=BB183_435 Depth=2
	s_waitcnt lgkmcnt(0)
	v_cmp_o_f64_e32 vcc_lo, v[4:5], v[4:5]
	v_ashrrev_i32_e32 v2, 31, v5
	s_delay_alu instid0(VALU_DEP_1) | instskip(SKIP_1) | instid1(VALU_DEP_2)
	v_or_b32_e32 v6, 0x80000000, v2
	v_xor_b32_e32 v2, v2, v4
	v_xor_b32_e32 v6, v6, v5
	s_delay_alu instid0(VALU_DEP_1) | instskip(NEXT) | instid1(VALU_DEP_1)
	v_cndmask_b32_e32 v6, -1, v6, vcc_lo
	v_dual_cndmask_b32 v2, -1, v2 :: v_dual_and_b32 v7, v6, v23
	s_delay_alu instid0(VALU_DEP_1) | instskip(NEXT) | instid1(VALU_DEP_1)
	v_and_b32_e32 v6, v2, v22
	v_cmp_eq_u64_e32 vcc_lo, v[6:7], v[24:25]
	s_and_b32 exec_lo, exec_lo, vcc_lo
	s_cbranch_execz .LBB183_434
; %bb.439:                              ;   in Loop: Header=BB183_435 Depth=2
	v_mov_b32_e32 v2, v19
	ds_store_b128 v19, v[2:5] offset:3072
	s_branch .LBB183_434
.LBB183_440:                            ;   in Loop: Header=BB183_12 Depth=1
	s_set_inst_prefetch_distance 0x2
	s_or_b32 exec_lo, exec_lo, s26
	s_delay_alu instid0(SALU_CYCLE_1)
	s_and_b32 s17, s17, exec_lo
.LBB183_441:                            ;   in Loop: Header=BB183_12 Depth=1
	s_or_b32 exec_lo, exec_lo, s16
	s_mov_b32 s7, 0
	s_mov_b32 s8, -1
.LBB183_442:                            ;   in Loop: Header=BB183_12 Depth=1
	s_and_b32 vcc_lo, exec_lo, s7
	s_mov_b32 s9, s7
	s_cbranch_vccz .LBB183_458
; %bb.443:                              ;   in Loop: Header=BB183_12 Depth=1
	s_mov_b32 s26, s59
	s_delay_alu instid0(SALU_CYCLE_1)
	s_cmp_lg_u64 s[26:27], 0
	s_cbranch_scc0 .LBB183_445
; %bb.444:                              ;   in Loop: Header=BB183_12 Depth=1
	v_cvt_f32_u32_e32 v2, s51
	s_sub_u32 s9, 0, s51
	s_subb_u32 s16, 0, 0
	s_delay_alu instid0(VALU_DEP_1) | instskip(NEXT) | instid1(VALU_DEP_1)
	v_fmac_f32_e64 v2, 0, 0x4f800000
	v_rcp_f32_e32 v2, v2
	s_waitcnt_depctr 0xfff
	v_mul_f32_e32 v2, 0x5f7ffffc, v2
	s_delay_alu instid0(VALU_DEP_1) | instskip(NEXT) | instid1(VALU_DEP_1)
	v_mul_f32_e32 v4, 0x2f800000, v2
	v_trunc_f32_e32 v4, v4
	s_delay_alu instid0(VALU_DEP_1) | instskip(SKIP_1) | instid1(VALU_DEP_2)
	v_fmac_f32_e32 v2, 0xcf800000, v4
	v_cvt_u32_f32_e32 v4, v4
	v_cvt_u32_f32_e32 v2, v2
	s_delay_alu instid0(VALU_DEP_2) | instskip(NEXT) | instid1(VALU_DEP_2)
	v_readfirstlane_b32 s7, v4
	v_readfirstlane_b32 s8, v2
	s_delay_alu instid0(VALU_DEP_2) | instskip(NEXT) | instid1(VALU_DEP_1)
	s_mul_i32 s17, s9, s7
	s_mul_hi_u32 s96, s9, s8
	s_mul_i32 s26, s16, s8
	s_add_i32 s17, s96, s17
	s_mul_i32 s97, s9, s8
	s_add_i32 s17, s17, s26
	s_mul_hi_u32 s96, s8, s97
	s_mul_hi_u32 s98, s7, s97
	s_mul_i32 s26, s7, s97
	s_mul_hi_u32 s97, s8, s17
	s_mul_i32 s8, s8, s17
	s_mul_hi_u32 s99, s7, s17
	s_add_u32 s8, s96, s8
	s_addc_u32 s96, 0, s97
	s_add_u32 s8, s8, s26
	s_mul_i32 s17, s7, s17
	s_addc_u32 s8, s96, s98
	s_addc_u32 s26, s99, 0
	s_add_u32 s8, s8, s17
	s_addc_u32 s17, 0, s26
	v_add_co_u32 v2, s8, v2, s8
	s_delay_alu instid0(VALU_DEP_1) | instskip(SKIP_1) | instid1(VALU_DEP_1)
	s_cmp_lg_u32 s8, 0
	s_addc_u32 s7, s7, s17
	v_readfirstlane_b32 s8, v2
	s_mul_i32 s17, s9, s7
	s_delay_alu instid0(VALU_DEP_1)
	s_mul_hi_u32 s26, s9, s8
	s_mul_i32 s16, s16, s8
	s_add_i32 s17, s26, s17
	s_mul_i32 s9, s9, s8
	s_add_i32 s17, s17, s16
	s_mul_hi_u32 s26, s7, s9
	s_mul_i32 s96, s7, s9
	s_mul_hi_u32 s9, s8, s9
	s_mul_hi_u32 s97, s8, s17
	s_mul_i32 s8, s8, s17
	s_mul_hi_u32 s16, s7, s17
	s_add_u32 s8, s9, s8
	s_addc_u32 s9, 0, s97
	s_add_u32 s8, s8, s96
	s_mul_i32 s17, s7, s17
	s_addc_u32 s8, s9, s26
	s_addc_u32 s9, s16, 0
	s_add_u32 s8, s8, s17
	s_addc_u32 s9, 0, s9
	v_add_co_u32 v2, s8, v2, s8
	s_delay_alu instid0(VALU_DEP_1) | instskip(SKIP_1) | instid1(VALU_DEP_1)
	s_cmp_lg_u32 s8, 0
	s_addc_u32 s7, s7, s9
	v_readfirstlane_b32 s8, v2
	s_mul_i32 s16, s76, s7
	s_mul_hi_u32 s9, s76, s7
	s_mul_hi_u32 s17, s27, s7
	s_mul_i32 s7, s27, s7
	s_mul_hi_u32 s26, s76, s8
	s_mul_hi_u32 s96, s27, s8
	s_mul_i32 s8, s27, s8
	s_add_u32 s16, s26, s16
	s_addc_u32 s9, 0, s9
	s_add_u32 s8, s16, s8
	s_addc_u32 s8, s9, s96
	s_addc_u32 s9, s17, 0
	s_add_u32 s7, s8, s7
	s_addc_u32 s8, 0, s9
	s_mul_hi_u32 s9, s51, s7
	s_mul_i32 s7, s51, s7
	s_mul_i32 s8, s51, s8
	v_sub_co_u32 v2, s7, s76, s7
	s_add_i32 s9, s9, s8
	s_cmp_lg_u32 s7, 0
	s_delay_alu instid0(VALU_DEP_1) | instskip(SKIP_2) | instid1(VALU_DEP_1)
	v_sub_co_u32 v4, s7, v2, s51
	s_subb_u32 s8, s27, s9
	s_cmp_lg_u32 s7, 0
	v_cmp_le_u32_e32 vcc_lo, s51, v4
	v_sub_co_u32 v5, s7, v4, s51
	s_subb_u32 s9, s8, 0
	s_cmp_lg_u32 s7, 0
	v_cndmask_b32_e64 v6, 0, -1, vcc_lo
	s_subb_u32 s7, s9, 0
	s_cmp_eq_u32 s9, 0
	v_mov_b32_e32 v8, s7
	s_cselect_b32 vcc_lo, -1, 0
	s_cmp_eq_u32 s8, 0
	v_cndmask_b32_e32 v6, -1, v6, vcc_lo
	v_cmp_le_u32_e32 vcc_lo, s51, v2
	s_cselect_b32 s7, -1, 0
	v_cndmask_b32_e64 v7, 0, -1, vcc_lo
	s_delay_alu instid0(VALU_DEP_3) | instskip(NEXT) | instid1(VALU_DEP_2)
	v_cmp_ne_u32_e32 vcc_lo, 0, v6
	v_cndmask_b32_e64 v6, -1, v7, s7
	v_cndmask_b32_e32 v7, s9, v8, vcc_lo
	v_cndmask_b32_e32 v4, v4, v5, vcc_lo
	s_mov_b32 s7, 0
	s_delay_alu instid0(VALU_DEP_3) | instskip(NEXT) | instid1(VALU_DEP_3)
	v_cmp_ne_u32_e32 vcc_lo, 0, v6
	v_cndmask_b32_e32 v5, s8, v7, vcc_lo
	s_delay_alu instid0(VALU_DEP_3)
	v_cndmask_b32_e32 v4, v2, v4, vcc_lo
	s_branch .LBB183_446
.LBB183_445:                            ;   in Loop: Header=BB183_12 Depth=1
	s_mov_b32 s7, -1
                                        ; implicit-def: $vgpr4_vgpr5
.LBB183_446:                            ;   in Loop: Header=BB183_12 Depth=1
	s_delay_alu instid0(SALU_CYCLE_1)
	s_and_not1_b32 vcc_lo, exec_lo, s7
	s_cbranch_vccnz .LBB183_448
; %bb.447:                              ;   in Loop: Header=BB183_12 Depth=1
	v_cvt_f32_u32_e32 v2, s51
	s_sub_i32 s7, 0, s51
	s_delay_alu instid0(VALU_DEP_1) | instskip(SKIP_2) | instid1(VALU_DEP_1)
	v_rcp_iflag_f32_e32 v2, v2
	s_waitcnt_depctr 0xfff
	v_mul_f32_e32 v2, 0x4f7ffffe, v2
	v_cvt_u32_f32_e32 v2, v2
	s_delay_alu instid0(VALU_DEP_1) | instskip(NEXT) | instid1(VALU_DEP_1)
	v_mul_lo_u32 v4, s7, v2
	v_mul_hi_u32 v4, v2, v4
	s_delay_alu instid0(VALU_DEP_1) | instskip(NEXT) | instid1(VALU_DEP_1)
	v_add_nc_u32_e32 v2, v2, v4
	v_mul_hi_u32 v2, s76, v2
	s_delay_alu instid0(VALU_DEP_1) | instskip(NEXT) | instid1(VALU_DEP_1)
	v_mul_lo_u32 v2, v2, s51
	v_sub_nc_u32_e32 v2, s76, v2
	s_delay_alu instid0(VALU_DEP_1) | instskip(SKIP_1) | instid1(VALU_DEP_2)
	v_subrev_nc_u32_e32 v4, s51, v2
	v_cmp_le_u32_e32 vcc_lo, s51, v2
	v_cndmask_b32_e32 v2, v2, v4, vcc_lo
	s_delay_alu instid0(VALU_DEP_1) | instskip(SKIP_1) | instid1(VALU_DEP_2)
	v_subrev_nc_u32_e32 v4, s51, v2
	v_cmp_le_u32_e32 vcc_lo, s51, v2
	v_cndmask_b32_e32 v18, v2, v4, vcc_lo
	s_delay_alu instid0(VALU_DEP_1)
	v_dual_mov_b32 v4, v18 :: v_dual_mov_b32 v5, v19
.LBB183_448:                            ;   in Loop: Header=BB183_12 Depth=1
	s_delay_alu instid0(VALU_DEP_1) | instskip(NEXT) | instid1(VALU_DEP_2)
	v_sub_co_u32 v8, vcc_lo, s76, v4
	v_sub_co_ci_u32_e32 v9, vcc_lo, s27, v5, vcc_lo
	s_mov_b32 s17, 0
	s_mov_b32 s8, exec_lo
                                        ; implicit-def: $vgpr6_vgpr7
	s_delay_alu instid0(VALU_DEP_1)
	v_cmpx_gt_u64_e64 v[8:9], v[0:1]
	s_cbranch_execz .LBB183_457
; %bb.449:                              ;   in Loop: Header=BB183_12 Depth=1
	v_dual_mov_b32 v13, v1 :: v_dual_mov_b32 v12, v0
	s_mov_b32 s16, 0
                                        ; implicit-def: $sgpr9
	s_branch .LBB183_451
.LBB183_450:                            ;   in Loop: Header=BB183_451 Depth=2
	s_or_b32 exec_lo, exec_lo, s7
	s_waitcnt vmcnt(0) lgkmcnt(0)
	s_barrier
	buffer_gl0_inv
	ds_load_b128 v[4:7], v19 offset:3072
	v_add_co_u32 v12, s7, v12, s51
	s_delay_alu instid0(VALU_DEP_1)
	v_add_co_ci_u32_e64 v13, s7, 0, v13, s7
	s_waitcnt lgkmcnt(0)
	s_barrier
	buffer_gl0_inv
	v_cmp_ge_u64_e64 s7, v[12:13], v[8:9]
	v_cmp_neq_f64_e32 vcc_lo, 0, v[4:5]
	s_delay_alu instid0(VALU_DEP_2) | instskip(NEXT) | instid1(SALU_CYCLE_1)
	s_or_b32 s7, s7, vcc_lo
	s_and_b32 s7, exec_lo, s7
	s_delay_alu instid0(SALU_CYCLE_1) | instskip(SKIP_2) | instid1(SALU_CYCLE_1)
	s_or_b32 s16, s7, s16
	s_and_not1_b32 s7, s9, exec_lo
	s_and_b32 s9, vcc_lo, exec_lo
	s_or_b32 s9, s7, s9
	s_and_not1_b32 exec_lo, exec_lo, s16
	s_cbranch_execz .LBB183_456
.LBB183_451:                            ;   Parent Loop BB183_12 Depth=1
                                        ; =>  This Inner Loop Header: Depth=2
	s_delay_alu instid0(VALU_DEP_1)
	v_cmp_gt_u64_e32 vcc_lo, s[36:37], v[12:13]
	v_mov_b32_e32 v4, 0
	v_mov_b32_e32 v5, 0
	s_and_saveexec_b32 s17, vcc_lo
	s_cbranch_execz .LBB183_453
; %bb.452:                              ;   in Loop: Header=BB183_451 Depth=2
	v_mul_lo_u32 v2, v13, s30
	v_mul_lo_u32 v6, v12, s31
	v_mad_u64_u32 v[4:5], null, v12, s30, 0
	s_delay_alu instid0(VALU_DEP_1) | instskip(NEXT) | instid1(VALU_DEP_1)
	v_add3_u32 v5, v5, v6, v2
	v_lshlrev_b64 v[4:5], 3, v[4:5]
	s_delay_alu instid0(VALU_DEP_1) | instskip(NEXT) | instid1(VALU_DEP_1)
	v_add_co_u32 v4, s7, s33, v4
	v_add_co_ci_u32_e64 v5, s7, s35, v5, s7
	global_load_b64 v[4:5], v[4:5], off
.LBB183_453:                            ;   in Loop: Header=BB183_451 Depth=2
	s_or_b32 exec_lo, exec_lo, s17
	s_and_saveexec_b32 s7, vcc_lo
	s_cbranch_execz .LBB183_450
; %bb.454:                              ;   in Loop: Header=BB183_451 Depth=2
	s_waitcnt vmcnt(0)
	v_cmp_o_f64_e32 vcc_lo, v[4:5], v[4:5]
	v_ashrrev_i32_e32 v2, 31, v5
	s_delay_alu instid0(VALU_DEP_1) | instskip(SKIP_1) | instid1(VALU_DEP_2)
	v_or_b32_e32 v6, 0x80000000, v2
	v_xor_b32_e32 v2, v2, v4
	v_xor_b32_e32 v6, v6, v5
	s_delay_alu instid0(VALU_DEP_1) | instskip(NEXT) | instid1(VALU_DEP_1)
	v_cndmask_b32_e32 v6, -1, v6, vcc_lo
	v_dual_cndmask_b32 v2, -1, v2 :: v_dual_and_b32 v7, v6, v23
	s_delay_alu instid0(VALU_DEP_1) | instskip(NEXT) | instid1(VALU_DEP_1)
	v_and_b32_e32 v6, v2, v22
	v_cmp_eq_u64_e32 vcc_lo, v[6:7], v[24:25]
	s_and_b32 exec_lo, exec_lo, vcc_lo
	s_cbranch_execz .LBB183_450
; %bb.455:                              ;   in Loop: Header=BB183_451 Depth=2
	v_mov_b32_e32 v2, v19
	ds_store_b128 v19, v[2:5] offset:3072
	s_branch .LBB183_450
.LBB183_456:                            ;   in Loop: Header=BB183_12 Depth=1
	s_or_b32 exec_lo, exec_lo, s16
	s_delay_alu instid0(SALU_CYCLE_1)
	s_and_b32 s17, s9, exec_lo
.LBB183_457:                            ;   in Loop: Header=BB183_12 Depth=1
	s_or_b32 exec_lo, exec_lo, s8
	s_mov_b32 s8, 0
	s_mov_b32 s7, -1
	s_mov_b32 s9, 0
.LBB183_458:                            ;   in Loop: Header=BB183_12 Depth=1
	s_or_not1_b32 s17, s17, exec_lo
.LBB183_459:                            ;   in Loop: Header=BB183_12 Depth=1
	s_or_b32 exec_lo, exec_lo, s71
	s_mov_b32 s26, 0
                                        ; implicit-def: $vgpr2
                                        ; implicit-def: $vgpr4_vgpr5
	s_and_saveexec_b32 s16, s17
	s_cbranch_execz .LBB183_471
; %bb.460:                              ;   in Loop: Header=BB183_12 Depth=1
	v_mov_b32_e32 v4, 1
	v_dual_mov_b32 v5, 0 :: v_dual_mov_b32 v2, 1
	s_xor_b32 s26, s70, -1
	s_delay_alu instid0(SALU_CYCLE_1)
	s_and_saveexec_b32 s17, s26
	s_cbranch_execz .LBB183_470
; %bb.461:                              ;   in Loop: Header=BB183_12 Depth=1
	s_mov_b32 s26, exec_lo
                                        ; implicit-def: $sgpr70
	v_cmpx_ge_u64_e64 s[10:11], v[10:11]
	s_xor_b32 s26, exec_lo, s26
	s_cbranch_execz .LBB183_467
; %bb.462:                              ;   in Loop: Header=BB183_12 Depth=1
	ds_load_b64 v[4:5], v19 offset:5120
	s_waitcnt lgkmcnt(0)
	v_cmp_ne_u64_e32 vcc_lo, 0, v[4:5]
	s_cbranch_vccnz .LBB183_466
; %bb.463:                              ;   in Loop: Header=BB183_12 Depth=1
	s_and_saveexec_b32 s70, s5
	s_cbranch_execz .LBB183_465
; %bb.464:                              ;   in Loop: Header=BB183_12 Depth=1
	v_dual_mov_b32 v4, s10 :: v_dual_mov_b32 v5, s11
	ds_store_b64 v19, v[4:5] offset:5128
.LBB183_465:                            ;   in Loop: Header=BB183_12 Depth=1
	s_or_b32 exec_lo, exec_lo, s70
	s_waitcnt lgkmcnt(0)
	s_barrier
	buffer_gl0_inv
.LBB183_466:                            ;   in Loop: Header=BB183_12 Depth=1
	v_and_b32_e32 v25, s15, v25
	v_and_b32_e32 v24, s14, v24
	v_or_b32_e32 v23, s13, v23
	v_or_b32_e32 v22, s12, v22
	s_mov_b32 s70, 5
.LBB183_467:                            ;   in Loop: Header=BB183_12 Depth=1
	s_or_saveexec_b32 s12, s26
	v_mov_b32_e32 v2, s70
	s_xor_b32 exec_lo, exec_lo, s12
; %bb.468:                              ;   in Loop: Header=BB183_12 Depth=1
	v_sub_co_u32 v10, vcc_lo, v10, s10
	v_subrev_co_ci_u32_e32 v11, vcc_lo, s11, v11, vcc_lo
	v_mov_b32_e32 v2, 5
; %bb.469:                              ;   in Loop: Header=BB183_12 Depth=1
	s_or_b32 exec_lo, exec_lo, s12
	s_delay_alu instid0(VALU_DEP_2)
	v_dual_mov_b32 v4, v10 :: v_dual_mov_b32 v5, v11
.LBB183_470:                            ;   in Loop: Header=BB183_12 Depth=1
	s_or_b32 exec_lo, exec_lo, s17
	s_delay_alu instid0(SALU_CYCLE_1)
	s_mov_b32 s26, exec_lo
.LBB183_471:                            ;   in Loop: Header=BB183_12 Depth=1
	s_or_b32 exec_lo, exec_lo, s16
	s_delay_alu instid0(VALU_DEP_1)
	v_dual_mov_b32 v11, v5 :: v_dual_mov_b32 v10, v4
	s_or_not1_b32 s16, s26, exec_lo
.LBB183_472:                            ;   in Loop: Header=BB183_12 Depth=1
	s_or_b32 exec_lo, exec_lo, s24
	s_delay_alu instid0(SALU_CYCLE_1)
	s_and_not1_b32 s10, s18, exec_lo
	s_and_b32 s7, s7, exec_lo
	s_and_b32 s8, s8, exec_lo
	s_or_b32 s18, s10, s7
	s_and_not1_b32 s7, s19, exec_lo
	s_and_not1_b32 s10, s68, exec_lo
	s_and_b32 s9, s9, exec_lo
	v_dual_mov_b32 v8, v10 :: v_dual_mov_b32 v9, v11
	s_or_b32 s19, s7, s8
	s_or_b32 s68, s10, s9
	s_and_b32 s26, s16, exec_lo
.LBB183_473:                            ;   in Loop: Header=BB183_12 Depth=1
	s_or_b32 exec_lo, exec_lo, s69
	s_delay_alu instid0(SALU_CYCLE_1)
	s_and_b32 s18, s18, exec_lo
	s_and_b32 s9, s19, exec_lo
	;; [unrolled: 1-line block ×3, first 2 shown]
	s_or_not1_b32 s7, s26, exec_lo
.LBB183_474:                            ;   in Loop: Header=BB183_12 Depth=1
	s_or_b32 exec_lo, exec_lo, s67
	s_delay_alu instid0(SALU_CYCLE_1)
	s_and_not1_b32 s10, s20, exec_lo
	s_and_b32 s11, s18, exec_lo
	s_and_b32 s9, s9, exec_lo
	s_or_b32 s20, s10, s11
	s_and_not1_b32 s10, s21, exec_lo
	s_and_not1_b32 s11, s65, exec_lo
	s_and_b32 s8, s8, exec_lo
	v_dual_mov_b32 v29, v9 :: v_dual_mov_b32 v28, v8
	s_or_b32 s21, s10, s9
	s_or_b32 s65, s11, s8
	s_and_b32 s26, s7, exec_lo
.LBB183_475:                            ;   in Loop: Header=BB183_12 Depth=1
	s_or_b32 exec_lo, exec_lo, s66
	s_delay_alu instid0(SALU_CYCLE_1)
	s_and_b32 s20, s20, exec_lo
	s_and_b32 s9, s21, exec_lo
	;; [unrolled: 1-line block ×3, first 2 shown]
	s_or_not1_b32 s21, s26, exec_lo
.LBB183_476:                            ;   in Loop: Header=BB183_12 Depth=1
	s_or_b32 exec_lo, exec_lo, s64
	s_mov_b32 s7, s62
	s_mov_b32 s10, s58
	s_and_saveexec_b32 s11, s21
; %bb.477:                              ;   in Loop: Header=BB183_12 Depth=1
	v_cmp_eq_u32_e32 vcc_lo, 5, v2
	v_cmp_ne_u32_e64 s7, 5, v2
	s_and_not1_b32 s10, s58, exec_lo
	s_and_not1_b32 s12, s62, exec_lo
	;; [unrolled: 1-line block ×3, first 2 shown]
	s_and_b32 s13, vcc_lo, exec_lo
	s_and_b32 s7, s7, exec_lo
	s_and_not1_b32 s9, s9, exec_lo
	s_and_not1_b32 s8, s8, exec_lo
	s_or_b32 s10, s10, s7
	s_or_b32 s7, s12, s13
; %bb.478:                              ;   in Loop: Header=BB183_12 Depth=1
	s_or_b32 exec_lo, exec_lo, s11
	s_delay_alu instid0(SALU_CYCLE_1)
	s_and_not1_b32 s11, s22, exec_lo
	s_and_b32 s12, s20, exec_lo
	s_and_b32 s9, s9, exec_lo
	s_or_b32 s22, s11, s12
	s_and_not1_b32 s11, s23, exec_lo
	s_and_not1_b32 s12, s25, exec_lo
	s_and_b32 s8, s8, exec_lo
	v_dual_mov_b32 v12, v24 :: v_dual_mov_b32 v13, v25
	v_dual_mov_b32 v14, v22 :: v_dual_mov_b32 v15, v23
	;; [unrolled: 1-line block ×3, first 2 shown]
	s_or_b32 s23, s11, s9
	s_or_b32 s25, s12, s8
	s_and_not1_b32 s8, s58, exec_lo
	s_and_b32 s9, s10, exec_lo
	s_and_not1_b32 s10, s62, exec_lo
	s_and_b32 s7, s7, exec_lo
	s_or_b32 s58, s8, s9
	s_or_b32 s62, s10, s7
.LBB183_479:                            ;   in Loop: Header=BB183_12 Depth=1
	s_or_b32 exec_lo, exec_lo, s63
	s_mov_b32 s64, s25
	s_mov_b32 s63, s25
	s_and_saveexec_b32 s7, s62
.LBB183_480:                            ;   in Loop: Header=BB183_12 Depth=1
	v_mov_b32_e32 v2, 0
	s_and_not1_b32 s25, s25, exec_lo
	s_and_not1_b32 s22, s22, exec_lo
	;; [unrolled: 1-line block ×5, first 2 shown]
	s_or_b32 s58, s58, exec_lo
.LBB183_481:                            ;   in Loop: Header=BB183_12 Depth=1
	s_or_b32 exec_lo, exec_lo, s7
	s_delay_alu instid0(SALU_CYCLE_1)
	s_and_not1_b32 s7, s95, exec_lo
	s_and_b32 s9, s25, exec_lo
	s_and_not1_b32 s10, s92, exec_lo
	s_or_b32 s95, s7, s9
	s_and_not1_b32 s7, s94, exec_lo
	s_and_b32 s9, s22, exec_lo
	s_and_b32 s11, s23, exec_lo
	s_or_b32 s94, s7, s9
	s_or_b32 s92, s10, s11
	s_and_not1_b32 s7, s93, exec_lo
	s_and_b32 s9, s64, exec_lo
	s_and_not1_b32 s10, s91, exec_lo
	s_and_b32 s11, s63, exec_lo
	s_mov_b32 s8, -1
	s_or_b32 s93, s7, s9
	s_or_b32 s91, s10, s11
                                        ; implicit-def: $vgpr22_vgpr23
                                        ; implicit-def: $vgpr24_vgpr25
                                        ; implicit-def: $vgpr26_vgpr27
                                        ; implicit-def: $vgpr6_vgpr7
	s_and_saveexec_b32 s7, s58
	s_delay_alu instid0(SALU_CYCLE_1)
	s_xor_b32 s7, exec_lo, s7
	s_cbranch_execz .LBB183_11
; %bb.482:                              ;   in Loop: Header=BB183_12 Depth=1
	s_mov_b32 s9, -1
	s_mov_b32 s10, exec_lo
	v_cmpx_eq_u32_e32 0, v2
	s_cbranch_execz .LBB183_10
; %bb.483:                              ;   in Loop: Header=BB183_12 Depth=1
	s_xor_b32 s85, s85, 1
	s_add_i32 s11, s89, -2
	s_cmp_eq_u32 s89, 0
	s_mov_b32 s89, s11
	s_cselect_b32 s8, -1, 0
	s_xor_b32 s9, exec_lo, -1
	s_or_not1_b32 s8, s8, exec_lo
	s_branch .LBB183_10
.LBB183_484:
	s_or_b32 exec_lo, exec_lo, s83
	s_xor_b32 s7, s90, -1
	s_xor_b32 s9, s87, -1
	;; [unrolled: 1-line block ×5, first 2 shown]
	s_mov_b32 s8, 0
	s_and_saveexec_b32 s12, s11
	s_delay_alu instid0(SALU_CYCLE_1)
	s_xor_b32 s12, exec_lo, s12
	s_cbranch_execz .LBB183_545
; %bb.485:
	s_and_saveexec_b32 s11, s10
	s_delay_alu instid0(SALU_CYCLE_1)
	s_xor_b32 s13, exec_lo, s11
	s_cbranch_execz .LBB183_543
; %bb.486:
	;; [unrolled: 5-line block ×4, first 2 shown]
	s_and_saveexec_b32 s7, s6
	s_delay_alu instid0(SALU_CYCLE_1)
	s_xor_b32 s6, exec_lo, s7
; %bb.489:
	v_lshrrev_b32_e32 v2, 31, v13
	s_delay_alu instid0(VALU_DEP_1) | instskip(NEXT) | instid1(VALU_DEP_1)
	v_add_co_u32 v2, s7, v2, -1
	v_add_co_ci_u32_e64 v3, null, 0, -1, s7
	s_delay_alu instid0(VALU_DEP_2) | instskip(NEXT) | instid1(VALU_DEP_2)
	v_xor_b32_e32 v10, v2, v12
	v_or_b32_e32 v3, 0x80000000, v3
	s_delay_alu instid0(VALU_DEP_1)
	v_xor_b32_e32 v11, v3, v13
; %bb.490:
	s_or_b32 exec_lo, exec_lo, s6
	s_and_saveexec_b32 s6, s5
	s_cbranch_execz .LBB183_492
; %bb.491:
	v_mov_b32_e32 v2, 0
	s_delay_alu instid0(VALU_DEP_1)
	v_mov_b32_e32 v3, v2
	ds_store_b64 v2, v[2:3] offset:5136
.LBB183_492:
	s_or_b32 exec_lo, exec_lo, s6
	v_mov_b32_e32 v4, 0
	v_mov_b32_e32 v5, 0
	s_waitcnt lgkmcnt(0)
	s_barrier
	buffer_gl0_inv
	s_and_saveexec_b32 s5, s4
	s_cbranch_execz .LBB183_494
; %bb.493:
	global_load_b64 v[4:5], v[16:17], off
.LBB183_494:
	s_or_b32 exec_lo, exec_lo, s5
	v_cmp_o_f64_e32 vcc_lo, v[10:11], v[10:11]
	s_add_u32 s5, s36, 31
	s_mul_i32 s17, s50, s49
	s_mul_hi_u32 s19, s50, s48
	s_mul_i32 s20, s50, s48
	s_addc_u32 s11, s37, 0
	s_and_b32 s10, s5, 0xffffffe0
	s_add_i32 s19, s19, s17
	s_clause 0x1
	s_load_b64 s[6:7], s[0:1], 0x368
	s_load_b64 s[8:9], s[0:1], 0x510
	s_sub_u32 s0, s34, s20
	s_subb_u32 s1, 0, s19
	s_mul_i32 s5, s0, s47
	s_mul_hi_u32 s19, s0, s46
	s_mul_i32 s22, s50, s45
	s_mul_hi_u32 s23, s50, s44
	;; [unrolled: 2-line block ×3, first 2 shown]
	s_mul_i32 s1, s1, s46
	s_add_i32 s5, s19, s5
	s_mul_i32 s26, s56, s28
	s_add_i32 s17, s23, s22
	s_add_i32 s25, s25, s24
	s_add_i32 s1, s5, s1
	s_sub_u32 s20, s34, s26
	v_ashrrev_i32_e32 v2, 31, v11
	s_subb_u32 s5, 0, s25
	s_mul_i32 s22, s20, s43
	s_mul_hi_u32 s23, s20, s42
	v_readlane_b32 s24, v51, 2
	s_mul_i32 s16, s50, s44
	v_readlane_b32 s25, v51, 3
	s_mul_i32 s27, s56, s41
	s_mul_hi_u32 s28, s56, s40
	s_mul_i32 s5, s5, s42
	s_add_i32 s22, s23, s22
	s_lshl_b64 s[16:17], s[16:17], 3
	s_mul_i32 s0, s0, s46
	s_add_i32 s19, s28, s27
	s_add_i32 s23, s22, s5
	v_or_b32_e32 v3, 0x80000000, v2
	s_add_u32 s5, s24, s16
	s_addc_u32 s22, s25, s17
	s_lshl_b64 s[16:17], s[0:1], 3
	s_mul_i32 s18, s56, s40
	s_add_u32 s1, s5, s16
	s_addc_u32 s5, s22, s17
	s_lshl_b64 s[16:17], s[18:19], 3
	v_readlane_b32 s18, v51, 0
	v_xor_b32_e32 v3, v3, v11
	v_xor_b32_e32 v2, v2, v10
	v_readlane_b32 s19, v51, 1
	s_mul_i32 s22, s20, s42
	s_add_u32 s0, s18, s16
	s_delay_alu instid0(VALU_DEP_2) | instskip(NEXT) | instid1(VALU_DEP_2)
	v_dual_cndmask_b32 v3, -1, v3 :: v_dual_cndmask_b32 v2, -1, v2
	s_addc_u32 s18, s19, s17
	s_lshl_b64 s[16:17], s[22:23], 3
	s_mov_b32 s21, -1
	s_add_u32 s16, s0, s16
	s_addc_u32 s17, s18, s17
	s_mov_b32 s19, 0
	s_mov_b32 s18, 0
	s_mov_b32 s20, exec_lo
	v_cmpx_gt_u64_e64 s[10:11], v[0:1]
	s_cbranch_execz .LBB183_512
; %bb.495:
	v_mov_b32_e32 v15, v1
	v_dual_mov_b32 v7, 0 :: v_dual_mov_b32 v14, v0
                                        ; implicit-def: $sgpr21
                                        ; implicit-def: $vgpr10_vgpr11
	s_branch .LBB183_497
.LBB183_496:                            ;   in Loop: Header=BB183_497 Depth=1
	s_or_b32 exec_lo, exec_lo, s22
	s_xor_b32 s22, s24, -1
	s_and_b32 s0, exec_lo, s0
	s_waitcnt vmcnt(0)
	v_dual_mov_b32 v4, v12 :: v_dual_mov_b32 v5, v13
	s_or_b32 s18, s0, s18
	v_dual_mov_b32 v15, v9 :: v_dual_mov_b32 v14, v8
	s_and_not1_b32 s0, s21, exec_lo
	s_and_b32 s21, s22, exec_lo
	s_delay_alu instid0(SALU_CYCLE_1)
	s_or_b32 s21, s0, s21
	s_and_not1_b32 exec_lo, exec_lo, s18
	s_cbranch_execz .LBB183_511
.LBB183_497:                            ; =>This Inner Loop Header: Depth=1
	s_delay_alu instid0(VALU_DEP_1) | instskip(SKIP_4) | instid1(VALU_DEP_2)
	v_add_co_u32 v8, vcc_lo, v14, s51
	v_mov_b32_e32 v12, 0
	v_add_co_ci_u32_e32 v9, vcc_lo, 0, v15, vcc_lo
	v_mov_b32_e32 v13, 0
	s_mov_b32 s0, exec_lo
	v_cmpx_gt_u64_e64 s[36:37], v[8:9]
	s_cbranch_execz .LBB183_499
; %bb.498:                              ;   in Loop: Header=BB183_497 Depth=1
	v_mul_lo_u32 v6, v9, s30
	v_mul_lo_u32 v18, v8, s31
	v_mad_u64_u32 v[12:13], null, v8, s30, 0
	s_delay_alu instid0(VALU_DEP_1) | instskip(NEXT) | instid1(VALU_DEP_1)
	v_add3_u32 v13, v13, v18, v6
	v_lshlrev_b64 v[12:13], 3, v[12:13]
	s_delay_alu instid0(VALU_DEP_1) | instskip(NEXT) | instid1(VALU_DEP_2)
	v_add_co_u32 v12, vcc_lo, s33, v12
	v_add_co_ci_u32_e32 v13, vcc_lo, s35, v13, vcc_lo
	global_load_b64 v[12:13], v[12:13], off
.LBB183_499:                            ;   in Loop: Header=BB183_497 Depth=1
	s_or_b32 exec_lo, exec_lo, s0
	s_mov_b32 s22, 0
	s_mov_b32 s0, exec_lo
	v_cmpx_gt_u64_e64 s[36:37], v[14:15]
	s_cbranch_execz .LBB183_501
; %bb.500:                              ;   in Loop: Header=BB183_497 Depth=1
	s_waitcnt vmcnt(0)
	v_cmp_o_f64_e32 vcc_lo, v[4:5], v[4:5]
	v_ashrrev_i32_e32 v6, 31, v5
	s_delay_alu instid0(VALU_DEP_1) | instskip(SKIP_1) | instid1(VALU_DEP_2)
	v_or_b32_e32 v18, 0x80000000, v6
	v_xor_b32_e32 v6, v6, v4
	v_xor_b32_e32 v18, v18, v5
	s_delay_alu instid0(VALU_DEP_1) | instskip(NEXT) | instid1(VALU_DEP_3)
	v_cndmask_b32_e32 v19, -1, v18, vcc_lo
	v_cndmask_b32_e32 v18, -1, v6, vcc_lo
	s_delay_alu instid0(VALU_DEP_1) | instskip(SKIP_3) | instid1(VALU_DEP_1)
	v_cmp_gt_u64_e32 vcc_lo, v[18:19], v[2:3]
	v_cndmask_b32_e64 v6, 0, 1, vcc_lo
	v_cmp_lt_u64_e32 vcc_lo, v[18:19], v[2:3]
	v_cndmask_b32_e64 v18, 0, 1, vcc_lo
	v_cndmask_b32_e64 v6, v18, v6, s3
	s_delay_alu instid0(VALU_DEP_1) | instskip(NEXT) | instid1(VALU_DEP_1)
	v_and_b32_e32 v6, 1, v6
	v_cmp_eq_u32_e32 vcc_lo, 1, v6
	s_and_b32 s22, vcc_lo, exec_lo
.LBB183_501:                            ;   in Loop: Header=BB183_497 Depth=1
	s_or_b32 exec_lo, exec_lo, s0
	v_cndmask_b32_e64 v6, 0, 1, s22
	s_delay_alu instid0(VALU_DEP_1) | instskip(SKIP_2) | instid1(SALU_CYCLE_1)
	v_cmp_ne_u32_e32 vcc_lo, 0, v6
	s_cmp_lg_u32 vcc_lo, 0
	s_cselect_b32 s0, -1, 0
	s_and_b32 s0, s2, s0
	s_delay_alu instid0(SALU_CYCLE_1)
	s_and_saveexec_b32 s23, s0
	s_cbranch_execz .LBB183_505
; %bb.502:                              ;   in Loop: Header=BB183_497 Depth=1
	s_mov_b32 s26, exec_lo
	s_bcnt1_i32_b32 s24, vcc_lo
	v_mbcnt_lo_u32_b32 v18, s26, 0
	s_mov_b32 s25, exec_lo
                                        ; implicit-def: $vgpr10_vgpr11
	s_delay_alu instid0(VALU_DEP_1)
	v_cmpx_eq_u32_e32 0, v18
	s_cbranch_execz .LBB183_504
; %bb.503:                              ;   in Loop: Header=BB183_497 Depth=1
	s_bcnt1_i32_b32 s0, s26
	s_delay_alu instid0(SALU_CYCLE_1) | instskip(NEXT) | instid1(SALU_CYCLE_1)
	s_mul_i32 s0, s24, s0
	v_mov_b32_e32 v6, s0
	s_waitcnt lgkmcnt(0)
	ds_add_rtn_u64 v[10:11], v7, v[6:7] offset:5136
.LBB183_504:                            ;   in Loop: Header=BB183_497 Depth=1
	s_or_b32 exec_lo, exec_lo, s25
	s_waitcnt lgkmcnt(0)
	v_readfirstlane_b32 s27, v11
	v_readfirstlane_b32 s26, v10
	s_delay_alu instid0(VALU_DEP_1)
	v_mad_u64_u32 v[10:11], null, s24, v18, s[26:27]
.LBB183_505:                            ;   in Loop: Header=BB183_497 Depth=1
	s_or_b32 exec_lo, exec_lo, s23
	s_waitcnt lgkmcnt(0)
	ds_bpermute_b32 v10, v7, v10
	ds_bpermute_b32 v11, v7, v11
	s_mov_b32 s0, -1
	s_mov_b32 s25, -1
                                        ; implicit-def: $sgpr24
	s_and_saveexec_b32 s23, s22
	s_cbranch_execz .LBB183_509
; %bb.506:                              ;   in Loop: Header=BB183_497 Depth=1
	v_and_b32_e32 v6, vcc_lo, v34
	s_mov_b32 s22, 0
	s_mov_b32 s24, exec_lo
	s_delay_alu instid0(VALU_DEP_1) | instskip(SKIP_1) | instid1(VALU_DEP_1)
	v_bcnt_u32_b32 v6, v6, 0
	s_waitcnt lgkmcnt(0)
	v_add_co_u32 v18, vcc_lo, v10, v6
	v_add_co_ci_u32_e32 v19, vcc_lo, 0, v11, vcc_lo
	s_delay_alu instid0(VALU_DEP_1)
	v_cmpx_gt_u64_e64 s[38:39], v[18:19]
	s_cbranch_execz .LBB183_508
; %bb.507:                              ;   in Loop: Header=BB183_497 Depth=1
	v_mul_lo_u32 v6, v19, s6
	v_mul_lo_u32 v24, v18, s7
	v_mad_u64_u32 v[20:21], null, v18, s6, 0
	v_mul_lo_u32 v19, v19, s8
	v_mul_lo_u32 v25, v18, s9
	v_mad_u64_u32 v[22:23], null, v18, s8, 0
	s_mov_b32 s22, exec_lo
	s_delay_alu instid0(VALU_DEP_4) | instskip(NEXT) | instid1(VALU_DEP_2)
	v_add3_u32 v21, v21, v24, v6
	v_add3_u32 v23, v23, v25, v19
	s_delay_alu instid0(VALU_DEP_2) | instskip(NEXT) | instid1(VALU_DEP_2)
	v_lshlrev_b64 v[18:19], 3, v[20:21]
	v_lshlrev_b64 v[20:21], 3, v[22:23]
	s_delay_alu instid0(VALU_DEP_2) | instskip(NEXT) | instid1(VALU_DEP_3)
	v_add_co_u32 v18, vcc_lo, s1, v18
	v_add_co_ci_u32_e32 v19, vcc_lo, s5, v19, vcc_lo
	s_delay_alu instid0(VALU_DEP_3) | instskip(NEXT) | instid1(VALU_DEP_4)
	v_add_co_u32 v20, vcc_lo, s16, v20
	v_add_co_ci_u32_e32 v21, vcc_lo, s17, v21, vcc_lo
	s_waitcnt vmcnt(0)
	global_store_b64 v[18:19], v[4:5], off
	global_store_b64 v[20:21], v[14:15], off
.LBB183_508:                            ;   in Loop: Header=BB183_497 Depth=1
	s_or_b32 exec_lo, exec_lo, s24
	s_mov_b32 s24, -1
	s_or_not1_b32 s25, s22, exec_lo
.LBB183_509:                            ;   in Loop: Header=BB183_497 Depth=1
	s_or_b32 exec_lo, exec_lo, s23
	s_and_saveexec_b32 s22, s25
	s_cbranch_execz .LBB183_496
; %bb.510:                              ;   in Loop: Header=BB183_497 Depth=1
	v_cmp_le_u64_e32 vcc_lo, s[10:11], v[8:9]
	s_and_not1_b32 s24, s24, exec_lo
	s_or_not1_b32 s0, vcc_lo, exec_lo
	s_branch .LBB183_496
.LBB183_511:
	s_or_b32 exec_lo, exec_lo, s18
	s_delay_alu instid0(SALU_CYCLE_1)
	s_mov_b32 s18, exec_lo
	s_or_not1_b32 s21, s21, exec_lo
.LBB183_512:
	s_or_b32 exec_lo, exec_lo, s20
	s_and_saveexec_b32 s3, s21
	s_cbranch_execz .LBB183_537
; %bb.513:
	v_mov_b32_e32 v8, 0
	v_mov_b32_e32 v9, 0
	s_waitcnt vmcnt(0) lgkmcnt(0)
	s_waitcnt_vscnt null, 0x0
	s_barrier
	buffer_gl0_inv
	s_and_saveexec_b32 s0, s4
	s_cbranch_execz .LBB183_515
; %bb.514:
	global_load_b64 v[8:9], v[16:17], off
.LBB183_515:
	s_or_b32 exec_lo, exec_lo, s0
	v_mov_b32_e32 v5, 0
	s_mov_b32 s19, 0
                                        ; implicit-def: $sgpr4
                                        ; implicit-def: $sgpr20
                                        ; implicit-def: $sgpr21
                                        ; implicit-def: $vgpr6_vgpr7
	s_branch .LBB183_518
.LBB183_516:                            ;   in Loop: Header=BB183_518 Depth=1
	s_or_b32 exec_lo, exec_lo, s24
	v_dual_mov_b32 v0, v10 :: v_dual_mov_b32 v1, v11
	v_dual_mov_b32 v8, v14 :: v_dual_mov_b32 v9, v15
	s_and_not1_b32 s21, s21, exec_lo
	s_and_b32 s23, s26, exec_lo
	s_and_not1_b32 s20, s20, exec_lo
	s_and_b32 s0, s0, exec_lo
	s_or_b32 s21, s21, s23
	s_or_b32 s20, s20, s0
.LBB183_517:                            ;   in Loop: Header=BB183_518 Depth=1
	s_or_b32 exec_lo, exec_lo, s22
	s_xor_b32 s0, s21, -1
	s_and_b32 s22, exec_lo, s20
	s_delay_alu instid0(SALU_CYCLE_1) | instskip(SKIP_2) | instid1(SALU_CYCLE_1)
	s_or_b32 s19, s22, s19
	s_and_not1_b32 s4, s4, exec_lo
	s_and_b32 s0, s0, exec_lo
	s_or_b32 s4, s4, s0
	s_and_not1_b32 exec_lo, exec_lo, s19
	s_cbranch_execz .LBB183_535
.LBB183_518:                            ; =>This Inner Loop Header: Depth=1
	s_or_b32 s21, s21, exec_lo
	s_or_b32 s20, s20, exec_lo
	s_mov_b32 s22, exec_lo
	v_cmpx_gt_u64_e64 s[10:11], v[0:1]
	s_cbranch_execz .LBB183_517
; %bb.519:                              ;   in Loop: Header=BB183_518 Depth=1
	v_add_co_u32 v10, vcc_lo, v0, s51
	v_mov_b32_e32 v12, 0
	v_add_co_ci_u32_e32 v11, vcc_lo, 0, v1, vcc_lo
	v_mov_b32_e32 v13, 0
	s_mov_b32 s0, exec_lo
	s_delay_alu instid0(VALU_DEP_2)
	v_cmpx_gt_u64_e64 s[36:37], v[10:11]
	s_cbranch_execz .LBB183_521
; %bb.520:                              ;   in Loop: Header=BB183_518 Depth=1
	v_mul_lo_u32 v4, v11, s30
	v_mul_lo_u32 v14, v10, s31
	v_mad_u64_u32 v[12:13], null, v10, s30, 0
	s_delay_alu instid0(VALU_DEP_1) | instskip(NEXT) | instid1(VALU_DEP_1)
	v_add3_u32 v13, v13, v14, v4
	v_lshlrev_b64 v[12:13], 3, v[12:13]
	s_delay_alu instid0(VALU_DEP_1) | instskip(NEXT) | instid1(VALU_DEP_2)
	v_add_co_u32 v12, vcc_lo, s33, v12
	v_add_co_ci_u32_e32 v13, vcc_lo, s35, v13, vcc_lo
	global_load_b64 v[12:13], v[12:13], off
.LBB183_521:                            ;   in Loop: Header=BB183_518 Depth=1
	s_or_b32 exec_lo, exec_lo, s0
	s_mov_b32 s24, 0
	s_mov_b32 s0, exec_lo
	v_cmpx_gt_u64_e64 s[36:37], v[0:1]
	s_cbranch_execz .LBB183_523
; %bb.522:                              ;   in Loop: Header=BB183_518 Depth=1
	s_waitcnt vmcnt(0)
	v_cmp_o_f64_e32 vcc_lo, v[8:9], v[8:9]
	v_ashrrev_i32_e32 v4, 31, v9
	s_delay_alu instid0(VALU_DEP_1) | instskip(SKIP_1) | instid1(VALU_DEP_2)
	v_or_b32_e32 v14, 0x80000000, v4
	v_xor_b32_e32 v4, v4, v8
	v_xor_b32_e32 v14, v14, v9
	s_delay_alu instid0(VALU_DEP_1) | instskip(NEXT) | instid1(VALU_DEP_1)
	v_dual_cndmask_b32 v15, -1, v14 :: v_dual_cndmask_b32 v14, -1, v4
	v_cmp_eq_u64_e32 vcc_lo, v[14:15], v[2:3]
	s_and_b32 s24, vcc_lo, exec_lo
.LBB183_523:                            ;   in Loop: Header=BB183_518 Depth=1
	s_or_b32 exec_lo, exec_lo, s0
	v_cndmask_b32_e64 v4, 0, 1, s24
	s_delay_alu instid0(VALU_DEP_1) | instskip(SKIP_2) | instid1(SALU_CYCLE_1)
	v_cmp_ne_u32_e32 vcc_lo, 0, v4
	s_cmp_lg_u32 vcc_lo, 0
	s_cselect_b32 s0, -1, 0
	s_and_b32 s0, s2, s0
	s_delay_alu instid0(SALU_CYCLE_1)
	s_and_saveexec_b32 s23, s0
	s_cbranch_execz .LBB183_527
; %bb.524:                              ;   in Loop: Header=BB183_518 Depth=1
	s_mov_b32 s27, exec_lo
	s_bcnt1_i32_b32 s25, vcc_lo
	v_mbcnt_lo_u32_b32 v14, s27, 0
	s_mov_b32 s26, exec_lo
                                        ; implicit-def: $vgpr6_vgpr7
	s_delay_alu instid0(VALU_DEP_1)
	v_cmpx_eq_u32_e32 0, v14
	s_cbranch_execz .LBB183_526
; %bb.525:                              ;   in Loop: Header=BB183_518 Depth=1
	s_bcnt1_i32_b32 s0, s27
	s_delay_alu instid0(SALU_CYCLE_1) | instskip(NEXT) | instid1(SALU_CYCLE_1)
	s_mul_i32 s0, s25, s0
	v_mov_b32_e32 v4, s0
	ds_add_rtn_u64 v[6:7], v5, v[4:5] offset:5136
.LBB183_526:                            ;   in Loop: Header=BB183_518 Depth=1
	s_or_b32 exec_lo, exec_lo, s26
	s_waitcnt lgkmcnt(0)
	v_readfirstlane_b32 s27, v7
	v_readfirstlane_b32 s26, v6
	s_delay_alu instid0(VALU_DEP_1)
	v_mad_u64_u32 v[6:7], null, s25, v14, s[26:27]
.LBB183_527:                            ;   in Loop: Header=BB183_518 Depth=1
	s_or_b32 exec_lo, exec_lo, s23
	ds_bpermute_b32 v6, v5, v6
	ds_bpermute_b32 v7, v5, v7
	s_cmp_eq_u32 vcc_lo, 0
	s_mov_b32 s25, -1
	s_cselect_b32 s23, -1, 0
	s_mov_b32 s26, -1
	s_waitcnt lgkmcnt(0)
	v_cmp_gt_u64_e64 s0, s[38:39], v[6:7]
	s_delay_alu instid0(VALU_DEP_1)
	s_or_b32 s23, s23, s0
	s_mov_b32 s0, -1
	s_waitcnt vmcnt(0)
	v_cndmask_b32_e64 v15, v9, v13, s23
	v_cndmask_b32_e64 v14, v8, v12, s23
	s_and_b32 s27, s24, s23
	s_delay_alu instid0(SALU_CYCLE_1)
	s_and_saveexec_b32 s24, s27
	s_cbranch_execz .LBB183_533
; %bb.528:                              ;   in Loop: Header=BB183_518 Depth=1
	v_and_b32_e32 v4, vcc_lo, v34
	v_sub_co_u32 v14, vcc_lo, s38, v6
	v_sub_co_ci_u32_e32 v15, vcc_lo, s39, v7, vcc_lo
	s_delay_alu instid0(VALU_DEP_3) | instskip(SKIP_2) | instid1(VALU_DEP_1)
	v_bcnt_u32_b32 v4, v4, 0
	s_mov_b32 s27, -1
	s_mov_b32 s26, exec_lo
	v_cmp_le_u64_e64 s25, v[14:15], v[4:5]
	v_cmpx_gt_u64_e64 v[14:15], v[4:5]
	s_cbranch_execz .LBB183_532
; %bb.529:                              ;   in Loop: Header=BB183_518 Depth=1
	v_add_co_u32 v14, vcc_lo, v6, v4
	v_add_co_ci_u32_e32 v15, vcc_lo, 0, v7, vcc_lo
	s_delay_alu instid0(VALU_DEP_4) | instskip(SKIP_1) | instid1(VALU_DEP_1)
	s_mov_b32 s28, s25
	s_mov_b32 s27, exec_lo
	v_cmpx_gt_u64_e64 s[38:39], v[14:15]
	s_cbranch_execz .LBB183_531
; %bb.530:                              ;   in Loop: Header=BB183_518 Depth=1
	v_mul_lo_u32 v4, v15, s6
	v_mul_lo_u32 v20, v14, s7
	v_mad_u64_u32 v[16:17], null, v14, s6, 0
	v_mul_lo_u32 v15, v15, s8
	v_mul_lo_u32 v21, v14, s9
	v_mad_u64_u32 v[18:19], null, v14, s8, 0
	s_or_b32 s28, s25, exec_lo
	s_delay_alu instid0(VALU_DEP_4) | instskip(NEXT) | instid1(VALU_DEP_2)
	v_add3_u32 v17, v17, v20, v4
	v_add3_u32 v19, v19, v21, v15
	s_delay_alu instid0(VALU_DEP_2) | instskip(NEXT) | instid1(VALU_DEP_2)
	v_lshlrev_b64 v[14:15], 3, v[16:17]
	v_lshlrev_b64 v[16:17], 3, v[18:19]
	s_delay_alu instid0(VALU_DEP_2) | instskip(NEXT) | instid1(VALU_DEP_3)
	v_add_co_u32 v14, vcc_lo, s1, v14
	v_add_co_ci_u32_e32 v15, vcc_lo, s5, v15, vcc_lo
	s_delay_alu instid0(VALU_DEP_3) | instskip(NEXT) | instid1(VALU_DEP_4)
	v_add_co_u32 v16, vcc_lo, s16, v16
	v_add_co_ci_u32_e32 v17, vcc_lo, s17, v17, vcc_lo
	global_store_b64 v[14:15], v[8:9], off
	global_store_b64 v[16:17], v[0:1], off
.LBB183_531:                            ;   in Loop: Header=BB183_518 Depth=1
	s_or_b32 exec_lo, exec_lo, s27
	s_delay_alu instid0(SALU_CYCLE_1)
	s_and_not1_b32 s25, s25, exec_lo
	s_and_b32 s28, s28, exec_lo
	s_xor_b32 s27, exec_lo, -1
	s_or_b32 s25, s25, s28
.LBB183_532:                            ;   in Loop: Header=BB183_518 Depth=1
	s_or_b32 exec_lo, exec_lo, s26
	v_dual_mov_b32 v15, v13 :: v_dual_mov_b32 v14, v12
	s_or_not1_b32 s26, s27, exec_lo
	s_or_b32 s23, s23, exec_lo
	s_or_not1_b32 s25, s25, exec_lo
.LBB183_533:                            ;   in Loop: Header=BB183_518 Depth=1
	s_or_b32 exec_lo, exec_lo, s24
	s_and_saveexec_b32 s24, s25
	s_cbranch_execz .LBB183_516
; %bb.534:                              ;   in Loop: Header=BB183_518 Depth=1
	s_xor_b32 s0, s23, -1
	s_or_b32 s26, s26, exec_lo
	s_or_not1_b32 s0, s0, exec_lo
	s_branch .LBB183_516
.LBB183_535:
	s_or_b32 exec_lo, exec_lo, s19
	s_mov_b32 s0, 0
	s_and_saveexec_b32 s1, s4
	s_delay_alu instid0(SALU_CYCLE_1)
	s_xor_b32 s1, exec_lo, s1
	s_cbranch_execnz .LBB183_567
.LBB183_536:
	s_or_b32 exec_lo, exec_lo, s1
	s_delay_alu instid0(SALU_CYCLE_1)
	s_and_b32 s19, s0, exec_lo
	s_and_not1_b32 s18, s18, exec_lo
.LBB183_537:
	s_or_b32 exec_lo, exec_lo, s3
	s_and_saveexec_b32 s0, s18
	s_delay_alu instid0(SALU_CYCLE_1)
	s_xor_b32 s0, exec_lo, s0
	s_cbranch_execnz .LBB183_563
.LBB183_538:
	s_or_b32 exec_lo, exec_lo, s0
	s_waitcnt lgkmcnt(0)
	s_and_b32 s8, s19, exec_lo
.LBB183_539:
	s_and_not1_saveexec_b32 s0, s15
	s_cbranch_execnz .LBB183_559
.LBB183_540:
	s_or_b32 exec_lo, exec_lo, s0
	s_delay_alu instid0(SALU_CYCLE_1)
	s_and_b32 s8, s8, exec_lo
.LBB183_541:
	s_and_not1_saveexec_b32 s0, s14
	s_cbranch_execnz .LBB183_555
.LBB183_542:
	s_or_b32 exec_lo, exec_lo, s0
	s_delay_alu instid0(SALU_CYCLE_1)
	s_and_b32 s8, s8, exec_lo
.LBB183_543:
	s_and_not1_saveexec_b32 s0, s13
	s_cbranch_execnz .LBB183_551
.LBB183_544:
	s_or_b32 exec_lo, exec_lo, s0
	s_delay_alu instid0(SALU_CYCLE_1)
	s_and_b32 s8, s8, exec_lo
.LBB183_545:
	s_and_not1_saveexec_b32 s0, s12
	s_cbranch_execnz .LBB183_549
; %bb.546:
	s_or_b32 exec_lo, exec_lo, s0
	s_and_saveexec_b32 s0, s8
.LBB183_547:
	; divergent unreachable
.LBB183_548:
	s_nop 0
	s_sendmsg sendmsg(MSG_DEALLOC_VGPRS)
	s_endpgm
.LBB183_549:
	s_cbranch_execnz .LBB183_553
; %bb.550:
	s_or_b32 s8, s8, exec_lo
	s_or_b32 exec_lo, exec_lo, s0
	s_and_saveexec_b32 s0, s8
	s_cbranch_execnz .LBB183_547
	s_branch .LBB183_548
.LBB183_551:
	s_cbranch_execnz .LBB183_557
; %bb.552:
	s_or_b32 s8, s8, exec_lo
	s_branch .LBB183_544
.LBB183_553:
	s_trap 2
	s_sendmsg_rtn_b32 s0, sendmsg(MSG_RTN_GET_DOORBELL)
	s_mov_b32 ttmp2, m0
	s_waitcnt lgkmcnt(0)
	s_and_b32 s0, s0, 0x3ff
	s_delay_alu instid0(SALU_CYCLE_1) | instskip(NEXT) | instid1(SALU_CYCLE_1)
	s_bitset1_b32 s0, 10
	s_mov_b32 m0, s0
	s_sendmsg sendmsg(MSG_INTERRUPT)
	s_mov_b32 m0, ttmp2
.LBB183_554:                            ; =>This Inner Loop Header: Depth=1
	s_sethalt 5
	s_branch .LBB183_554
.LBB183_555:
	s_cbranch_execnz .LBB183_561
; %bb.556:
	s_or_b32 s8, s8, exec_lo
	s_branch .LBB183_542
.LBB183_557:
	s_trap 2
	s_sendmsg_rtn_b32 s0, sendmsg(MSG_RTN_GET_DOORBELL)
	s_mov_b32 ttmp2, m0
	s_waitcnt lgkmcnt(0)
	s_and_b32 s0, s0, 0x3ff
	s_delay_alu instid0(SALU_CYCLE_1) | instskip(NEXT) | instid1(SALU_CYCLE_1)
	s_bitset1_b32 s0, 10
	s_mov_b32 m0, s0
	s_sendmsg sendmsg(MSG_INTERRUPT)
	s_mov_b32 m0, ttmp2
.LBB183_558:                            ; =>This Inner Loop Header: Depth=1
	s_sethalt 5
	s_branch .LBB183_558
.LBB183_559:
	s_cbranch_execnz .LBB183_565
; %bb.560:
	s_or_b32 s8, s8, exec_lo
	s_branch .LBB183_540
.LBB183_561:
	s_trap 2
	s_sendmsg_rtn_b32 s0, sendmsg(MSG_RTN_GET_DOORBELL)
	s_mov_b32 ttmp2, m0
	s_waitcnt lgkmcnt(0)
	s_and_b32 s0, s0, 0x3ff
	s_delay_alu instid0(SALU_CYCLE_1) | instskip(NEXT) | instid1(SALU_CYCLE_1)
	s_bitset1_b32 s0, 10
	s_mov_b32 m0, s0
	s_sendmsg sendmsg(MSG_INTERRUPT)
	s_mov_b32 m0, ttmp2
.LBB183_562:                            ; =>This Inner Loop Header: Depth=1
	s_sethalt 5
	s_branch .LBB183_562
.LBB183_563:
	s_cbranch_execnz .LBB183_569
; %bb.564:
	s_or_b32 s19, s19, exec_lo
	s_branch .LBB183_538
.LBB183_565:
	s_trap 2
	s_sendmsg_rtn_b32 s0, sendmsg(MSG_RTN_GET_DOORBELL)
	s_mov_b32 ttmp2, m0
	s_waitcnt lgkmcnt(0)
	s_and_b32 s0, s0, 0x3ff
	s_delay_alu instid0(SALU_CYCLE_1) | instskip(NEXT) | instid1(SALU_CYCLE_1)
	s_bitset1_b32 s0, 10
	s_mov_b32 m0, s0
	s_sendmsg sendmsg(MSG_INTERRUPT)
	s_mov_b32 m0, ttmp2
.LBB183_566:                            ; =>This Inner Loop Header: Depth=1
	s_sethalt 5
	s_branch .LBB183_566
.LBB183_567:
	s_cbranch_execnz .LBB183_571
; %bb.568:
	s_mov_b32 s0, exec_lo
	s_branch .LBB183_536
.LBB183_569:
	s_trap 2
	s_sendmsg_rtn_b32 s0, sendmsg(MSG_RTN_GET_DOORBELL)
	s_mov_b32 ttmp2, m0
	s_waitcnt lgkmcnt(0)
	s_and_b32 s0, s0, 0x3ff
	s_delay_alu instid0(SALU_CYCLE_1) | instskip(NEXT) | instid1(SALU_CYCLE_1)
	s_bitset1_b32 s0, 10
	s_mov_b32 m0, s0
	s_sendmsg sendmsg(MSG_INTERRUPT)
	s_mov_b32 m0, ttmp2
.LBB183_570:                            ; =>This Inner Loop Header: Depth=1
	s_sethalt 5
	s_branch .LBB183_570
.LBB183_571:
	s_trap 2
	s_sendmsg_rtn_b32 s0, sendmsg(MSG_RTN_GET_DOORBELL)
	s_mov_b32 ttmp2, m0
	s_waitcnt lgkmcnt(0)
	s_and_b32 s0, s0, 0x3ff
	s_delay_alu instid0(SALU_CYCLE_1) | instskip(NEXT) | instid1(SALU_CYCLE_1)
	s_bitset1_b32 s0, 10
	s_mov_b32 m0, s0
	s_sendmsg sendmsg(MSG_INTERRUPT)
	s_mov_b32 m0, ttmp2
.LBB183_572:                            ; =>This Inner Loop Header: Depth=1
	s_sethalt 5
	s_branch .LBB183_572
	.section	.rodata,"a",@progbits
	.p2align	6, 0x0
	.amdhsa_kernel _ZN2at6native6sbtopk10gatherTopKIdmLi2ELb0EEEvNS_4cuda6detail10TensorInfoIKT_T0_EES8_S8_bS8_S8_NS5_IS6_S8_EES8_NS5_IlS8_EES8_PS6_
		.amdhsa_group_segment_fixed_size 5152
		.amdhsa_private_segment_fixed_size 0
		.amdhsa_kernarg_size 1568
		.amdhsa_user_sgpr_count 13
		.amdhsa_user_sgpr_dispatch_ptr 0
		.amdhsa_user_sgpr_queue_ptr 0
		.amdhsa_user_sgpr_kernarg_segment_ptr 1
		.amdhsa_user_sgpr_dispatch_id 0
		.amdhsa_user_sgpr_private_segment_size 0
		.amdhsa_wavefront_size32 1
		.amdhsa_uses_dynamic_stack 0
		.amdhsa_enable_private_segment 0
		.amdhsa_system_sgpr_workgroup_id_x 1
		.amdhsa_system_sgpr_workgroup_id_y 1
		.amdhsa_system_sgpr_workgroup_id_z 1
		.amdhsa_system_sgpr_workgroup_info 0
		.amdhsa_system_vgpr_workitem_id 0
		.amdhsa_next_free_vgpr 52
		.amdhsa_next_free_sgpr 105
		.amdhsa_reserve_vcc 1
		.amdhsa_float_round_mode_32 0
		.amdhsa_float_round_mode_16_64 0
		.amdhsa_float_denorm_mode_32 3
		.amdhsa_float_denorm_mode_16_64 3
		.amdhsa_dx10_clamp 1
		.amdhsa_ieee_mode 1
		.amdhsa_fp16_overflow 0
		.amdhsa_workgroup_processor_mode 1
		.amdhsa_memory_ordered 1
		.amdhsa_forward_progress 0
		.amdhsa_shared_vgpr_count 0
		.amdhsa_exception_fp_ieee_invalid_op 0
		.amdhsa_exception_fp_denorm_src 0
		.amdhsa_exception_fp_ieee_div_zero 0
		.amdhsa_exception_fp_ieee_overflow 0
		.amdhsa_exception_fp_ieee_underflow 0
		.amdhsa_exception_fp_ieee_inexact 0
		.amdhsa_exception_int_div_zero 0
	.end_amdhsa_kernel
	.section	.text._ZN2at6native6sbtopk10gatherTopKIdmLi2ELb0EEEvNS_4cuda6detail10TensorInfoIKT_T0_EES8_S8_bS8_S8_NS5_IS6_S8_EES8_NS5_IlS8_EES8_PS6_,"axG",@progbits,_ZN2at6native6sbtopk10gatherTopKIdmLi2ELb0EEEvNS_4cuda6detail10TensorInfoIKT_T0_EES8_S8_bS8_S8_NS5_IS6_S8_EES8_NS5_IlS8_EES8_PS6_,comdat
.Lfunc_end183:
	.size	_ZN2at6native6sbtopk10gatherTopKIdmLi2ELb0EEEvNS_4cuda6detail10TensorInfoIKT_T0_EES8_S8_bS8_S8_NS5_IS6_S8_EES8_NS5_IlS8_EES8_PS6_, .Lfunc_end183-_ZN2at6native6sbtopk10gatherTopKIdmLi2ELb0EEEvNS_4cuda6detail10TensorInfoIKT_T0_EES8_S8_bS8_S8_NS5_IS6_S8_EES8_NS5_IlS8_EES8_PS6_
                                        ; -- End function
	.section	.AMDGPU.csdata,"",@progbits
; Kernel info:
; codeLenInByte = 30672
; NumSgprs: 107
; NumVgprs: 52
; ScratchSize: 0
; MemoryBound: 0
; FloatMode: 240
; IeeeMode: 1
; LDSByteSize: 5152 bytes/workgroup (compile time only)
; SGPRBlocks: 13
; VGPRBlocks: 6
; NumSGPRsForWavesPerEU: 107
; NumVGPRsForWavesPerEU: 52
; Occupancy: 16
; WaveLimiterHint : 1
; COMPUTE_PGM_RSRC2:SCRATCH_EN: 0
; COMPUTE_PGM_RSRC2:USER_SGPR: 13
; COMPUTE_PGM_RSRC2:TRAP_HANDLER: 0
; COMPUTE_PGM_RSRC2:TGID_X_EN: 1
; COMPUTE_PGM_RSRC2:TGID_Y_EN: 1
; COMPUTE_PGM_RSRC2:TGID_Z_EN: 1
; COMPUTE_PGM_RSRC2:TIDIG_COMP_CNT: 0
	.section	.text._ZN2at6native6mbtopk23computeBlockDigitCountsIdmmLi3EEEvNS_4cuda6detail10TensorInfoIKT_T0_EEjPjjS8_iijT1_PSB_Ps,"axG",@progbits,_ZN2at6native6mbtopk23computeBlockDigitCountsIdmmLi3EEEvNS_4cuda6detail10TensorInfoIKT_T0_EEjPjjS8_iijT1_PSB_Ps,comdat
	.protected	_ZN2at6native6mbtopk23computeBlockDigitCountsIdmmLi3EEEvNS_4cuda6detail10TensorInfoIKT_T0_EEjPjjS8_iijT1_PSB_Ps ; -- Begin function _ZN2at6native6mbtopk23computeBlockDigitCountsIdmmLi3EEEvNS_4cuda6detail10TensorInfoIKT_T0_EEjPjjS8_iijT1_PSB_Ps
	.globl	_ZN2at6native6mbtopk23computeBlockDigitCountsIdmmLi3EEEvNS_4cuda6detail10TensorInfoIKT_T0_EEjPjjS8_iijT1_PSB_Ps
	.p2align	8
	.type	_ZN2at6native6mbtopk23computeBlockDigitCountsIdmmLi3EEEvNS_4cuda6detail10TensorInfoIKT_T0_EEjPjjS8_iijT1_PSB_Ps,@function
_ZN2at6native6mbtopk23computeBlockDigitCountsIdmmLi3EEEvNS_4cuda6detail10TensorInfoIKT_T0_EEjPjjS8_iijT1_PSB_Ps: ; @_ZN2at6native6mbtopk23computeBlockDigitCountsIdmmLi3EEEvNS_4cuda6detail10TensorInfoIKT_T0_EEjPjjS8_iijT1_PSB_Ps
; %bb.0:
	s_clause 0x2
	s_load_b128 s[8:11], s[0:1], 0x1c0
	s_load_b32 s5, s[0:1], 0x1b0
	s_load_b64 s[2:3], s[0:1], 0x1e8
	s_mov_b32 s21, 0
	s_waitcnt lgkmcnt(0)
	v_cvt_f32_u32_e32 v1, s10
	s_sub_i32 s6, 0, s10
	s_mul_i32 s3, s3, s15
	s_delay_alu instid0(SALU_CYCLE_1) | instskip(NEXT) | instid1(VALU_DEP_1)
	s_add_i32 s3, s3, s14
	v_rcp_iflag_f32_e32 v1, v1
	s_mul_i32 s26, s3, s2
	s_delay_alu instid0(SALU_CYCLE_1) | instskip(SKIP_2) | instid1(VALU_DEP_1)
	s_add_i32 s26, s26, s13
	s_waitcnt_depctr 0xfff
	v_mul_f32_e32 v1, 0x4f7ffffe, v1
	v_cvt_u32_f32_e32 v1, v1
	s_delay_alu instid0(VALU_DEP_1) | instskip(NEXT) | instid1(VALU_DEP_1)
	v_readfirstlane_b32 s4, v1
	s_mul_i32 s6, s6, s4
	s_delay_alu instid0(SALU_CYCLE_1) | instskip(NEXT) | instid1(SALU_CYCLE_1)
	s_mul_hi_u32 s2, s4, s6
	s_add_i32 s4, s4, s2
	s_delay_alu instid0(SALU_CYCLE_1) | instskip(NEXT) | instid1(SALU_CYCLE_1)
	s_mul_hi_u32 s2, s26, s4
	s_mul_i32 s3, s2, s10
	s_add_i32 s4, s2, 1
	s_sub_i32 s3, s26, s3
	s_delay_alu instid0(SALU_CYCLE_1)
	s_sub_i32 s6, s3, s10
	s_cmp_ge_u32 s3, s10
	s_cselect_b32 s2, s4, s2
	s_cselect_b32 s3, s6, s3
	s_add_i32 s4, s2, 1
	s_cmp_ge_u32 s3, s10
	s_cselect_b32 s20, s4, s2
	s_delay_alu instid0(SALU_CYCLE_1)
	s_cmp_ge_u32 s20, s5
	s_cbranch_scc1 .LBB184_27
; %bb.1:
	s_clause 0x1
	s_load_b128 s[12:15], s[0:1], 0x10
	s_load_b128 s[4:7], s[0:1], 0x1d0
	s_lshl_b64 s[2:3], s[20:21], 3
	s_mov_b64 s[22:23], 0
	s_mov_b64 s[24:25], 0
	s_waitcnt lgkmcnt(0)
	v_cmp_lt_u64_e64 s11, s[20:21], s[14:15]
	s_add_u32 s6, s6, s2
	s_addc_u32 s7, s7, s3
	s_delay_alu instid0(VALU_DEP_1)
	s_and_b32 vcc_lo, exec_lo, s11
	s_cbranch_vccz .LBB184_15
; %bb.2:
	s_load_b64 s[2:3], s[0:1], 0x1e0
	v_cmp_lt_u64_e64 s11, s[24:25], s[12:13]
	s_delay_alu instid0(VALU_DEP_1)
	s_and_b32 vcc_lo, exec_lo, s11
	s_cbranch_vccz .LBB184_16
.LBB184_3:
	v_cmp_gt_u32_e32 vcc_lo, 0x100, v0
	v_lshlrev_b32_e32 v3, 2, v0
	s_and_saveexec_b32 s11, vcc_lo
	s_cbranch_execz .LBB184_5
.LBB184_4:
	v_mov_b32_e32 v1, 0
	ds_store_b32 v3, v1
.LBB184_5:
	s_or_b32 exec_lo, exec_lo, s11
	s_load_b32 s21, s[0:1], 0x1a0
	s_mul_i32 s11, s20, s10
	s_mov_b32 s23, 0
	s_sub_i32 s11, s26, s11
	s_waitcnt lgkmcnt(0)
	s_mul_i32 s16, s9, s11
	s_add_i32 s11, s11, 1
	s_lshl_b32 s27, s16, 8
	s_barrier
	buffer_gl0_inv
	s_sub_i32 s16, s21, s27
	s_delay_alu instid0(SALU_CYCLE_1) | instskip(SKIP_3) | instid1(VALU_DEP_1)
	s_add_u32 s16, s16, 0xff
	s_addc_u32 s17, 0, 0
	s_cmp_lt_u32 s11, s10
	v_alignbit_b32 v1, s17, s16, 8
	v_readfirstlane_b32 s16, v1
	s_delay_alu instid0(VALU_DEP_1) | instskip(NEXT) | instid1(SALU_CYCLE_1)
	s_cselect_b32 s9, s9, s16
	s_cmp_lt_i32 s9, 1
	s_cbranch_scc1 .LBB184_23
; %bb.6:
	s_clause 0x2
	s_load_b64 s[28:29], s[0:1], 0xe0
	s_load_b128 s[16:19], s[0:1], 0xd0
	s_load_b64 s[30:31], s[0:1], 0x0
	s_load_b64 s[6:7], s[6:7], 0x0
	s_mul_i32 s15, s24, s15
	s_mul_hi_u32 s33, s24, s14
	s_mul_i32 s14, s24, s14
	s_add_i32 s33, s33, s15
	s_mul_i32 s13, s22, s13
	s_mul_hi_u32 s34, s22, s12
	s_sub_u32 s20, s20, s14
	s_load_b64 s[10:11], s[0:1], 0x1b8
	s_subb_u32 s0, 0, s33
	s_add_i32 s34, s34, s13
	s_mul_i32 s12, s22, s12
	v_add_nc_u32_e32 v4, s27, v0
	s_waitcnt lgkmcnt(0)
	s_mul_i32 s1, s20, s29
	s_mul_hi_u32 s13, s20, s28
	s_mul_i32 s14, s0, s28
	s_add_i32 s1, s13, s1
	s_mul_i32 s15, s22, s17
	s_add_i32 s13, s1, s14
	s_mul_hi_u32 s17, s22, s16
	s_sub_u32 s12, s24, s12
	s_mul_i32 s0, s22, s16
	s_subb_u32 s14, s25, s34
	s_add_i32 s1, s17, s15
	s_mul_i32 s15, s12, s19
	s_mul_hi_u32 s16, s12, s18
	s_mul_i32 s14, s14, s18
	s_add_i32 s15, s16, s15
	s_lshl_b64 s[0:1], s[0:1], 3
	s_add_i32 s15, s15, s14
	s_mul_i32 s14, s12, s18
	s_add_u32 s16, s30, s0
	s_addc_u32 s17, s31, s1
	s_lshl_b64 s[0:1], s[14:15], 3
	s_mul_i32 s12, s20, s28
	s_add_u32 s14, s16, s0
	s_addc_u32 s15, s17, s1
	s_lshl_b64 s[0:1], s[12:13], 3
	s_delay_alu instid0(SALU_CYCLE_1)
	s_add_u32 s12, s14, s0
	s_addc_u32 s13, s15, s1
	s_and_b32 s1, s8, 0xff
	s_cmp_eq_u32 s9, 1
	s_cbranch_scc1 .LBB184_18
; %bb.7:
	v_dual_mov_b32 v5, 1 :: v_dual_mov_b32 v6, v4
	s_and_b32 s8, s9, 0x7ffffffe
	s_mov_b32 s14, 0
	s_branch .LBB184_9
.LBB184_8:                              ;   in Loop: Header=BB184_9 Depth=1
	s_or_b32 exec_lo, exec_lo, s15
	v_add_nc_u32_e32 v6, 0x200, v6
	s_add_i32 s14, s14, 2
	s_delay_alu instid0(SALU_CYCLE_1)
	s_cmp_eq_u32 s8, s14
	s_cbranch_scc1 .LBB184_17
.LBB184_9:                              ; =>This Inner Loop Header: Depth=1
	s_mov_b32 s15, exec_lo
	v_cmpx_gt_u32_e64 s21, v6
	s_cbranch_execz .LBB184_12
; %bb.10:                               ;   in Loop: Header=BB184_9 Depth=1
	v_mad_u64_u32 v[1:2], null, v6, s10, 0
	s_delay_alu instid0(VALU_DEP_1) | instskip(NEXT) | instid1(VALU_DEP_1)
	v_mad_u64_u32 v[7:8], null, v6, s11, v[2:3]
	v_mov_b32_e32 v2, v7
	s_delay_alu instid0(VALU_DEP_1) | instskip(NEXT) | instid1(VALU_DEP_1)
	v_lshlrev_b64 v[1:2], 3, v[1:2]
	v_add_co_u32 v1, s0, s12, v1
	s_delay_alu instid0(VALU_DEP_1) | instskip(SKIP_4) | instid1(VALU_DEP_1)
	v_add_co_ci_u32_e64 v2, s0, s13, v2, s0
	global_load_b64 v[1:2], v[1:2], off
	s_waitcnt vmcnt(0)
	v_cmp_o_f64_e64 s0, v[1:2], v[1:2]
	v_ashrrev_i32_e32 v7, 31, v2
	v_or_b32_e32 v8, 0x80000000, v7
	v_xor_b32_e32 v1, v7, v1
	s_delay_alu instid0(VALU_DEP_2) | instskip(NEXT) | instid1(VALU_DEP_1)
	v_xor_b32_e32 v8, v8, v2
	v_cndmask_b32_e64 v2, -1, v8, s0
	s_delay_alu instid0(VALU_DEP_3) | instskip(NEXT) | instid1(VALU_DEP_2)
	v_cndmask_b32_e64 v1, -1, v1, s0
	v_xor_b32_e32 v7, s7, v2
	s_delay_alu instid0(VALU_DEP_2) | instskip(NEXT) | instid1(VALU_DEP_2)
	v_xor_b32_e32 v9, s6, v1
	v_and_b32_e32 v8, s5, v7
	s_delay_alu instid0(VALU_DEP_2) | instskip(NEXT) | instid1(VALU_DEP_1)
	v_and_b32_e32 v7, s4, v9
	v_cmp_eq_u64_e64 s0, 0, v[7:8]
	s_delay_alu instid0(VALU_DEP_1)
	s_and_b32 exec_lo, exec_lo, s0
	s_cbranch_execz .LBB184_12
; %bb.11:                               ;   in Loop: Header=BB184_9 Depth=1
	v_lshrrev_b64 v[1:2], s1, v[1:2]
	s_delay_alu instid0(VALU_DEP_1) | instskip(NEXT) | instid1(VALU_DEP_1)
	v_and_b32_e32 v1, 0xff, v1
	v_lshlrev_b32_e32 v1, 2, v1
	ds_add_u32 v1, v5
.LBB184_12:                             ;   in Loop: Header=BB184_9 Depth=1
	s_or_b32 exec_lo, exec_lo, s15
	v_add_nc_u32_e32 v1, 0x100, v6
	s_mov_b32 s15, exec_lo
	s_delay_alu instid0(VALU_DEP_1)
	v_cmpx_gt_u32_e64 s21, v1
	s_cbranch_execz .LBB184_8
; %bb.13:                               ;   in Loop: Header=BB184_9 Depth=1
	v_mad_u64_u32 v[7:8], null, v1, s10, 0
	s_delay_alu instid0(VALU_DEP_1) | instskip(NEXT) | instid1(VALU_DEP_1)
	v_mov_b32_e32 v2, v8
	v_mad_u64_u32 v[8:9], null, v1, s11, v[2:3]
	s_delay_alu instid0(VALU_DEP_1) | instskip(NEXT) | instid1(VALU_DEP_1)
	v_lshlrev_b64 v[1:2], 3, v[7:8]
	v_add_co_u32 v1, s0, s12, v1
	s_delay_alu instid0(VALU_DEP_1) | instskip(SKIP_4) | instid1(VALU_DEP_1)
	v_add_co_ci_u32_e64 v2, s0, s13, v2, s0
	global_load_b64 v[1:2], v[1:2], off
	s_waitcnt vmcnt(0)
	v_cmp_o_f64_e64 s0, v[1:2], v[1:2]
	v_ashrrev_i32_e32 v7, 31, v2
	v_or_b32_e32 v8, 0x80000000, v7
	v_xor_b32_e32 v1, v7, v1
	s_delay_alu instid0(VALU_DEP_2) | instskip(NEXT) | instid1(VALU_DEP_1)
	v_xor_b32_e32 v8, v8, v2
	v_cndmask_b32_e64 v2, -1, v8, s0
	s_delay_alu instid0(VALU_DEP_3) | instskip(NEXT) | instid1(VALU_DEP_2)
	v_cndmask_b32_e64 v1, -1, v1, s0
	v_xor_b32_e32 v7, s7, v2
	s_delay_alu instid0(VALU_DEP_2) | instskip(NEXT) | instid1(VALU_DEP_2)
	v_xor_b32_e32 v9, s6, v1
	v_and_b32_e32 v8, s5, v7
	s_delay_alu instid0(VALU_DEP_2) | instskip(NEXT) | instid1(VALU_DEP_1)
	v_and_b32_e32 v7, s4, v9
	v_cmp_eq_u64_e64 s0, 0, v[7:8]
	s_delay_alu instid0(VALU_DEP_1)
	s_and_b32 exec_lo, exec_lo, s0
	s_cbranch_execz .LBB184_8
; %bb.14:                               ;   in Loop: Header=BB184_9 Depth=1
	v_lshrrev_b64 v[1:2], s1, v[1:2]
	s_delay_alu instid0(VALU_DEP_1) | instskip(NEXT) | instid1(VALU_DEP_1)
	v_and_b32_e32 v1, 0xff, v1
	v_lshlrev_b32_e32 v1, 2, v1
	ds_add_u32 v1, v5
	s_branch .LBB184_8
.LBB184_15:
	v_cvt_f32_u32_e32 v1, s14
	s_sub_i32 s3, 0, s14
	s_mov_b32 s25, 0
	s_delay_alu instid0(VALU_DEP_1) | instskip(SKIP_2) | instid1(VALU_DEP_1)
	v_rcp_iflag_f32_e32 v1, v1
	s_waitcnt_depctr 0xfff
	v_mul_f32_e32 v1, 0x4f7ffffe, v1
	v_cvt_u32_f32_e32 v1, v1
	s_delay_alu instid0(VALU_DEP_1) | instskip(NEXT) | instid1(VALU_DEP_1)
	v_readfirstlane_b32 s2, v1
	s_mul_i32 s3, s3, s2
	s_delay_alu instid0(SALU_CYCLE_1) | instskip(NEXT) | instid1(SALU_CYCLE_1)
	s_mul_hi_u32 s3, s2, s3
	s_add_i32 s2, s2, s3
	s_delay_alu instid0(SALU_CYCLE_1) | instskip(NEXT) | instid1(SALU_CYCLE_1)
	s_mul_hi_u32 s2, s20, s2
	s_mul_i32 s3, s2, s14
	s_add_i32 s11, s2, 1
	s_sub_i32 s3, s20, s3
	s_delay_alu instid0(SALU_CYCLE_1)
	s_sub_i32 s16, s3, s14
	s_cmp_ge_u32 s3, s14
	s_cselect_b32 s2, s11, s2
	s_cselect_b32 s3, s16, s3
	s_add_i32 s11, s2, 1
	s_cmp_ge_u32 s3, s14
	s_cselect_b32 s24, s11, s2
	s_load_b64 s[2:3], s[0:1], 0x1e0
	v_cmp_lt_u64_e64 s11, s[24:25], s[12:13]
	s_delay_alu instid0(VALU_DEP_1)
	s_and_b32 vcc_lo, exec_lo, s11
	s_cbranch_vccnz .LBB184_3
.LBB184_16:
	v_cvt_f32_u32_e32 v1, s12
	s_sub_i32 s16, 0, s12
	s_delay_alu instid0(VALU_DEP_1) | instskip(SKIP_2) | instid1(VALU_DEP_1)
	v_rcp_iflag_f32_e32 v1, v1
	s_waitcnt_depctr 0xfff
	v_mul_f32_e32 v1, 0x4f7ffffe, v1
	v_cvt_u32_f32_e32 v1, v1
	s_delay_alu instid0(VALU_DEP_1) | instskip(NEXT) | instid1(VALU_DEP_1)
	v_readfirstlane_b32 s11, v1
	s_mul_i32 s16, s16, s11
	s_delay_alu instid0(SALU_CYCLE_1) | instskip(NEXT) | instid1(SALU_CYCLE_1)
	s_mul_hi_u32 s16, s11, s16
	s_add_i32 s11, s11, s16
	s_delay_alu instid0(SALU_CYCLE_1) | instskip(NEXT) | instid1(SALU_CYCLE_1)
	s_mul_hi_u32 s11, s24, s11
	s_mul_i32 s16, s11, s12
	s_add_i32 s17, s11, 1
	s_sub_i32 s16, s24, s16
	s_delay_alu instid0(SALU_CYCLE_1)
	s_sub_i32 s18, s16, s12
	s_cmp_ge_u32 s16, s12
	s_cselect_b32 s11, s17, s11
	s_cselect_b32 s16, s18, s16
	s_add_i32 s17, s11, 1
	s_cmp_ge_u32 s16, s12
	s_cselect_b32 s22, s17, s11
	v_cmp_gt_u32_e32 vcc_lo, 0x100, v0
	v_lshlrev_b32_e32 v3, 2, v0
	s_and_saveexec_b32 s11, vcc_lo
	s_cbranch_execnz .LBB184_4
	s_branch .LBB184_5
.LBB184_17:
	s_lshl_b32 s23, s8, 8
.LBB184_18:
	s_bitcmp0_b32 s9, 0
	s_cbranch_scc1 .LBB184_23
; %bb.19:
	v_add_nc_u32_e32 v1, s23, v4
	s_mov_b32 s8, exec_lo
	s_delay_alu instid0(VALU_DEP_1)
	v_cmpx_gt_u32_e64 s21, v1
	s_cbranch_execz .LBB184_22
; %bb.20:
	v_mad_u64_u32 v[4:5], null, v1, s10, 0
	s_delay_alu instid0(VALU_DEP_1) | instskip(NEXT) | instid1(VALU_DEP_1)
	v_mov_b32_e32 v2, v5
	v_mad_u64_u32 v[5:6], null, v1, s11, v[2:3]
	s_delay_alu instid0(VALU_DEP_1) | instskip(NEXT) | instid1(VALU_DEP_1)
	v_lshlrev_b64 v[1:2], 3, v[4:5]
	v_add_co_u32 v1, s0, s12, v1
	s_delay_alu instid0(VALU_DEP_1) | instskip(SKIP_4) | instid1(VALU_DEP_1)
	v_add_co_ci_u32_e64 v2, s0, s13, v2, s0
	global_load_b64 v[1:2], v[1:2], off
	s_waitcnt vmcnt(0)
	v_cmp_o_f64_e64 s0, v[1:2], v[1:2]
	v_ashrrev_i32_e32 v4, 31, v2
	v_or_b32_e32 v5, 0x80000000, v4
	v_xor_b32_e32 v1, v4, v1
	s_delay_alu instid0(VALU_DEP_2) | instskip(NEXT) | instid1(VALU_DEP_1)
	v_xor_b32_e32 v5, v5, v2
	v_cndmask_b32_e64 v2, -1, v5, s0
	s_delay_alu instid0(VALU_DEP_3) | instskip(NEXT) | instid1(VALU_DEP_2)
	v_cndmask_b32_e64 v1, -1, v1, s0
	v_xor_b32_e32 v4, s7, v2
	s_delay_alu instid0(VALU_DEP_2) | instskip(NEXT) | instid1(VALU_DEP_2)
	v_xor_b32_e32 v6, s6, v1
	v_and_b32_e32 v5, s5, v4
	s_delay_alu instid0(VALU_DEP_2) | instskip(NEXT) | instid1(VALU_DEP_1)
	v_and_b32_e32 v4, s4, v6
	v_cmp_eq_u64_e64 s0, 0, v[4:5]
	s_delay_alu instid0(VALU_DEP_1)
	s_and_b32 exec_lo, exec_lo, s0
	s_cbranch_execz .LBB184_22
; %bb.21:
	v_lshrrev_b64 v[1:2], s1, v[1:2]
	s_delay_alu instid0(VALU_DEP_1) | instskip(NEXT) | instid1(VALU_DEP_1)
	v_dual_mov_b32 v2, 1 :: v_dual_and_b32 v1, 0xff, v1
	v_lshlrev_b32_e32 v1, 2, v1
	ds_add_u32 v1, v2
.LBB184_22:
	s_or_b32 exec_lo, exec_lo, s8
.LBB184_23:
	v_mov_b32_e32 v1, 0
	s_waitcnt lgkmcnt(0)
	s_barrier
	buffer_gl0_inv
	s_and_saveexec_b32 s0, vcc_lo
	s_cbranch_execz .LBB184_25
; %bb.24:
	ds_load_b32 v1, v3
.LBB184_25:
	s_or_b32 exec_lo, exec_lo, s0
	s_and_saveexec_b32 s0, vcc_lo
	s_cbranch_execz .LBB184_27
; %bb.26:
	v_lshl_or_b32 v2, s26, 8, v0
	v_mov_b32_e32 v3, 0
	s_delay_alu instid0(VALU_DEP_1) | instskip(NEXT) | instid1(VALU_DEP_1)
	v_lshlrev_b64 v[2:3], 1, v[2:3]
	v_add_co_u32 v2, vcc_lo, s2, v2
	s_delay_alu instid0(VALU_DEP_2)
	v_add_co_ci_u32_e32 v3, vcc_lo, s3, v3, vcc_lo
	s_waitcnt lgkmcnt(0)
	global_store_b16 v[2:3], v1, off
.LBB184_27:
	s_nop 0
	s_sendmsg sendmsg(MSG_DEALLOC_VGPRS)
	s_endpgm
	.section	.rodata,"a",@progbits
	.p2align	6, 0x0
	.amdhsa_kernel _ZN2at6native6mbtopk23computeBlockDigitCountsIdmmLi3EEEvNS_4cuda6detail10TensorInfoIKT_T0_EEjPjjS8_iijT1_PSB_Ps
		.amdhsa_group_segment_fixed_size 1024
		.amdhsa_private_segment_fixed_size 0
		.amdhsa_kernarg_size 744
		.amdhsa_user_sgpr_count 13
		.amdhsa_user_sgpr_dispatch_ptr 0
		.amdhsa_user_sgpr_queue_ptr 0
		.amdhsa_user_sgpr_kernarg_segment_ptr 1
		.amdhsa_user_sgpr_dispatch_id 0
		.amdhsa_user_sgpr_private_segment_size 0
		.amdhsa_wavefront_size32 1
		.amdhsa_uses_dynamic_stack 0
		.amdhsa_enable_private_segment 0
		.amdhsa_system_sgpr_workgroup_id_x 1
		.amdhsa_system_sgpr_workgroup_id_y 1
		.amdhsa_system_sgpr_workgroup_id_z 1
		.amdhsa_system_sgpr_workgroup_info 0
		.amdhsa_system_vgpr_workitem_id 0
		.amdhsa_next_free_vgpr 10
		.amdhsa_next_free_sgpr 35
		.amdhsa_reserve_vcc 1
		.amdhsa_float_round_mode_32 0
		.amdhsa_float_round_mode_16_64 0
		.amdhsa_float_denorm_mode_32 3
		.amdhsa_float_denorm_mode_16_64 3
		.amdhsa_dx10_clamp 1
		.amdhsa_ieee_mode 1
		.amdhsa_fp16_overflow 0
		.amdhsa_workgroup_processor_mode 1
		.amdhsa_memory_ordered 1
		.amdhsa_forward_progress 0
		.amdhsa_shared_vgpr_count 0
		.amdhsa_exception_fp_ieee_invalid_op 0
		.amdhsa_exception_fp_denorm_src 0
		.amdhsa_exception_fp_ieee_div_zero 0
		.amdhsa_exception_fp_ieee_overflow 0
		.amdhsa_exception_fp_ieee_underflow 0
		.amdhsa_exception_fp_ieee_inexact 0
		.amdhsa_exception_int_div_zero 0
	.end_amdhsa_kernel
	.section	.text._ZN2at6native6mbtopk23computeBlockDigitCountsIdmmLi3EEEvNS_4cuda6detail10TensorInfoIKT_T0_EEjPjjS8_iijT1_PSB_Ps,"axG",@progbits,_ZN2at6native6mbtopk23computeBlockDigitCountsIdmmLi3EEEvNS_4cuda6detail10TensorInfoIKT_T0_EEjPjjS8_iijT1_PSB_Ps,comdat
.Lfunc_end184:
	.size	_ZN2at6native6mbtopk23computeBlockDigitCountsIdmmLi3EEEvNS_4cuda6detail10TensorInfoIKT_T0_EEjPjjS8_iijT1_PSB_Ps, .Lfunc_end184-_ZN2at6native6mbtopk23computeBlockDigitCountsIdmmLi3EEEvNS_4cuda6detail10TensorInfoIKT_T0_EEjPjjS8_iijT1_PSB_Ps
                                        ; -- End function
	.section	.AMDGPU.csdata,"",@progbits
; Kernel info:
; codeLenInByte = 1744
; NumSgprs: 37
; NumVgprs: 10
; ScratchSize: 0
; MemoryBound: 0
; FloatMode: 240
; IeeeMode: 1
; LDSByteSize: 1024 bytes/workgroup (compile time only)
; SGPRBlocks: 4
; VGPRBlocks: 1
; NumSGPRsForWavesPerEU: 37
; NumVGPRsForWavesPerEU: 10
; Occupancy: 16
; WaveLimiterHint : 1
; COMPUTE_PGM_RSRC2:SCRATCH_EN: 0
; COMPUTE_PGM_RSRC2:USER_SGPR: 13
; COMPUTE_PGM_RSRC2:TRAP_HANDLER: 0
; COMPUTE_PGM_RSRC2:TGID_X_EN: 1
; COMPUTE_PGM_RSRC2:TGID_Y_EN: 1
; COMPUTE_PGM_RSRC2:TGID_Z_EN: 1
; COMPUTE_PGM_RSRC2:TIDIG_COMP_CNT: 0
	.section	.text._ZN2at6native6mbtopk10gatherTopKIdmLi3EEEvNS_4cuda6detail10TensorInfoIKT_T0_EES8_S8_bjS8_NS5_IS6_S8_EES8_NS5_IlS8_EES8_jjPS6_PjSD_j,"axG",@progbits,_ZN2at6native6mbtopk10gatherTopKIdmLi3EEEvNS_4cuda6detail10TensorInfoIKT_T0_EES8_S8_bjS8_NS5_IS6_S8_EES8_NS5_IlS8_EES8_jjPS6_PjSD_j,comdat
	.protected	_ZN2at6native6mbtopk10gatherTopKIdmLi3EEEvNS_4cuda6detail10TensorInfoIKT_T0_EES8_S8_bjS8_NS5_IS6_S8_EES8_NS5_IlS8_EES8_jjPS6_PjSD_j ; -- Begin function _ZN2at6native6mbtopk10gatherTopKIdmLi3EEEvNS_4cuda6detail10TensorInfoIKT_T0_EES8_S8_bjS8_NS5_IS6_S8_EES8_NS5_IlS8_EES8_jjPS6_PjSD_j
	.globl	_ZN2at6native6mbtopk10gatherTopKIdmLi3EEEvNS_4cuda6detail10TensorInfoIKT_T0_EES8_S8_bjS8_NS5_IS6_S8_EES8_NS5_IlS8_EES8_jjPS6_PjSD_j
	.p2align	8
	.type	_ZN2at6native6mbtopk10gatherTopKIdmLi3EEEvNS_4cuda6detail10TensorInfoIKT_T0_EES8_S8_bjS8_NS5_IS6_S8_EES8_NS5_IlS8_EES8_jjPS6_PjSD_j,@function
_ZN2at6native6mbtopk10gatherTopKIdmLi3EEEvNS_4cuda6detail10TensorInfoIKT_T0_EES8_S8_bjS8_NS5_IS6_S8_EES8_NS5_IlS8_EES8_jjPS6_PjSD_j: ; @_ZN2at6native6mbtopk10gatherTopKIdmLi3EEEvNS_4cuda6detail10TensorInfoIKT_T0_EES8_S8_bjS8_NS5_IS6_S8_EES8_NS5_IlS8_EES8_jjPS6_PjSD_j
; %bb.0:
	s_clause 0x1
	s_load_b64 s[2:3], s[0:1], 0x538
	s_load_b32 s4, s[0:1], 0x530
	s_waitcnt lgkmcnt(0)
	s_mul_i32 s3, s3, s15
	s_delay_alu instid0(SALU_CYCLE_1) | instskip(NEXT) | instid1(SALU_CYCLE_1)
	s_add_i32 s3, s3, s14
	s_mul_i32 s2, s3, s2
	s_delay_alu instid0(SALU_CYCLE_1) | instskip(NEXT) | instid1(SALU_CYCLE_1)
	s_add_i32 s2, s2, s13
	s_cmp_ge_u32 s2, s4
	s_cbranch_scc1 .LBB185_54
; %bb.1:
	s_load_b64 s[34:35], s[0:1], 0x510
	s_mov_b32 s45, 0
	s_waitcnt lgkmcnt(0)
	v_cvt_f32_u32_e32 v1, s35
	s_sub_i32 s4, 0, s35
	s_lshl_b32 s33, s34, 8
	s_delay_alu instid0(VALU_DEP_1) | instskip(SKIP_2) | instid1(VALU_DEP_1)
	v_rcp_iflag_f32_e32 v1, v1
	s_waitcnt_depctr 0xfff
	v_mul_f32_e32 v1, 0x4f7ffffe, v1
	v_cvt_u32_f32_e32 v1, v1
	s_delay_alu instid0(VALU_DEP_1) | instskip(NEXT) | instid1(VALU_DEP_1)
	v_readfirstlane_b32 s3, v1
	s_mul_i32 s4, s4, s3
	s_delay_alu instid0(SALU_CYCLE_1) | instskip(NEXT) | instid1(SALU_CYCLE_1)
	s_mul_hi_u32 s4, s3, s4
	s_add_i32 s3, s3, s4
	s_clause 0x1
	s_load_b128 s[4:7], s[0:1], 0x1a0
	s_load_b128 s[8:11], s[0:1], 0x10
	s_mul_hi_u32 s3, s2, s3
	s_delay_alu instid0(SALU_CYCLE_1) | instskip(SKIP_2) | instid1(SALU_CYCLE_1)
	s_mul_i32 s12, s3, s35
	s_add_i32 s13, s3, 1
	s_sub_i32 s12, s2, s12
	s_sub_i32 s14, s12, s35
	s_cmp_ge_u32 s12, s35
	s_cselect_b32 s3, s13, s3
	s_cselect_b32 s12, s14, s12
	s_add_i32 s13, s3, 1
	s_cmp_ge_u32 s12, s35
	s_cselect_b32 s44, s13, s3
	s_delay_alu instid0(SALU_CYCLE_1) | instskip(NEXT) | instid1(SALU_CYCLE_1)
	s_mul_i32 s52, s44, s35
	s_sub_i32 s74, s2, s52
	s_delay_alu instid0(SALU_CYCLE_1) | instskip(NEXT) | instid1(SALU_CYCLE_1)
	s_add_i32 s2, s74, 1
	s_cmp_lt_u32 s2, s35
	s_cbranch_scc1 .LBB185_3
; %bb.2:
	s_mul_i32 s2, s74, s33
	s_waitcnt lgkmcnt(0)
	s_sub_u32 s2, s4, s2
	s_subb_u32 s3, s5, 0
	s_add_u32 s2, s2, 0xff
	s_addc_u32 s3, s3, 0
	s_delay_alu instid0(SALU_CYCLE_1) | instskip(NEXT) | instid1(SALU_CYCLE_1)
	s_ashr_i32 s12, s3, 31
	s_lshr_b32 s12, s12, 24
	s_delay_alu instid0(SALU_CYCLE_1) | instskip(SKIP_1) | instid1(SALU_CYCLE_1)
	s_add_u32 s2, s2, s12
	s_addc_u32 s3, s3, 0
	v_alignbit_b32 v1, s3, s2, 8
	s_delay_alu instid0(VALU_DEP_1)
	v_readfirstlane_b32 s34, v1
.LBB185_3:
	s_waitcnt lgkmcnt(0)
	v_cmp_lt_u64_e64 s2, s[44:45], s[10:11]
	s_mov_b64 s[46:47], 0
	s_mov_b64 s[48:49], 0
	s_delay_alu instid0(VALU_DEP_1)
	s_and_b32 vcc_lo, exec_lo, s2
	s_cbranch_vccnz .LBB185_5
; %bb.4:
	v_cvt_f32_u32_e32 v1, s10
	s_sub_i32 s3, 0, s10
	s_mov_b32 s49, 0
	s_delay_alu instid0(VALU_DEP_1) | instskip(SKIP_2) | instid1(VALU_DEP_1)
	v_rcp_iflag_f32_e32 v1, v1
	s_waitcnt_depctr 0xfff
	v_mul_f32_e32 v1, 0x4f7ffffe, v1
	v_cvt_u32_f32_e32 v1, v1
	s_delay_alu instid0(VALU_DEP_1) | instskip(NEXT) | instid1(VALU_DEP_1)
	v_readfirstlane_b32 s2, v1
	s_mul_i32 s3, s3, s2
	s_delay_alu instid0(SALU_CYCLE_1) | instskip(NEXT) | instid1(SALU_CYCLE_1)
	s_mul_hi_u32 s3, s2, s3
	s_add_i32 s2, s2, s3
	s_delay_alu instid0(SALU_CYCLE_1) | instskip(NEXT) | instid1(SALU_CYCLE_1)
	s_mul_hi_u32 s2, s44, s2
	s_mul_i32 s3, s2, s10
	s_add_i32 s12, s2, 1
	s_sub_i32 s3, s44, s3
	s_delay_alu instid0(SALU_CYCLE_1)
	s_sub_i32 s13, s3, s10
	s_cmp_ge_u32 s3, s10
	s_cselect_b32 s2, s12, s2
	s_cselect_b32 s3, s13, s3
	s_add_i32 s12, s2, 1
	s_cmp_ge_u32 s3, s10
	s_cselect_b32 s48, s12, s2
.LBB185_5:
	s_load_b128 s[20:23], s[0:1], 0x1d0
	v_cmp_lt_u64_e64 s2, s[48:49], s[8:9]
	s_delay_alu instid0(VALU_DEP_1)
	s_and_b32 vcc_lo, exec_lo, s2
	s_cbranch_vccnz .LBB185_7
; %bb.6:
	v_cvt_f32_u32_e32 v1, s8
	s_sub_i32 s3, 0, s8
	s_delay_alu instid0(VALU_DEP_1) | instskip(SKIP_2) | instid1(VALU_DEP_1)
	v_rcp_iflag_f32_e32 v1, v1
	s_waitcnt_depctr 0xfff
	v_mul_f32_e32 v1, 0x4f7ffffe, v1
	v_cvt_u32_f32_e32 v1, v1
	s_delay_alu instid0(VALU_DEP_1) | instskip(NEXT) | instid1(VALU_DEP_1)
	v_readfirstlane_b32 s2, v1
	s_mul_i32 s3, s3, s2
	s_delay_alu instid0(SALU_CYCLE_1) | instskip(NEXT) | instid1(SALU_CYCLE_1)
	s_mul_hi_u32 s3, s2, s3
	s_add_i32 s2, s2, s3
	s_delay_alu instid0(SALU_CYCLE_1) | instskip(NEXT) | instid1(SALU_CYCLE_1)
	s_mul_hi_u32 s2, s48, s2
	s_mul_i32 s3, s2, s8
	s_add_i32 s12, s2, 1
	s_sub_i32 s3, s48, s3
	s_delay_alu instid0(SALU_CYCLE_1)
	s_sub_i32 s13, s3, s8
	s_cmp_ge_u32 s3, s8
	s_cselect_b32 s2, s12, s2
	s_cselect_b32 s3, s13, s3
	s_add_i32 s12, s2, 1
	s_cmp_ge_u32 s3, s8
	s_cselect_b32 s46, s12, s2
.LBB185_7:
	s_waitcnt lgkmcnt(0)
	v_cmp_lt_u64_e64 s2, s[44:45], s[22:23]
	s_mov_b64 s[50:51], 0
	s_mov_b64 s[62:63], 0
	s_delay_alu instid0(VALU_DEP_1)
	s_and_b32 vcc_lo, exec_lo, s2
	s_cbranch_vccnz .LBB185_9
; %bb.8:
	v_cvt_f32_u32_e32 v1, s22
	s_sub_i32 s3, 0, s22
	s_mov_b32 s63, 0
	s_delay_alu instid0(VALU_DEP_1) | instskip(SKIP_2) | instid1(VALU_DEP_1)
	v_rcp_iflag_f32_e32 v1, v1
	s_waitcnt_depctr 0xfff
	v_mul_f32_e32 v1, 0x4f7ffffe, v1
	v_cvt_u32_f32_e32 v1, v1
	s_delay_alu instid0(VALU_DEP_1) | instskip(NEXT) | instid1(VALU_DEP_1)
	v_readfirstlane_b32 s2, v1
	s_mul_i32 s3, s3, s2
	s_delay_alu instid0(SALU_CYCLE_1) | instskip(NEXT) | instid1(SALU_CYCLE_1)
	s_mul_hi_u32 s3, s2, s3
	s_add_i32 s2, s2, s3
	s_delay_alu instid0(SALU_CYCLE_1) | instskip(NEXT) | instid1(SALU_CYCLE_1)
	s_mul_hi_u32 s2, s44, s2
	s_mul_i32 s3, s2, s22
	s_add_i32 s12, s2, 1
	s_sub_i32 s3, s44, s3
	s_delay_alu instid0(SALU_CYCLE_1)
	s_sub_i32 s13, s3, s22
	s_cmp_ge_u32 s3, s22
	s_cselect_b32 s2, s12, s2
	s_cselect_b32 s3, s13, s3
	s_add_i32 s12, s2, 1
	s_cmp_ge_u32 s3, s22
	s_cselect_b32 s62, s12, s2
.LBB185_9:
	s_load_b128 s[28:31], s[0:1], 0x378
	v_cmp_lt_u64_e64 s2, s[62:63], s[20:21]
	s_delay_alu instid0(VALU_DEP_1)
	s_and_b32 vcc_lo, exec_lo, s2
	s_cbranch_vccnz .LBB185_11
; %bb.10:
	v_cvt_f32_u32_e32 v1, s20
	s_sub_i32 s3, 0, s20
	s_delay_alu instid0(VALU_DEP_1) | instskip(SKIP_2) | instid1(VALU_DEP_1)
	v_rcp_iflag_f32_e32 v1, v1
	s_waitcnt_depctr 0xfff
	v_mul_f32_e32 v1, 0x4f7ffffe, v1
	v_cvt_u32_f32_e32 v1, v1
	s_delay_alu instid0(VALU_DEP_1) | instskip(NEXT) | instid1(VALU_DEP_1)
	v_readfirstlane_b32 s2, v1
	s_mul_i32 s3, s3, s2
	s_delay_alu instid0(SALU_CYCLE_1) | instskip(NEXT) | instid1(SALU_CYCLE_1)
	s_mul_hi_u32 s3, s2, s3
	s_add_i32 s2, s2, s3
	s_delay_alu instid0(SALU_CYCLE_1) | instskip(NEXT) | instid1(SALU_CYCLE_1)
	s_mul_hi_u32 s2, s62, s2
	s_mul_i32 s3, s2, s20
	s_add_i32 s12, s2, 1
	s_sub_i32 s3, s62, s3
	s_delay_alu instid0(SALU_CYCLE_1)
	s_sub_i32 s13, s3, s20
	s_cmp_ge_u32 s3, s20
	s_cselect_b32 s2, s12, s2
	s_cselect_b32 s3, s13, s3
	s_add_i32 s12, s2, 1
	s_cmp_ge_u32 s3, s20
	s_cselect_b32 s50, s12, s2
.LBB185_11:
	s_waitcnt lgkmcnt(0)
	v_cmp_lt_u64_e64 s2, s[44:45], s[30:31]
	s_mov_b64 s[56:57], 0
	s_mov_b64 s[64:65], 0
	s_delay_alu instid0(VALU_DEP_1)
	s_and_b32 vcc_lo, exec_lo, s2
	s_cbranch_vccnz .LBB185_13
; %bb.12:
	v_cvt_f32_u32_e32 v1, s30
	s_sub_i32 s3, 0, s30
	s_mov_b32 s65, 0
	s_delay_alu instid0(VALU_DEP_1) | instskip(SKIP_2) | instid1(VALU_DEP_1)
	v_rcp_iflag_f32_e32 v1, v1
	s_waitcnt_depctr 0xfff
	v_mul_f32_e32 v1, 0x4f7ffffe, v1
	v_cvt_u32_f32_e32 v1, v1
	s_delay_alu instid0(VALU_DEP_1) | instskip(NEXT) | instid1(VALU_DEP_1)
	v_readfirstlane_b32 s2, v1
	s_mul_i32 s3, s3, s2
	s_delay_alu instid0(SALU_CYCLE_1) | instskip(NEXT) | instid1(SALU_CYCLE_1)
	s_mul_hi_u32 s3, s2, s3
	s_add_i32 s2, s2, s3
	s_delay_alu instid0(SALU_CYCLE_1) | instskip(NEXT) | instid1(SALU_CYCLE_1)
	s_mul_hi_u32 s2, s44, s2
	s_mul_i32 s3, s2, s30
	s_add_i32 s12, s2, 1
	s_sub_i32 s3, s44, s3
	s_delay_alu instid0(SALU_CYCLE_1)
	s_sub_i32 s13, s3, s30
	s_cmp_ge_u32 s3, s30
	s_cselect_b32 s2, s12, s2
	s_cselect_b32 s3, s13, s3
	s_add_i32 s12, s2, 1
	s_cmp_ge_u32 s3, s30
	s_cselect_b32 s64, s12, s2
.LBB185_13:
	s_clause 0x5
	s_load_b64 s[66:67], s[0:1], 0xe0
	s_load_b128 s[40:43], s[0:1], 0xd0
	s_load_b64 s[58:59], s[0:1], 0x2a0
	s_load_b128 s[36:39], s[0:1], 0x290
	s_load_b64 s[54:55], s[0:1], 0x448
	s_load_b128 s[24:27], s[0:1], 0x438
	v_cmp_lt_u64_e64 s2, s[64:65], s[28:29]
	s_delay_alu instid0(VALU_DEP_1)
	s_and_b32 vcc_lo, exec_lo, s2
	s_cbranch_vccnz .LBB185_15
; %bb.14:
	v_cvt_f32_u32_e32 v1, s28
	s_sub_i32 s3, 0, s28
	s_delay_alu instid0(VALU_DEP_1) | instskip(SKIP_2) | instid1(VALU_DEP_1)
	v_rcp_iflag_f32_e32 v1, v1
	s_waitcnt_depctr 0xfff
	v_mul_f32_e32 v1, 0x4f7ffffe, v1
	v_cvt_u32_f32_e32 v1, v1
	s_delay_alu instid0(VALU_DEP_1) | instskip(NEXT) | instid1(VALU_DEP_1)
	v_readfirstlane_b32 s2, v1
	s_mul_i32 s3, s3, s2
	s_delay_alu instid0(SALU_CYCLE_1) | instskip(NEXT) | instid1(SALU_CYCLE_1)
	s_mul_hi_u32 s3, s2, s3
	s_add_i32 s2, s2, s3
	s_delay_alu instid0(SALU_CYCLE_1) | instskip(NEXT) | instid1(SALU_CYCLE_1)
	s_mul_hi_u32 s2, s64, s2
	s_mul_i32 s3, s2, s28
	s_add_i32 s12, s2, 1
	s_sub_i32 s3, s64, s3
	s_delay_alu instid0(SALU_CYCLE_1)
	s_sub_i32 s13, s3, s28
	s_cmp_ge_u32 s3, s28
	s_cselect_b32 s2, s12, s2
	s_cselect_b32 s3, s13, s3
	s_add_i32 s12, s2, 1
	s_cmp_ge_u32 s3, s28
	s_cselect_b32 s56, s12, s2
.LBB185_15:
	s_load_b128 s[12:15], s[0:1], 0x518
	s_lshl_b64 s[2:3], s[44:45], 3
	s_mov_b32 s53, 0
	s_waitcnt lgkmcnt(0)
	s_add_u32 s2, s12, s2
	s_addc_u32 s3, s13, s3
	s_load_b64 s[68:69], s[0:1], 0x0
	s_load_b64 s[60:61], s[2:3], 0x0
	v_cmp_ne_u32_e64 s2, 0, v0
	v_cmp_eq_u32_e64 s3, 0, v0
	s_delay_alu instid0(VALU_DEP_1)
	s_and_saveexec_b32 s45, s3
	s_cbranch_execz .LBB185_31
; %bb.16:
	s_load_b64 s[12:13], s[0:1], 0x528
	s_lshl_b64 s[70:71], s[52:53], 2
	s_mov_b32 s47, 0
	s_add_u32 s16, s14, s70
	s_addc_u32 s17, s15, s71
	s_mov_b32 s51, 0
	s_waitcnt lgkmcnt(0)
	s_add_u32 s18, s12, s70
	s_addc_u32 s19, s13, s71
	s_cmp_lt_u32 s35, 4
	s_cbranch_scc1 .LBB185_28
; %bb.17:
	s_mov_b32 s52, 0
.LBB185_18:                             ; =>This Inner Loop Header: Depth=1
	s_add_u32 s16, s14, s70
	s_addc_u32 s17, s15, s71
	s_add_u32 s72, s12, s70
	s_load_b128 s[16:19], s[16:17], 0x0
	s_addc_u32 s73, s13, s71
	s_cmp_ge_u32 s52, s74
	s_cbranch_scc0 .LBB185_25
; %bb.19:                               ;   in Loop: Header=BB185_18 Depth=1
	s_add_i32 s57, s52, 1
	s_delay_alu instid0(SALU_CYCLE_1)
	s_cmp_ge_u32 s57, s74
	s_cbranch_scc0 .LBB185_26
.LBB185_20:                             ;   in Loop: Header=BB185_18 Depth=1
	s_add_i32 s57, s57, 1
	s_delay_alu instid0(SALU_CYCLE_1)
	s_cmp_ge_u32 s57, s74
	s_cbranch_scc0 .LBB185_27
.LBB185_21:                             ;   in Loop: Header=BB185_18 Depth=1
	s_add_i32 s57, s57, 1
	s_delay_alu instid0(SALU_CYCLE_1)
	s_cmp_ge_u32 s57, s74
	s_cbranch_scc1 .LBB185_23
.LBB185_22:                             ;   in Loop: Header=BB185_18 Depth=1
	s_load_b32 s72, s[72:73], 0xc
	s_waitcnt lgkmcnt(0)
	s_add_i32 s53, s53, s19
	s_add_i32 s47, s72, s47
.LBB185_23:                             ;   in Loop: Header=BB185_18 Depth=1
	s_waitcnt lgkmcnt(0)
	s_add_i32 s16, s16, s51
	s_delay_alu instid0(SALU_CYCLE_1) | instskip(NEXT) | instid1(SALU_CYCLE_1)
	s_add_i32 s16, s16, s17
	s_add_i32 s16, s16, s18
	s_delay_alu instid0(SALU_CYCLE_1)
	s_add_i32 s51, s16, s19
	s_add_u32 s14, s14, 16
	s_addc_u32 s15, s15, 0
	s_add_u32 s12, s12, 16
	s_addc_u32 s13, s13, 0
	s_add_i32 s72, s57, 4
	s_add_u32 s18, s12, s70
	s_addc_u32 s19, s13, s71
	s_add_u32 s16, s14, s70
	s_addc_u32 s17, s15, s71
	s_add_i32 s57, s57, 1
	s_cmp_ge_u32 s72, s35
	s_cbranch_scc1 .LBB185_29
; %bb.24:                               ;   in Loop: Header=BB185_18 Depth=1
	s_mov_b32 s52, s57
	s_branch .LBB185_18
.LBB185_25:                             ;   in Loop: Header=BB185_18 Depth=1
	s_load_b32 s57, s[72:73], 0x0
	s_waitcnt lgkmcnt(0)
	s_add_i32 s53, s16, s53
	s_add_i32 s47, s57, s47
	;; [unrolled: 1-line block ×3, first 2 shown]
	s_delay_alu instid0(SALU_CYCLE_1)
	s_cmp_ge_u32 s57, s74
	s_cbranch_scc1 .LBB185_20
.LBB185_26:                             ;   in Loop: Header=BB185_18 Depth=1
	s_load_b32 s75, s[72:73], 0x4
	s_waitcnt lgkmcnt(0)
	s_add_i32 s53, s53, s17
	s_add_i32 s47, s75, s47
	s_add_i32 s57, s57, 1
	s_delay_alu instid0(SALU_CYCLE_1)
	s_cmp_ge_u32 s57, s74
	s_cbranch_scc1 .LBB185_21
.LBB185_27:                             ;   in Loop: Header=BB185_18 Depth=1
	s_load_b32 s75, s[72:73], 0x8
	s_waitcnt lgkmcnt(0)
	s_add_i32 s53, s53, s18
	s_add_i32 s47, s75, s47
	;; [unrolled: 1-line block ×3, first 2 shown]
	s_delay_alu instid0(SALU_CYCLE_1)
	s_cmp_ge_u32 s57, s74
	s_cbranch_scc0 .LBB185_22
	s_branch .LBB185_23
.LBB185_28:
	s_mov_b32 s12, 0
	s_delay_alu instid0(SALU_CYCLE_1)
	s_cmp_ge_u32 s12, s35
	s_cbranch_scc0 .LBB185_52
	s_branch .LBB185_30
.LBB185_29:
	s_add_i32 s12, s52, 4
	s_delay_alu instid0(SALU_CYCLE_1)
	s_cmp_ge_u32 s12, s35
	s_cbranch_scc0 .LBB185_52
.LBB185_30:
	v_dual_mov_b32 v1, s47 :: v_dual_mov_b32 v2, s51
	v_dual_mov_b32 v3, s53 :: v_dual_mov_b32 v4, 0
	ds_store_b96 v4, v[1:3] offset:1056
.LBB185_31:
	s_or_b32 exec_lo, exec_lo, s45
	s_clause 0x1
	s_load_b128 s[12:15], s[0:1], 0x1b8
	s_load_b128 s[16:19], s[0:1], 0x360
	s_cmp_eq_u32 s34, 0
	s_waitcnt lgkmcnt(0)
	s_barrier
	buffer_gl0_inv
	s_cbranch_scc1 .LBB185_54
; %bb.32:
	s_mul_i32 s31, s64, s31
	s_mul_hi_u32 s35, s64, s30
	s_mul_i32 s30, s64, s30
	s_add_i32 s35, s35, s31
	s_sub_u32 s30, s44, s30
	s_subb_u32 s35, 0, s35
	s_mul_i32 s31, s30, s55
	s_mul_hi_u32 s45, s30, s54
	s_mul_i32 s35, s35, s54
	s_add_i32 s31, s45, s31
	s_mul_i32 s21, s50, s21
	s_add_i32 s31, s31, s35
	s_mul_hi_u32 s35, s50, s20
	s_mul_i32 s20, s50, s20
	s_add_i32 s35, s35, s21
	s_sub_u32 s20, s62, s20
	s_subb_u32 s35, s63, s35
	s_mul_i32 s21, s20, s39
	s_mul_hi_u32 s39, s20, s38
	s_mul_i32 s35, s35, s38
	s_add_i32 s21, s39, s21
	s_mul_i32 s37, s50, s37
	s_mul_hi_u32 s39, s50, s36
	s_add_i32 s21, s21, s35
	s_mul_i32 s23, s62, s23
	s_mul_hi_u32 s35, s62, s22
	s_mul_i32 s22, s62, s22
	s_add_i32 s37, s39, s37
	s_add_i32 s35, s35, s23
	s_sub_u32 s22, s44, s22
	s_subb_u32 s35, 0, s35
	s_mul_i32 s23, s22, s59
	s_mul_hi_u32 s39, s22, s58
	s_mul_i32 s35, s35, s58
	s_add_i32 s23, s39, s23
	s_mul_i32 s9, s46, s9
	s_add_i32 s23, s23, s35
	s_mul_hi_u32 s35, s46, s8
	s_mul_i32 s8, s46, s8
	s_add_i32 s35, s35, s9
	s_sub_u32 s8, s48, s8
	s_subb_u32 s35, s49, s35
	s_mul_i32 s9, s8, s43
	s_mul_hi_u32 s39, s8, s42
	s_mul_i32 s35, s35, s42
	s_add_i32 s9, s39, s9
	s_mul_i32 s39, s46, s41
	s_mul_hi_u32 s41, s46, s40
	s_add_i32 s9, s9, s35
	s_mul_i32 s11, s48, s11
	s_mul_hi_u32 s35, s48, s10
	s_mul_i32 s10, s48, s10
	s_add_i32 s41, s41, s39
	s_add_i32 s35, s35, s11
	s_sub_u32 s10, s44, s10
	s_subb_u32 s35, 0, s35
	s_mul_i32 s11, s10, s67
	s_mul_hi_u32 s39, s10, s66
	s_mul_i32 s35, s35, s66
	s_add_i32 s11, s39, s11
	s_mul_i32 s29, s56, s29
	s_add_i32 s11, s11, s35
	s_mul_hi_u32 s35, s56, s28
	s_mul_i32 s28, s56, s28
	s_add_i32 s35, s35, s29
	s_sub_u32 s28, s64, s28
	s_subb_u32 s35, s65, s35
	s_mul_i32 s27, s28, s27
	s_mul_hi_u32 s29, s28, s26
	s_mul_i32 s35, s35, s26
	s_add_i32 s27, s29, s27
	s_mul_i32 s40, s46, s40
	s_add_i32 s29, s27, s35
	v_cmp_o_f64_e64 s35, s[60:61], s[60:61]
	s_mul_i32 s25, s56, s25
	s_mul_hi_u32 s27, s56, s24
	s_lshl_b64 s[40:41], s[40:41], 3
	s_mul_i32 s8, s8, s42
	s_add_i32 s39, s27, s25
	s_add_u32 s25, s68, s40
	s_addc_u32 s27, s69, s41
	s_lshl_b64 s[8:9], s[8:9], 3
	s_mul_i32 s10, s10, s66
	s_add_u32 s25, s25, s8
	s_addc_u32 s27, s27, s9
	s_lshl_b64 s[8:9], s[10:11], 3
	s_mul_i32 s36, s50, s36
	;; [unrolled: 4-line block ×3, first 2 shown]
	v_dual_mov_b32 v5, 0 :: v_dual_add_nc_u32 v4, -1, v0
	s_add_u32 s10, s14, s8
	s_addc_u32 s11, s15, s9
	s_lshl_b64 s[8:9], s[20:21], 3
	s_mul_i32 s22, s22, s58
	s_add_u32 s10, s10, s8
	s_addc_u32 s11, s11, s9
	s_lshl_b64 s[8:9], s[22:23], 3
	ds_load_b96 v[1:3], v5 offset:1056
	s_mul_i32 s38, s56, s24
	s_add_u32 s14, s10, s8
	s_addc_u32 s15, s11, s9
	s_lshl_b64 s[8:9], s[38:39], 3
	s_mul_i32 s28, s28, s26
	s_add_u32 s10, s18, s8
	s_addc_u32 s11, s19, s9
	s_lshl_b64 s[8:9], s[28:29], 3
	;; [unrolled: 4-line block ×3, first 2 shown]
	s_load_b32 s20, s[0:1], 0x1b0
	s_add_u32 s18, s10, s8
	s_addc_u32 s19, s11, s9
	s_ashr_i32 s8, s61, 31
	v_lshlrev_b32_e32 v8, 3, v0
	s_or_b32 s9, s8, 0x80000000
	v_lshrrev_b32_e32 v9, 2, v0
	s_xor_b64 s[8:9], s[8:9], s[60:61]
	s_and_b32 s10, s35, exec_lo
	s_load_b64 s[10:11], s[0:1], 0x508
	s_waitcnt lgkmcnt(0)
	v_add_nc_u32_e32 v1, v1, v2
	v_lshrrev_b32_e32 v2, 5, v0
	v_lshrrev_b32_e32 v12, 5, v4
	v_mbcnt_lo_u32_b32 v10, -1, 0
	v_cmp_gt_u32_e64 s0, 32, v0
	v_mad_u64_u32 v[6:7], null, s74, s33, v[0:1]
	v_add_lshl_u32 v11, v2, v0, 2
	v_add_lshl_u32 v0, v9, v8, 2
	;; [unrolled: 1-line block ×3, first 2 shown]
	v_and_b32_e32 v13, 15, v10
	v_bfe_i32 v14, v10, 4, 1
	v_dual_mov_b32 v4, v6 :: v_dual_add_nc_u32 v15, -1, v10
	s_cselect_b32 s9, s9, -1
	s_cselect_b32 s8, s8, -1
	s_bitcmp1_b32 s20, 0
                                        ; implicit-def: $vgpr6_vgpr7
	s_cselect_b32 s1, -1, 0
	s_branch .LBB185_35
.LBB185_33:                             ;   in Loop: Header=BB185_35 Depth=1
	s_or_b32 exec_lo, exec_lo, s20
	v_add_nc_u32_e32 v1, v2, v1
.LBB185_34:                             ;   in Loop: Header=BB185_35 Depth=1
	v_add_nc_u32_e32 v3, v16, v3
	v_add_nc_u32_e32 v4, 0x100, v4
	s_add_i32 s34, s34, -1
	s_delay_alu instid0(SALU_CYCLE_1)
	s_cmp_lg_u32 s34, 0
	s_cbranch_scc0 .LBB185_54
.LBB185_35:                             ; =>This Inner Loop Header: Depth=1
	v_mov_b32_e32 v2, v5
	v_mov_b32_e32 v8, v5
	s_mov_b32 s20, exec_lo
	v_cmpx_gt_u64_e64 s[4:5], v[4:5]
	s_cbranch_execz .LBB185_37
; %bb.36:                               ;   in Loop: Header=BB185_35 Depth=1
	v_mad_u64_u32 v[6:7], null, v4, s12, 0
	s_delay_alu instid0(VALU_DEP_1) | instskip(NEXT) | instid1(VALU_DEP_1)
	v_mov_b32_e32 v2, v7
	v_mad_u64_u32 v[7:8], null, v4, s13, v[2:3]
	s_delay_alu instid0(VALU_DEP_1) | instskip(NEXT) | instid1(VALU_DEP_1)
	v_lshlrev_b64 v[6:7], 3, v[6:7]
	v_add_co_u32 v6, vcc_lo, s25, v6
	s_delay_alu instid0(VALU_DEP_2) | instskip(SKIP_4) | instid1(VALU_DEP_1)
	v_add_co_ci_u32_e32 v7, vcc_lo, s27, v7, vcc_lo
	global_load_b64 v[6:7], v[6:7], off
	s_waitcnt vmcnt(0)
	v_cmp_o_f64_e32 vcc_lo, v[6:7], v[6:7]
	v_ashrrev_i32_e32 v2, 31, v7
	v_or_b32_e32 v8, 0x80000000, v2
	v_xor_b32_e32 v2, v2, v6
	s_delay_alu instid0(VALU_DEP_2) | instskip(NEXT) | instid1(VALU_DEP_1)
	v_xor_b32_e32 v8, v8, v7
	v_dual_cndmask_b32 v9, -1, v8 :: v_dual_cndmask_b32 v8, -1, v2
	s_delay_alu instid0(VALU_DEP_1) | instskip(SKIP_4) | instid1(VALU_DEP_2)
	v_cmp_lt_u64_e32 vcc_lo, s[8:9], v[8:9]
	v_cndmask_b32_e64 v2, 0, 1, vcc_lo
	v_cmp_gt_u64_e32 vcc_lo, s[8:9], v[8:9]
	v_cndmask_b32_e64 v16, 0, 1, vcc_lo
	v_cmp_eq_u64_e32 vcc_lo, s[8:9], v[8:9]
	v_cndmask_b32_e64 v2, v16, v2, s1
	v_cndmask_b32_e64 v8, 0, 1, vcc_lo
	s_delay_alu instid0(VALU_DEP_2)
	v_and_b32_e32 v2, 1, v2
.LBB185_37:                             ;   in Loop: Header=BB185_35 Depth=1
	s_or_b32 exec_lo, exec_lo, s20
	ds_store_b32 v11, v2
	s_waitcnt lgkmcnt(0)
	s_waitcnt_vscnt null, 0x0
	s_barrier
	buffer_gl0_inv
	s_and_saveexec_b32 s20, s0
	s_cbranch_execz .LBB185_39
; %bb.38:                               ;   in Loop: Header=BB185_35 Depth=1
	ds_load_2addr_b32 v[16:17], v0 offset1:1
	ds_load_2addr_b32 v[18:19], v0 offset0:2 offset1:3
	ds_load_2addr_b32 v[20:21], v0 offset0:4 offset1:5
	;; [unrolled: 1-line block ×3, first 2 shown]
	v_cmp_ne_u32_e32 vcc_lo, 0, v13
	; wave barrier
	s_waitcnt lgkmcnt(3)
	v_add_nc_u32_e32 v9, v17, v16
	s_waitcnt lgkmcnt(2)
	s_delay_alu instid0(VALU_DEP_1) | instskip(SKIP_1) | instid1(VALU_DEP_1)
	v_add3_u32 v9, v9, v18, v19
	s_waitcnt lgkmcnt(1)
	v_add3_u32 v9, v9, v20, v21
	s_waitcnt lgkmcnt(0)
	s_delay_alu instid0(VALU_DEP_1) | instskip(NEXT) | instid1(VALU_DEP_1)
	v_add3_u32 v9, v9, v22, v23
	v_mov_b32_dpp v17, v9 row_shr:1 row_mask:0xf bank_mask:0xf
	s_delay_alu instid0(VALU_DEP_1) | instskip(SKIP_1) | instid1(VALU_DEP_2)
	v_cndmask_b32_e32 v17, 0, v17, vcc_lo
	v_cmp_lt_u32_e32 vcc_lo, 1, v13
	v_add_nc_u32_e32 v9, v17, v9
	s_delay_alu instid0(VALU_DEP_1) | instskip(NEXT) | instid1(VALU_DEP_1)
	v_mov_b32_dpp v17, v9 row_shr:2 row_mask:0xf bank_mask:0xf
	v_cndmask_b32_e32 v17, 0, v17, vcc_lo
	v_cmp_lt_u32_e32 vcc_lo, 3, v13
	s_delay_alu instid0(VALU_DEP_2) | instskip(NEXT) | instid1(VALU_DEP_1)
	v_add_nc_u32_e32 v9, v9, v17
	v_mov_b32_dpp v17, v9 row_shr:4 row_mask:0xf bank_mask:0xf
	s_delay_alu instid0(VALU_DEP_1) | instskip(SKIP_1) | instid1(VALU_DEP_2)
	v_cndmask_b32_e32 v17, 0, v17, vcc_lo
	v_cmp_lt_u32_e32 vcc_lo, 7, v13
	v_add_nc_u32_e32 v9, v9, v17
	s_delay_alu instid0(VALU_DEP_1) | instskip(NEXT) | instid1(VALU_DEP_1)
	v_mov_b32_dpp v17, v9 row_shr:8 row_mask:0xf bank_mask:0xf
	v_cndmask_b32_e32 v17, 0, v17, vcc_lo
	v_cmp_gt_i32_e32 vcc_lo, 0, v15
	s_delay_alu instid0(VALU_DEP_2) | instskip(SKIP_4) | instid1(VALU_DEP_1)
	v_dual_cndmask_b32 v18, v15, v10 :: v_dual_add_nc_u32 v9, v9, v17
	ds_swizzle_b32 v17, v9 offset:swizzle(BROADCAST,32,15)
	v_lshlrev_b32_e32 v18, 2, v18
	s_waitcnt lgkmcnt(0)
	v_and_b32_e32 v17, v14, v17
	v_add_nc_u32_e32 v9, v9, v17
	ds_bpermute_b32 v9, v18, v9
	s_waitcnt lgkmcnt(0)
	v_add_nc_u32_e32 v9, v9, v16
	s_delay_alu instid0(VALU_DEP_1)
	v_cndmask_b32_e64 v9, v9, v2, s3
	ds_store_b32 v0, v9
	; wave barrier
	ds_load_2addr_b32 v[16:17], v0 offset0:1 offset1:2
	ds_load_2addr_b32 v[18:19], v0 offset0:3 offset1:4
	ds_load_2addr_b32 v[20:21], v0 offset0:5 offset1:6
	ds_load_b32 v22, v0 offset:28
	s_waitcnt lgkmcnt(3)
	v_add_nc_u32_e32 v9, v16, v9
	s_delay_alu instid0(VALU_DEP_1) | instskip(SKIP_1) | instid1(VALU_DEP_1)
	v_add_nc_u32_e32 v16, v17, v9
	s_waitcnt lgkmcnt(2)
	v_add_nc_u32_e32 v17, v18, v16
	s_delay_alu instid0(VALU_DEP_1) | instskip(SKIP_1) | instid1(VALU_DEP_1)
	v_add_nc_u32_e32 v18, v19, v17
	;; [unrolled: 4-line block ×3, first 2 shown]
	s_waitcnt lgkmcnt(0)
	v_add_nc_u32_e32 v21, v22, v20
	ds_store_2addr_b32 v0, v9, v16 offset0:1 offset1:2
	ds_store_2addr_b32 v0, v17, v18 offset0:3 offset1:4
	;; [unrolled: 1-line block ×3, first 2 shown]
	ds_store_b32 v0, v21 offset:28
.LBB185_39:                             ;   in Loop: Header=BB185_35 Depth=1
	s_or_b32 exec_lo, exec_lo, s20
	v_mov_b32_e32 v9, 0
	s_waitcnt lgkmcnt(0)
	s_barrier
	buffer_gl0_inv
	s_and_saveexec_b32 s20, s2
	s_cbranch_execz .LBB185_41
; %bb.40:                               ;   in Loop: Header=BB185_35 Depth=1
	ds_load_b32 v9, v12
.LBB185_41:                             ;   in Loop: Header=BB185_35 Depth=1
	s_or_b32 exec_lo, exec_lo, s20
	ds_load_b32 v16, v5 offset:1048
	s_mov_b32 s20, exec_lo
	s_waitcnt lgkmcnt(0)
	s_barrier
	buffer_gl0_inv
	v_cmpx_ne_u32_e32 0, v2
	s_cbranch_execz .LBB185_43
; %bb.42:                               ;   in Loop: Header=BB185_35 Depth=1
	v_add_nc_u32_e32 v23, v9, v3
	s_delay_alu instid0(VALU_DEP_1) | instskip(NEXT) | instid1(VALU_DEP_1)
	v_mad_u64_u32 v[17:18], null, v23, s16, 0
	v_mov_b32_e32 v2, v18
	v_mad_u64_u32 v[19:20], null, v23, s10, 0
	s_delay_alu instid0(VALU_DEP_1) | instskip(NEXT) | instid1(VALU_DEP_3)
	v_mov_b32_e32 v9, v20
	v_mad_u64_u32 v[20:21], null, v23, s17, v[2:3]
	s_delay_alu instid0(VALU_DEP_2) | instskip(NEXT) | instid1(VALU_DEP_2)
	v_mad_u64_u32 v[21:22], null, v23, s11, v[9:10]
	v_mov_b32_e32 v18, v20
	s_delay_alu instid0(VALU_DEP_2) | instskip(NEXT) | instid1(VALU_DEP_2)
	v_mov_b32_e32 v20, v21
	v_lshlrev_b64 v[17:18], 3, v[17:18]
	s_delay_alu instid0(VALU_DEP_2) | instskip(NEXT) | instid1(VALU_DEP_2)
	v_lshlrev_b64 v[19:20], 3, v[19:20]
	v_add_co_u32 v17, vcc_lo, s14, v17
	s_delay_alu instid0(VALU_DEP_3) | instskip(NEXT) | instid1(VALU_DEP_3)
	v_add_co_ci_u32_e32 v18, vcc_lo, s15, v18, vcc_lo
	v_add_co_u32 v19, vcc_lo, s18, v19
	s_delay_alu instid0(VALU_DEP_4)
	v_add_co_ci_u32_e32 v20, vcc_lo, s19, v20, vcc_lo
	global_store_b64 v[17:18], v[6:7], off
	global_store_b64 v[19:20], v[4:5], off
.LBB185_43:                             ;   in Loop: Header=BB185_35 Depth=1
	s_or_b32 exec_lo, exec_lo, s20
	v_mov_b32_e32 v2, v5
	s_delay_alu instid0(VALU_DEP_1)
	v_cmp_le_u64_e32 vcc_lo, s[6:7], v[1:2]
	s_cbranch_vccnz .LBB185_34
; %bb.44:                               ;   in Loop: Header=BB185_35 Depth=1
	ds_store_b32 v11, v8
	s_waitcnt lgkmcnt(0)
	s_waitcnt_vscnt null, 0x0
	s_barrier
	buffer_gl0_inv
	s_and_saveexec_b32 s20, s0
	s_cbranch_execz .LBB185_46
; %bb.45:                               ;   in Loop: Header=BB185_35 Depth=1
	ds_load_2addr_b32 v[17:18], v0 offset1:1
	ds_load_2addr_b32 v[19:20], v0 offset0:2 offset1:3
	ds_load_2addr_b32 v[21:22], v0 offset0:4 offset1:5
	;; [unrolled: 1-line block ×3, first 2 shown]
	v_cmp_ne_u32_e32 vcc_lo, 0, v13
	; wave barrier
	s_waitcnt lgkmcnt(3)
	v_add_nc_u32_e32 v2, v18, v17
	s_waitcnt lgkmcnt(2)
	s_delay_alu instid0(VALU_DEP_1) | instskip(SKIP_1) | instid1(VALU_DEP_1)
	v_add3_u32 v2, v2, v19, v20
	s_waitcnt lgkmcnt(1)
	v_add3_u32 v2, v2, v21, v22
	s_waitcnt lgkmcnt(0)
	s_delay_alu instid0(VALU_DEP_1) | instskip(NEXT) | instid1(VALU_DEP_1)
	v_add3_u32 v2, v2, v23, v24
	v_mov_b32_dpp v9, v2 row_shr:1 row_mask:0xf bank_mask:0xf
	s_delay_alu instid0(VALU_DEP_1) | instskip(SKIP_1) | instid1(VALU_DEP_2)
	v_cndmask_b32_e32 v9, 0, v9, vcc_lo
	v_cmp_lt_u32_e32 vcc_lo, 1, v13
	v_add_nc_u32_e32 v2, v9, v2
	s_delay_alu instid0(VALU_DEP_1) | instskip(NEXT) | instid1(VALU_DEP_1)
	v_mov_b32_dpp v9, v2 row_shr:2 row_mask:0xf bank_mask:0xf
	v_cndmask_b32_e32 v9, 0, v9, vcc_lo
	v_cmp_lt_u32_e32 vcc_lo, 3, v13
	s_delay_alu instid0(VALU_DEP_2) | instskip(NEXT) | instid1(VALU_DEP_1)
	v_add_nc_u32_e32 v2, v2, v9
	v_mov_b32_dpp v9, v2 row_shr:4 row_mask:0xf bank_mask:0xf
	s_delay_alu instid0(VALU_DEP_1) | instskip(SKIP_1) | instid1(VALU_DEP_2)
	v_cndmask_b32_e32 v9, 0, v9, vcc_lo
	v_cmp_lt_u32_e32 vcc_lo, 7, v13
	v_add_nc_u32_e32 v2, v2, v9
	s_delay_alu instid0(VALU_DEP_1) | instskip(NEXT) | instid1(VALU_DEP_1)
	v_mov_b32_dpp v9, v2 row_shr:8 row_mask:0xf bank_mask:0xf
	v_cndmask_b32_e32 v9, 0, v9, vcc_lo
	v_cmp_gt_i32_e32 vcc_lo, 0, v15
	s_delay_alu instid0(VALU_DEP_2)
	v_add_nc_u32_e32 v2, v2, v9
	v_cndmask_b32_e32 v18, v15, v10, vcc_lo
	ds_swizzle_b32 v9, v2 offset:swizzle(BROADCAST,32,15)
	v_lshlrev_b32_e32 v18, 2, v18
	s_waitcnt lgkmcnt(0)
	v_and_b32_e32 v9, v14, v9
	s_delay_alu instid0(VALU_DEP_1) | instskip(SKIP_3) | instid1(VALU_DEP_1)
	v_add_nc_u32_e32 v2, v2, v9
	ds_bpermute_b32 v2, v18, v2
	s_waitcnt lgkmcnt(0)
	v_add_nc_u32_e32 v2, v2, v17
	v_cndmask_b32_e64 v2, v2, v8, s3
	ds_store_b32 v0, v2
	; wave barrier
	ds_load_2addr_b32 v[17:18], v0 offset0:1 offset1:2
	ds_load_2addr_b32 v[19:20], v0 offset0:3 offset1:4
	;; [unrolled: 1-line block ×3, first 2 shown]
	ds_load_b32 v9, v0 offset:28
	s_waitcnt lgkmcnt(3)
	v_add_nc_u32_e32 v2, v17, v2
	s_delay_alu instid0(VALU_DEP_1) | instskip(SKIP_1) | instid1(VALU_DEP_1)
	v_add_nc_u32_e32 v17, v18, v2
	s_waitcnt lgkmcnt(2)
	v_add_nc_u32_e32 v18, v19, v17
	s_delay_alu instid0(VALU_DEP_1) | instskip(SKIP_1) | instid1(VALU_DEP_1)
	v_add_nc_u32_e32 v19, v20, v18
	;; [unrolled: 4-line block ×3, first 2 shown]
	s_waitcnt lgkmcnt(0)
	v_add_nc_u32_e32 v9, v9, v21
	ds_store_2addr_b32 v0, v2, v17 offset0:1 offset1:2
	ds_store_2addr_b32 v0, v18, v19 offset0:3 offset1:4
	;; [unrolled: 1-line block ×3, first 2 shown]
	ds_store_b32 v0, v9 offset:28
.LBB185_46:                             ;   in Loop: Header=BB185_35 Depth=1
	s_or_b32 exec_lo, exec_lo, s20
	v_mov_b32_e32 v9, 0
	s_waitcnt lgkmcnt(0)
	s_barrier
	buffer_gl0_inv
	s_and_saveexec_b32 s20, s2
	s_cbranch_execz .LBB185_48
; %bb.47:                               ;   in Loop: Header=BB185_35 Depth=1
	ds_load_b32 v9, v12
.LBB185_48:                             ;   in Loop: Header=BB185_35 Depth=1
	s_or_b32 exec_lo, exec_lo, s20
	ds_load_b32 v2, v5 offset:1048
	s_mov_b32 s20, exec_lo
	s_waitcnt lgkmcnt(0)
	s_barrier
	buffer_gl0_inv
	v_cmpx_ne_u32_e32 0, v8
	s_cbranch_execz .LBB185_33
; %bb.49:                               ;   in Loop: Header=BB185_35 Depth=1
	v_add_nc_u32_e32 v8, v9, v1
	v_mov_b32_e32 v9, v5
	s_delay_alu instid0(VALU_DEP_1)
	v_cmp_gt_u64_e32 vcc_lo, s[6:7], v[8:9]
	s_and_b32 exec_lo, exec_lo, vcc_lo
	s_cbranch_execz .LBB185_33
; %bb.50:                               ;   in Loop: Header=BB185_35 Depth=1
	v_mad_u64_u32 v[17:18], null, v8, s16, 0
	v_mad_u64_u32 v[19:20], null, v8, s10, 0
	s_delay_alu instid0(VALU_DEP_1) | instskip(NEXT) | instid1(VALU_DEP_1)
	v_dual_mov_b32 v9, v18 :: v_dual_mov_b32 v18, v20
	v_mad_u64_u32 v[20:21], null, v8, s17, v[9:10]
	s_delay_alu instid0(VALU_DEP_2) | instskip(NEXT) | instid1(VALU_DEP_2)
	v_mad_u64_u32 v[21:22], null, v8, s11, v[18:19]
	v_mov_b32_e32 v18, v20
	s_delay_alu instid0(VALU_DEP_2) | instskip(NEXT) | instid1(VALU_DEP_2)
	v_mov_b32_e32 v20, v21
	v_lshlrev_b64 v[8:9], 3, v[17:18]
	s_delay_alu instid0(VALU_DEP_2) | instskip(NEXT) | instid1(VALU_DEP_2)
	v_lshlrev_b64 v[17:18], 3, v[19:20]
	v_add_co_u32 v8, vcc_lo, s14, v8
	s_delay_alu instid0(VALU_DEP_3) | instskip(NEXT) | instid1(VALU_DEP_3)
	v_add_co_ci_u32_e32 v9, vcc_lo, s15, v9, vcc_lo
	v_add_co_u32 v17, vcc_lo, s18, v17
	s_delay_alu instid0(VALU_DEP_4)
	v_add_co_ci_u32_e32 v18, vcc_lo, s19, v18, vcc_lo
	global_store_b64 v[8:9], v[6:7], off
	global_store_b64 v[17:18], v[4:5], off
	s_branch .LBB185_33
	.p2align	6
.LBB185_51:                             ;   in Loop: Header=BB185_52 Depth=1
	s_add_u32 s16, s16, 4
	s_addc_u32 s17, s17, 0
	s_waitcnt lgkmcnt(0)
	s_add_i32 s51, s13, s51
	s_add_u32 s18, s18, 4
	s_addc_u32 s19, s19, 0
	s_add_i32 s12, s12, 1
	s_delay_alu instid0(SALU_CYCLE_1)
	s_cmp_lt_u32 s12, s35
	s_cbranch_scc0 .LBB185_30
.LBB185_52:                             ; =>This Inner Loop Header: Depth=1
	s_load_b32 s13, s[16:17], 0x0
	s_cmp_ge_u32 s12, s74
	s_cbranch_scc1 .LBB185_51
; %bb.53:                               ;   in Loop: Header=BB185_52 Depth=1
	s_load_b32 s14, s[18:19], 0x0
	s_waitcnt lgkmcnt(0)
	s_add_i32 s53, s13, s53
	s_add_i32 s47, s14, s47
	s_branch .LBB185_51
.LBB185_54:
	s_nop 0
	s_sendmsg sendmsg(MSG_DEALLOC_VGPRS)
	s_endpgm
	.section	.rodata,"a",@progbits
	.p2align	6, 0x0
	.amdhsa_kernel _ZN2at6native6mbtopk10gatherTopKIdmLi3EEEvNS_4cuda6detail10TensorInfoIKT_T0_EES8_S8_bjS8_NS5_IS6_S8_EES8_NS5_IlS8_EES8_jjPS6_PjSD_j
		.amdhsa_group_segment_fixed_size 1068
		.amdhsa_private_segment_fixed_size 0
		.amdhsa_kernarg_size 1592
		.amdhsa_user_sgpr_count 13
		.amdhsa_user_sgpr_dispatch_ptr 0
		.amdhsa_user_sgpr_queue_ptr 0
		.amdhsa_user_sgpr_kernarg_segment_ptr 1
		.amdhsa_user_sgpr_dispatch_id 0
		.amdhsa_user_sgpr_private_segment_size 0
		.amdhsa_wavefront_size32 1
		.amdhsa_uses_dynamic_stack 0
		.amdhsa_enable_private_segment 0
		.amdhsa_system_sgpr_workgroup_id_x 1
		.amdhsa_system_sgpr_workgroup_id_y 1
		.amdhsa_system_sgpr_workgroup_id_z 1
		.amdhsa_system_sgpr_workgroup_info 0
		.amdhsa_system_vgpr_workitem_id 0
		.amdhsa_next_free_vgpr 25
		.amdhsa_next_free_sgpr 76
		.amdhsa_reserve_vcc 1
		.amdhsa_float_round_mode_32 0
		.amdhsa_float_round_mode_16_64 0
		.amdhsa_float_denorm_mode_32 3
		.amdhsa_float_denorm_mode_16_64 3
		.amdhsa_dx10_clamp 1
		.amdhsa_ieee_mode 1
		.amdhsa_fp16_overflow 0
		.amdhsa_workgroup_processor_mode 1
		.amdhsa_memory_ordered 1
		.amdhsa_forward_progress 0
		.amdhsa_shared_vgpr_count 0
		.amdhsa_exception_fp_ieee_invalid_op 0
		.amdhsa_exception_fp_denorm_src 0
		.amdhsa_exception_fp_ieee_div_zero 0
		.amdhsa_exception_fp_ieee_overflow 0
		.amdhsa_exception_fp_ieee_underflow 0
		.amdhsa_exception_fp_ieee_inexact 0
		.amdhsa_exception_int_div_zero 0
	.end_amdhsa_kernel
	.section	.text._ZN2at6native6mbtopk10gatherTopKIdmLi3EEEvNS_4cuda6detail10TensorInfoIKT_T0_EES8_S8_bjS8_NS5_IS6_S8_EES8_NS5_IlS8_EES8_jjPS6_PjSD_j,"axG",@progbits,_ZN2at6native6mbtopk10gatherTopKIdmLi3EEEvNS_4cuda6detail10TensorInfoIKT_T0_EES8_S8_bjS8_NS5_IS6_S8_EES8_NS5_IlS8_EES8_jjPS6_PjSD_j,comdat
.Lfunc_end185:
	.size	_ZN2at6native6mbtopk10gatherTopKIdmLi3EEEvNS_4cuda6detail10TensorInfoIKT_T0_EES8_S8_bjS8_NS5_IS6_S8_EES8_NS5_IlS8_EES8_jjPS6_PjSD_j, .Lfunc_end185-_ZN2at6native6mbtopk10gatherTopKIdmLi3EEEvNS_4cuda6detail10TensorInfoIKT_T0_EES8_S8_bjS8_NS5_IS6_S8_EES8_NS5_IlS8_EES8_jjPS6_PjSD_j
                                        ; -- End function
	.section	.AMDGPU.csdata,"",@progbits
; Kernel info:
; codeLenInByte = 3932
; NumSgprs: 78
; NumVgprs: 25
; ScratchSize: 0
; MemoryBound: 0
; FloatMode: 240
; IeeeMode: 1
; LDSByteSize: 1068 bytes/workgroup (compile time only)
; SGPRBlocks: 9
; VGPRBlocks: 3
; NumSGPRsForWavesPerEU: 78
; NumVGPRsForWavesPerEU: 25
; Occupancy: 16
; WaveLimiterHint : 1
; COMPUTE_PGM_RSRC2:SCRATCH_EN: 0
; COMPUTE_PGM_RSRC2:USER_SGPR: 13
; COMPUTE_PGM_RSRC2:TRAP_HANDLER: 0
; COMPUTE_PGM_RSRC2:TGID_X_EN: 1
; COMPUTE_PGM_RSRC2:TGID_Y_EN: 1
; COMPUTE_PGM_RSRC2:TGID_Z_EN: 1
; COMPUTE_PGM_RSRC2:TIDIG_COMP_CNT: 0
	.section	.text._ZN2at6native6sbtopk10gatherTopKIdmLi3ELb0EEEvNS_4cuda6detail10TensorInfoIKT_T0_EES8_S8_bS8_S8_NS5_IS6_S8_EES8_NS5_IlS8_EES8_PS6_,"axG",@progbits,_ZN2at6native6sbtopk10gatherTopKIdmLi3ELb0EEEvNS_4cuda6detail10TensorInfoIKT_T0_EES8_S8_bS8_S8_NS5_IS6_S8_EES8_NS5_IlS8_EES8_PS6_,comdat
	.protected	_ZN2at6native6sbtopk10gatherTopKIdmLi3ELb0EEEvNS_4cuda6detail10TensorInfoIKT_T0_EES8_S8_bS8_S8_NS5_IS6_S8_EES8_NS5_IlS8_EES8_PS6_ ; -- Begin function _ZN2at6native6sbtopk10gatherTopKIdmLi3ELb0EEEvNS_4cuda6detail10TensorInfoIKT_T0_EES8_S8_bS8_S8_NS5_IS6_S8_EES8_NS5_IlS8_EES8_PS6_
	.globl	_ZN2at6native6sbtopk10gatherTopKIdmLi3ELb0EEEvNS_4cuda6detail10TensorInfoIKT_T0_EES8_S8_bS8_S8_NS5_IS6_S8_EES8_NS5_IlS8_EES8_PS6_
	.p2align	8
	.type	_ZN2at6native6sbtopk10gatherTopKIdmLi3ELb0EEEvNS_4cuda6detail10TensorInfoIKT_T0_EES8_S8_bS8_S8_NS5_IS6_S8_EES8_NS5_IlS8_EES8_PS6_,@function
_ZN2at6native6sbtopk10gatherTopKIdmLi3ELb0EEEvNS_4cuda6detail10TensorInfoIKT_T0_EES8_S8_bS8_S8_NS5_IS6_S8_EES8_NS5_IlS8_EES8_PS6_: ; @_ZN2at6native6sbtopk10gatherTopKIdmLi3ELb0EEEvNS_4cuda6detail10TensorInfoIKT_T0_EES8_S8_bS8_S8_NS5_IS6_S8_EES8_NS5_IlS8_EES8_PS6_
; %bb.0:
	s_clause 0x1
	s_load_b64 s[22:23], s[0:1], 0x520
	s_load_b128 s[28:31], s[0:1], 0x1b8
	s_add_u32 s20, s0, 0x520
	s_addc_u32 s21, s1, 0
	s_mov_b32 s35, 0
	s_waitcnt lgkmcnt(0)
	s_mul_i32 s2, s23, s15
	s_delay_alu instid0(SALU_CYCLE_1) | instskip(NEXT) | instid1(SALU_CYCLE_1)
	s_add_i32 s2, s2, s14
	s_mul_i32 s2, s2, s22
	s_delay_alu instid0(SALU_CYCLE_1) | instskip(NEXT) | instid1(SALU_CYCLE_1)
	s_add_i32 s34, s2, s13
	v_cmp_ge_u64_e64 s2, s[34:35], s[28:29]
	s_delay_alu instid0(VALU_DEP_1)
	s_and_b32 vcc_lo, exec_lo, s2
	s_cbranch_vccnz .LBB186_554
; %bb.1:
	s_load_b128 s[8:11], s[0:1], 0x10
	s_mov_b64 s[2:3], 0
	s_mov_b64 s[6:7], 0
	s_waitcnt lgkmcnt(0)
	v_cmp_lt_u64_e64 s4, s[34:35], s[10:11]
	s_delay_alu instid0(VALU_DEP_1)
	s_and_b32 vcc_lo, exec_lo, s4
	s_cbranch_vccnz .LBB186_3
; %bb.2:
	v_cvt_f32_u32_e32 v1, s10
	s_sub_i32 s4, 0, s10
	s_mov_b32 s7, 0
	s_delay_alu instid0(VALU_DEP_1) | instskip(SKIP_2) | instid1(VALU_DEP_1)
	v_rcp_iflag_f32_e32 v1, v1
	s_waitcnt_depctr 0xfff
	v_mul_f32_e32 v1, 0x4f7ffffe, v1
	v_cvt_u32_f32_e32 v1, v1
	s_delay_alu instid0(VALU_DEP_1) | instskip(NEXT) | instid1(VALU_DEP_1)
	v_readfirstlane_b32 s3, v1
	s_mul_i32 s4, s4, s3
	s_delay_alu instid0(SALU_CYCLE_1) | instskip(NEXT) | instid1(SALU_CYCLE_1)
	s_mul_hi_u32 s4, s3, s4
	s_add_i32 s3, s3, s4
	s_delay_alu instid0(SALU_CYCLE_1) | instskip(NEXT) | instid1(SALU_CYCLE_1)
	s_mul_hi_u32 s3, s34, s3
	s_mul_i32 s4, s3, s10
	s_add_i32 s5, s3, 1
	s_sub_i32 s4, s34, s4
	s_delay_alu instid0(SALU_CYCLE_1)
	s_sub_i32 s6, s4, s10
	s_cmp_ge_u32 s4, s10
	s_cselect_b32 s3, s5, s3
	s_cselect_b32 s4, s6, s4
	s_add_i32 s5, s3, 1
	s_cmp_ge_u32 s4, s10
	s_cselect_b32 s6, s5, s3
.LBB186_3:
	s_load_b128 s[40:43], s[0:1], 0x1d8
	v_cmp_lt_u64_e64 s3, s[6:7], s[8:9]
	s_delay_alu instid0(VALU_DEP_1)
	s_and_b32 vcc_lo, exec_lo, s3
	s_cbranch_vccnz .LBB186_5
; %bb.4:
	v_cvt_f32_u32_e32 v1, s8
	s_sub_i32 s3, 0, s8
	s_delay_alu instid0(VALU_DEP_1) | instskip(SKIP_2) | instid1(VALU_DEP_1)
	v_rcp_iflag_f32_e32 v1, v1
	s_waitcnt_depctr 0xfff
	v_mul_f32_e32 v1, 0x4f7ffffe, v1
	v_cvt_u32_f32_e32 v1, v1
	s_delay_alu instid0(VALU_DEP_1) | instskip(NEXT) | instid1(VALU_DEP_1)
	v_readfirstlane_b32 s2, v1
	s_mul_i32 s3, s3, s2
	s_delay_alu instid0(SALU_CYCLE_1) | instskip(NEXT) | instid1(SALU_CYCLE_1)
	s_mul_hi_u32 s3, s2, s3
	s_add_i32 s2, s2, s3
	s_delay_alu instid0(SALU_CYCLE_1) | instskip(NEXT) | instid1(SALU_CYCLE_1)
	s_mul_hi_u32 s2, s6, s2
	s_mul_i32 s3, s2, s8
	s_add_i32 s4, s2, 1
	s_sub_i32 s3, s6, s3
	s_delay_alu instid0(SALU_CYCLE_1)
	s_sub_i32 s5, s3, s8
	s_cmp_ge_u32 s3, s8
	s_cselect_b32 s2, s4, s2
	s_cselect_b32 s3, s5, s3
	s_add_i32 s4, s2, 1
	s_cmp_ge_u32 s3, s8
	s_cselect_b32 s2, s4, s2
.LBB186_5:
	s_waitcnt lgkmcnt(0)
	v_cmp_lt_u64_e64 s3, s[34:35], s[42:43]
	s_mov_b64 s[28:29], 0
	s_mov_b64 s[56:57], 0
	s_delay_alu instid0(VALU_DEP_1)
	s_and_b32 vcc_lo, exec_lo, s3
	s_cbranch_vccnz .LBB186_7
; %bb.6:
	v_cvt_f32_u32_e32 v1, s42
	s_sub_i32 s4, 0, s42
	s_mov_b32 s57, 0
	s_delay_alu instid0(VALU_DEP_1) | instskip(SKIP_2) | instid1(VALU_DEP_1)
	v_rcp_iflag_f32_e32 v1, v1
	s_waitcnt_depctr 0xfff
	v_mul_f32_e32 v1, 0x4f7ffffe, v1
	v_cvt_u32_f32_e32 v1, v1
	s_delay_alu instid0(VALU_DEP_1) | instskip(NEXT) | instid1(VALU_DEP_1)
	v_readfirstlane_b32 s3, v1
	s_mul_i32 s4, s4, s3
	s_delay_alu instid0(SALU_CYCLE_1) | instskip(NEXT) | instid1(SALU_CYCLE_1)
	s_mul_hi_u32 s4, s3, s4
	s_add_i32 s3, s3, s4
	s_delay_alu instid0(SALU_CYCLE_1) | instskip(NEXT) | instid1(SALU_CYCLE_1)
	s_mul_hi_u32 s3, s34, s3
	s_mul_i32 s4, s3, s42
	s_add_i32 s5, s3, 1
	s_sub_i32 s4, s34, s4
	s_delay_alu instid0(SALU_CYCLE_1)
	s_sub_i32 s12, s4, s42
	s_cmp_ge_u32 s4, s42
	s_cselect_b32 s3, s5, s3
	s_cselect_b32 s4, s12, s4
	s_add_i32 s5, s3, 1
	s_cmp_ge_u32 s4, s42
	s_cselect_b32 s56, s5, s3
.LBB186_7:
	s_load_b128 s[44:47], s[0:1], 0x380
	v_cmp_lt_u64_e64 s3, s[56:57], s[40:41]
	s_delay_alu instid0(VALU_DEP_1)
	s_and_b32 vcc_lo, exec_lo, s3
	s_cbranch_vccnz .LBB186_9
; %bb.8:
	v_cvt_f32_u32_e32 v1, s40
	s_sub_i32 s4, 0, s40
	s_delay_alu instid0(VALU_DEP_1) | instskip(SKIP_2) | instid1(VALU_DEP_1)
	v_rcp_iflag_f32_e32 v1, v1
	s_waitcnt_depctr 0xfff
	v_mul_f32_e32 v1, 0x4f7ffffe, v1
	v_cvt_u32_f32_e32 v1, v1
	s_delay_alu instid0(VALU_DEP_1) | instskip(NEXT) | instid1(VALU_DEP_1)
	v_readfirstlane_b32 s3, v1
	s_mul_i32 s4, s4, s3
	s_delay_alu instid0(SALU_CYCLE_1) | instskip(NEXT) | instid1(SALU_CYCLE_1)
	s_mul_hi_u32 s4, s3, s4
	s_add_i32 s3, s3, s4
	s_delay_alu instid0(SALU_CYCLE_1) | instskip(NEXT) | instid1(SALU_CYCLE_1)
	s_mul_hi_u32 s3, s56, s3
	s_mul_i32 s4, s3, s40
	s_add_i32 s5, s3, 1
	s_sub_i32 s4, s56, s4
	s_delay_alu instid0(SALU_CYCLE_1)
	s_sub_i32 s12, s4, s40
	s_cmp_ge_u32 s4, s40
	s_cselect_b32 s3, s5, s3
	s_cselect_b32 s4, s12, s4
	s_add_i32 s5, s3, 1
	s_cmp_ge_u32 s4, s40
	s_cselect_b32 s28, s5, s3
.LBB186_9:
	s_clause 0x1
	s_load_b64 s[14:15], s[0:1], 0xe0
	s_load_b128 s[16:19], s[0:1], 0xd0
	s_waitcnt lgkmcnt(0)
	v_cmp_lt_u64_e64 s3, s[34:35], s[46:47]
	s_mov_b64 s[58:59], 0
	s_mov_b64 s[64:65], 0
	s_delay_alu instid0(VALU_DEP_1)
	s_and_b32 vcc_lo, exec_lo, s3
	s_cbranch_vccnz .LBB186_11
; %bb.10:
	v_cvt_f32_u32_e32 v1, s46
	s_sub_i32 s4, 0, s46
	s_mov_b32 s65, 0
	s_delay_alu instid0(VALU_DEP_1) | instskip(SKIP_2) | instid1(VALU_DEP_1)
	v_rcp_iflag_f32_e32 v1, v1
	s_waitcnt_depctr 0xfff
	v_mul_f32_e32 v1, 0x4f7ffffe, v1
	v_cvt_u32_f32_e32 v1, v1
	s_delay_alu instid0(VALU_DEP_1) | instskip(NEXT) | instid1(VALU_DEP_1)
	v_readfirstlane_b32 s3, v1
	s_mul_i32 s4, s4, s3
	s_delay_alu instid0(SALU_CYCLE_1) | instskip(NEXT) | instid1(SALU_CYCLE_1)
	s_mul_hi_u32 s4, s3, s4
	s_add_i32 s3, s3, s4
	s_delay_alu instid0(SALU_CYCLE_1) | instskip(NEXT) | instid1(SALU_CYCLE_1)
	s_mul_hi_u32 s3, s34, s3
	s_mul_i32 s4, s3, s46
	s_add_i32 s5, s3, 1
	s_sub_i32 s4, s34, s4
	s_delay_alu instid0(SALU_CYCLE_1)
	s_sub_i32 s12, s4, s46
	s_cmp_ge_u32 s4, s46
	s_cselect_b32 s3, s5, s3
	s_cselect_b32 s4, s12, s4
	s_add_i32 s5, s3, 1
	s_cmp_ge_u32 s4, s46
	s_cselect_b32 s64, s5, s3
.LBB186_11:
	s_load_b64 s[24:25], s[0:1], 0x0
	v_cmp_lt_u64_e64 s3, s[64:65], s[44:45]
	s_delay_alu instid0(VALU_DEP_1)
	s_and_b32 vcc_lo, exec_lo, s3
	s_cbranch_vccnz .LBB186_13
; %bb.12:
	v_cvt_f32_u32_e32 v1, s44
	s_sub_i32 s4, 0, s44
	s_delay_alu instid0(VALU_DEP_1) | instskip(SKIP_2) | instid1(VALU_DEP_1)
	v_rcp_iflag_f32_e32 v1, v1
	s_waitcnt_depctr 0xfff
	v_mul_f32_e32 v1, 0x4f7ffffe, v1
	v_cvt_u32_f32_e32 v1, v1
	s_delay_alu instid0(VALU_DEP_1) | instskip(NEXT) | instid1(VALU_DEP_1)
	v_readfirstlane_b32 s3, v1
	s_mul_i32 s4, s4, s3
	s_delay_alu instid0(SALU_CYCLE_1) | instskip(NEXT) | instid1(SALU_CYCLE_1)
	s_mul_hi_u32 s4, s3, s4
	s_add_i32 s3, s3, s4
	s_delay_alu instid0(SALU_CYCLE_1) | instskip(NEXT) | instid1(SALU_CYCLE_1)
	s_mul_hi_u32 s3, s64, s3
	s_mul_i32 s4, s3, s44
	s_add_i32 s5, s3, 1
	s_sub_i32 s4, s64, s4
	s_delay_alu instid0(SALU_CYCLE_1)
	s_sub_i32 s12, s4, s44
	s_cmp_ge_u32 s4, s44
	s_cselect_b32 s3, s5, s3
	s_cselect_b32 s4, s12, s4
	s_add_i32 s5, s3, 1
	s_cmp_ge_u32 s4, s44
	s_cselect_b32 s58, s5, s3
.LBB186_13:
	s_clause 0x1
	s_load_b64 s[4:5], s[0:1], 0x370
	s_load_b128 s[36:39], s[0:1], 0x1a0
                                        ; implicit-def: $vgpr41 : SGPR spill to VGPR lane
	s_mov_b32 s71, 0
	s_waitcnt lgkmcnt(0)
	v_writelane_b32 v41, s4, 0
	v_writelane_b32 v41, s5, 1
	v_cmp_eq_u32_e64 s5, 0, v0
	s_delay_alu instid0(VALU_DEP_1)
	s_and_saveexec_b32 s3, s5
	s_cbranch_execz .LBB186_15
; %bb.14:
	v_dual_mov_b32 v1, 0 :: v_dual_mov_b32 v4, s37
	s_delay_alu instid0(VALU_DEP_1)
	v_dual_mov_b32 v3, s36 :: v_dual_mov_b32 v2, v1
	ds_store_b32 v1, v1 offset:5144
	ds_store_b128 v1, v[1:4] offset:5120
.LBB186_15:
	s_or_b32 exec_lo, exec_lo, s3
	s_mul_i32 s3, s2, s9
	s_mul_hi_u32 s4, s2, s8
	s_mul_i32 s8, s2, s8
	s_add_i32 s4, s4, s3
	s_sub_u32 s3, s6, s8
	s_subb_u32 s4, s7, s4
	s_mul_i32 s8, s3, s19
	s_mul_hi_u32 s9, s3, s18
	s_mul_i32 s4, s4, s18
	s_add_i32 s7, s9, s8
	s_mul_i32 s8, s3, s18
	s_add_i32 s9, s7, s4
	s_mul_i32 s4, s2, s17
	s_mul_hi_u32 s7, s2, s16
	s_mul_i32 s2, s2, s16
	s_add_i32 s3, s7, s4
	s_mul_i32 s4, s6, s11
	s_mul_hi_u32 s7, s6, s10
	s_mul_i32 s6, s6, s10
	s_add_i32 s7, s7, s4
	s_sub_u32 s4, s34, s6
	s_subb_u32 s7, 0, s7
	s_mul_i32 s6, s4, s15
	s_mul_hi_u32 s11, s4, s14
	s_mul_i32 s7, s7, s14
	s_add_i32 s6, s11, s6
	s_lshl_b64 s[2:3], s[2:3], 3
	s_add_i32 s7, s6, s7
	s_add_u32 s11, s24, s2
	s_load_b32 s10, s[0:1], 0x1b0
	s_addc_u32 s12, s25, s3
	s_lshl_b64 s[2:3], s[8:9], 3
	s_mul_i32 s6, s4, s14
	s_add_u32 s4, s11, s2
	v_mad_u64_u32 v[2:3], null, v0, s30, 0
	s_addc_u32 s8, s12, s3
	s_lshl_b64 s[2:3], s[6:7], 3
	s_waitcnt lgkmcnt(0)
	s_barrier
	buffer_gl0_inv
	s_load_b32 s7, s[20:21], 0xc
	v_dual_mov_b32 v1, v3 :: v_dual_lshlrev_b32 v20, 2, v0
	v_mbcnt_lo_u32_b32 v35, -1, 0
	s_add_u32 s29, s4, s2
	s_addc_u32 s33, s8, s3
	s_delay_alu instid0(VALU_DEP_2)
	v_mad_u64_u32 v[3:4], null, v0, s31, v[1:2]
	v_cmp_gt_u32_e32 vcc_lo, 32, v0
	v_cmp_gt_i32_e64 s4, 4, v35
	s_bitcmp1_b32 s10, 0
	v_lshrrev_b32_e32 v4, 3, v0
	s_cselect_b32 s3, -1, 0
	v_mov_b32_e32 v19, 0
	s_xor_b32 s59, s3, -1
	v_lshlrev_b64 v[2:3], 3, v[2:3]
	v_and_b32_e32 v36, 0x7c, v4
	s_and_b32 s84, vcc_lo, s4
	v_dual_mov_b32 v21, v19 :: v_dual_mov_b32 v24, 0
	s_waitcnt lgkmcnt(0)
	s_and_b32 s35, s7, 0xffff
	s_bfe_u32 s8, s7, 0xb0005
	s_add_u32 s86, s35, -1
	s_addc_u32 s87, 0, -1
	s_add_u32 s88, s86, s36
	s_addc_u32 s27, s87, s37
	s_cmp_lt_u32 s13, s22
	v_add_co_u32 v16, vcc_lo, s29, v2
	s_cselect_b32 s9, 12, 18
	v_add_co_ci_u32_e32 v17, vcc_lo, s33, v3, vcc_lo
	v_dual_mov_b32 v6, 0 :: v_dual_lshlrev_b32 v37, 3, v0
	v_mov_b32_e32 v1, v19
	v_lshlrev_b64 v[2:3], v35, -1
	s_add_u32 s72, s20, s9
	s_delay_alu instid0(VALU_DEP_3)
	v_dual_mov_b32 v25, 0 :: v_dual_add_nc_u32 v38, 0xc00, v37
	s_addc_u32 s73, s21, 0
	s_add_i32 s9, s8, -1
	s_bfe_u32 s89, s35, 0x30005
	s_cmp_gt_u32 s9, 6
	v_cmp_lt_u64_e64 s85, 0x180, s[36:37]
	v_cmp_gt_u64_e64 s4, s[36:37], v[0:1]
	v_dual_mov_b32 v26, s38 :: v_dual_lshlrev_b32 v39, 5, v0
	v_dual_mov_b32 v7, 0 :: v_dual_mov_b32 v22, v24
	v_cmp_eq_u32_e64 s2, 0, v35
	v_cmp_gt_u32_e64 s6, 2, v0
	v_not_b32_e32 v34, v2
	s_cselect_b32 s90, -1, 0
	s_and_b32 s91, s8, 0x7f8
	v_cmp_gt_u16_e64 s92, s7, 31
	v_lshl_or_b32 v40, v35, 3, 0xc00
	v_mov_b32_e32 v27, s39
	v_mov_b32_e32 v3, 0x3ff00000
	;; [unrolled: 1-line block ×3, first 2 shown]
	s_cmp_lg_u32 s89, 0
	s_mov_b32 s101, 62
	s_cselect_b32 s93, -1, 0
	s_lshl_b32 s94, s35, 3
	s_mov_b32 s95, 0
	s_mov_b32 s97, 0
                                        ; implicit-def: $sgpr96
                                        ; implicit-def: $sgpr100
                                        ; implicit-def: $sgpr99
                                        ; implicit-def: $sgpr102
                                        ; implicit-def: $sgpr98
                                        ; implicit-def: $sgpr103
                                        ; implicit-def: $vcc_hi
                                        ; implicit-def: $sgpr104
                                        ; implicit-def: $sgpr66
                                        ; implicit-def: $sgpr67
	s_branch .LBB186_18
.LBB186_16:                             ;   in Loop: Header=BB186_18 Depth=1
	s_or_b32 exec_lo, exec_lo, s10
	v_dual_mov_b32 v23, v15 :: v_dual_mov_b32 v22, v14
	v_dual_mov_b32 v25, v13 :: v_dual_mov_b32 v24, v12
	;; [unrolled: 1-line block ×4, first 2 shown]
	s_and_not1_b32 s10, s67, exec_lo
	s_and_b32 s9, s9, exec_lo
	s_and_not1_b32 s66, s66, exec_lo
	s_or_b32 s67, s10, s9
	s_and_not1_b32 s104, s104, exec_lo
	s_and_not1_b32 vcc_hi, vcc_hi, exec_lo
	s_and_not1_b32 s103, s103, exec_lo
	s_or_not1_b32 s8, s8, exec_lo
.LBB186_17:                             ;   in Loop: Header=BB186_18 Depth=1
	s_or_b32 exec_lo, exec_lo, s7
	s_delay_alu instid0(SALU_CYCLE_1) | instskip(NEXT) | instid1(SALU_CYCLE_1)
	s_and_b32 s7, exec_lo, s8
	s_or_b32 s95, s7, s95
	s_and_not1_b32 s7, s98, exec_lo
	s_and_b32 s8, s67, exec_lo
	s_and_not1_b32 s9, s102, exec_lo
	s_or_b32 s98, s7, s8
	s_and_b32 s7, s66, exec_lo
	s_and_not1_b32 s8, s99, exec_lo
	s_and_b32 s10, s104, exec_lo
	s_or_b32 s102, s9, s7
	s_or_b32 s99, s8, s10
	s_and_not1_b32 s7, s100, exec_lo
	s_and_b32 s8, vcc_hi, exec_lo
	s_and_not1_b32 s9, s96, exec_lo
	s_and_b32 s10, s103, exec_lo
	s_or_b32 s100, s7, s8
	s_or_b32 s96, s9, s10
	s_and_not1_b32 exec_lo, exec_lo, s95
	s_cbranch_execz .LBB186_490
.LBB186_18:                             ; =>This Loop Header: Depth=1
                                        ;     Child Loop BB186_26 Depth 2
                                        ;     Child Loop BB186_44 Depth 2
	;; [unrolled: 1-line block ×24, first 2 shown]
	ds_load_b128 v[8:11], v19 offset:5120
	s_waitcnt lgkmcnt(0)
	v_readfirstlane_b32 s75, v9
	v_readfirstlane_b32 s74, v8
	s_delay_alu instid0(VALU_DEP_1)
	s_cmp_lg_u64 s[74:75], 0
	s_cbranch_scc1 .LBB186_51
; %bb.19:                               ;   in Loop: Header=BB186_18 Depth=1
	s_and_b32 vcc_lo, exec_lo, s85
	s_cbranch_vccz .LBB186_34
; %bb.20:                               ;   in Loop: Header=BB186_18 Depth=1
	v_cmp_gt_u64_e32 vcc_lo, 0x181, v[10:11]
	s_mov_b32 s9, 0
	s_mov_b32 s7, 0
	s_cbranch_vccz .LBB186_35
; %bb.21:                               ;   in Loop: Header=BB186_18 Depth=1
	v_mov_b32_e32 v4, 0
	v_mov_b32_e32 v5, 0
	s_and_saveexec_b32 s7, s4
	s_cbranch_execz .LBB186_23
; %bb.22:                               ;   in Loop: Header=BB186_18 Depth=1
	global_load_b64 v[4:5], v[16:17], off
.LBB186_23:                             ;   in Loop: Header=BB186_18 Depth=1
	s_or_b32 exec_lo, exec_lo, s7
	s_and_saveexec_b32 s10, s4
	s_cbranch_execz .LBB186_36
; %bb.24:                               ;   in Loop: Header=BB186_18 Depth=1
	global_load_u16 v2, v19, s[72:73]
	s_mov_b32 s11, 0
	v_dual_mov_b32 v9, v1 :: v_dual_mov_b32 v8, v0
	s_waitcnt vmcnt(0)
	v_and_b32_e32 v2, 0xffff, v2
	s_branch .LBB186_26
.LBB186_25:                             ;   in Loop: Header=BB186_26 Depth=2
	s_or_b32 exec_lo, exec_lo, s8
	s_waitcnt vmcnt(0)
	v_dual_mov_b32 v4, v10 :: v_dual_mov_b32 v5, v11
	s_and_not1_b32 exec_lo, exec_lo, s11
	s_cbranch_execz .LBB186_36
.LBB186_26:                             ;   Parent Loop BB186_18 Depth=1
                                        ; =>  This Inner Loop Header: Depth=2
	s_delay_alu instid0(VALU_DEP_1) | instskip(SKIP_4) | instid1(VALU_DEP_3)
	v_add_co_u32 v8, vcc_lo, v8, v2
	v_add_co_ci_u32_e32 v9, vcc_lo, 0, v9, vcc_lo
	v_mov_b32_e32 v10, 0
	v_mov_b32_e32 v11, 0
	s_mov_b32 s8, exec_lo
	v_cmp_le_u64_e32 vcc_lo, s[36:37], v[8:9]
	v_cmpx_gt_u64_e64 s[36:37], v[8:9]
	s_cbranch_execz .LBB186_28
; %bb.27:                               ;   in Loop: Header=BB186_26 Depth=2
	s_waitcnt lgkmcnt(0)
	v_mul_lo_u32 v12, v9, s30
	v_mul_lo_u32 v13, v8, s31
	v_mad_u64_u32 v[10:11], null, v8, s30, 0
	s_delay_alu instid0(VALU_DEP_1) | instskip(NEXT) | instid1(VALU_DEP_1)
	v_add3_u32 v11, v11, v13, v12
	v_lshlrev_b64 v[10:11], 3, v[10:11]
	s_delay_alu instid0(VALU_DEP_1) | instskip(NEXT) | instid1(VALU_DEP_1)
	v_add_co_u32 v10, s7, s29, v10
	v_add_co_ci_u32_e64 v11, s7, s33, v11, s7
	global_load_b64 v[10:11], v[10:11], off
.LBB186_28:                             ;   in Loop: Header=BB186_26 Depth=2
	s_or_b32 exec_lo, exec_lo, s8
	v_cmp_o_f64_e64 s7, v[4:5], v[4:5]
	s_waitcnt lgkmcnt(0)
	v_ashrrev_i32_e32 v12, 31, v5
	s_delay_alu instid0(VALU_DEP_1) | instskip(SKIP_1) | instid1(VALU_DEP_2)
	v_or_b32_e32 v13, 0x80000000, v12
	v_xor_b32_e32 v12, v12, v4
	v_xor_b32_e32 v13, v13, v5
	s_delay_alu instid0(VALU_DEP_1) | instskip(NEXT) | instid1(VALU_DEP_3)
	v_cndmask_b32_e64 v13, -1, v13, s7
	v_cndmask_b32_e64 v12, -1, v12, s7
	s_delay_alu instid0(VALU_DEP_2) | instskip(NEXT) | instid1(VALU_DEP_2)
	v_and_b32_e32 v13, v13, v23
	v_and_b32_e32 v12, v12, v22
	s_delay_alu instid0(VALU_DEP_1) | instskip(SKIP_1) | instid1(VALU_DEP_2)
	v_cmp_eq_u64_e64 s7, v[12:13], v[24:25]
	v_mov_b32_e32 v12, 0
	s_cmp_lg_u32 s7, 0
	s_cselect_b32 s8, -1, 0
	s_delay_alu instid0(SALU_CYCLE_1) | instskip(NEXT) | instid1(SALU_CYCLE_1)
	s_and_b32 s8, s2, s8
	s_and_saveexec_b32 s12, s8
	s_cbranch_execz .LBB186_32
; %bb.29:                               ;   in Loop: Header=BB186_26 Depth=2
	s_mov_b32 s15, exec_lo
	s_bcnt1_i32_b32 s13, s7
	v_mbcnt_lo_u32_b32 v12, s15, 0
	s_mov_b32 s14, exec_lo
                                        ; implicit-def: $vgpr13
	s_delay_alu instid0(VALU_DEP_1)
	v_cmpx_eq_u32_e32 0, v12
	s_cbranch_execz .LBB186_31
; %bb.30:                               ;   in Loop: Header=BB186_26 Depth=2
	s_bcnt1_i32_b32 s8, s15
	s_delay_alu instid0(SALU_CYCLE_1) | instskip(NEXT) | instid1(SALU_CYCLE_1)
	s_mul_i32 s8, s13, s8
	v_mov_b32_e32 v13, s8
	ds_add_rtn_u32 v13, v19, v13 offset:5144
.LBB186_31:                             ;   in Loop: Header=BB186_26 Depth=2
	s_or_b32 exec_lo, exec_lo, s14
	s_waitcnt lgkmcnt(0)
	v_readfirstlane_b32 s8, v13
	s_delay_alu instid0(VALU_DEP_1)
	v_mad_u32_u24 v12, s13, v12, s8
.LBB186_32:                             ;   in Loop: Header=BB186_26 Depth=2
	s_or_b32 exec_lo, exec_lo, s12
	ds_bpermute_b32 v12, v19, v12
	s_and_b32 s8, exec_lo, vcc_lo
	s_delay_alu instid0(SALU_CYCLE_1)
	s_or_b32 s11, s8, s11
	s_and_saveexec_b32 s8, s7
	s_cbranch_execz .LBB186_25
; %bb.33:                               ;   in Loop: Header=BB186_26 Depth=2
	v_and_b32_e32 v13, s7, v34
	s_delay_alu instid0(VALU_DEP_1) | instskip(NEXT) | instid1(VALU_DEP_1)
	v_bcnt_u32_b32 v13, v13, 0
	v_lshlrev_b32_e32 v13, 3, v13
	s_waitcnt lgkmcnt(0)
	s_delay_alu instid0(VALU_DEP_1)
	v_lshl_add_u32 v12, v12, 3, v13
	ds_store_b64 v12, v[4:5]
	s_branch .LBB186_25
.LBB186_34:                             ;   in Loop: Header=BB186_18 Depth=1
	s_mov_b32 s7, 0
                                        ; implicit-def: $sgpr74_sgpr75
	s_cbranch_execnz .LBB186_39
	s_branch .LBB186_49
.LBB186_35:                             ;   in Loop: Header=BB186_18 Depth=1
	s_mov_b64 s[74:75], 0
	s_and_b32 vcc_lo, exec_lo, s9
	s_cbranch_vccnz .LBB186_39
	s_branch .LBB186_49
.LBB186_36:                             ;   in Loop: Header=BB186_18 Depth=1
	s_or_b32 exec_lo, exec_lo, s10
	s_waitcnt vmcnt(0) lgkmcnt(0)
	s_barrier
	buffer_gl0_inv
	s_and_saveexec_b32 s7, s5
	s_cbranch_execz .LBB186_38
; %bb.37:                               ;   in Loop: Header=BB186_18 Depth=1
	ds_load_b32 v4, v19 offset:5144
	s_waitcnt lgkmcnt(0)
	v_ashrrev_i32_e32 v5, 31, v4
	ds_store_b64 v19, v[4:5] offset:5120
.LBB186_38:                             ;   in Loop: Header=BB186_18 Depth=1
	s_or_b32 exec_lo, exec_lo, s7
	s_waitcnt lgkmcnt(0)
	s_mov_b32 s7, -1
	s_barrier
	s_mov_b64 s[74:75], 0
	s_and_b32 vcc_lo, exec_lo, s9
	s_cbranch_vccz .LBB186_49
.LBB186_39:                             ;   in Loop: Header=BB186_18 Depth=1
	v_mov_b32_e32 v4, 0
	v_mov_b32_e32 v5, 0
	s_and_saveexec_b32 s7, s4
	s_cbranch_execz .LBB186_41
; %bb.40:                               ;   in Loop: Header=BB186_18 Depth=1
	global_load_b64 v[4:5], v[16:17], off
.LBB186_41:                             ;   in Loop: Header=BB186_18 Depth=1
	s_or_b32 exec_lo, exec_lo, s7
	s_and_saveexec_b32 s8, s4
	s_cbranch_execz .LBB186_46
; %bb.42:                               ;   in Loop: Header=BB186_18 Depth=1
	global_load_u16 v2, v19, s[72:73]
	s_mov_b32 s9, 0
	v_dual_mov_b32 v9, v1 :: v_dual_mov_b32 v8, v0
	s_waitcnt vmcnt(0)
	v_and_b32_e32 v2, 0xffff, v2
	s_delay_alu instid0(VALU_DEP_1)
	v_dual_mov_b32 v12, v37 :: v_dual_lshlrev_b32 v13, 3, v2
	s_set_inst_prefetch_distance 0x1
	s_branch .LBB186_44
	.p2align	6
.LBB186_43:                             ;   in Loop: Header=BB186_44 Depth=2
	s_or_b32 exec_lo, exec_lo, s10
	ds_store_b64 v12, v[4:5]
	s_waitcnt vmcnt(0)
	v_mov_b32_e32 v4, v10
	v_dual_mov_b32 v5, v11 :: v_dual_add_nc_u32 v12, v12, v13
	s_and_b32 s7, exec_lo, vcc_lo
	s_delay_alu instid0(SALU_CYCLE_1) | instskip(NEXT) | instid1(SALU_CYCLE_1)
	s_or_b32 s9, s7, s9
	s_and_not1_b32 exec_lo, exec_lo, s9
	s_cbranch_execz .LBB186_46
.LBB186_44:                             ;   Parent Loop BB186_18 Depth=1
                                        ; =>  This Inner Loop Header: Depth=2
	v_add_co_u32 v8, vcc_lo, v8, v2
	v_add_co_ci_u32_e32 v9, vcc_lo, 0, v9, vcc_lo
	v_mov_b32_e32 v10, 0
	v_mov_b32_e32 v11, 0
	s_mov_b32 s10, exec_lo
	s_delay_alu instid0(VALU_DEP_3)
	v_cmp_le_u64_e32 vcc_lo, s[36:37], v[8:9]
	v_cmpx_gt_u64_e64 s[36:37], v[8:9]
	s_cbranch_execz .LBB186_43
; %bb.45:                               ;   in Loop: Header=BB186_44 Depth=2
	v_mul_lo_u32 v14, v9, s30
	v_mul_lo_u32 v15, v8, s31
	v_mad_u64_u32 v[10:11], null, v8, s30, 0
	s_delay_alu instid0(VALU_DEP_1) | instskip(NEXT) | instid1(VALU_DEP_1)
	v_add3_u32 v11, v11, v15, v14
	v_lshlrev_b64 v[10:11], 3, v[10:11]
	s_delay_alu instid0(VALU_DEP_1) | instskip(NEXT) | instid1(VALU_DEP_1)
	v_add_co_u32 v10, s7, s29, v10
	v_add_co_ci_u32_e64 v11, s7, s33, v11, s7
	global_load_b64 v[10:11], v[10:11], off
	s_branch .LBB186_43
.LBB186_46:                             ;   in Loop: Header=BB186_18 Depth=1
	s_set_inst_prefetch_distance 0x2
	s_or_b32 exec_lo, exec_lo, s8
	s_waitcnt vmcnt(0) lgkmcnt(0)
	s_barrier
	buffer_gl0_inv
	s_and_saveexec_b32 s7, s5
	s_cbranch_execz .LBB186_48
; %bb.47:                               ;   in Loop: Header=BB186_18 Depth=1
	v_dual_mov_b32 v4, s36 :: v_dual_mov_b32 v5, s37
	ds_store_b64 v19, v[4:5] offset:5120
.LBB186_48:                             ;   in Loop: Header=BB186_18 Depth=1
	s_or_b32 exec_lo, exec_lo, s7
	s_mov_b32 s7, -1
	s_waitcnt lgkmcnt(0)
	s_barrier
                                        ; implicit-def: $sgpr74_sgpr75
.LBB186_49:                             ;   in Loop: Header=BB186_18 Depth=1
	s_and_b32 vcc_lo, exec_lo, s7
	s_cbranch_vccz .LBB186_51
; %bb.50:                               ;   in Loop: Header=BB186_18 Depth=1
	buffer_gl0_inv
	ds_load_b64 v[4:5], v19 offset:5120
	s_waitcnt lgkmcnt(0)
	v_readfirstlane_b32 s74, v4
.LBB186_51:                             ;   in Loop: Header=BB186_18 Depth=1
	s_delay_alu instid0(VALU_DEP_1)
	s_cmp_lt_i32 s74, 1
	s_cbranch_scc0 .LBB186_66
; %bb.52:                               ;   in Loop: Header=BB186_18 Depth=1
	global_load_u16 v2, v19, s[72:73]
	s_mov_b32 s8, s71
	s_mov_b32 s9, s37
	s_waitcnt vmcnt(0)
	v_readfirstlane_b32 s7, v2
	s_delay_alu instid0(VALU_DEP_1) | instskip(NEXT) | instid1(SALU_CYCLE_1)
	s_and_b32 s7, 0xffff, s7
	s_lshl_b32 s26, s7, 2
	s_cmp_lg_u64 s[8:9], 0
	s_cbranch_scc0 .LBB186_86
; %bb.53:                               ;   in Loop: Header=BB186_18 Depth=1
	v_cvt_f32_u32_e32 v4, s26
	s_sub_u32 s9, 0, s26
	s_subb_u32 s10, 0, 0
	s_delay_alu instid0(VALU_DEP_1) | instskip(NEXT) | instid1(VALU_DEP_1)
	v_fmac_f32_e64 v4, 0, 0x4f800000
	v_rcp_f32_e32 v4, v4
	s_waitcnt_depctr 0xfff
	v_mul_f32_e32 v4, 0x5f7ffffc, v4
	s_delay_alu instid0(VALU_DEP_1) | instskip(NEXT) | instid1(VALU_DEP_1)
	v_mul_f32_e32 v5, 0x2f800000, v4
	v_trunc_f32_e32 v5, v5
	s_delay_alu instid0(VALU_DEP_1) | instskip(SKIP_1) | instid1(VALU_DEP_2)
	v_fmac_f32_e32 v4, 0xcf800000, v5
	v_cvt_u32_f32_e32 v5, v5
	v_cvt_u32_f32_e32 v4, v4
	s_delay_alu instid0(VALU_DEP_2) | instskip(NEXT) | instid1(VALU_DEP_2)
	v_readfirstlane_b32 s7, v5
	v_readfirstlane_b32 s8, v4
	s_delay_alu instid0(VALU_DEP_2) | instskip(NEXT) | instid1(VALU_DEP_1)
	s_mul_i32 s11, s9, s7
	s_mul_hi_u32 s13, s9, s8
	s_mul_i32 s12, s10, s8
	s_add_i32 s11, s13, s11
	s_mul_i32 s14, s9, s8
	s_add_i32 s11, s11, s12
	s_mul_hi_u32 s13, s8, s14
	s_mul_hi_u32 s15, s7, s14
	s_mul_i32 s12, s7, s14
	s_mul_hi_u32 s14, s8, s11
	s_mul_i32 s8, s8, s11
	s_mul_hi_u32 s16, s7, s11
	s_add_u32 s8, s13, s8
	s_addc_u32 s13, 0, s14
	s_add_u32 s8, s8, s12
	s_mul_i32 s11, s7, s11
	s_addc_u32 s8, s13, s15
	s_addc_u32 s12, s16, 0
	s_add_u32 s8, s8, s11
	s_addc_u32 s11, 0, s12
	v_add_co_u32 v4, s8, v4, s8
	s_delay_alu instid0(VALU_DEP_1) | instskip(SKIP_1) | instid1(VALU_DEP_1)
	s_cmp_lg_u32 s8, 0
	s_addc_u32 s7, s7, s11
	v_readfirstlane_b32 s8, v4
	s_mul_i32 s11, s9, s7
	s_delay_alu instid0(VALU_DEP_1)
	s_mul_hi_u32 s12, s9, s8
	s_mul_i32 s10, s10, s8
	s_add_i32 s11, s12, s11
	s_mul_i32 s9, s9, s8
	s_add_i32 s11, s11, s10
	s_mul_hi_u32 s12, s7, s9
	s_mul_i32 s13, s7, s9
	s_mul_hi_u32 s9, s8, s9
	s_mul_hi_u32 s14, s8, s11
	s_mul_i32 s8, s8, s11
	s_mul_hi_u32 s10, s7, s11
	s_add_u32 s8, s9, s8
	s_addc_u32 s9, 0, s14
	s_add_u32 s8, s8, s13
	s_mul_i32 s11, s7, s11
	s_addc_u32 s8, s9, s12
	s_addc_u32 s9, s10, 0
	s_add_u32 s8, s8, s11
	s_addc_u32 s9, 0, s9
	v_add_co_u32 v4, s8, v4, s8
	s_delay_alu instid0(VALU_DEP_1) | instskip(SKIP_1) | instid1(VALU_DEP_1)
	s_cmp_lg_u32 s8, 0
	s_addc_u32 s7, s7, s9
	v_readfirstlane_b32 s8, v4
	s_mul_i32 s10, s36, s7
	s_mul_hi_u32 s9, s36, s7
	s_mul_hi_u32 s11, s37, s7
	s_mul_i32 s7, s37, s7
	s_mul_hi_u32 s12, s36, s8
	s_mul_hi_u32 s13, s37, s8
	s_mul_i32 s8, s37, s8
	s_add_u32 s10, s12, s10
	s_addc_u32 s9, 0, s9
	s_add_u32 s8, s10, s8
	s_addc_u32 s8, s9, s13
	s_addc_u32 s9, s11, 0
	s_add_u32 s7, s8, s7
	s_addc_u32 s8, 0, s9
	s_mul_hi_u32 s9, s26, s7
	s_mul_i32 s7, s26, s7
	s_mul_i32 s8, s26, s8
	v_sub_co_u32 v4, s7, s36, s7
	s_add_i32 s9, s9, s8
	s_cmp_lg_u32 s7, 0
	s_delay_alu instid0(VALU_DEP_1) | instskip(SKIP_2) | instid1(VALU_DEP_1)
	v_sub_co_u32 v5, s7, v4, s26
	s_subb_u32 s8, s37, s9
	s_cmp_lg_u32 s7, 0
	v_cmp_le_u32_e32 vcc_lo, s26, v5
	v_sub_co_u32 v8, s7, v5, s26
	s_subb_u32 s9, s8, 0
	s_cmp_lg_u32 s7, 0
	v_cndmask_b32_e64 v9, 0, -1, vcc_lo
	s_subb_u32 s7, s9, 0
	s_cmp_eq_u32 s9, 0
	v_mov_b32_e32 v11, s7
	s_cselect_b32 vcc_lo, -1, 0
	s_cmp_eq_u32 s8, 0
	v_cndmask_b32_e32 v9, -1, v9, vcc_lo
	v_cmp_le_u32_e32 vcc_lo, s26, v4
	s_cselect_b32 s7, -1, 0
	v_cndmask_b32_e64 v10, 0, -1, vcc_lo
	s_delay_alu instid0(VALU_DEP_3) | instskip(NEXT) | instid1(VALU_DEP_2)
	v_cmp_ne_u32_e32 vcc_lo, 0, v9
	v_cndmask_b32_e64 v9, -1, v10, s7
	v_cndmask_b32_e32 v10, s9, v11, vcc_lo
	v_cndmask_b32_e32 v8, v5, v8, vcc_lo
	s_delay_alu instid0(VALU_DEP_3) | instskip(NEXT) | instid1(VALU_DEP_3)
	v_cmp_ne_u32_e32 vcc_lo, 0, v9
	v_cndmask_b32_e32 v5, s8, v10, vcc_lo
	s_delay_alu instid0(VALU_DEP_3)
	v_cndmask_b32_e32 v4, v4, v8, vcc_lo
	s_cbranch_execnz .LBB186_55
.LBB186_54:                             ;   in Loop: Header=BB186_18 Depth=1
	v_cvt_f32_u32_e32 v4, s26
	s_sub_i32 s7, 0, s26
	s_delay_alu instid0(VALU_DEP_1) | instskip(SKIP_2) | instid1(VALU_DEP_1)
	v_rcp_iflag_f32_e32 v4, v4
	s_waitcnt_depctr 0xfff
	v_mul_f32_e32 v4, 0x4f7ffffe, v4
	v_cvt_u32_f32_e32 v4, v4
	s_delay_alu instid0(VALU_DEP_1) | instskip(NEXT) | instid1(VALU_DEP_1)
	v_mul_lo_u32 v5, s7, v4
	v_mul_hi_u32 v5, v4, v5
	s_delay_alu instid0(VALU_DEP_1) | instskip(NEXT) | instid1(VALU_DEP_1)
	v_add_nc_u32_e32 v4, v4, v5
	v_mul_hi_u32 v4, s36, v4
	s_delay_alu instid0(VALU_DEP_1) | instskip(NEXT) | instid1(VALU_DEP_1)
	v_mul_lo_u32 v4, v4, s26
	v_sub_nc_u32_e32 v4, s36, v4
	s_delay_alu instid0(VALU_DEP_1) | instskip(SKIP_1) | instid1(VALU_DEP_2)
	v_subrev_nc_u32_e32 v5, s26, v4
	v_cmp_le_u32_e32 vcc_lo, s26, v4
	v_cndmask_b32_e32 v4, v4, v5, vcc_lo
	s_delay_alu instid0(VALU_DEP_1) | instskip(SKIP_1) | instid1(VALU_DEP_2)
	v_subrev_nc_u32_e32 v5, s26, v4
	v_cmp_le_u32_e32 vcc_lo, s26, v4
	v_cndmask_b32_e32 v18, v4, v5, vcc_lo
	s_delay_alu instid0(VALU_DEP_1)
	v_dual_mov_b32 v4, v18 :: v_dual_mov_b32 v5, v19
.LBB186_55:                             ;   in Loop: Header=BB186_18 Depth=1
	v_mov_b32_e32 v8, 0
	v_mov_b32_e32 v9, 0
	s_delay_alu instid0(VALU_DEP_3) | instskip(NEXT) | instid1(VALU_DEP_4)
	v_sub_co_u32 v4, vcc_lo, s36, v4
	v_sub_co_ci_u32_e32 v5, vcc_lo, s37, v5, vcc_lo
	s_delay_alu instid0(VALU_DEP_3)
	v_dual_mov_b32 v11, v9 :: v_dual_mov_b32 v10, v8
	v_dual_mov_b32 v13, v9 :: v_dual_mov_b32 v12, v8
	;; [unrolled: 1-line block ×3, first 2 shown]
	s_mov_b64 s[76:77], 0
	s_mov_b32 s60, exec_lo
	v_cmpx_gt_u64_e64 v[4:5], v[20:21]
	s_cbranch_execz .LBB186_59
; %bb.56:                               ;   in Loop: Header=BB186_18 Depth=1
	v_dual_mov_b32 v29, v21 :: v_dual_mov_b32 v28, v20
	s_and_b32 s61, s101, 0xfe
	s_mov_b32 s62, 0
	s_mov_b64 s[78:79], 0
	s_mov_b64 s[80:81], 0
	;; [unrolled: 1-line block ×3, first 2 shown]
.LBB186_57:                             ;   Parent Loop BB186_18 Depth=1
                                        ; =>  This Inner Loop Header: Depth=2
	v_mul_lo_u32 v10, v29, s30
	v_mul_lo_u32 v11, v28, s31
	v_mad_u64_u32 v[8:9], null, v28, s30, 0
	s_lshl_b64 s[8:9], s[30:31], 3
	v_add_co_u32 v28, s18, v28, s26
	s_delay_alu instid0(VALU_DEP_1) | instskip(NEXT) | instid1(VALU_DEP_3)
	v_add_co_ci_u32_e64 v29, s18, 0, v29, s18
	v_add3_u32 v9, v9, v11, v10
	s_delay_alu instid0(VALU_DEP_2) | instskip(NEXT) | instid1(VALU_DEP_2)
	v_cmp_ge_u64_e64 s18, v[28:29], v[4:5]
	v_lshlrev_b64 v[8:9], 3, v[8:9]
	s_delay_alu instid0(VALU_DEP_1) | instskip(NEXT) | instid1(VALU_DEP_2)
	v_add_co_u32 v8, vcc_lo, s29, v8
	v_add_co_ci_u32_e32 v9, vcc_lo, s33, v9, vcc_lo
	s_delay_alu instid0(VALU_DEP_2) | instskip(NEXT) | instid1(VALU_DEP_2)
	v_add_co_u32 v10, vcc_lo, v8, s8
	v_add_co_ci_u32_e32 v11, vcc_lo, s9, v9, vcc_lo
	global_load_b64 v[8:9], v[8:9], off
	s_waitcnt vmcnt(0)
	v_ashrrev_i32_e32 v12, 31, v9
	v_cmp_o_f64_e32 vcc_lo, v[8:9], v[8:9]
	s_delay_alu instid0(VALU_DEP_2) | instskip(SKIP_2) | instid1(VALU_DEP_3)
	v_or_b32_e32 v13, 0x80000000, v12
	v_xor_b32_e32 v12, v12, v8
	v_add_co_u32 v8, s7, v10, s8
	v_xor_b32_e32 v13, v13, v9
	v_add_co_ci_u32_e64 v9, s7, s9, v11, s7
	global_load_b64 v[10:11], v[10:11], off
	s_waitcnt vmcnt(0)
	v_ashrrev_i32_e32 v14, 31, v11
	v_cmp_o_f64_e64 s7, v[10:11], v[10:11]
	s_delay_alu instid0(VALU_DEP_2) | instskip(SKIP_2) | instid1(VALU_DEP_3)
	v_or_b32_e32 v15, 0x80000000, v14
	v_xor_b32_e32 v14, v14, v10
	v_add_co_u32 v10, s8, v8, s8
	v_xor_b32_e32 v15, v15, v11
	v_add_co_ci_u32_e64 v11, s8, s9, v9, s8
	global_load_b64 v[8:9], v[8:9], off
	s_waitcnt vmcnt(0)
	v_ashrrev_i32_e32 v18, 31, v9
	v_cmp_o_f64_e64 s8, v[8:9], v[8:9]
	s_delay_alu instid0(VALU_DEP_2) | instskip(SKIP_1) | instid1(VALU_DEP_2)
	v_or_b32_e32 v30, 0x80000000, v18
	v_xor_b32_e32 v31, v18, v8
	v_xor_b32_e32 v30, v30, v9
	global_load_b64 v[8:9], v[10:11], off
	s_waitcnt vmcnt(0)
	v_cmp_o_f64_e64 s9, v[8:9], v[8:9]
	v_ashrrev_i32_e32 v10, 31, v9
	s_delay_alu instid0(VALU_DEP_1) | instskip(SKIP_2) | instid1(VALU_DEP_3)
	v_or_b32_e32 v11, 0x80000000, v10
	v_xor_b32_e32 v32, v10, v8
	v_cndmask_b32_e32 v8, -1, v12, vcc_lo
	v_xor_b32_e32 v33, v11, v9
	s_delay_alu instid0(VALU_DEP_2) | instskip(NEXT) | instid1(VALU_DEP_1)
	v_dual_cndmask_b32 v9, -1, v13 :: v_dual_and_b32 v10, v8, v22
	v_and_b32_e32 v11, v9, v23
	v_lshrrev_b64 v[8:9], s61, v[8:9]
	v_cndmask_b32_e64 v9, -1, v15, s7
	s_delay_alu instid0(VALU_DEP_3) | instskip(NEXT) | instid1(VALU_DEP_3)
	v_cmp_eq_u64_e32 vcc_lo, v[10:11], v[24:25]
	v_and_b32_e32 v18, 3, v8
	v_cndmask_b32_e64 v8, -1, v14, s7
	s_delay_alu instid0(VALU_DEP_4) | instskip(NEXT) | instid1(VALU_DEP_2)
	v_and_b32_e32 v11, v9, v23
	v_and_b32_e32 v10, v8, v22
	v_lshrrev_b64 v[8:9], s61, v[8:9]
	v_mov_b32_e32 v9, v19
	s_delay_alu instid0(VALU_DEP_3) | instskip(SKIP_3) | instid1(VALU_DEP_3)
	v_cmp_eq_u64_e64 s7, v[10:11], v[24:25]
	v_cndmask_b32_e64 v11, -1, v30, s8
	v_cndmask_b32_e64 v10, -1, v31, s8
	v_and_b32_e32 v8, 3, v8
	v_and_b32_e32 v13, v11, v23
	s_delay_alu instid0(VALU_DEP_3) | instskip(NEXT) | instid1(VALU_DEP_3)
	v_and_b32_e32 v12, v10, v22
	v_cmp_eq_u64_e64 s10, 0, v[8:9]
	v_cmp_eq_u64_e64 s11, 1, v[8:9]
	;; [unrolled: 1-line block ×4, first 2 shown]
	v_cndmask_b32_e64 v9, -1, v33, s9
	v_cndmask_b32_e64 v8, -1, v32, s9
	v_lshrrev_b64 v[10:11], s61, v[10:11]
	v_mov_b32_e32 v11, v19
	v_cmp_eq_u64_e64 s19, 0, v[18:19]
	v_cmp_eq_u64_e64 s8, v[12:13], v[24:25]
	v_and_b32_e32 v13, v9, v23
	v_and_b32_e32 v12, v8, v22
	v_lshrrev_b64 v[8:9], s61, v[8:9]
	v_and_b32_e32 v10, 3, v10
	s_and_b32 s19, vcc_lo, s19
	v_mov_b32_e32 v9, v19
	v_cmp_eq_u64_e64 s9, v[12:13], v[24:25]
	v_cmp_eq_u64_e64 s20, 1, v[18:19]
	;; [unrolled: 1-line block ×6, first 2 shown]
	v_and_b32_e32 v8, 3, v8
	v_cndmask_b32_e64 v10, 0, 1, s19
	s_and_b32 s19, s7, s10
	s_and_b32 s48, s8, s14
	v_cmp_eq_u64_e64 s21, 2, v[18:19]
	v_cmp_eq_u64_e64 s23, 1, v[8:9]
	v_cmp_ne_u32_e64 s10, 0, v10
	v_cndmask_b32_e64 v10, 0, 1, s19
	v_cmp_eq_u64_e64 s19, 0, v[8:9]
	v_cmp_eq_u64_e64 s24, 2, v[8:9]
	;; [unrolled: 1-line block ×3, first 2 shown]
	v_cndmask_b32_e64 v8, 0, 1, s48
	v_cmp_ne_u32_e64 s14, 0, v10
	s_bcnt1_i32_b32 s48, s10
	s_and_b32 s10, s9, s19
	v_cmp_eq_u64_e64 s22, 3, v[18:19]
	v_cndmask_b32_e64 v9, 0, 1, s10
	s_bcnt1_i32_b32 s14, s14
	v_cmp_ne_u32_e64 s10, 0, v8
	s_add_i32 s19, s14, s48
	s_delay_alu instid0(VALU_DEP_2) | instskip(NEXT) | instid1(VALU_DEP_2)
	v_cmp_ne_u32_e64 s14, 0, v9
	s_bcnt1_i32_b32 s10, s10
	s_delay_alu instid0(SALU_CYCLE_1) | instskip(NEXT) | instid1(VALU_DEP_1)
	s_add_i32 s10, s19, s10
	s_bcnt1_i32_b32 s14, s14
	s_delay_alu instid0(SALU_CYCLE_1) | instskip(NEXT) | instid1(SALU_CYCLE_1)
	s_add_i32 s10, s10, s14
	s_add_u32 s82, s82, s10
	s_addc_u32 s83, s83, 0
	s_and_b32 s10, vcc_lo, s20
	s_and_b32 s11, s7, s11
	v_cndmask_b32_e64 v8, 0, 1, s10
	s_and_b32 s14, s8, s15
	v_cndmask_b32_e64 v9, 0, 1, s11
	;; [unrolled: 2-line block ×3, first 2 shown]
	v_cmp_ne_u32_e64 s10, 0, v8
	v_cndmask_b32_e64 v8, 0, 1, s15
	v_cmp_ne_u32_e64 s11, 0, v9
	s_delay_alu instid0(VALU_DEP_4) | instskip(NEXT) | instid1(VALU_DEP_4)
	v_cmp_ne_u32_e64 s14, 0, v10
	s_bcnt1_i32_b32 s10, s10
	s_delay_alu instid0(VALU_DEP_3) | instskip(NEXT) | instid1(VALU_DEP_3)
	v_cmp_ne_u32_e64 s15, 0, v8
	s_bcnt1_i32_b32 s11, s11
	s_delay_alu instid0(VALU_DEP_2) | instskip(SKIP_1) | instid1(VALU_DEP_1)
	s_bcnt1_i32_b32 s14, s14
	s_add_i32 s10, s11, s10
	s_bcnt1_i32_b32 s15, s15
	s_add_i32 s10, s10, s14
	s_delay_alu instid0(SALU_CYCLE_1) | instskip(NEXT) | instid1(SALU_CYCLE_1)
	s_add_i32 s10, s10, s15
	s_add_u32 s80, s80, s10
	s_addc_u32 s81, s81, 0
	s_and_b32 s10, vcc_lo, s21
	s_and_b32 s11, s7, s12
	v_cndmask_b32_e64 v8, 0, 1, s10
	s_and_b32 s12, s8, s16
	v_cndmask_b32_e64 v9, 0, 1, s11
	;; [unrolled: 2-line block ×3, first 2 shown]
	v_cmp_ne_u32_e64 s10, 0, v8
	v_cndmask_b32_e64 v8, 0, 1, s14
	v_cmp_ne_u32_e64 s11, 0, v9
	s_delay_alu instid0(VALU_DEP_4) | instskip(NEXT) | instid1(VALU_DEP_4)
	v_cmp_ne_u32_e64 s12, 0, v10
	s_bcnt1_i32_b32 s10, s10
	s_delay_alu instid0(VALU_DEP_3) | instskip(NEXT) | instid1(VALU_DEP_3)
	v_cmp_ne_u32_e64 s14, 0, v8
	s_bcnt1_i32_b32 s11, s11
	s_delay_alu instid0(VALU_DEP_2) | instskip(SKIP_1) | instid1(VALU_DEP_1)
	s_bcnt1_i32_b32 s12, s12
	s_add_i32 s10, s11, s10
	s_bcnt1_i32_b32 s14, s14
	s_add_i32 s10, s10, s12
	s_delay_alu instid0(SALU_CYCLE_1) | instskip(NEXT) | instid1(SALU_CYCLE_1)
	s_add_i32 s10, s10, s14
	s_add_u32 s78, s78, s10
	s_addc_u32 s79, s79, 0
	s_and_b32 s10, vcc_lo, s22
	s_and_b32 s7, s7, s13
	v_cndmask_b32_e64 v8, 0, 1, s10
	s_and_b32 s8, s8, s17
	v_cndmask_b32_e64 v9, 0, 1, s7
	;; [unrolled: 2-line block ×3, first 2 shown]
	v_cmp_ne_u32_e32 vcc_lo, 0, v8
	v_cndmask_b32_e64 v8, 0, 1, s9
	v_cmp_ne_u32_e64 s7, 0, v9
	v_mov_b32_e32 v12, s78
	v_cmp_ne_u32_e64 s8, 0, v10
	s_bcnt1_i32_b32 s10, vcc_lo
	v_cmp_ne_u32_e64 s9, 0, v8
	s_bcnt1_i32_b32 s7, s7
	v_mov_b32_e32 v8, s82
	s_bcnt1_i32_b32 s8, s8
	s_add_i32 s7, s7, s10
	s_bcnt1_i32_b32 s9, s9
	s_add_i32 s7, s7, s8
	v_mov_b32_e32 v10, s80
	s_add_i32 s7, s7, s9
	v_mov_b32_e32 v9, s83
	s_add_u32 s76, s76, s7
	s_addc_u32 s77, s77, 0
	s_delay_alu instid0(SALU_CYCLE_1) | instskip(SKIP_3) | instid1(SALU_CYCLE_1)
	v_dual_mov_b32 v14, s76 :: v_dual_mov_b32 v15, s77
	v_mov_b32_e32 v11, s81
	v_mov_b32_e32 v13, s79
	s_or_b32 s62, s18, s62
	s_and_not1_b32 exec_lo, exec_lo, s62
	s_cbranch_execnz .LBB186_57
; %bb.58:                               ;   in Loop: Header=BB186_18 Depth=1
	s_or_b32 exec_lo, exec_lo, s62
.LBB186_59:                             ;   in Loop: Header=BB186_18 Depth=1
	s_delay_alu instid0(SALU_CYCLE_1) | instskip(SKIP_4) | instid1(VALU_DEP_3)
	s_or_b32 exec_lo, exec_lo, s60
	v_add_co_u32 v4, vcc_lo, v4, v0
	v_add_co_ci_u32_e32 v5, vcc_lo, 0, v5, vcc_lo
	v_mov_b32_e32 v30, 0
	v_dual_mov_b32 v31, 0 :: v_dual_and_b32 v2, 0xffff, v2
	v_cmp_gt_u64_e32 vcc_lo, s[36:37], v[4:5]
	s_and_saveexec_b32 s8, vcc_lo
	s_cbranch_execz .LBB186_61
; %bb.60:                               ;   in Loop: Header=BB186_18 Depth=1
	v_mul_lo_u32 v18, v5, s30
	v_mul_lo_u32 v30, v4, s31
	v_mad_u64_u32 v[28:29], null, v4, s30, 0
	s_delay_alu instid0(VALU_DEP_1) | instskip(NEXT) | instid1(VALU_DEP_1)
	v_add3_u32 v29, v29, v30, v18
	v_lshlrev_b64 v[28:29], 3, v[28:29]
	s_delay_alu instid0(VALU_DEP_1) | instskip(NEXT) | instid1(VALU_DEP_1)
	v_add_co_u32 v28, s7, s29, v28
	v_add_co_ci_u32_e64 v29, s7, s33, v29, s7
	global_load_b64 v[30:31], v[28:29], off
.LBB186_61:                             ;   in Loop: Header=BB186_18 Depth=1
	s_or_b32 exec_lo, exec_lo, s8
	s_and_saveexec_b32 s11, vcc_lo
	s_cbranch_execz .LBB186_68
; %bb.62:                               ;   in Loop: Header=BB186_18 Depth=1
	s_and_b32 s12, s101, 0xfe
	s_mov_b32 s13, 0
	s_branch .LBB186_64
.LBB186_63:                             ;   in Loop: Header=BB186_64 Depth=2
	s_or_b32 exec_lo, exec_lo, s8
	s_waitcnt vmcnt(0)
	v_cmp_o_f64_e64 s7, v[30:31], v[30:31]
	v_ashrrev_i32_e32 v18, 31, v31
	s_and_b32 s9, exec_lo, vcc_lo
	s_delay_alu instid0(SALU_CYCLE_1) | instskip(NEXT) | instid1(VALU_DEP_1)
	s_or_b32 s13, s9, s13
	v_or_b32_e32 v32, 0x80000000, v18
	v_xor_b32_e32 v18, v18, v30
	s_delay_alu instid0(VALU_DEP_2) | instskip(NEXT) | instid1(VALU_DEP_1)
	v_xor_b32_e32 v32, v32, v31
	v_cndmask_b32_e64 v31, -1, v32, s7
	s_delay_alu instid0(VALU_DEP_3) | instskip(NEXT) | instid1(VALU_DEP_1)
	v_cndmask_b32_e64 v30, -1, v18, s7
	v_lshrrev_b64 v[32:33], s12, v[30:31]
	v_and_b32_e32 v31, v31, v23
	v_and_b32_e32 v30, v30, v22
	s_delay_alu instid0(VALU_DEP_3) | instskip(NEXT) | instid1(VALU_DEP_2)
	v_and_b32_e32 v18, 3, v32
	v_cmp_eq_u64_e64 s7, v[30:31], v[24:25]
	s_delay_alu instid0(VALU_DEP_2) | instskip(SKIP_3) | instid1(VALU_DEP_4)
	v_cmp_eq_u64_e64 s8, 0, v[18:19]
	v_cmp_eq_u64_e32 vcc_lo, 1, v[18:19]
	v_cmp_eq_u64_e64 s9, 2, v[18:19]
	v_cmp_eq_u64_e64 s10, 3, v[18:19]
	s_and_b32 s8, s7, s8
	s_delay_alu instid0(SALU_CYCLE_1) | instskip(SKIP_1) | instid1(SALU_CYCLE_1)
	v_cndmask_b32_e64 v18, 0, 1, s8
	s_and_b32 s8, s7, vcc_lo
	v_cndmask_b32_e64 v30, 0, 1, s8
	s_and_b32 s8, s7, s9
	s_delay_alu instid0(VALU_DEP_2) | instskip(SKIP_2) | instid1(SALU_CYCLE_1)
	v_cmp_ne_u32_e32 vcc_lo, 0, v18
	v_cndmask_b32_e64 v31, 0, 1, s8
	s_and_b32 s7, s7, s10
	v_cndmask_b32_e64 v32, 0, 1, s7
	v_cmp_ne_u32_e64 s7, 0, v30
	s_bcnt1_i32_b32 s10, vcc_lo
	v_cmp_ne_u32_e64 s8, 0, v31
	v_mov_b32_e32 v31, v29
	v_add_co_u32 v8, vcc_lo, v8, s10
	s_bcnt1_i32_b32 s7, s7
	v_cmp_ne_u32_e64 s9, 0, v32
	v_add_co_ci_u32_e32 v9, vcc_lo, 0, v9, vcc_lo
	v_add_co_u32 v10, vcc_lo, v10, s7
	s_bcnt1_i32_b32 s8, s8
	v_add_co_ci_u32_e32 v11, vcc_lo, 0, v11, vcc_lo
	v_add_co_u32 v12, vcc_lo, v12, s8
	s_bcnt1_i32_b32 s9, s9
	v_add_co_ci_u32_e32 v13, vcc_lo, 0, v13, vcc_lo
	v_add_co_u32 v14, vcc_lo, v14, s9
	v_add_co_ci_u32_e32 v15, vcc_lo, 0, v15, vcc_lo
	v_mov_b32_e32 v30, v28
	s_and_not1_b32 exec_lo, exec_lo, s13
	s_cbranch_execz .LBB186_67
.LBB186_64:                             ;   Parent Loop BB186_18 Depth=1
                                        ; =>  This Inner Loop Header: Depth=2
	v_add_co_u32 v4, vcc_lo, v4, v2
	v_add_co_ci_u32_e32 v5, vcc_lo, 0, v5, vcc_lo
	v_mov_b32_e32 v28, 0
	v_mov_b32_e32 v29, 0
	s_mov_b32 s8, exec_lo
	s_delay_alu instid0(VALU_DEP_3)
	v_cmp_le_u64_e32 vcc_lo, s[36:37], v[4:5]
	v_cmpx_gt_u64_e64 s[36:37], v[4:5]
	s_cbranch_execz .LBB186_63
; %bb.65:                               ;   in Loop: Header=BB186_64 Depth=2
	v_mul_lo_u32 v18, v5, s30
	v_mul_lo_u32 v32, v4, s31
	v_mad_u64_u32 v[28:29], null, v4, s30, 0
	s_delay_alu instid0(VALU_DEP_1) | instskip(NEXT) | instid1(VALU_DEP_1)
	v_add3_u32 v29, v29, v32, v18
	v_lshlrev_b64 v[28:29], 3, v[28:29]
	s_delay_alu instid0(VALU_DEP_1) | instskip(NEXT) | instid1(VALU_DEP_1)
	v_add_co_u32 v28, s7, s29, v28
	v_add_co_ci_u32_e64 v29, s7, s33, v29, s7
	global_load_b64 v[28:29], v[28:29], off
	s_branch .LBB186_63
.LBB186_66:                             ;   in Loop: Header=BB186_18 Depth=1
                                        ; implicit-def: $vgpr14_vgpr15
                                        ; implicit-def: $vgpr10_vgpr11
	s_cbranch_execnz .LBB186_69
	s_branch .LBB186_78
.LBB186_67:                             ;   in Loop: Header=BB186_18 Depth=1
	s_or_b32 exec_lo, exec_lo, s13
.LBB186_68:                             ;   in Loop: Header=BB186_18 Depth=1
	s_delay_alu instid0(SALU_CYCLE_1)
	s_or_b32 exec_lo, exec_lo, s11
	s_branch .LBB186_78
.LBB186_69:                             ;   in Loop: Header=BB186_18 Depth=1
	global_load_u16 v2, v19, s[72:73]
	v_mov_b32_e32 v8, 0
	s_mov_b64 s[76:77], 0
	s_mov_b32 s61, exec_lo
	v_mov_b32_e32 v9, 0
	s_delay_alu instid0(VALU_DEP_1)
	v_mov_b32_e32 v15, v9
	v_dual_mov_b32 v11, v9 :: v_dual_mov_b32 v10, v8
	v_dual_mov_b32 v13, v9 :: v_dual_mov_b32 v12, v8
	v_mov_b32_e32 v14, v8
	s_waitcnt vmcnt(0)
	v_readfirstlane_b32 s7, v2
	v_and_b32_e32 v2, 0xffff, v2
	s_delay_alu instid0(VALU_DEP_2) | instskip(NEXT) | instid1(SALU_CYCLE_1)
	s_and_b32 s7, 0xffff, s7
	s_lshl_b32 s60, s7, 2
	s_delay_alu instid0(SALU_CYCLE_1) | instskip(SKIP_1) | instid1(VALU_DEP_1)
	v_cvt_f32_u32_e32 v4, s60
	s_sub_i32 s8, 0, s60
	v_rcp_iflag_f32_e32 v4, v4
	s_waitcnt_depctr 0xfff
	v_mul_f32_e32 v4, 0x4f7ffffe, v4
	s_delay_alu instid0(VALU_DEP_1) | instskip(NEXT) | instid1(VALU_DEP_1)
	v_cvt_u32_f32_e32 v4, v4
	v_readfirstlane_b32 s7, v4
	s_delay_alu instid0(VALU_DEP_1) | instskip(NEXT) | instid1(SALU_CYCLE_1)
	s_mul_i32 s8, s8, s7
	s_mul_hi_u32 s8, s7, s8
	s_delay_alu instid0(SALU_CYCLE_1) | instskip(NEXT) | instid1(SALU_CYCLE_1)
	s_add_i32 s7, s7, s8
	s_mul_hi_u32 s7, s74, s7
	s_delay_alu instid0(SALU_CYCLE_1) | instskip(NEXT) | instid1(SALU_CYCLE_1)
	s_mul_i32 s7, s7, s60
	s_sub_i32 s7, s74, s7
	s_delay_alu instid0(SALU_CYCLE_1) | instskip(SKIP_2) | instid1(SALU_CYCLE_1)
	s_sub_i32 s8, s7, s60
	s_cmp_ge_u32 s7, s60
	s_cselect_b32 s7, s8, s7
	s_sub_i32 s8, s7, s60
	s_cmp_ge_u32 s7, s60
	s_cselect_b32 s7, s8, s7
	s_delay_alu instid0(SALU_CYCLE_1) | instskip(NEXT) | instid1(SALU_CYCLE_1)
	s_sub_i32 s70, s74, s7
	v_cmpx_gt_u32_e64 s70, v20
	s_cbranch_execz .LBB186_73
; %bb.70:                               ;   in Loop: Header=BB186_18 Depth=1
	v_dual_mov_b32 v29, v39 :: v_dual_lshlrev_b32 v28, 5, v2
	v_dual_mov_b32 v4, v20 :: v_dual_mov_b32 v5, v21
	s_and_b32 s62, s101, 0xfe
	s_mov_b32 s63, 0
	s_mov_b64 s[78:79], 0
	s_mov_b64 s[80:81], 0
	;; [unrolled: 1-line block ×3, first 2 shown]
.LBB186_71:                             ;   Parent Loop BB186_18 Depth=1
                                        ; =>  This Inner Loop Header: Depth=2
	ds_load_b128 v[8:11], v29
	v_add_co_u32 v4, s18, v4, s60
	s_delay_alu instid0(VALU_DEP_1) | instskip(NEXT) | instid1(VALU_DEP_1)
	v_add_co_ci_u32_e64 v5, s18, 0, v5, s18
	v_cmp_le_u64_e64 s18, s[70:71], v[4:5]
	s_waitcnt lgkmcnt(0)
	v_ashrrev_i32_e32 v12, 31, v9
	v_cmp_o_f64_e64 s7, v[8:9], v[8:9]
	v_cmp_o_f64_e32 vcc_lo, v[10:11], v[10:11]
	s_delay_alu instid0(VALU_DEP_3) | instskip(SKIP_2) | instid1(VALU_DEP_3)
	v_or_b32_e32 v13, 0x80000000, v12
	v_xor_b32_e32 v12, v12, v8
	v_ashrrev_i32_e32 v8, 31, v11
	v_xor_b32_e32 v13, v13, v9
	s_delay_alu instid0(VALU_DEP_2) | instskip(SKIP_1) | instid1(VALU_DEP_2)
	v_or_b32_e32 v14, 0x80000000, v8
	v_xor_b32_e32 v15, v8, v10
	v_xor_b32_e32 v14, v14, v11
	ds_load_b128 v[8:11], v29 offset:16
	v_add_nc_u32_e32 v29, v29, v28
	s_waitcnt lgkmcnt(0)
	v_cmp_o_f64_e64 s8, v[8:9], v[8:9]
	v_ashrrev_i32_e32 v18, 31, v9
	v_cmp_o_f64_e64 s9, v[10:11], v[10:11]
	s_delay_alu instid0(VALU_DEP_2) | instskip(SKIP_2) | instid1(VALU_DEP_3)
	v_or_b32_e32 v30, 0x80000000, v18
	v_xor_b32_e32 v18, v18, v8
	v_ashrrev_i32_e32 v8, 31, v11
	v_xor_b32_e32 v30, v30, v9
	v_cndmask_b32_e64 v9, -1, v13, s7
	s_delay_alu instid0(VALU_DEP_3) | instskip(SKIP_2) | instid1(VALU_DEP_3)
	v_or_b32_e32 v31, 0x80000000, v8
	v_xor_b32_e32 v32, v8, v10
	v_cndmask_b32_e64 v8, -1, v12, s7
	v_xor_b32_e32 v31, v31, v11
	v_and_b32_e32 v11, v9, v23
	s_delay_alu instid0(VALU_DEP_3) | instskip(SKIP_1) | instid1(VALU_DEP_2)
	v_and_b32_e32 v10, v8, v22
	v_lshrrev_b64 v[8:9], s62, v[8:9]
	v_cmp_eq_u64_e64 s7, v[10:11], v[24:25]
	v_dual_cndmask_b32 v11, -1, v14 :: v_dual_cndmask_b32 v10, -1, v15
	s_delay_alu instid0(VALU_DEP_1) | instskip(NEXT) | instid1(VALU_DEP_2)
	v_and_b32_e32 v13, v11, v23
	v_and_b32_e32 v12, v10, v22
	s_delay_alu instid0(VALU_DEP_1) | instskip(SKIP_4) | instid1(VALU_DEP_4)
	v_cmp_eq_u64_e32 vcc_lo, v[12:13], v[24:25]
	v_cndmask_b32_e64 v12, -1, v18, s8
	v_and_b32_e32 v18, 3, v8
	v_lshrrev_b64 v[8:9], s62, v[10:11]
	v_cndmask_b32_e64 v13, -1, v30, s8
	v_dual_mov_b32 v9, v19 :: v_dual_and_b32 v14, v12, v22
	s_delay_alu instid0(VALU_DEP_4)
	v_cmp_eq_u64_e64 s19, 0, v[18:19]
	v_cmp_eq_u64_e64 s21, 1, v[18:19]
	v_and_b32_e32 v8, 3, v8
	v_and_b32_e32 v15, v13, v23
	v_cmp_eq_u64_e64 s23, 2, v[18:19]
	s_and_b32 s19, s7, s19
	s_delay_alu instid0(VALU_DEP_3)
	v_cmp_eq_u64_e64 s10, 0, v[8:9]
	v_cmp_eq_u64_e64 s11, 1, v[8:9]
	;; [unrolled: 1-line block ×4, first 2 shown]
	v_lshrrev_b64 v[8:9], s62, v[12:13]
	v_cmp_eq_u64_e64 s8, v[14:15], v[24:25]
	v_cndmask_b32_e64 v15, -1, v31, s9
	v_cndmask_b32_e64 v14, -1, v32, s9
	v_mov_b32_e32 v9, v19
	s_and_b32 s10, vcc_lo, s10
	v_and_b32_e32 v8, 3, v8
	v_and_b32_e32 v31, v15, v23
	;; [unrolled: 1-line block ×3, first 2 shown]
	s_delay_alu instid0(VALU_DEP_3)
	v_cmp_eq_u64_e64 s14, 0, v[8:9]
	v_cmp_eq_u64_e64 s15, 1, v[8:9]
	;; [unrolled: 1-line block ×4, first 2 shown]
	v_lshrrev_b64 v[8:9], s62, v[14:15]
	v_mov_b32_e32 v9, v19
	v_cmp_eq_u64_e64 s9, v[30:31], v[24:25]
	s_and_b32 s14, s8, s14
	s_delay_alu instid0(SALU_CYCLE_1) | instskip(NEXT) | instid1(VALU_DEP_4)
	v_cndmask_b32_e64 v10, 0, 1, s14
	v_and_b32_e32 v8, 3, v8
	s_delay_alu instid0(VALU_DEP_1)
	v_cmp_eq_u64_e64 s20, 0, v[8:9]
	v_cmp_eq_u64_e64 s22, 1, v[8:9]
	;; [unrolled: 1-line block ×4, first 2 shown]
	v_cndmask_b32_e64 v8, 0, 1, s19
	v_cndmask_b32_e64 v9, 0, 1, s10
	s_and_b32 s20, s9, s20
	v_cmp_ne_u32_e64 s19, 0, v10
	s_delay_alu instid0(VALU_DEP_3) | instskip(SKIP_2) | instid1(VALU_DEP_4)
	v_cmp_ne_u32_e64 s10, 0, v8
	v_cndmask_b32_e64 v8, 0, 1, s20
	v_cmp_ne_u32_e64 s14, 0, v9
	s_bcnt1_i32_b32 s19, s19
	s_delay_alu instid0(VALU_DEP_3) | instskip(NEXT) | instid1(VALU_DEP_2)
	s_bcnt1_i32_b32 s10, s10
	v_cmp_ne_u32_e64 s20, 0, v8
	s_delay_alu instid0(VALU_DEP_2) | instskip(NEXT) | instid1(SALU_CYCLE_1)
	s_bcnt1_i32_b32 s14, s14
	s_add_i32 s10, s14, s10
	s_delay_alu instid0(VALU_DEP_1) | instskip(SKIP_1) | instid1(SALU_CYCLE_1)
	s_bcnt1_i32_b32 s20, s20
	s_add_i32 s10, s10, s19
	s_add_i32 s10, s10, s20
	s_delay_alu instid0(SALU_CYCLE_1)
	s_add_u32 s82, s82, s10
	s_addc_u32 s83, s83, 0
	s_and_b32 s10, s7, s21
	s_and_b32 s11, vcc_lo, s11
	v_cndmask_b32_e64 v8, 0, 1, s10
	s_and_b32 s14, s8, s15
	v_cndmask_b32_e64 v9, 0, 1, s11
	s_and_b32 s15, s9, s22
	v_cndmask_b32_e64 v10, 0, 1, s14
	v_cmp_ne_u32_e64 s10, 0, v8
	v_cndmask_b32_e64 v8, 0, 1, s15
	v_cmp_ne_u32_e64 s11, 0, v9
	s_delay_alu instid0(VALU_DEP_4) | instskip(NEXT) | instid1(VALU_DEP_4)
	v_cmp_ne_u32_e64 s14, 0, v10
	s_bcnt1_i32_b32 s10, s10
	s_delay_alu instid0(VALU_DEP_3) | instskip(NEXT) | instid1(VALU_DEP_3)
	v_cmp_ne_u32_e64 s15, 0, v8
	s_bcnt1_i32_b32 s11, s11
	s_delay_alu instid0(VALU_DEP_2) | instskip(SKIP_1) | instid1(VALU_DEP_1)
	s_bcnt1_i32_b32 s14, s14
	s_add_i32 s10, s11, s10
	s_bcnt1_i32_b32 s15, s15
	s_add_i32 s10, s10, s14
	s_delay_alu instid0(SALU_CYCLE_1) | instskip(NEXT) | instid1(SALU_CYCLE_1)
	s_add_i32 s10, s10, s15
	s_add_u32 s80, s80, s10
	s_addc_u32 s81, s81, 0
	s_and_b32 s10, s7, s23
	s_and_b32 s11, vcc_lo, s12
	v_cndmask_b32_e64 v8, 0, 1, s10
	s_and_b32 s12, s8, s16
	v_cndmask_b32_e64 v9, 0, 1, s11
	s_and_b32 s14, s9, s24
	v_cndmask_b32_e64 v10, 0, 1, s12
	v_cmp_ne_u32_e64 s10, 0, v8
	v_cndmask_b32_e64 v8, 0, 1, s14
	v_cmp_ne_u32_e64 s11, 0, v9
	s_delay_alu instid0(VALU_DEP_4) | instskip(NEXT) | instid1(VALU_DEP_4)
	v_cmp_ne_u32_e64 s12, 0, v10
	s_bcnt1_i32_b32 s10, s10
	s_delay_alu instid0(VALU_DEP_3) | instskip(NEXT) | instid1(VALU_DEP_3)
	v_cmp_ne_u32_e64 s14, 0, v8
	s_bcnt1_i32_b32 s11, s11
	s_delay_alu instid0(VALU_DEP_2) | instskip(SKIP_1) | instid1(VALU_DEP_1)
	s_bcnt1_i32_b32 s12, s12
	s_add_i32 s10, s11, s10
	s_bcnt1_i32_b32 s14, s14
	s_add_i32 s10, s10, s12
	s_delay_alu instid0(SALU_CYCLE_1) | instskip(NEXT) | instid1(SALU_CYCLE_1)
	s_add_i32 s10, s10, s14
	s_add_u32 s78, s78, s10
	s_addc_u32 s79, s79, 0
	s_and_b32 s8, s8, s17
	s_and_b32 s10, vcc_lo, s13
	v_cndmask_b32_e64 v10, 0, 1, s8
	v_cndmask_b32_e64 v9, 0, 1, s10
	s_and_b32 s9, s9, s26
	v_dual_mov_b32 v12, s78 :: v_dual_mov_b32 v13, s79
	s_delay_alu instid0(VALU_DEP_3) | instskip(SKIP_2) | instid1(VALU_DEP_3)
	v_cmp_ne_u32_e64 s8, 0, v10
	v_dual_mov_b32 v10, s80 :: v_dual_mov_b32 v11, s81
	v_cmp_eq_u64_e64 s25, 3, v[18:19]
	s_bcnt1_i32_b32 s8, s8
	s_delay_alu instid0(VALU_DEP_1) | instskip(NEXT) | instid1(SALU_CYCLE_1)
	s_and_b32 s7, s7, s25
	v_cndmask_b32_e64 v8, 0, 1, s7
	v_cmp_ne_u32_e64 s7, 0, v9
	s_delay_alu instid0(VALU_DEP_2) | instskip(SKIP_1) | instid1(VALU_DEP_3)
	v_cmp_ne_u32_e32 vcc_lo, 0, v8
	v_cndmask_b32_e64 v8, 0, 1, s9
	s_bcnt1_i32_b32 s7, s7
	s_bcnt1_i32_b32 s10, vcc_lo
	s_delay_alu instid0(VALU_DEP_1) | instskip(SKIP_3) | instid1(VALU_DEP_2)
	v_cmp_ne_u32_e64 s9, 0, v8
	s_add_i32 s7, s7, s10
	v_dual_mov_b32 v8, s82 :: v_dual_mov_b32 v9, s83
	s_add_i32 s7, s7, s8
	s_bcnt1_i32_b32 s9, s9
	s_delay_alu instid0(SALU_CYCLE_1) | instskip(NEXT) | instid1(SALU_CYCLE_1)
	s_add_i32 s7, s7, s9
	s_add_u32 s76, s76, s7
	s_addc_u32 s77, s77, 0
	s_delay_alu instid0(SALU_CYCLE_1) | instskip(SKIP_1) | instid1(SALU_CYCLE_1)
	v_dual_mov_b32 v14, s76 :: v_dual_mov_b32 v15, s77
	s_or_b32 s63, s18, s63
	s_and_not1_b32 exec_lo, exec_lo, s63
	s_cbranch_execnz .LBB186_71
; %bb.72:                               ;   in Loop: Header=BB186_18 Depth=1
	s_or_b32 exec_lo, exec_lo, s63
.LBB186_73:                             ;   in Loop: Header=BB186_18 Depth=1
	s_delay_alu instid0(SALU_CYCLE_1) | instskip(SKIP_2) | instid1(VALU_DEP_1)
	s_or_b32 exec_lo, exec_lo, s61
	v_add_nc_u32_e32 v18, s70, v0
	s_mov_b32 s14, exec_lo
	v_cmpx_gt_u32_e64 s74, v18
	s_cbranch_execz .LBB186_77
; %bb.74:                               ;   in Loop: Header=BB186_18 Depth=1
	v_dual_mov_b32 v4, v18 :: v_dual_lshlrev_b32 v29, 3, v2
	v_dual_mov_b32 v5, v19 :: v_dual_lshlrev_b32 v28, 3, v18
	s_mov_b32 s13, 0
	s_and_b32 s12, s74, 0x7fffffff
	s_and_b32 s16, s101, 0xfe
	s_mov_b32 s15, s13
.LBB186_75:                             ;   Parent Loop BB186_18 Depth=1
                                        ; =>  This Inner Loop Header: Depth=2
	ds_load_b64 v[30:31], v28
	v_add_co_u32 v4, s7, v4, v2
	s_delay_alu instid0(VALU_DEP_1) | instskip(NEXT) | instid1(VALU_DEP_1)
	v_add_co_ci_u32_e64 v5, s7, 0, v5, s7
	v_cmp_le_u64_e64 s7, s[12:13], v[4:5]
	s_waitcnt lgkmcnt(0)
	v_cmp_o_f64_e32 vcc_lo, v[30:31], v[30:31]
	v_ashrrev_i32_e32 v18, 31, v31
	s_delay_alu instid0(VALU_DEP_1) | instskip(SKIP_1) | instid1(VALU_DEP_2)
	v_or_b32_e32 v32, 0x80000000, v18
	v_xor_b32_e32 v18, v18, v30
	v_xor_b32_e32 v32, v32, v31
	s_delay_alu instid0(VALU_DEP_1) | instskip(NEXT) | instid1(VALU_DEP_1)
	v_dual_cndmask_b32 v31, -1, v32 :: v_dual_add_nc_u32 v28, v28, v29
	v_dual_cndmask_b32 v30, -1, v18 :: v_dual_and_b32 v33, v31, v23
	s_delay_alu instid0(VALU_DEP_1) | instskip(SKIP_1) | instid1(VALU_DEP_2)
	v_and_b32_e32 v32, v30, v22
	v_lshrrev_b64 v[30:31], s16, v[30:31]
	v_cmp_eq_u64_e32 vcc_lo, v[32:33], v[24:25]
	s_delay_alu instid0(VALU_DEP_2) | instskip(NEXT) | instid1(VALU_DEP_1)
	v_and_b32_e32 v18, 3, v30
	v_cmp_eq_u64_e64 s8, 0, v[18:19]
	v_cmp_eq_u64_e64 s9, 1, v[18:19]
	;; [unrolled: 1-line block ×4, first 2 shown]
	s_delay_alu instid0(VALU_DEP_4) | instskip(NEXT) | instid1(SALU_CYCLE_1)
	s_and_b32 s8, vcc_lo, s8
	v_cndmask_b32_e64 v18, 0, 1, s8
	s_delay_alu instid0(VALU_DEP_4) | instskip(NEXT) | instid1(SALU_CYCLE_1)
	s_and_b32 s8, vcc_lo, s9
	v_cndmask_b32_e64 v30, 0, 1, s8
	s_and_b32 s8, vcc_lo, s10
	s_delay_alu instid0(SALU_CYCLE_1)
	v_cndmask_b32_e64 v31, 0, 1, s8
	s_and_b32 s8, vcc_lo, s11
	v_cmp_ne_u32_e32 vcc_lo, 0, v18
	v_cndmask_b32_e64 v32, 0, 1, s8
	v_cmp_ne_u32_e64 s8, 0, v30
	v_cmp_ne_u32_e64 s9, 0, v31
	s_bcnt1_i32_b32 s11, vcc_lo
	s_delay_alu instid0(VALU_DEP_3)
	v_cmp_ne_u32_e64 s10, 0, v32
	v_add_co_u32 v8, vcc_lo, v8, s11
	s_bcnt1_i32_b32 s8, s8
	v_add_co_ci_u32_e32 v9, vcc_lo, 0, v9, vcc_lo
	v_add_co_u32 v10, vcc_lo, v10, s8
	s_bcnt1_i32_b32 s9, s9
	v_add_co_ci_u32_e32 v11, vcc_lo, 0, v11, vcc_lo
	;; [unrolled: 3-line block ×3, first 2 shown]
	v_add_co_u32 v14, vcc_lo, v14, s10
	v_add_co_ci_u32_e32 v15, vcc_lo, 0, v15, vcc_lo
	s_or_b32 s15, s7, s15
	s_delay_alu instid0(SALU_CYCLE_1)
	s_and_not1_b32 exec_lo, exec_lo, s15
	s_cbranch_execnz .LBB186_75
; %bb.76:                               ;   in Loop: Header=BB186_18 Depth=1
	s_or_b32 exec_lo, exec_lo, s15
.LBB186_77:                             ;   in Loop: Header=BB186_18 Depth=1
	s_delay_alu instid0(SALU_CYCLE_1)
	s_or_b32 exec_lo, exec_lo, s14
.LBB186_78:                             ;   in Loop: Header=BB186_18 Depth=1
	s_lshl_b32 s7, s97, 7
	s_and_saveexec_b32 s8, s2
	s_cbranch_execz .LBB186_80
; %bb.79:                               ;   in Loop: Header=BB186_18 Depth=1
	v_or_b32_e32 v2, s7, v36
	s_delay_alu instid0(VALU_DEP_1)
	v_lshlrev_b32_e32 v2, 3, v2
	ds_store_b128 v2, v[8:11] offset:3072
	ds_store_b128 v2, v[12:15] offset:3088
.LBB186_80:                             ;   in Loop: Header=BB186_18 Depth=1
	s_or_b32 exec_lo, exec_lo, s8
	s_waitcnt vmcnt(0) lgkmcnt(0)
	s_barrier
	buffer_gl0_inv
	s_and_saveexec_b32 s8, s84
	s_cbranch_execz .LBB186_91
; %bb.81:                               ;   in Loop: Header=BB186_18 Depth=1
	v_mov_b32_e32 v4, 0
	v_mov_b32_e32 v5, 0
	s_and_not1_b32 vcc_lo, exec_lo, s92
	s_cbranch_vccnz .LBB186_90
; %bb.82:                               ;   in Loop: Header=BB186_18 Depth=1
	v_mov_b32_e32 v4, 0
	v_mov_b32_e32 v5, 0
	s_and_not1_b32 vcc_lo, exec_lo, s90
	s_cbranch_vccnz .LBB186_87
; %bb.83:                               ;   in Loop: Header=BB186_18 Depth=1
	v_lshl_add_u32 v2, s97, 10, v40
	s_mov_b32 s9, 0
	s_set_inst_prefetch_distance 0x1
	.p2align	6
.LBB186_84:                             ;   Parent Loop BB186_18 Depth=1
                                        ; =>  This Inner Loop Header: Depth=2
	ds_load_2addr_b64 v[8:11], v2 offset1:4
	ds_load_2addr_b64 v[12:15], v2 offset0:8 offset1:12
	ds_load_2addr_b64 v[28:31], v2 offset0:16 offset1:20
	s_add_i32 s9, s9, 8
	s_delay_alu instid0(SALU_CYCLE_1) | instskip(SKIP_3) | instid1(VALU_DEP_2)
	s_cmp_eq_u32 s91, s9
	s_waitcnt lgkmcnt(2)
	v_add_co_u32 v4, vcc_lo, v8, v4
	v_add_co_ci_u32_e32 v5, vcc_lo, v9, v5, vcc_lo
	v_add_co_u32 v4, vcc_lo, v10, v4
	s_delay_alu instid0(VALU_DEP_2)
	v_add_co_ci_u32_e32 v5, vcc_lo, v11, v5, vcc_lo
	ds_load_2addr_b64 v[8:11], v2 offset0:24 offset1:28
	s_waitcnt lgkmcnt(2)
	v_add_co_u32 v4, vcc_lo, v12, v4
	v_add_co_ci_u32_e32 v5, vcc_lo, v13, v5, vcc_lo
	v_add_nc_u32_e32 v2, 0x100, v2
	s_delay_alu instid0(VALU_DEP_3) | instskip(NEXT) | instid1(VALU_DEP_3)
	v_add_co_u32 v4, vcc_lo, v14, v4
	v_add_co_ci_u32_e32 v5, vcc_lo, v15, v5, vcc_lo
	s_waitcnt lgkmcnt(1)
	s_delay_alu instid0(VALU_DEP_2) | instskip(NEXT) | instid1(VALU_DEP_2)
	v_add_co_u32 v4, vcc_lo, v28, v4
	v_add_co_ci_u32_e32 v5, vcc_lo, v29, v5, vcc_lo
	s_delay_alu instid0(VALU_DEP_2) | instskip(NEXT) | instid1(VALU_DEP_2)
	v_add_co_u32 v4, vcc_lo, v30, v4
	v_add_co_ci_u32_e32 v5, vcc_lo, v31, v5, vcc_lo
	s_waitcnt lgkmcnt(0)
	s_delay_alu instid0(VALU_DEP_2) | instskip(NEXT) | instid1(VALU_DEP_2)
	v_add_co_u32 v4, vcc_lo, v8, v4
	v_add_co_ci_u32_e32 v5, vcc_lo, v9, v5, vcc_lo
	s_delay_alu instid0(VALU_DEP_2) | instskip(NEXT) | instid1(VALU_DEP_2)
	v_add_co_u32 v4, vcc_lo, v10, v4
	v_add_co_ci_u32_e32 v5, vcc_lo, v11, v5, vcc_lo
	s_cbranch_scc0 .LBB186_84
; %bb.85:                               ;   in Loop: Header=BB186_18 Depth=1
	s_set_inst_prefetch_distance 0x2
	s_mov_b32 s9, s91
	s_and_not1_b32 vcc_lo, exec_lo, s93
	s_cbranch_vccz .LBB186_88
	s_branch .LBB186_90
.LBB186_86:                             ;   in Loop: Header=BB186_18 Depth=1
                                        ; implicit-def: $vgpr4_vgpr5
	s_branch .LBB186_54
.LBB186_87:                             ;   in Loop: Header=BB186_18 Depth=1
	s_mov_b32 s9, 0
	s_and_not1_b32 vcc_lo, exec_lo, s93
	s_cbranch_vccnz .LBB186_90
.LBB186_88:                             ;   in Loop: Header=BB186_18 Depth=1
	s_lshl_b32 s10, s97, 10
	s_lshl_b32 s9, s9, 5
	s_delay_alu instid0(SALU_CYCLE_1)
	v_add3_u32 v2, s10, s9, v40
	s_mov_b32 s9, s89
.LBB186_89:                             ;   Parent Loop BB186_18 Depth=1
                                        ; =>  This Inner Loop Header: Depth=2
	ds_load_b64 v[8:9], v2
	v_add_nc_u32_e32 v2, 32, v2
	s_add_i32 s9, s9, -1
	s_delay_alu instid0(SALU_CYCLE_1)
	s_cmp_lg_u32 s9, 0
	s_waitcnt lgkmcnt(0)
	v_add_co_u32 v4, vcc_lo, v8, v4
	v_add_co_ci_u32_e32 v5, vcc_lo, v9, v5, vcc_lo
	s_cbranch_scc1 .LBB186_89
.LBB186_90:                             ;   in Loop: Header=BB186_18 Depth=1
	v_add_lshl_u32 v2, s7, v35, 3
	ds_store_b64 v2, v[4:5] offset:3072
.LBB186_91:                             ;   in Loop: Header=BB186_18 Depth=1
	s_or_b32 exec_lo, exec_lo, s8
	s_lshl_b32 s7, s7, 3
	s_waitcnt lgkmcnt(0)
	v_mov_b32_e32 v2, s7
	s_barrier
	buffer_gl0_inv
	s_and_b32 s24, s101, 0xfe
	v_cmp_eq_u64_e64 s7, 1, v[26:27]
	ds_load_b128 v[8:11], v2 offset:3072
	ds_load_b128 v[12:15], v2 offset:3088
	s_lshl_b64 s[12:13], 3, s24
	s_mov_b32 s74, 0
	s_and_not1_b32 vcc_lo, exec_lo, s59
	s_not_b64 s[14:15], s[12:13]
	s_waitcnt lgkmcnt(1)
	v_readfirstlane_b32 s11, v9
	v_readfirstlane_b32 s10, v8
	;; [unrolled: 1-line block ×4, first 2 shown]
	s_waitcnt lgkmcnt(0)
	v_readfirstlane_b32 s19, v13
	v_readfirstlane_b32 s18, v12
	;; [unrolled: 1-line block ×4, first 2 shown]
	s_cbranch_vccnz .LBB186_107
; %bb.92:                               ;   in Loop: Header=BB186_18 Depth=1
	s_cmp_eq_u64 s[10:11], 1
	v_dual_mov_b32 v12, v24 :: v_dual_mov_b32 v13, v25
	v_dual_mov_b32 v14, v22 :: v_dual_mov_b32 v15, v23
	;; [unrolled: 1-line block ×3, first 2 shown]
	s_cselect_b32 s8, -1, 0
                                        ; implicit-def: $sgpr25
                                        ; implicit-def: $sgpr76
                                        ; implicit-def: $sgpr75
	s_delay_alu instid0(SALU_CYCLE_1)
	s_and_b32 s60, s8, s7
	s_mov_b32 s8, -1
	s_and_saveexec_b32 s61, s60
	s_cbranch_execz .LBB186_126
; %bb.93:                               ;   in Loop: Header=BB186_18 Depth=1
	ds_load_b64 v[4:5], v19 offset:5120
	s_waitcnt lgkmcnt(0)
	s_barrier
	buffer_gl0_inv
	v_readfirstlane_b32 s22, v4
	v_readfirstlane_b32 s23, v5
	s_and_saveexec_b32 s8, s6
	s_cbranch_execz .LBB186_95
; %bb.94:                               ;   in Loop: Header=BB186_18 Depth=1
	v_mov_b32_e32 v18, v19
	ds_store_b64 v38, v[18:19]
.LBB186_95:                             ;   in Loop: Header=BB186_18 Depth=1
	s_or_b32 exec_lo, exec_lo, s8
	v_and_b32_e32 v13, s15, v25
	v_and_b32_e32 v12, s14, v24
	v_or_b32_e32 v15, s13, v23
	v_or_b32_e32 v14, s12, v22
	s_cmp_eq_u64 s[22:23], 0
	s_waitcnt lgkmcnt(0)
	s_barrier
	buffer_gl0_inv
	s_cbranch_scc1 .LBB186_109
; %bb.96:                               ;   in Loop: Header=BB186_18 Depth=1
	s_add_u32 s25, s86, s22
	s_addc_u32 s9, s87, s23
	s_mov_b32 s8, s71
	s_delay_alu instid0(SALU_CYCLE_1)
	s_cmp_lg_u64 s[8:9], 0
	s_cbranch_scc0 .LBB186_153
; %bb.97:                               ;   in Loop: Header=BB186_18 Depth=1
	v_cvt_f32_u32_e32 v2, s35
	s_sub_u32 s48, 0, s35
	s_subb_u32 s49, 0, 0
	s_delay_alu instid0(VALU_DEP_1) | instskip(NEXT) | instid1(VALU_DEP_1)
	v_fmac_f32_e64 v2, 0, 0x4f800000
	v_rcp_f32_e32 v2, v2
	s_waitcnt_depctr 0xfff
	v_mul_f32_e32 v2, 0x5f7ffffc, v2
	s_delay_alu instid0(VALU_DEP_1) | instskip(NEXT) | instid1(VALU_DEP_1)
	v_mul_f32_e32 v4, 0x2f800000, v2
	v_trunc_f32_e32 v4, v4
	s_delay_alu instid0(VALU_DEP_1) | instskip(SKIP_1) | instid1(VALU_DEP_2)
	v_fmac_f32_e32 v2, 0xcf800000, v4
	v_cvt_u32_f32_e32 v4, v4
	v_cvt_u32_f32_e32 v2, v2
	s_delay_alu instid0(VALU_DEP_2) | instskip(NEXT) | instid1(VALU_DEP_2)
	v_readfirstlane_b32 s8, v4
	v_readfirstlane_b32 s26, v2
	s_delay_alu instid0(VALU_DEP_2) | instskip(NEXT) | instid1(VALU_DEP_1)
	s_mul_i32 s50, s48, s8
	s_mul_hi_u32 s52, s48, s26
	s_mul_i32 s51, s49, s26
	s_add_i32 s50, s52, s50
	s_mul_i32 s53, s48, s26
	s_add_i32 s50, s50, s51
	s_mul_hi_u32 s52, s26, s53
	s_mul_hi_u32 s54, s8, s53
	s_mul_i32 s51, s8, s53
	s_mul_hi_u32 s53, s26, s50
	s_mul_i32 s26, s26, s50
	s_mul_hi_u32 s55, s8, s50
	s_add_u32 s26, s52, s26
	s_addc_u32 s52, 0, s53
	s_add_u32 s26, s26, s51
	s_mul_i32 s50, s8, s50
	s_addc_u32 s26, s52, s54
	s_addc_u32 s51, s55, 0
	s_add_u32 s26, s26, s50
	s_addc_u32 s50, 0, s51
	v_add_co_u32 v2, s26, v2, s26
	s_delay_alu instid0(VALU_DEP_1) | instskip(SKIP_1) | instid1(VALU_DEP_1)
	s_cmp_lg_u32 s26, 0
	s_addc_u32 s8, s8, s50
	v_readfirstlane_b32 s26, v2
	s_mul_i32 s50, s48, s8
	s_delay_alu instid0(VALU_DEP_1)
	s_mul_hi_u32 s51, s48, s26
	s_mul_i32 s49, s49, s26
	s_add_i32 s50, s51, s50
	s_mul_i32 s48, s48, s26
	s_add_i32 s50, s50, s49
	s_mul_hi_u32 s51, s8, s48
	s_mul_i32 s52, s8, s48
	s_mul_hi_u32 s48, s26, s48
	s_mul_hi_u32 s53, s26, s50
	s_mul_i32 s26, s26, s50
	s_mul_hi_u32 s49, s8, s50
	s_add_u32 s26, s48, s26
	s_addc_u32 s48, 0, s53
	s_add_u32 s26, s26, s52
	s_mul_i32 s50, s8, s50
	s_addc_u32 s26, s48, s51
	s_addc_u32 s48, s49, 0
	s_add_u32 s26, s26, s50
	s_addc_u32 s48, 0, s48
	v_add_co_u32 v2, s26, v2, s26
	s_delay_alu instid0(VALU_DEP_1) | instskip(SKIP_1) | instid1(VALU_DEP_1)
	s_cmp_lg_u32 s26, 0
	s_addc_u32 s8, s8, s48
	v_readfirstlane_b32 s26, v2
	s_mul_i32 s49, s25, s8
	s_mul_hi_u32 s48, s25, s8
	s_mul_hi_u32 s50, s9, s8
	s_mul_i32 s8, s9, s8
	s_mul_hi_u32 s51, s25, s26
	s_mul_hi_u32 s52, s9, s26
	s_mul_i32 s26, s9, s26
	s_add_u32 s49, s51, s49
	s_addc_u32 s48, 0, s48
	s_add_u32 s26, s49, s26
	s_addc_u32 s26, s48, s52
	s_addc_u32 s48, s50, 0
	s_add_u32 s8, s26, s8
	s_addc_u32 s26, 0, s48
	s_mul_hi_u32 s48, s35, s8
	s_mul_i32 s8, s35, s8
	s_mul_i32 s26, s35, s26
	v_sub_co_u32 v2, s8, s25, s8
	s_add_i32 s48, s48, s26
	s_cmp_lg_u32 s8, 0
	s_delay_alu instid0(VALU_DEP_1) | instskip(SKIP_3) | instid1(VALU_DEP_2)
	v_sub_co_u32 v4, s8, v2, s35
	s_subb_u32 s26, s9, s48
	s_cmp_lg_u32 s8, 0
	v_cmp_le_u32_e32 vcc_lo, s35, v2
	v_cmp_le_u32_e64 s8, s35, v4
	v_sub_co_u32 v5, s48, v4, s35
	s_subb_u32 s49, s26, 0
	s_cmp_lg_u32 s48, 0
	s_delay_alu instid0(VALU_DEP_2)
	v_cndmask_b32_e64 v8, 0, -1, s8
	s_subb_u32 s48, s49, 0
	s_cmp_eq_u32 s49, 0
	v_cndmask_b32_e64 v9, 0, -1, vcc_lo
	s_cselect_b32 vcc_lo, -1, 0
	s_cmp_eq_u32 s26, 0
	v_cndmask_b32_e32 v8, -1, v8, vcc_lo
	s_cselect_b32 vcc_lo, -1, 0
	v_dual_mov_b32 v10, s48 :: v_dual_cndmask_b32 v9, -1, v9
	s_delay_alu instid0(VALU_DEP_2) | instskip(NEXT) | instid1(VALU_DEP_2)
	v_cmp_ne_u32_e32 vcc_lo, 0, v8
	v_cmp_ne_u32_e64 s8, 0, v9
	s_delay_alu instid0(VALU_DEP_3) | instskip(SKIP_1) | instid1(VALU_DEP_2)
	v_cndmask_b32_e32 v8, s49, v10, vcc_lo
	v_cndmask_b32_e32 v4, v4, v5, vcc_lo
	v_cndmask_b32_e64 v5, s26, v8, s8
	s_delay_alu instid0(VALU_DEP_2)
	v_cndmask_b32_e64 v4, v2, v4, s8
	s_cbranch_execnz .LBB186_99
.LBB186_98:                             ;   in Loop: Header=BB186_18 Depth=1
	v_cvt_f32_u32_e32 v2, s35
	s_sub_i32 s8, 0, s35
	s_delay_alu instid0(VALU_DEP_1) | instskip(SKIP_2) | instid1(VALU_DEP_1)
	v_rcp_iflag_f32_e32 v2, v2
	s_waitcnt_depctr 0xfff
	v_mul_f32_e32 v2, 0x4f7ffffe, v2
	v_cvt_u32_f32_e32 v2, v2
	s_delay_alu instid0(VALU_DEP_1) | instskip(NEXT) | instid1(VALU_DEP_1)
	v_mul_lo_u32 v4, s8, v2
	v_mul_hi_u32 v4, v2, v4
	s_delay_alu instid0(VALU_DEP_1) | instskip(NEXT) | instid1(VALU_DEP_1)
	v_add_nc_u32_e32 v2, v2, v4
	v_mul_hi_u32 v2, s25, v2
	s_delay_alu instid0(VALU_DEP_1) | instskip(NEXT) | instid1(VALU_DEP_1)
	v_mul_lo_u32 v2, v2, s35
	v_sub_nc_u32_e32 v2, s25, v2
	s_delay_alu instid0(VALU_DEP_1) | instskip(SKIP_1) | instid1(VALU_DEP_2)
	v_subrev_nc_u32_e32 v4, s35, v2
	v_cmp_le_u32_e32 vcc_lo, s35, v2
	v_cndmask_b32_e32 v2, v2, v4, vcc_lo
	s_delay_alu instid0(VALU_DEP_1) | instskip(SKIP_1) | instid1(VALU_DEP_2)
	v_subrev_nc_u32_e32 v4, s35, v2
	v_cmp_le_u32_e32 vcc_lo, s35, v2
	v_cndmask_b32_e32 v18, v2, v4, vcc_lo
	s_delay_alu instid0(VALU_DEP_1)
	v_dual_mov_b32 v4, v18 :: v_dual_mov_b32 v5, v19
.LBB186_99:                             ;   in Loop: Header=BB186_18 Depth=1
	s_delay_alu instid0(VALU_DEP_1) | instskip(NEXT) | instid1(VALU_DEP_2)
	v_sub_co_u32 v28, vcc_lo, s25, v4
	v_sub_co_ci_u32_e32 v29, vcc_lo, s9, v5, vcc_lo
	s_mov_b32 s8, 0
	s_mov_b32 s9, exec_lo
                                        ; implicit-def: $vgpr10_vgpr11
	s_delay_alu instid0(VALU_DEP_1)
	v_cmpx_gt_u64_e64 v[28:29], v[0:1]
	s_cbranch_execz .LBB186_111
; %bb.100:                              ;   in Loop: Header=BB186_18 Depth=1
	v_mov_b32_e32 v18, v37
	v_dual_mov_b32 v31, v1 :: v_dual_mov_b32 v30, v0
	s_mov_b32 s26, 0
                                        ; implicit-def: $sgpr25
	s_set_inst_prefetch_distance 0x1
	s_branch .LBB186_102
	.p2align	6
.LBB186_101:                            ;   in Loop: Header=BB186_102 Depth=2
	s_or_b32 exec_lo, exec_lo, s8
	s_waitcnt lgkmcnt(0)
	s_barrier
	buffer_gl0_inv
	ds_load_b128 v[8:11], v19 offset:3072
	v_add_co_u32 v30, s8, v30, s35
	s_delay_alu instid0(VALU_DEP_1) | instskip(SKIP_3) | instid1(VALU_DEP_2)
	v_add_co_ci_u32_e64 v31, s8, 0, v31, s8
	v_add_nc_u32_e32 v18, s94, v18
	s_waitcnt lgkmcnt(0)
	s_barrier
	v_cmp_ge_u64_e64 s8, v[30:31], v[28:29]
	buffer_gl0_inv
	v_cmp_neq_f64_e32 vcc_lo, 0, v[8:9]
	s_or_b32 s8, s8, vcc_lo
	s_delay_alu instid0(SALU_CYCLE_1) | instskip(NEXT) | instid1(SALU_CYCLE_1)
	s_and_b32 s8, exec_lo, s8
	s_or_b32 s26, s8, s26
	s_and_not1_b32 s8, s25, exec_lo
	s_and_b32 s25, vcc_lo, exec_lo
	s_delay_alu instid0(SALU_CYCLE_1)
	s_or_b32 s25, s8, s25
	s_and_not1_b32 exec_lo, exec_lo, s26
	s_cbranch_execz .LBB186_110
.LBB186_102:                            ;   Parent Loop BB186_18 Depth=1
                                        ; =>  This Inner Loop Header: Depth=2
	s_delay_alu instid0(VALU_DEP_1)
	v_cmp_gt_u64_e32 vcc_lo, s[22:23], v[30:31]
	v_mov_b32_e32 v4, 0
	v_mov_b32_e32 v5, 0
	s_and_saveexec_b32 s8, vcc_lo
	s_cbranch_execz .LBB186_104
; %bb.103:                              ;   in Loop: Header=BB186_102 Depth=2
	ds_load_b64 v[4:5], v18
.LBB186_104:                            ;   in Loop: Header=BB186_102 Depth=2
	s_or_b32 exec_lo, exec_lo, s8
	s_and_saveexec_b32 s8, vcc_lo
	s_cbranch_execz .LBB186_101
; %bb.105:                              ;   in Loop: Header=BB186_102 Depth=2
	s_waitcnt lgkmcnt(0)
	v_cmp_o_f64_e32 vcc_lo, v[4:5], v[4:5]
	v_ashrrev_i32_e32 v2, 31, v5
	s_delay_alu instid0(VALU_DEP_1) | instskip(SKIP_1) | instid1(VALU_DEP_2)
	v_or_b32_e32 v8, 0x80000000, v2
	v_xor_b32_e32 v2, v2, v4
	v_xor_b32_e32 v8, v8, v5
	s_delay_alu instid0(VALU_DEP_1) | instskip(NEXT) | instid1(VALU_DEP_1)
	v_cndmask_b32_e32 v8, -1, v8, vcc_lo
	v_dual_cndmask_b32 v2, -1, v2 :: v_dual_and_b32 v9, v8, v15
	s_delay_alu instid0(VALU_DEP_1) | instskip(NEXT) | instid1(VALU_DEP_1)
	v_and_b32_e32 v8, v2, v14
	v_cmp_eq_u64_e32 vcc_lo, v[8:9], v[12:13]
	s_and_b32 exec_lo, exec_lo, vcc_lo
	s_cbranch_execz .LBB186_101
; %bb.106:                              ;   in Loop: Header=BB186_102 Depth=2
	v_mov_b32_e32 v2, v19
	ds_store_b128 v19, v[2:5] offset:3072
	s_branch .LBB186_101
.LBB186_107:                            ;   in Loop: Header=BB186_18 Depth=1
	s_mov_b32 s70, 0
                                        ; implicit-def: $sgpr75
                                        ; implicit-def: $sgpr76
                                        ; implicit-def: $sgpr25
                                        ; implicit-def: $vgpr2
                                        ; implicit-def: $vgpr28_vgpr29
                                        ; implicit-def: $vgpr12_vgpr13
                                        ; implicit-def: $vgpr14_vgpr15
                                        ; implicit-def: $vgpr10_vgpr11
	s_cbranch_execnz .LBB186_290
.LBB186_108:                            ;   in Loop: Header=BB186_18 Depth=1
	s_mov_b32 s22, s25
	s_mov_b32 s23, s25
	s_and_saveexec_b32 s7, s74
	s_cbranch_execnz .LBB186_486
	s_branch .LBB186_487
.LBB186_109:                            ;   in Loop: Header=BB186_18 Depth=1
	s_mov_b32 s25, -1
	s_mov_b32 s8, 0
                                        ; implicit-def: $sgpr75
                                        ; implicit-def: $vgpr10_vgpr11
	s_mov_b32 s76, s25
	s_cbranch_execnz .LBB186_112
	s_branch .LBB186_125
.LBB186_110:                            ;   in Loop: Header=BB186_18 Depth=1
	s_set_inst_prefetch_distance 0x2
	s_or_b32 exec_lo, exec_lo, s26
	s_delay_alu instid0(SALU_CYCLE_1)
	s_and_b32 s8, s25, exec_lo
.LBB186_111:                            ;   in Loop: Header=BB186_18 Depth=1
	s_or_b32 exec_lo, exec_lo, s9
	s_mov_b32 s75, -1
	s_mov_b32 s25, 0
	s_delay_alu instid0(SALU_CYCLE_1)
	s_mov_b32 s76, s25
	s_branch .LBB186_125
.LBB186_112:                            ;   in Loop: Header=BB186_18 Depth=1
	s_mov_b32 s26, s71
	s_delay_alu instid0(SALU_CYCLE_1)
	s_cmp_lg_u64 s[26:27], 0
	s_cbranch_scc0 .LBB186_154
; %bb.113:                              ;   in Loop: Header=BB186_18 Depth=1
	v_cvt_f32_u32_e32 v2, s35
	s_sub_u32 s22, 0, s35
	s_subb_u32 s23, 0, 0
	s_delay_alu instid0(VALU_DEP_1) | instskip(NEXT) | instid1(VALU_DEP_1)
	v_fmac_f32_e64 v2, 0, 0x4f800000
	v_rcp_f32_e32 v2, v2
	s_waitcnt_depctr 0xfff
	v_mul_f32_e32 v2, 0x5f7ffffc, v2
	s_delay_alu instid0(VALU_DEP_1) | instskip(NEXT) | instid1(VALU_DEP_1)
	v_mul_f32_e32 v4, 0x2f800000, v2
	v_trunc_f32_e32 v4, v4
	s_delay_alu instid0(VALU_DEP_1) | instskip(SKIP_1) | instid1(VALU_DEP_2)
	v_fmac_f32_e32 v2, 0xcf800000, v4
	v_cvt_u32_f32_e32 v4, v4
	v_cvt_u32_f32_e32 v2, v2
	s_delay_alu instid0(VALU_DEP_2) | instskip(NEXT) | instid1(VALU_DEP_2)
	v_readfirstlane_b32 s8, v4
	v_readfirstlane_b32 s9, v2
	s_delay_alu instid0(VALU_DEP_2) | instskip(NEXT) | instid1(VALU_DEP_1)
	s_mul_i32 s25, s22, s8
	s_mul_hi_u32 s48, s22, s9
	s_mul_i32 s26, s23, s9
	s_add_i32 s25, s48, s25
	s_mul_i32 s49, s22, s9
	s_add_i32 s25, s25, s26
	s_mul_hi_u32 s48, s9, s49
	s_mul_hi_u32 s50, s8, s49
	s_mul_i32 s26, s8, s49
	s_mul_hi_u32 s49, s9, s25
	s_mul_i32 s9, s9, s25
	s_mul_hi_u32 s51, s8, s25
	s_add_u32 s9, s48, s9
	s_addc_u32 s48, 0, s49
	s_add_u32 s9, s9, s26
	s_mul_i32 s25, s8, s25
	s_addc_u32 s9, s48, s50
	s_addc_u32 s26, s51, 0
	s_add_u32 s9, s9, s25
	s_addc_u32 s25, 0, s26
	v_add_co_u32 v2, s9, v2, s9
	s_delay_alu instid0(VALU_DEP_1) | instskip(SKIP_1) | instid1(VALU_DEP_1)
	s_cmp_lg_u32 s9, 0
	s_addc_u32 s8, s8, s25
	v_readfirstlane_b32 s9, v2
	s_mul_i32 s25, s22, s8
	s_delay_alu instid0(VALU_DEP_1)
	s_mul_hi_u32 s26, s22, s9
	s_mul_i32 s23, s23, s9
	s_add_i32 s25, s26, s25
	s_mul_i32 s22, s22, s9
	s_add_i32 s25, s25, s23
	s_mul_hi_u32 s26, s8, s22
	s_mul_i32 s48, s8, s22
	s_mul_hi_u32 s22, s9, s22
	s_mul_hi_u32 s49, s9, s25
	s_mul_i32 s9, s9, s25
	s_mul_hi_u32 s23, s8, s25
	s_add_u32 s9, s22, s9
	s_addc_u32 s22, 0, s49
	s_add_u32 s9, s9, s48
	s_mul_i32 s25, s8, s25
	s_addc_u32 s9, s22, s26
	s_addc_u32 s22, s23, 0
	s_add_u32 s9, s9, s25
	s_addc_u32 s22, 0, s22
	v_add_co_u32 v2, s9, v2, s9
	s_delay_alu instid0(VALU_DEP_1) | instskip(SKIP_1) | instid1(VALU_DEP_1)
	s_cmp_lg_u32 s9, 0
	s_addc_u32 s8, s8, s22
	v_readfirstlane_b32 s9, v2
	s_mul_i32 s23, s88, s8
	s_mul_hi_u32 s22, s88, s8
	s_mul_hi_u32 s25, s27, s8
	s_mul_i32 s8, s27, s8
	s_mul_hi_u32 s26, s88, s9
	s_mul_hi_u32 s48, s27, s9
	s_mul_i32 s9, s27, s9
	s_add_u32 s23, s26, s23
	s_addc_u32 s22, 0, s22
	s_add_u32 s9, s23, s9
	s_addc_u32 s9, s22, s48
	s_addc_u32 s22, s25, 0
	s_add_u32 s8, s9, s8
	s_addc_u32 s9, 0, s22
	s_mul_hi_u32 s22, s35, s8
	s_mul_i32 s8, s35, s8
	s_mul_i32 s9, s35, s9
	v_sub_co_u32 v2, s8, s88, s8
	s_add_i32 s22, s22, s9
	s_cmp_lg_u32 s8, 0
	s_delay_alu instid0(VALU_DEP_1) | instskip(SKIP_2) | instid1(VALU_DEP_1)
	v_sub_co_u32 v4, s8, v2, s35
	s_subb_u32 s9, s27, s22
	s_cmp_lg_u32 s8, 0
	v_cmp_le_u32_e32 vcc_lo, s35, v4
	v_sub_co_u32 v5, s8, v4, s35
	s_subb_u32 s22, s9, 0
	s_cmp_lg_u32 s8, 0
	v_cndmask_b32_e64 v8, 0, -1, vcc_lo
	s_subb_u32 s8, s22, 0
	s_cmp_eq_u32 s22, 0
	v_mov_b32_e32 v10, s8
	s_cselect_b32 vcc_lo, -1, 0
	s_cmp_eq_u32 s9, 0
	v_cndmask_b32_e32 v8, -1, v8, vcc_lo
	v_cmp_le_u32_e32 vcc_lo, s35, v2
	s_cselect_b32 s8, -1, 0
	v_cndmask_b32_e64 v9, 0, -1, vcc_lo
	s_delay_alu instid0(VALU_DEP_3) | instskip(NEXT) | instid1(VALU_DEP_2)
	v_cmp_ne_u32_e32 vcc_lo, 0, v8
	v_cndmask_b32_e64 v8, -1, v9, s8
	v_cndmask_b32_e32 v9, s22, v10, vcc_lo
	v_cndmask_b32_e32 v4, v4, v5, vcc_lo
	s_delay_alu instid0(VALU_DEP_3) | instskip(NEXT) | instid1(VALU_DEP_3)
	v_cmp_ne_u32_e32 vcc_lo, 0, v8
	v_cndmask_b32_e32 v5, s9, v9, vcc_lo
	s_delay_alu instid0(VALU_DEP_3)
	v_cndmask_b32_e32 v4, v2, v4, vcc_lo
	s_cbranch_execnz .LBB186_115
.LBB186_114:                            ;   in Loop: Header=BB186_18 Depth=1
	v_cvt_f32_u32_e32 v2, s35
	s_sub_i32 s8, 0, s35
	s_delay_alu instid0(VALU_DEP_1) | instskip(SKIP_2) | instid1(VALU_DEP_1)
	v_rcp_iflag_f32_e32 v2, v2
	s_waitcnt_depctr 0xfff
	v_mul_f32_e32 v2, 0x4f7ffffe, v2
	v_cvt_u32_f32_e32 v2, v2
	s_delay_alu instid0(VALU_DEP_1) | instskip(NEXT) | instid1(VALU_DEP_1)
	v_mul_lo_u32 v4, s8, v2
	v_mul_hi_u32 v4, v2, v4
	s_delay_alu instid0(VALU_DEP_1) | instskip(NEXT) | instid1(VALU_DEP_1)
	v_add_nc_u32_e32 v2, v2, v4
	v_mul_hi_u32 v2, s88, v2
	s_delay_alu instid0(VALU_DEP_1) | instskip(NEXT) | instid1(VALU_DEP_1)
	v_mul_lo_u32 v2, v2, s35
	v_sub_nc_u32_e32 v2, s88, v2
	s_delay_alu instid0(VALU_DEP_1) | instskip(SKIP_1) | instid1(VALU_DEP_2)
	v_subrev_nc_u32_e32 v4, s35, v2
	v_cmp_le_u32_e32 vcc_lo, s35, v2
	v_cndmask_b32_e32 v2, v2, v4, vcc_lo
	s_delay_alu instid0(VALU_DEP_1) | instskip(SKIP_1) | instid1(VALU_DEP_2)
	v_subrev_nc_u32_e32 v4, s35, v2
	v_cmp_le_u32_e32 vcc_lo, s35, v2
	v_cndmask_b32_e32 v18, v2, v4, vcc_lo
	s_delay_alu instid0(VALU_DEP_1)
	v_dual_mov_b32 v4, v18 :: v_dual_mov_b32 v5, v19
.LBB186_115:                            ;   in Loop: Header=BB186_18 Depth=1
	s_delay_alu instid0(VALU_DEP_1) | instskip(NEXT) | instid1(VALU_DEP_2)
	v_sub_co_u32 v28, vcc_lo, s88, v4
	v_sub_co_ci_u32_e32 v29, vcc_lo, s27, v5, vcc_lo
	s_mov_b32 s8, 0
	s_mov_b32 s9, exec_lo
                                        ; implicit-def: $vgpr10_vgpr11
	s_delay_alu instid0(VALU_DEP_1)
	v_cmpx_gt_u64_e64 v[28:29], v[0:1]
	s_cbranch_execz .LBB186_124
; %bb.116:                              ;   in Loop: Header=BB186_18 Depth=1
	v_dual_mov_b32 v31, v1 :: v_dual_mov_b32 v30, v0
	s_mov_b32 s23, 0
                                        ; implicit-def: $sgpr22
	s_branch .LBB186_118
.LBB186_117:                            ;   in Loop: Header=BB186_118 Depth=2
	s_or_b32 exec_lo, exec_lo, s8
	s_waitcnt vmcnt(0) lgkmcnt(0)
	s_barrier
	buffer_gl0_inv
	ds_load_b128 v[8:11], v19 offset:3072
	v_add_co_u32 v30, s8, v30, s35
	s_delay_alu instid0(VALU_DEP_1)
	v_add_co_ci_u32_e64 v31, s8, 0, v31, s8
	s_waitcnt lgkmcnt(0)
	s_barrier
	buffer_gl0_inv
	v_cmp_ge_u64_e64 s8, v[30:31], v[28:29]
	v_cmp_neq_f64_e32 vcc_lo, 0, v[8:9]
	s_delay_alu instid0(VALU_DEP_2) | instskip(NEXT) | instid1(SALU_CYCLE_1)
	s_or_b32 s8, s8, vcc_lo
	s_and_b32 s8, exec_lo, s8
	s_delay_alu instid0(SALU_CYCLE_1) | instskip(SKIP_2) | instid1(SALU_CYCLE_1)
	s_or_b32 s23, s8, s23
	s_and_not1_b32 s8, s22, exec_lo
	s_and_b32 s22, vcc_lo, exec_lo
	s_or_b32 s22, s8, s22
	s_and_not1_b32 exec_lo, exec_lo, s23
	s_cbranch_execz .LBB186_123
.LBB186_118:                            ;   Parent Loop BB186_18 Depth=1
                                        ; =>  This Inner Loop Header: Depth=2
	s_delay_alu instid0(VALU_DEP_1)
	v_cmp_gt_u64_e32 vcc_lo, s[36:37], v[30:31]
	v_mov_b32_e32 v4, 0
	v_mov_b32_e32 v5, 0
	s_and_saveexec_b32 s25, vcc_lo
	s_cbranch_execz .LBB186_120
; %bb.119:                              ;   in Loop: Header=BB186_118 Depth=2
	v_mul_lo_u32 v2, v31, s30
	v_mul_lo_u32 v8, v30, s31
	v_mad_u64_u32 v[4:5], null, v30, s30, 0
	s_delay_alu instid0(VALU_DEP_1) | instskip(NEXT) | instid1(VALU_DEP_1)
	v_add3_u32 v5, v5, v8, v2
	v_lshlrev_b64 v[4:5], 3, v[4:5]
	s_delay_alu instid0(VALU_DEP_1) | instskip(NEXT) | instid1(VALU_DEP_1)
	v_add_co_u32 v4, s8, s29, v4
	v_add_co_ci_u32_e64 v5, s8, s33, v5, s8
	global_load_b64 v[4:5], v[4:5], off
.LBB186_120:                            ;   in Loop: Header=BB186_118 Depth=2
	s_or_b32 exec_lo, exec_lo, s25
	s_and_saveexec_b32 s8, vcc_lo
	s_cbranch_execz .LBB186_117
; %bb.121:                              ;   in Loop: Header=BB186_118 Depth=2
	s_waitcnt vmcnt(0)
	v_cmp_o_f64_e32 vcc_lo, v[4:5], v[4:5]
	v_ashrrev_i32_e32 v2, 31, v5
	s_delay_alu instid0(VALU_DEP_1) | instskip(SKIP_1) | instid1(VALU_DEP_2)
	v_or_b32_e32 v8, 0x80000000, v2
	v_xor_b32_e32 v2, v2, v4
	v_xor_b32_e32 v8, v8, v5
	s_delay_alu instid0(VALU_DEP_1) | instskip(NEXT) | instid1(VALU_DEP_1)
	v_cndmask_b32_e32 v8, -1, v8, vcc_lo
	v_dual_cndmask_b32 v2, -1, v2 :: v_dual_and_b32 v9, v8, v15
	s_delay_alu instid0(VALU_DEP_1) | instskip(NEXT) | instid1(VALU_DEP_1)
	v_and_b32_e32 v8, v2, v14
	v_cmp_eq_u64_e32 vcc_lo, v[8:9], v[12:13]
	s_and_b32 exec_lo, exec_lo, vcc_lo
	s_cbranch_execz .LBB186_117
; %bb.122:                              ;   in Loop: Header=BB186_118 Depth=2
	v_mov_b32_e32 v2, v19
	ds_store_b128 v19, v[2:5] offset:3072
	s_branch .LBB186_117
.LBB186_123:                            ;   in Loop: Header=BB186_18 Depth=1
	s_or_b32 exec_lo, exec_lo, s23
	s_delay_alu instid0(SALU_CYCLE_1)
	s_and_b32 s8, s22, exec_lo
.LBB186_124:                            ;   in Loop: Header=BB186_18 Depth=1
	s_or_b32 exec_lo, exec_lo, s9
	s_mov_b32 s76, -1
	s_mov_b32 s25, 0
	s_mov_b32 s75, 0
.LBB186_125:                            ;   in Loop: Header=BB186_18 Depth=1
	s_or_not1_b32 s8, s8, exec_lo
.LBB186_126:                            ;   in Loop: Header=BB186_18 Depth=1
	s_or_b32 exec_lo, exec_lo, s61
	s_mov_b32 s77, 0
	s_mov_b32 s74, 0
	;; [unrolled: 1-line block ×3, first 2 shown]
                                        ; implicit-def: $vgpr2
                                        ; implicit-def: $vgpr28_vgpr29
	s_and_saveexec_b32 s78, s8
	s_cbranch_execz .LBB186_289
; %bb.127:                              ;   in Loop: Header=BB186_18 Depth=1
	v_mov_b32_e32 v28, 1
	v_dual_mov_b32 v29, 0 :: v_dual_mov_b32 v2, 1
	s_xor_b32 s9, s60, -1
	s_mov_b32 s26, 0
	s_and_saveexec_b32 s8, s9
	s_cbranch_execz .LBB186_137
; %bb.128:                              ;   in Loop: Header=BB186_18 Depth=1
	s_mov_b32 s22, exec_lo
                                        ; implicit-def: $sgpr23
                                        ; implicit-def: $sgpr9
	v_cmpx_ge_u64_e64 s[10:11], v[26:27]
	s_xor_b32 s22, exec_lo, s22
	s_cbranch_execz .LBB186_134
; %bb.129:                              ;   in Loop: Header=BB186_18 Depth=1
	ds_load_b64 v[4:5], v19 offset:5120
	s_waitcnt lgkmcnt(0)
	v_cmp_ne_u64_e32 vcc_lo, 0, v[4:5]
	s_cbranch_vccnz .LBB186_133
; %bb.130:                              ;   in Loop: Header=BB186_18 Depth=1
	s_and_saveexec_b32 s9, s5
	s_cbranch_execz .LBB186_132
; %bb.131:                              ;   in Loop: Header=BB186_18 Depth=1
	v_dual_mov_b32 v4, s10 :: v_dual_mov_b32 v5, s11
	ds_store_b64 v19, v[4:5] offset:5128
.LBB186_132:                            ;   in Loop: Header=BB186_18 Depth=1
	s_or_b32 exec_lo, exec_lo, s9
	s_waitcnt lgkmcnt(0)
	s_barrier
	buffer_gl0_inv
.LBB186_133:                            ;   in Loop: Header=BB186_18 Depth=1
	v_and_b32_e32 v13, s15, v13
	v_and_b32_e32 v12, s14, v12
	v_or_b32_e32 v15, s13, v15
	v_or_b32_e32 v14, s12, v14
	s_mov_b32 s9, 0
	s_mov_b32 s23, 8
.LBB186_134:                            ;   in Loop: Header=BB186_18 Depth=1
	s_or_saveexec_b32 s22, s22
	v_dual_mov_b32 v2, s23 :: v_dual_mov_b32 v29, v27
	v_mov_b32_e32 v28, v26
	s_xor_b32 exec_lo, exec_lo, s22
; %bb.135:                              ;   in Loop: Header=BB186_18 Depth=1
	v_sub_co_u32 v28, vcc_lo, v26, s10
	v_subrev_co_ci_u32_e32 v29, vcc_lo, s11, v27, vcc_lo
	v_mov_b32_e32 v2, 0
	s_or_b32 s9, s9, exec_lo
; %bb.136:                              ;   in Loop: Header=BB186_18 Depth=1
	s_or_b32 exec_lo, exec_lo, s22
	s_delay_alu instid0(SALU_CYCLE_1)
	s_and_b32 s26, s9, exec_lo
.LBB186_137:                            ;   in Loop: Header=BB186_18 Depth=1
	s_or_b32 exec_lo, exec_lo, s8
	s_mov_b32 s48, -1
                                        ; implicit-def: $sgpr9
                                        ; implicit-def: $sgpr22
                                        ; implicit-def: $sgpr23
	s_and_saveexec_b32 s8, s26
	s_delay_alu instid0(SALU_CYCLE_1)
	s_xor_b32 s70, exec_lo, s8
	s_cbranch_execz .LBB186_286
; %bb.138:                              ;   in Loop: Header=BB186_18 Depth=1
	v_cmp_eq_u64_e32 vcc_lo, 1, v[28:29]
	s_cmp_eq_u64 s[16:17], 1
                                        ; implicit-def: $sgpr74
                                        ; implicit-def: $sgpr80
                                        ; implicit-def: $sgpr79
	s_cselect_b32 s8, -1, 0
	s_delay_alu instid0(SALU_CYCLE_1)
	s_and_b32 s60, s8, vcc_lo
	s_mov_b32 s8, -1
	s_and_saveexec_b32 s61, s60
	s_cbranch_execz .LBB186_172
; %bb.139:                              ;   in Loop: Header=BB186_18 Depth=1
	ds_load_b64 v[4:5], v19 offset:5120
	s_waitcnt lgkmcnt(0)
	s_barrier
	buffer_gl0_inv
	v_readfirstlane_b32 s22, v4
	v_readfirstlane_b32 s23, v5
	s_and_saveexec_b32 s8, s6
	s_cbranch_execz .LBB186_141
; %bb.140:                              ;   in Loop: Header=BB186_18 Depth=1
	v_mov_b32_e32 v18, v19
	ds_store_b64 v38, v[18:19]
.LBB186_141:                            ;   in Loop: Header=BB186_18 Depth=1
	s_or_b32 exec_lo, exec_lo, s8
	v_and_b32_e32 v2, s15, v13
	v_and_b32_e32 v4, s14, v12
	s_lshl_b64 s[8:9], 1, s24
	v_or_b32_e32 v15, s13, v15
	v_or_b32_e32 v14, s12, v14
	;; [unrolled: 1-line block ×4, first 2 shown]
	s_cmp_eq_u64 s[22:23], 0
	s_waitcnt lgkmcnt(0)
	s_barrier
	buffer_gl0_inv
	s_cbranch_scc1 .LBB186_155
; %bb.142:                              ;   in Loop: Header=BB186_18 Depth=1
	s_add_u32 s26, s86, s22
	s_addc_u32 s9, s87, s23
	s_mov_b32 s8, s71
	s_delay_alu instid0(SALU_CYCLE_1)
	s_cmp_lg_u64 s[8:9], 0
	s_cbranch_scc0 .LBB186_199
; %bb.143:                              ;   in Loop: Header=BB186_18 Depth=1
	v_cvt_f32_u32_e32 v2, s35
	s_sub_u32 s49, 0, s35
	s_subb_u32 s50, 0, 0
	s_delay_alu instid0(VALU_DEP_1) | instskip(NEXT) | instid1(VALU_DEP_1)
	v_fmac_f32_e64 v2, 0, 0x4f800000
	v_rcp_f32_e32 v2, v2
	s_waitcnt_depctr 0xfff
	v_mul_f32_e32 v2, 0x5f7ffffc, v2
	s_delay_alu instid0(VALU_DEP_1) | instskip(NEXT) | instid1(VALU_DEP_1)
	v_mul_f32_e32 v4, 0x2f800000, v2
	v_trunc_f32_e32 v4, v4
	s_delay_alu instid0(VALU_DEP_1) | instskip(SKIP_1) | instid1(VALU_DEP_2)
	v_fmac_f32_e32 v2, 0xcf800000, v4
	v_cvt_u32_f32_e32 v4, v4
	v_cvt_u32_f32_e32 v2, v2
	s_delay_alu instid0(VALU_DEP_2) | instskip(NEXT) | instid1(VALU_DEP_2)
	v_readfirstlane_b32 s8, v4
	v_readfirstlane_b32 s48, v2
	s_delay_alu instid0(VALU_DEP_2) | instskip(NEXT) | instid1(VALU_DEP_1)
	s_mul_i32 s51, s49, s8
	s_mul_hi_u32 s63, s49, s48
	s_mul_i32 s62, s50, s48
	s_add_i32 s51, s63, s51
	s_mul_i32 s68, s49, s48
	s_add_i32 s51, s51, s62
	s_mul_hi_u32 s63, s48, s68
	s_mul_hi_u32 s69, s8, s68
	s_mul_i32 s62, s8, s68
	s_mul_hi_u32 s68, s48, s51
	s_mul_i32 s48, s48, s51
	s_mul_hi_u32 s74, s8, s51
	s_add_u32 s48, s63, s48
	s_addc_u32 s63, 0, s68
	s_add_u32 s48, s48, s62
	s_mul_i32 s51, s8, s51
	s_addc_u32 s48, s63, s69
	s_addc_u32 s62, s74, 0
	s_add_u32 s48, s48, s51
	s_addc_u32 s51, 0, s62
	v_add_co_u32 v2, s48, v2, s48
	s_delay_alu instid0(VALU_DEP_1) | instskip(SKIP_1) | instid1(VALU_DEP_1)
	s_cmp_lg_u32 s48, 0
	s_addc_u32 s8, s8, s51
	v_readfirstlane_b32 s48, v2
	s_mul_i32 s51, s49, s8
	s_delay_alu instid0(VALU_DEP_1)
	s_mul_hi_u32 s62, s49, s48
	s_mul_i32 s50, s50, s48
	s_add_i32 s51, s62, s51
	s_mul_i32 s49, s49, s48
	s_add_i32 s51, s51, s50
	s_mul_hi_u32 s62, s8, s49
	s_mul_i32 s63, s8, s49
	s_mul_hi_u32 s49, s48, s49
	s_mul_hi_u32 s68, s48, s51
	s_mul_i32 s48, s48, s51
	s_mul_hi_u32 s50, s8, s51
	s_add_u32 s48, s49, s48
	s_addc_u32 s49, 0, s68
	s_add_u32 s48, s48, s63
	s_mul_i32 s51, s8, s51
	s_addc_u32 s48, s49, s62
	s_addc_u32 s49, s50, 0
	s_add_u32 s48, s48, s51
	s_addc_u32 s49, 0, s49
	v_add_co_u32 v2, s48, v2, s48
	s_delay_alu instid0(VALU_DEP_1) | instskip(SKIP_1) | instid1(VALU_DEP_1)
	s_cmp_lg_u32 s48, 0
	s_addc_u32 s8, s8, s49
	v_readfirstlane_b32 s48, v2
	s_mul_i32 s50, s26, s8
	s_mul_hi_u32 s49, s26, s8
	s_mul_hi_u32 s51, s9, s8
	s_mul_i32 s8, s9, s8
	s_mul_hi_u32 s62, s26, s48
	s_mul_hi_u32 s63, s9, s48
	s_mul_i32 s48, s9, s48
	s_add_u32 s50, s62, s50
	s_addc_u32 s49, 0, s49
	s_add_u32 s48, s50, s48
	s_addc_u32 s48, s49, s63
	s_addc_u32 s49, s51, 0
	s_add_u32 s8, s48, s8
	s_addc_u32 s48, 0, s49
	s_mul_hi_u32 s49, s35, s8
	s_mul_i32 s8, s35, s8
	s_mul_i32 s48, s35, s48
	v_sub_co_u32 v2, s8, s26, s8
	s_add_i32 s49, s49, s48
	s_cmp_lg_u32 s8, 0
	s_delay_alu instid0(VALU_DEP_1) | instskip(SKIP_3) | instid1(VALU_DEP_2)
	v_sub_co_u32 v4, s8, v2, s35
	s_subb_u32 s48, s9, s49
	s_cmp_lg_u32 s8, 0
	v_cmp_le_u32_e32 vcc_lo, s35, v2
	v_cmp_le_u32_e64 s8, s35, v4
	v_sub_co_u32 v5, s49, v4, s35
	s_subb_u32 s50, s48, 0
	s_cmp_lg_u32 s49, 0
	s_delay_alu instid0(VALU_DEP_2)
	v_cndmask_b32_e64 v8, 0, -1, s8
	s_subb_u32 s49, s50, 0
	s_cmp_eq_u32 s50, 0
	v_cndmask_b32_e64 v9, 0, -1, vcc_lo
	s_cselect_b32 vcc_lo, -1, 0
	s_cmp_eq_u32 s48, 0
	v_cndmask_b32_e32 v8, -1, v8, vcc_lo
	s_cselect_b32 vcc_lo, -1, 0
	v_dual_mov_b32 v10, s49 :: v_dual_cndmask_b32 v9, -1, v9
	s_delay_alu instid0(VALU_DEP_2) | instskip(NEXT) | instid1(VALU_DEP_2)
	v_cmp_ne_u32_e32 vcc_lo, 0, v8
	v_cmp_ne_u32_e64 s8, 0, v9
	s_delay_alu instid0(VALU_DEP_3) | instskip(SKIP_1) | instid1(VALU_DEP_2)
	v_cndmask_b32_e32 v8, s50, v10, vcc_lo
	v_cndmask_b32_e32 v4, v4, v5, vcc_lo
	v_cndmask_b32_e64 v5, s48, v8, s8
	s_delay_alu instid0(VALU_DEP_2)
	v_cndmask_b32_e64 v4, v2, v4, s8
	s_cbranch_execnz .LBB186_145
.LBB186_144:                            ;   in Loop: Header=BB186_18 Depth=1
	v_cvt_f32_u32_e32 v2, s35
	s_sub_i32 s8, 0, s35
	s_delay_alu instid0(VALU_DEP_1) | instskip(SKIP_2) | instid1(VALU_DEP_1)
	v_rcp_iflag_f32_e32 v2, v2
	s_waitcnt_depctr 0xfff
	v_mul_f32_e32 v2, 0x4f7ffffe, v2
	v_cvt_u32_f32_e32 v2, v2
	s_delay_alu instid0(VALU_DEP_1) | instskip(NEXT) | instid1(VALU_DEP_1)
	v_mul_lo_u32 v4, s8, v2
	v_mul_hi_u32 v4, v2, v4
	s_delay_alu instid0(VALU_DEP_1) | instskip(NEXT) | instid1(VALU_DEP_1)
	v_add_nc_u32_e32 v2, v2, v4
	v_mul_hi_u32 v2, s26, v2
	s_delay_alu instid0(VALU_DEP_1) | instskip(NEXT) | instid1(VALU_DEP_1)
	v_mul_lo_u32 v2, v2, s35
	v_sub_nc_u32_e32 v2, s26, v2
	s_delay_alu instid0(VALU_DEP_1) | instskip(SKIP_1) | instid1(VALU_DEP_2)
	v_subrev_nc_u32_e32 v4, s35, v2
	v_cmp_le_u32_e32 vcc_lo, s35, v2
	v_cndmask_b32_e32 v2, v2, v4, vcc_lo
	s_delay_alu instid0(VALU_DEP_1) | instskip(SKIP_1) | instid1(VALU_DEP_2)
	v_subrev_nc_u32_e32 v4, s35, v2
	v_cmp_le_u32_e32 vcc_lo, s35, v2
	v_cndmask_b32_e32 v18, v2, v4, vcc_lo
	s_delay_alu instid0(VALU_DEP_1)
	v_dual_mov_b32 v4, v18 :: v_dual_mov_b32 v5, v19
.LBB186_145:                            ;   in Loop: Header=BB186_18 Depth=1
	s_delay_alu instid0(VALU_DEP_1) | instskip(NEXT) | instid1(VALU_DEP_2)
	v_sub_co_u32 v30, vcc_lo, s26, v4
	v_sub_co_ci_u32_e32 v31, vcc_lo, s9, v5, vcc_lo
	s_mov_b32 s8, 0
	s_mov_b32 s9, exec_lo
                                        ; implicit-def: $vgpr10_vgpr11
	s_delay_alu instid0(VALU_DEP_1)
	v_cmpx_gt_u64_e64 v[30:31], v[0:1]
	s_cbranch_execz .LBB186_157
; %bb.146:                              ;   in Loop: Header=BB186_18 Depth=1
	v_mov_b32_e32 v18, v37
	v_dual_mov_b32 v33, v1 :: v_dual_mov_b32 v32, v0
	s_mov_b32 s48, 0
                                        ; implicit-def: $sgpr26
	s_set_inst_prefetch_distance 0x1
	s_branch .LBB186_148
	.p2align	6
.LBB186_147:                            ;   in Loop: Header=BB186_148 Depth=2
	s_or_b32 exec_lo, exec_lo, s8
	s_waitcnt lgkmcnt(0)
	s_barrier
	buffer_gl0_inv
	ds_load_b128 v[8:11], v19 offset:3072
	v_add_co_u32 v32, s8, v32, s35
	s_delay_alu instid0(VALU_DEP_1) | instskip(SKIP_3) | instid1(VALU_DEP_2)
	v_add_co_ci_u32_e64 v33, s8, 0, v33, s8
	v_add_nc_u32_e32 v18, s94, v18
	s_waitcnt lgkmcnt(0)
	s_barrier
	v_cmp_ge_u64_e64 s8, v[32:33], v[30:31]
	buffer_gl0_inv
	v_cmp_neq_f64_e32 vcc_lo, 0, v[8:9]
	s_or_b32 s8, s8, vcc_lo
	s_delay_alu instid0(SALU_CYCLE_1) | instskip(NEXT) | instid1(SALU_CYCLE_1)
	s_and_b32 s8, exec_lo, s8
	s_or_b32 s48, s8, s48
	s_and_not1_b32 s8, s26, exec_lo
	s_and_b32 s26, vcc_lo, exec_lo
	s_delay_alu instid0(SALU_CYCLE_1)
	s_or_b32 s26, s8, s26
	s_and_not1_b32 exec_lo, exec_lo, s48
	s_cbranch_execz .LBB186_156
.LBB186_148:                            ;   Parent Loop BB186_18 Depth=1
                                        ; =>  This Inner Loop Header: Depth=2
	s_delay_alu instid0(VALU_DEP_1)
	v_cmp_gt_u64_e32 vcc_lo, s[22:23], v[32:33]
	v_mov_b32_e32 v4, 0
	v_mov_b32_e32 v5, 0
	s_and_saveexec_b32 s8, vcc_lo
	s_cbranch_execz .LBB186_150
; %bb.149:                              ;   in Loop: Header=BB186_148 Depth=2
	ds_load_b64 v[4:5], v18
.LBB186_150:                            ;   in Loop: Header=BB186_148 Depth=2
	s_or_b32 exec_lo, exec_lo, s8
	s_and_saveexec_b32 s8, vcc_lo
	s_cbranch_execz .LBB186_147
; %bb.151:                              ;   in Loop: Header=BB186_148 Depth=2
	s_waitcnt lgkmcnt(0)
	v_cmp_o_f64_e32 vcc_lo, v[4:5], v[4:5]
	v_ashrrev_i32_e32 v2, 31, v5
	s_delay_alu instid0(VALU_DEP_1) | instskip(SKIP_1) | instid1(VALU_DEP_2)
	v_or_b32_e32 v8, 0x80000000, v2
	v_xor_b32_e32 v2, v2, v4
	v_xor_b32_e32 v8, v8, v5
	s_delay_alu instid0(VALU_DEP_1) | instskip(NEXT) | instid1(VALU_DEP_1)
	v_cndmask_b32_e32 v8, -1, v8, vcc_lo
	v_dual_cndmask_b32 v2, -1, v2 :: v_dual_and_b32 v9, v8, v15
	s_delay_alu instid0(VALU_DEP_1) | instskip(NEXT) | instid1(VALU_DEP_1)
	v_and_b32_e32 v8, v2, v14
	v_cmp_eq_u64_e32 vcc_lo, v[8:9], v[12:13]
	s_and_b32 exec_lo, exec_lo, vcc_lo
	s_cbranch_execz .LBB186_147
; %bb.152:                              ;   in Loop: Header=BB186_148 Depth=2
	v_mov_b32_e32 v2, v19
	ds_store_b128 v19, v[2:5] offset:3072
	s_branch .LBB186_147
.LBB186_153:                            ;   in Loop: Header=BB186_18 Depth=1
                                        ; implicit-def: $vgpr4_vgpr5
	s_branch .LBB186_98
.LBB186_154:                            ;   in Loop: Header=BB186_18 Depth=1
                                        ; implicit-def: $vgpr4_vgpr5
	s_branch .LBB186_114
.LBB186_155:                            ;   in Loop: Header=BB186_18 Depth=1
	s_mov_b32 s74, -1
	s_mov_b32 s8, 0
                                        ; implicit-def: $sgpr79
                                        ; implicit-def: $vgpr10_vgpr11
	s_mov_b32 s80, s74
	s_cbranch_execnz .LBB186_158
	s_branch .LBB186_171
.LBB186_156:                            ;   in Loop: Header=BB186_18 Depth=1
	s_set_inst_prefetch_distance 0x2
	s_or_b32 exec_lo, exec_lo, s48
	s_delay_alu instid0(SALU_CYCLE_1)
	s_and_b32 s8, s26, exec_lo
.LBB186_157:                            ;   in Loop: Header=BB186_18 Depth=1
	s_or_b32 exec_lo, exec_lo, s9
	s_mov_b32 s79, -1
	s_mov_b32 s74, 0
	s_delay_alu instid0(SALU_CYCLE_1)
	s_mov_b32 s80, s74
	s_branch .LBB186_171
.LBB186_158:                            ;   in Loop: Header=BB186_18 Depth=1
	s_mov_b32 s26, s71
	s_delay_alu instid0(SALU_CYCLE_1)
	s_cmp_lg_u64 s[26:27], 0
	s_cbranch_scc0 .LBB186_200
; %bb.159:                              ;   in Loop: Header=BB186_18 Depth=1
	v_cvt_f32_u32_e32 v2, s35
	s_sub_u32 s22, 0, s35
	s_subb_u32 s23, 0, 0
	s_delay_alu instid0(VALU_DEP_1) | instskip(NEXT) | instid1(VALU_DEP_1)
	v_fmac_f32_e64 v2, 0, 0x4f800000
	v_rcp_f32_e32 v2, v2
	s_waitcnt_depctr 0xfff
	v_mul_f32_e32 v2, 0x5f7ffffc, v2
	s_delay_alu instid0(VALU_DEP_1) | instskip(NEXT) | instid1(VALU_DEP_1)
	v_mul_f32_e32 v4, 0x2f800000, v2
	v_trunc_f32_e32 v4, v4
	s_delay_alu instid0(VALU_DEP_1) | instskip(SKIP_1) | instid1(VALU_DEP_2)
	v_fmac_f32_e32 v2, 0xcf800000, v4
	v_cvt_u32_f32_e32 v4, v4
	v_cvt_u32_f32_e32 v2, v2
	s_delay_alu instid0(VALU_DEP_2) | instskip(NEXT) | instid1(VALU_DEP_2)
	v_readfirstlane_b32 s8, v4
	v_readfirstlane_b32 s9, v2
	s_delay_alu instid0(VALU_DEP_2) | instskip(NEXT) | instid1(VALU_DEP_1)
	s_mul_i32 s26, s22, s8
	s_mul_hi_u32 s49, s22, s9
	s_mul_i32 s48, s23, s9
	s_add_i32 s26, s49, s26
	s_mul_i32 s50, s22, s9
	s_add_i32 s26, s26, s48
	s_mul_hi_u32 s49, s9, s50
	s_mul_hi_u32 s51, s8, s50
	s_mul_i32 s48, s8, s50
	s_mul_hi_u32 s50, s9, s26
	s_mul_i32 s9, s9, s26
	s_mul_hi_u32 s62, s8, s26
	s_add_u32 s9, s49, s9
	s_addc_u32 s49, 0, s50
	s_add_u32 s9, s9, s48
	s_mul_i32 s26, s8, s26
	s_addc_u32 s9, s49, s51
	s_addc_u32 s48, s62, 0
	s_add_u32 s9, s9, s26
	s_addc_u32 s26, 0, s48
	v_add_co_u32 v2, s9, v2, s9
	s_delay_alu instid0(VALU_DEP_1) | instskip(SKIP_1) | instid1(VALU_DEP_1)
	s_cmp_lg_u32 s9, 0
	s_addc_u32 s8, s8, s26
	v_readfirstlane_b32 s9, v2
	s_mul_i32 s26, s22, s8
	s_delay_alu instid0(VALU_DEP_1)
	s_mul_hi_u32 s48, s22, s9
	s_mul_i32 s23, s23, s9
	s_add_i32 s26, s48, s26
	s_mul_i32 s22, s22, s9
	s_add_i32 s26, s26, s23
	s_mul_hi_u32 s48, s8, s22
	s_mul_i32 s49, s8, s22
	s_mul_hi_u32 s22, s9, s22
	s_mul_hi_u32 s50, s9, s26
	s_mul_i32 s9, s9, s26
	s_mul_hi_u32 s23, s8, s26
	s_add_u32 s9, s22, s9
	s_addc_u32 s22, 0, s50
	s_add_u32 s9, s9, s49
	s_mul_i32 s26, s8, s26
	s_addc_u32 s9, s22, s48
	s_addc_u32 s22, s23, 0
	s_add_u32 s9, s9, s26
	s_addc_u32 s22, 0, s22
	v_add_co_u32 v2, s9, v2, s9
	s_delay_alu instid0(VALU_DEP_1) | instskip(SKIP_1) | instid1(VALU_DEP_1)
	s_cmp_lg_u32 s9, 0
	s_addc_u32 s8, s8, s22
	v_readfirstlane_b32 s9, v2
	s_mul_i32 s23, s88, s8
	s_mul_hi_u32 s22, s88, s8
	s_mul_hi_u32 s26, s27, s8
	s_mul_i32 s8, s27, s8
	s_mul_hi_u32 s48, s88, s9
	s_mul_hi_u32 s49, s27, s9
	s_mul_i32 s9, s27, s9
	s_add_u32 s23, s48, s23
	s_addc_u32 s22, 0, s22
	s_add_u32 s9, s23, s9
	s_addc_u32 s9, s22, s49
	s_addc_u32 s22, s26, 0
	s_add_u32 s8, s9, s8
	s_addc_u32 s9, 0, s22
	s_mul_hi_u32 s22, s35, s8
	s_mul_i32 s8, s35, s8
	s_mul_i32 s9, s35, s9
	v_sub_co_u32 v2, s8, s88, s8
	s_add_i32 s22, s22, s9
	s_cmp_lg_u32 s8, 0
	s_delay_alu instid0(VALU_DEP_1) | instskip(SKIP_3) | instid1(VALU_DEP_2)
	v_sub_co_u32 v4, s8, v2, s35
	s_subb_u32 s9, s27, s22
	s_cmp_lg_u32 s8, 0
	v_cmp_le_u32_e32 vcc_lo, s35, v2
	v_cmp_le_u32_e64 s8, s35, v4
	v_sub_co_u32 v5, s22, v4, s35
	s_subb_u32 s23, s9, 0
	s_cmp_lg_u32 s22, 0
	s_delay_alu instid0(VALU_DEP_2)
	v_cndmask_b32_e64 v8, 0, -1, s8
	s_subb_u32 s22, s23, 0
	s_cmp_eq_u32 s23, 0
	v_cndmask_b32_e64 v9, 0, -1, vcc_lo
	s_cselect_b32 vcc_lo, -1, 0
	s_cmp_eq_u32 s9, 0
	v_cndmask_b32_e32 v8, -1, v8, vcc_lo
	s_cselect_b32 vcc_lo, -1, 0
	v_dual_mov_b32 v10, s22 :: v_dual_cndmask_b32 v9, -1, v9
	s_delay_alu instid0(VALU_DEP_2) | instskip(NEXT) | instid1(VALU_DEP_2)
	v_cmp_ne_u32_e32 vcc_lo, 0, v8
	v_cmp_ne_u32_e64 s8, 0, v9
	s_delay_alu instid0(VALU_DEP_3) | instskip(SKIP_1) | instid1(VALU_DEP_2)
	v_cndmask_b32_e32 v8, s23, v10, vcc_lo
	v_cndmask_b32_e32 v4, v4, v5, vcc_lo
	v_cndmask_b32_e64 v5, s9, v8, s8
	s_delay_alu instid0(VALU_DEP_2)
	v_cndmask_b32_e64 v4, v2, v4, s8
	s_cbranch_execnz .LBB186_161
.LBB186_160:                            ;   in Loop: Header=BB186_18 Depth=1
	v_cvt_f32_u32_e32 v2, s35
	s_sub_i32 s8, 0, s35
	s_delay_alu instid0(VALU_DEP_1) | instskip(SKIP_2) | instid1(VALU_DEP_1)
	v_rcp_iflag_f32_e32 v2, v2
	s_waitcnt_depctr 0xfff
	v_mul_f32_e32 v2, 0x4f7ffffe, v2
	v_cvt_u32_f32_e32 v2, v2
	s_delay_alu instid0(VALU_DEP_1) | instskip(NEXT) | instid1(VALU_DEP_1)
	v_mul_lo_u32 v4, s8, v2
	v_mul_hi_u32 v4, v2, v4
	s_delay_alu instid0(VALU_DEP_1) | instskip(NEXT) | instid1(VALU_DEP_1)
	v_add_nc_u32_e32 v2, v2, v4
	v_mul_hi_u32 v2, s88, v2
	s_delay_alu instid0(VALU_DEP_1) | instskip(NEXT) | instid1(VALU_DEP_1)
	v_mul_lo_u32 v2, v2, s35
	v_sub_nc_u32_e32 v2, s88, v2
	s_delay_alu instid0(VALU_DEP_1) | instskip(SKIP_1) | instid1(VALU_DEP_2)
	v_subrev_nc_u32_e32 v4, s35, v2
	v_cmp_le_u32_e32 vcc_lo, s35, v2
	v_cndmask_b32_e32 v2, v2, v4, vcc_lo
	s_delay_alu instid0(VALU_DEP_1) | instskip(SKIP_1) | instid1(VALU_DEP_2)
	v_subrev_nc_u32_e32 v4, s35, v2
	v_cmp_le_u32_e32 vcc_lo, s35, v2
	v_cndmask_b32_e32 v18, v2, v4, vcc_lo
	s_delay_alu instid0(VALU_DEP_1)
	v_dual_mov_b32 v4, v18 :: v_dual_mov_b32 v5, v19
.LBB186_161:                            ;   in Loop: Header=BB186_18 Depth=1
	s_delay_alu instid0(VALU_DEP_1) | instskip(NEXT) | instid1(VALU_DEP_2)
	v_sub_co_u32 v30, vcc_lo, s88, v4
	v_sub_co_ci_u32_e32 v31, vcc_lo, s27, v5, vcc_lo
	s_mov_b32 s8, 0
	s_mov_b32 s9, exec_lo
                                        ; implicit-def: $vgpr10_vgpr11
	s_delay_alu instid0(VALU_DEP_1)
	v_cmpx_gt_u64_e64 v[30:31], v[0:1]
	s_cbranch_execz .LBB186_170
; %bb.162:                              ;   in Loop: Header=BB186_18 Depth=1
	v_dual_mov_b32 v33, v1 :: v_dual_mov_b32 v32, v0
	s_mov_b32 s23, 0
                                        ; implicit-def: $sgpr22
	s_branch .LBB186_164
.LBB186_163:                            ;   in Loop: Header=BB186_164 Depth=2
	s_or_b32 exec_lo, exec_lo, s8
	s_waitcnt vmcnt(0) lgkmcnt(0)
	s_barrier
	buffer_gl0_inv
	ds_load_b128 v[8:11], v19 offset:3072
	v_add_co_u32 v32, s8, v32, s35
	s_delay_alu instid0(VALU_DEP_1)
	v_add_co_ci_u32_e64 v33, s8, 0, v33, s8
	s_waitcnt lgkmcnt(0)
	s_barrier
	buffer_gl0_inv
	v_cmp_ge_u64_e64 s8, v[32:33], v[30:31]
	v_cmp_neq_f64_e32 vcc_lo, 0, v[8:9]
	s_delay_alu instid0(VALU_DEP_2) | instskip(NEXT) | instid1(SALU_CYCLE_1)
	s_or_b32 s8, s8, vcc_lo
	s_and_b32 s8, exec_lo, s8
	s_delay_alu instid0(SALU_CYCLE_1) | instskip(SKIP_2) | instid1(SALU_CYCLE_1)
	s_or_b32 s23, s8, s23
	s_and_not1_b32 s8, s22, exec_lo
	s_and_b32 s22, vcc_lo, exec_lo
	s_or_b32 s22, s8, s22
	s_and_not1_b32 exec_lo, exec_lo, s23
	s_cbranch_execz .LBB186_169
.LBB186_164:                            ;   Parent Loop BB186_18 Depth=1
                                        ; =>  This Inner Loop Header: Depth=2
	s_delay_alu instid0(VALU_DEP_1)
	v_cmp_gt_u64_e32 vcc_lo, s[36:37], v[32:33]
	v_mov_b32_e32 v4, 0
	v_mov_b32_e32 v5, 0
	s_and_saveexec_b32 s26, vcc_lo
	s_cbranch_execz .LBB186_166
; %bb.165:                              ;   in Loop: Header=BB186_164 Depth=2
	v_mul_lo_u32 v2, v33, s30
	v_mul_lo_u32 v8, v32, s31
	v_mad_u64_u32 v[4:5], null, v32, s30, 0
	s_delay_alu instid0(VALU_DEP_1) | instskip(NEXT) | instid1(VALU_DEP_1)
	v_add3_u32 v5, v5, v8, v2
	v_lshlrev_b64 v[4:5], 3, v[4:5]
	s_delay_alu instid0(VALU_DEP_1) | instskip(NEXT) | instid1(VALU_DEP_1)
	v_add_co_u32 v4, s8, s29, v4
	v_add_co_ci_u32_e64 v5, s8, s33, v5, s8
	global_load_b64 v[4:5], v[4:5], off
.LBB186_166:                            ;   in Loop: Header=BB186_164 Depth=2
	s_or_b32 exec_lo, exec_lo, s26
	s_and_saveexec_b32 s8, vcc_lo
	s_cbranch_execz .LBB186_163
; %bb.167:                              ;   in Loop: Header=BB186_164 Depth=2
	s_waitcnt vmcnt(0)
	v_cmp_o_f64_e32 vcc_lo, v[4:5], v[4:5]
	v_ashrrev_i32_e32 v2, 31, v5
	s_delay_alu instid0(VALU_DEP_1) | instskip(SKIP_1) | instid1(VALU_DEP_2)
	v_or_b32_e32 v8, 0x80000000, v2
	v_xor_b32_e32 v2, v2, v4
	v_xor_b32_e32 v8, v8, v5
	s_delay_alu instid0(VALU_DEP_1) | instskip(NEXT) | instid1(VALU_DEP_1)
	v_cndmask_b32_e32 v8, -1, v8, vcc_lo
	v_dual_cndmask_b32 v2, -1, v2 :: v_dual_and_b32 v9, v8, v15
	s_delay_alu instid0(VALU_DEP_1) | instskip(NEXT) | instid1(VALU_DEP_1)
	v_and_b32_e32 v8, v2, v14
	v_cmp_eq_u64_e32 vcc_lo, v[8:9], v[12:13]
	s_and_b32 exec_lo, exec_lo, vcc_lo
	s_cbranch_execz .LBB186_163
; %bb.168:                              ;   in Loop: Header=BB186_164 Depth=2
	v_mov_b32_e32 v2, v19
	ds_store_b128 v19, v[2:5] offset:3072
	s_branch .LBB186_163
.LBB186_169:                            ;   in Loop: Header=BB186_18 Depth=1
	s_or_b32 exec_lo, exec_lo, s23
	s_delay_alu instid0(SALU_CYCLE_1)
	s_and_b32 s8, s22, exec_lo
.LBB186_170:                            ;   in Loop: Header=BB186_18 Depth=1
	s_or_b32 exec_lo, exec_lo, s9
	s_mov_b32 s80, -1
	s_mov_b32 s74, 0
	s_mov_b32 s79, 0
.LBB186_171:                            ;   in Loop: Header=BB186_18 Depth=1
	s_or_not1_b32 s8, s8, exec_lo
.LBB186_172:                            ;   in Loop: Header=BB186_18 Depth=1
	s_or_b32 exec_lo, exec_lo, s61
	s_mov_b32 s26, 0
                                        ; implicit-def: $vgpr2
	s_and_saveexec_b32 s81, s8
	s_cbranch_execz .LBB186_285
; %bb.173:                              ;   in Loop: Header=BB186_18 Depth=1
	v_mov_b32_e32 v30, 1
	v_dual_mov_b32 v31, 0 :: v_dual_mov_b32 v2, 1
	s_xor_b32 s9, s60, -1
	s_delay_alu instid0(SALU_CYCLE_1)
	s_and_saveexec_b32 s8, s9
	s_cbranch_execz .LBB186_183
; %bb.174:                              ;   in Loop: Header=BB186_18 Depth=1
	s_mov_b32 s22, exec_lo
                                        ; implicit-def: $sgpr23
                                        ; implicit-def: $sgpr9
	v_cmpx_ge_u64_e64 s[16:17], v[28:29]
	s_xor_b32 s22, exec_lo, s22
	s_cbranch_execz .LBB186_180
; %bb.175:                              ;   in Loop: Header=BB186_18 Depth=1
	ds_load_b64 v[4:5], v19 offset:5120
	s_waitcnt lgkmcnt(0)
	v_cmp_ne_u64_e32 vcc_lo, 0, v[4:5]
	s_cbranch_vccnz .LBB186_179
; %bb.176:                              ;   in Loop: Header=BB186_18 Depth=1
	s_and_saveexec_b32 s9, s5
	s_cbranch_execz .LBB186_178
; %bb.177:                              ;   in Loop: Header=BB186_18 Depth=1
	v_dual_mov_b32 v4, s16 :: v_dual_mov_b32 v5, s17
	ds_store_b64 v19, v[4:5] offset:5128
.LBB186_178:                            ;   in Loop: Header=BB186_18 Depth=1
	s_or_b32 exec_lo, exec_lo, s9
	s_waitcnt lgkmcnt(0)
	s_barrier
	buffer_gl0_inv
.LBB186_179:                            ;   in Loop: Header=BB186_18 Depth=1
	v_and_b32_e32 v2, s15, v13
	v_and_b32_e32 v4, s14, v12
	s_lshl_b64 s[48:49], 1, s24
	v_or_b32_e32 v15, s13, v15
	v_or_b32_e32 v14, s12, v14
	;; [unrolled: 1-line block ×4, first 2 shown]
	s_mov_b32 s9, 0
	s_mov_b32 s23, 8
.LBB186_180:                            ;   in Loop: Header=BB186_18 Depth=1
	s_or_saveexec_b32 s22, s22
	v_mov_b32_e32 v2, s23
	s_xor_b32 exec_lo, exec_lo, s22
; %bb.181:                              ;   in Loop: Header=BB186_18 Depth=1
	v_sub_co_u32 v28, vcc_lo, v28, s16
	v_subrev_co_ci_u32_e32 v29, vcc_lo, s17, v29, vcc_lo
	v_mov_b32_e32 v2, 0
	s_or_b32 s9, s9, exec_lo
; %bb.182:                              ;   in Loop: Header=BB186_18 Depth=1
	s_or_b32 exec_lo, exec_lo, s22
	s_delay_alu instid0(VALU_DEP_2)
	v_dual_mov_b32 v31, v29 :: v_dual_mov_b32 v30, v28
	s_and_b32 s26, s9, exec_lo
.LBB186_183:                            ;   in Loop: Header=BB186_18 Depth=1
	s_or_b32 exec_lo, exec_lo, s8
	s_mov_b32 s8, -1
                                        ; implicit-def: $sgpr9
                                        ; implicit-def: $sgpr22
                                        ; implicit-def: $sgpr23
	s_and_saveexec_b32 s82, s26
	s_cbranch_execz .LBB186_284
; %bb.184:                              ;   in Loop: Header=BB186_18 Depth=1
	v_cmp_eq_u64_e32 vcc_lo, 1, v[30:31]
	s_cmp_eq_u64 s[18:19], 1
                                        ; implicit-def: $sgpr83
                                        ; implicit-def: $sgpr69
                                        ; implicit-def: $sgpr68
	s_cselect_b32 s8, -1, 0
	s_delay_alu instid0(SALU_CYCLE_1)
	s_and_b32 s61, s8, vcc_lo
	s_mov_b32 s8, -1
	s_and_saveexec_b32 s60, s61
	s_cbranch_execz .LBB186_218
; %bb.185:                              ;   in Loop: Header=BB186_18 Depth=1
	ds_load_b64 v[4:5], v19 offset:5120
	s_waitcnt lgkmcnt(0)
	s_barrier
	buffer_gl0_inv
	v_readfirstlane_b32 s22, v4
	v_readfirstlane_b32 s23, v5
	s_and_saveexec_b32 s8, s6
	s_cbranch_execz .LBB186_187
; %bb.186:                              ;   in Loop: Header=BB186_18 Depth=1
	v_mov_b32_e32 v18, v19
	ds_store_b64 v38, v[18:19]
.LBB186_187:                            ;   in Loop: Header=BB186_18 Depth=1
	s_or_b32 exec_lo, exec_lo, s8
	v_and_b32_e32 v2, s15, v13
	v_and_b32_e32 v4, s14, v12
	s_lshl_b64 s[8:9], 2, s24
	v_or_b32_e32 v15, s13, v15
	v_or_b32_e32 v14, s12, v14
	v_or_b32_e32 v13, s9, v2
	v_or_b32_e32 v12, s8, v4
	s_cmp_eq_u64 s[22:23], 0
	s_waitcnt lgkmcnt(0)
	s_barrier
	buffer_gl0_inv
	s_cbranch_scc1 .LBB186_201
; %bb.188:                              ;   in Loop: Header=BB186_18 Depth=1
	s_add_u32 s26, s86, s22
	s_addc_u32 s9, s87, s23
	s_mov_b32 s8, s71
	s_delay_alu instid0(SALU_CYCLE_1)
	s_cmp_lg_u64 s[8:9], 0
	s_cbranch_scc0 .LBB186_236
; %bb.189:                              ;   in Loop: Header=BB186_18 Depth=1
	v_cvt_f32_u32_e32 v2, s35
	s_sub_u32 s49, 0, s35
	s_subb_u32 s50, 0, 0
	s_delay_alu instid0(VALU_DEP_1) | instskip(NEXT) | instid1(VALU_DEP_1)
	v_fmac_f32_e64 v2, 0, 0x4f800000
	v_rcp_f32_e32 v2, v2
	s_waitcnt_depctr 0xfff
	v_mul_f32_e32 v2, 0x5f7ffffc, v2
	s_delay_alu instid0(VALU_DEP_1) | instskip(NEXT) | instid1(VALU_DEP_1)
	v_mul_f32_e32 v4, 0x2f800000, v2
	v_trunc_f32_e32 v4, v4
	s_delay_alu instid0(VALU_DEP_1) | instskip(SKIP_1) | instid1(VALU_DEP_2)
	v_fmac_f32_e32 v2, 0xcf800000, v4
	v_cvt_u32_f32_e32 v4, v4
	v_cvt_u32_f32_e32 v2, v2
	s_delay_alu instid0(VALU_DEP_2) | instskip(NEXT) | instid1(VALU_DEP_2)
	v_readfirstlane_b32 s8, v4
	v_readfirstlane_b32 s48, v2
	s_delay_alu instid0(VALU_DEP_2) | instskip(NEXT) | instid1(VALU_DEP_1)
	s_mul_i32 s51, s49, s8
	s_mul_hi_u32 s63, s49, s48
	s_mul_i32 s62, s50, s48
	s_add_i32 s51, s63, s51
	s_mul_i32 s68, s49, s48
	s_add_i32 s51, s51, s62
	s_mul_hi_u32 s63, s48, s68
	s_mul_hi_u32 s69, s8, s68
	s_mul_i32 s62, s8, s68
	s_mul_hi_u32 s68, s48, s51
	s_mul_i32 s48, s48, s51
	s_mul_hi_u32 s83, s8, s51
	s_add_u32 s48, s63, s48
	s_addc_u32 s63, 0, s68
	s_add_u32 s48, s48, s62
	s_mul_i32 s51, s8, s51
	s_addc_u32 s48, s63, s69
	s_addc_u32 s62, s83, 0
	s_add_u32 s48, s48, s51
	s_addc_u32 s51, 0, s62
	v_add_co_u32 v2, s48, v2, s48
	s_delay_alu instid0(VALU_DEP_1) | instskip(SKIP_1) | instid1(VALU_DEP_1)
	s_cmp_lg_u32 s48, 0
	s_addc_u32 s8, s8, s51
	v_readfirstlane_b32 s48, v2
	s_mul_i32 s51, s49, s8
	s_delay_alu instid0(VALU_DEP_1)
	s_mul_hi_u32 s62, s49, s48
	s_mul_i32 s50, s50, s48
	s_add_i32 s51, s62, s51
	s_mul_i32 s49, s49, s48
	s_add_i32 s51, s51, s50
	s_mul_hi_u32 s62, s8, s49
	s_mul_i32 s63, s8, s49
	s_mul_hi_u32 s49, s48, s49
	s_mul_hi_u32 s68, s48, s51
	s_mul_i32 s48, s48, s51
	s_mul_hi_u32 s50, s8, s51
	s_add_u32 s48, s49, s48
	s_addc_u32 s49, 0, s68
	s_add_u32 s48, s48, s63
	s_mul_i32 s51, s8, s51
	s_addc_u32 s48, s49, s62
	s_addc_u32 s49, s50, 0
	s_add_u32 s48, s48, s51
	s_addc_u32 s49, 0, s49
	v_add_co_u32 v2, s48, v2, s48
	s_delay_alu instid0(VALU_DEP_1) | instskip(SKIP_1) | instid1(VALU_DEP_1)
	s_cmp_lg_u32 s48, 0
	s_addc_u32 s8, s8, s49
	v_readfirstlane_b32 s48, v2
	s_mul_i32 s50, s26, s8
	s_mul_hi_u32 s49, s26, s8
	s_mul_hi_u32 s51, s9, s8
	s_mul_i32 s8, s9, s8
	s_mul_hi_u32 s62, s26, s48
	s_mul_hi_u32 s63, s9, s48
	s_mul_i32 s48, s9, s48
	s_add_u32 s50, s62, s50
	s_addc_u32 s49, 0, s49
	s_add_u32 s48, s50, s48
	s_addc_u32 s48, s49, s63
	s_addc_u32 s49, s51, 0
	s_add_u32 s8, s48, s8
	s_addc_u32 s48, 0, s49
	s_mul_hi_u32 s49, s35, s8
	s_mul_i32 s8, s35, s8
	s_mul_i32 s48, s35, s48
	v_sub_co_u32 v2, s8, s26, s8
	s_add_i32 s49, s49, s48
	s_cmp_lg_u32 s8, 0
	s_delay_alu instid0(VALU_DEP_1) | instskip(SKIP_3) | instid1(VALU_DEP_2)
	v_sub_co_u32 v4, s8, v2, s35
	s_subb_u32 s48, s9, s49
	s_cmp_lg_u32 s8, 0
	v_cmp_le_u32_e32 vcc_lo, s35, v2
	v_cmp_le_u32_e64 s8, s35, v4
	v_sub_co_u32 v5, s49, v4, s35
	s_subb_u32 s50, s48, 0
	s_cmp_lg_u32 s49, 0
	s_delay_alu instid0(VALU_DEP_2)
	v_cndmask_b32_e64 v8, 0, -1, s8
	s_subb_u32 s49, s50, 0
	s_cmp_eq_u32 s50, 0
	v_cndmask_b32_e64 v9, 0, -1, vcc_lo
	s_cselect_b32 vcc_lo, -1, 0
	s_cmp_eq_u32 s48, 0
	v_cndmask_b32_e32 v8, -1, v8, vcc_lo
	s_cselect_b32 vcc_lo, -1, 0
	v_dual_mov_b32 v10, s49 :: v_dual_cndmask_b32 v9, -1, v9
	s_delay_alu instid0(VALU_DEP_2) | instskip(NEXT) | instid1(VALU_DEP_2)
	v_cmp_ne_u32_e32 vcc_lo, 0, v8
	v_cmp_ne_u32_e64 s8, 0, v9
	s_delay_alu instid0(VALU_DEP_3) | instskip(SKIP_1) | instid1(VALU_DEP_2)
	v_cndmask_b32_e32 v8, s50, v10, vcc_lo
	v_cndmask_b32_e32 v4, v4, v5, vcc_lo
	v_cndmask_b32_e64 v5, s48, v8, s8
	s_delay_alu instid0(VALU_DEP_2)
	v_cndmask_b32_e64 v4, v2, v4, s8
	s_cbranch_execnz .LBB186_191
.LBB186_190:                            ;   in Loop: Header=BB186_18 Depth=1
	v_cvt_f32_u32_e32 v2, s35
	s_sub_i32 s8, 0, s35
	s_delay_alu instid0(VALU_DEP_1) | instskip(SKIP_2) | instid1(VALU_DEP_1)
	v_rcp_iflag_f32_e32 v2, v2
	s_waitcnt_depctr 0xfff
	v_mul_f32_e32 v2, 0x4f7ffffe, v2
	v_cvt_u32_f32_e32 v2, v2
	s_delay_alu instid0(VALU_DEP_1) | instskip(NEXT) | instid1(VALU_DEP_1)
	v_mul_lo_u32 v4, s8, v2
	v_mul_hi_u32 v4, v2, v4
	s_delay_alu instid0(VALU_DEP_1) | instskip(NEXT) | instid1(VALU_DEP_1)
	v_add_nc_u32_e32 v2, v2, v4
	v_mul_hi_u32 v2, s26, v2
	s_delay_alu instid0(VALU_DEP_1) | instskip(NEXT) | instid1(VALU_DEP_1)
	v_mul_lo_u32 v2, v2, s35
	v_sub_nc_u32_e32 v2, s26, v2
	s_delay_alu instid0(VALU_DEP_1) | instskip(SKIP_1) | instid1(VALU_DEP_2)
	v_subrev_nc_u32_e32 v4, s35, v2
	v_cmp_le_u32_e32 vcc_lo, s35, v2
	v_cndmask_b32_e32 v2, v2, v4, vcc_lo
	s_delay_alu instid0(VALU_DEP_1) | instskip(SKIP_1) | instid1(VALU_DEP_2)
	v_subrev_nc_u32_e32 v4, s35, v2
	v_cmp_le_u32_e32 vcc_lo, s35, v2
	v_cndmask_b32_e32 v18, v2, v4, vcc_lo
	s_delay_alu instid0(VALU_DEP_1)
	v_dual_mov_b32 v4, v18 :: v_dual_mov_b32 v5, v19
.LBB186_191:                            ;   in Loop: Header=BB186_18 Depth=1
	s_delay_alu instid0(VALU_DEP_1) | instskip(NEXT) | instid1(VALU_DEP_2)
	v_sub_co_u32 v28, vcc_lo, s26, v4
	v_sub_co_ci_u32_e32 v29, vcc_lo, s9, v5, vcc_lo
	s_mov_b32 s8, 0
	s_mov_b32 s9, exec_lo
                                        ; implicit-def: $vgpr10_vgpr11
	s_delay_alu instid0(VALU_DEP_1)
	v_cmpx_gt_u64_e64 v[28:29], v[0:1]
	s_cbranch_execz .LBB186_203
; %bb.192:                              ;   in Loop: Header=BB186_18 Depth=1
	v_mov_b32_e32 v18, v37
	v_dual_mov_b32 v33, v1 :: v_dual_mov_b32 v32, v0
	s_mov_b32 s62, 0
                                        ; implicit-def: $sgpr26
	s_set_inst_prefetch_distance 0x1
	s_branch .LBB186_194
	.p2align	6
.LBB186_193:                            ;   in Loop: Header=BB186_194 Depth=2
	s_or_b32 exec_lo, exec_lo, s8
	s_waitcnt lgkmcnt(0)
	s_barrier
	buffer_gl0_inv
	ds_load_b128 v[8:11], v19 offset:3072
	v_add_co_u32 v32, s8, v32, s35
	s_delay_alu instid0(VALU_DEP_1) | instskip(SKIP_3) | instid1(VALU_DEP_2)
	v_add_co_ci_u32_e64 v33, s8, 0, v33, s8
	v_add_nc_u32_e32 v18, s94, v18
	s_waitcnt lgkmcnt(0)
	s_barrier
	v_cmp_ge_u64_e64 s8, v[32:33], v[28:29]
	buffer_gl0_inv
	v_cmp_neq_f64_e32 vcc_lo, 0, v[8:9]
	s_or_b32 s8, s8, vcc_lo
	s_delay_alu instid0(SALU_CYCLE_1) | instskip(NEXT) | instid1(SALU_CYCLE_1)
	s_and_b32 s8, exec_lo, s8
	s_or_b32 s62, s8, s62
	s_and_not1_b32 s8, s26, exec_lo
	s_and_b32 s26, vcc_lo, exec_lo
	s_delay_alu instid0(SALU_CYCLE_1)
	s_or_b32 s26, s8, s26
	s_and_not1_b32 exec_lo, exec_lo, s62
	s_cbranch_execz .LBB186_202
.LBB186_194:                            ;   Parent Loop BB186_18 Depth=1
                                        ; =>  This Inner Loop Header: Depth=2
	s_delay_alu instid0(VALU_DEP_1)
	v_cmp_gt_u64_e32 vcc_lo, s[22:23], v[32:33]
	v_mov_b32_e32 v4, 0
	v_mov_b32_e32 v5, 0
	s_and_saveexec_b32 s8, vcc_lo
	s_cbranch_execz .LBB186_196
; %bb.195:                              ;   in Loop: Header=BB186_194 Depth=2
	ds_load_b64 v[4:5], v18
.LBB186_196:                            ;   in Loop: Header=BB186_194 Depth=2
	s_or_b32 exec_lo, exec_lo, s8
	s_and_saveexec_b32 s8, vcc_lo
	s_cbranch_execz .LBB186_193
; %bb.197:                              ;   in Loop: Header=BB186_194 Depth=2
	s_waitcnt lgkmcnt(0)
	v_cmp_o_f64_e32 vcc_lo, v[4:5], v[4:5]
	v_ashrrev_i32_e32 v2, 31, v5
	s_delay_alu instid0(VALU_DEP_1) | instskip(SKIP_1) | instid1(VALU_DEP_2)
	v_or_b32_e32 v8, 0x80000000, v2
	v_xor_b32_e32 v2, v2, v4
	v_xor_b32_e32 v8, v8, v5
	s_delay_alu instid0(VALU_DEP_1) | instskip(NEXT) | instid1(VALU_DEP_1)
	v_cndmask_b32_e32 v8, -1, v8, vcc_lo
	v_dual_cndmask_b32 v2, -1, v2 :: v_dual_and_b32 v9, v8, v15
	s_delay_alu instid0(VALU_DEP_1) | instskip(NEXT) | instid1(VALU_DEP_1)
	v_and_b32_e32 v8, v2, v14
	v_cmp_eq_u64_e32 vcc_lo, v[8:9], v[12:13]
	s_and_b32 exec_lo, exec_lo, vcc_lo
	s_cbranch_execz .LBB186_193
; %bb.198:                              ;   in Loop: Header=BB186_194 Depth=2
	v_mov_b32_e32 v2, v19
	ds_store_b128 v19, v[2:5] offset:3072
	s_branch .LBB186_193
.LBB186_199:                            ;   in Loop: Header=BB186_18 Depth=1
                                        ; implicit-def: $vgpr4_vgpr5
	s_branch .LBB186_144
.LBB186_200:                            ;   in Loop: Header=BB186_18 Depth=1
                                        ; implicit-def: $vgpr4_vgpr5
	s_branch .LBB186_160
.LBB186_201:                            ;   in Loop: Header=BB186_18 Depth=1
	s_mov_b32 s83, -1
	s_mov_b32 s8, 0
                                        ; implicit-def: $sgpr68
                                        ; implicit-def: $vgpr10_vgpr11
	s_mov_b32 s69, s83
	s_cbranch_execnz .LBB186_204
	s_branch .LBB186_217
.LBB186_202:                            ;   in Loop: Header=BB186_18 Depth=1
	s_set_inst_prefetch_distance 0x2
	s_or_b32 exec_lo, exec_lo, s62
	s_delay_alu instid0(SALU_CYCLE_1)
	s_and_b32 s8, s26, exec_lo
.LBB186_203:                            ;   in Loop: Header=BB186_18 Depth=1
	s_or_b32 exec_lo, exec_lo, s9
	s_mov_b32 s68, -1
	s_mov_b32 s83, 0
	s_delay_alu instid0(SALU_CYCLE_1)
	s_mov_b32 s69, s83
	s_branch .LBB186_217
.LBB186_204:                            ;   in Loop: Header=BB186_18 Depth=1
	s_mov_b32 s26, s71
	s_delay_alu instid0(SALU_CYCLE_1)
	s_cmp_lg_u64 s[26:27], 0
	s_cbranch_scc0 .LBB186_237
; %bb.205:                              ;   in Loop: Header=BB186_18 Depth=1
	v_cvt_f32_u32_e32 v2, s35
	s_sub_u32 s22, 0, s35
	s_subb_u32 s23, 0, 0
	s_delay_alu instid0(VALU_DEP_1) | instskip(NEXT) | instid1(VALU_DEP_1)
	v_fmac_f32_e64 v2, 0, 0x4f800000
	v_rcp_f32_e32 v2, v2
	s_waitcnt_depctr 0xfff
	v_mul_f32_e32 v2, 0x5f7ffffc, v2
	s_delay_alu instid0(VALU_DEP_1) | instskip(NEXT) | instid1(VALU_DEP_1)
	v_mul_f32_e32 v4, 0x2f800000, v2
	v_trunc_f32_e32 v4, v4
	s_delay_alu instid0(VALU_DEP_1) | instskip(SKIP_1) | instid1(VALU_DEP_2)
	v_fmac_f32_e32 v2, 0xcf800000, v4
	v_cvt_u32_f32_e32 v4, v4
	v_cvt_u32_f32_e32 v2, v2
	s_delay_alu instid0(VALU_DEP_2) | instskip(NEXT) | instid1(VALU_DEP_2)
	v_readfirstlane_b32 s8, v4
	v_readfirstlane_b32 s9, v2
	s_delay_alu instid0(VALU_DEP_2) | instskip(NEXT) | instid1(VALU_DEP_1)
	s_mul_i32 s26, s22, s8
	s_mul_hi_u32 s49, s22, s9
	s_mul_i32 s48, s23, s9
	s_add_i32 s26, s49, s26
	s_mul_i32 s50, s22, s9
	s_add_i32 s26, s26, s48
	s_mul_hi_u32 s49, s9, s50
	s_mul_hi_u32 s51, s8, s50
	s_mul_i32 s48, s8, s50
	s_mul_hi_u32 s50, s9, s26
	s_mul_i32 s9, s9, s26
	s_mul_hi_u32 s62, s8, s26
	s_add_u32 s9, s49, s9
	s_addc_u32 s49, 0, s50
	s_add_u32 s9, s9, s48
	s_mul_i32 s26, s8, s26
	s_addc_u32 s9, s49, s51
	s_addc_u32 s48, s62, 0
	s_add_u32 s9, s9, s26
	s_addc_u32 s26, 0, s48
	v_add_co_u32 v2, s9, v2, s9
	s_delay_alu instid0(VALU_DEP_1) | instskip(SKIP_1) | instid1(VALU_DEP_1)
	s_cmp_lg_u32 s9, 0
	s_addc_u32 s8, s8, s26
	v_readfirstlane_b32 s9, v2
	s_mul_i32 s26, s22, s8
	s_delay_alu instid0(VALU_DEP_1)
	s_mul_hi_u32 s48, s22, s9
	s_mul_i32 s23, s23, s9
	s_add_i32 s26, s48, s26
	s_mul_i32 s22, s22, s9
	s_add_i32 s26, s26, s23
	s_mul_hi_u32 s48, s8, s22
	s_mul_i32 s49, s8, s22
	s_mul_hi_u32 s22, s9, s22
	s_mul_hi_u32 s50, s9, s26
	s_mul_i32 s9, s9, s26
	s_mul_hi_u32 s23, s8, s26
	s_add_u32 s9, s22, s9
	s_addc_u32 s22, 0, s50
	s_add_u32 s9, s9, s49
	s_mul_i32 s26, s8, s26
	s_addc_u32 s9, s22, s48
	s_addc_u32 s22, s23, 0
	s_add_u32 s9, s9, s26
	s_addc_u32 s22, 0, s22
	v_add_co_u32 v2, s9, v2, s9
	s_delay_alu instid0(VALU_DEP_1) | instskip(SKIP_1) | instid1(VALU_DEP_1)
	s_cmp_lg_u32 s9, 0
	s_addc_u32 s8, s8, s22
	v_readfirstlane_b32 s9, v2
	s_mul_i32 s23, s88, s8
	s_mul_hi_u32 s22, s88, s8
	s_mul_hi_u32 s26, s27, s8
	s_mul_i32 s8, s27, s8
	s_mul_hi_u32 s48, s88, s9
	s_mul_hi_u32 s49, s27, s9
	s_mul_i32 s9, s27, s9
	s_add_u32 s23, s48, s23
	s_addc_u32 s22, 0, s22
	s_add_u32 s9, s23, s9
	s_addc_u32 s9, s22, s49
	s_addc_u32 s22, s26, 0
	s_add_u32 s8, s9, s8
	s_addc_u32 s9, 0, s22
	s_mul_hi_u32 s22, s35, s8
	s_mul_i32 s8, s35, s8
	s_mul_i32 s9, s35, s9
	v_sub_co_u32 v2, s8, s88, s8
	s_add_i32 s22, s22, s9
	s_cmp_lg_u32 s8, 0
	s_delay_alu instid0(VALU_DEP_1) | instskip(SKIP_3) | instid1(VALU_DEP_2)
	v_sub_co_u32 v4, s8, v2, s35
	s_subb_u32 s9, s27, s22
	s_cmp_lg_u32 s8, 0
	v_cmp_le_u32_e32 vcc_lo, s35, v2
	v_cmp_le_u32_e64 s8, s35, v4
	v_sub_co_u32 v5, s22, v4, s35
	s_subb_u32 s23, s9, 0
	s_cmp_lg_u32 s22, 0
	s_delay_alu instid0(VALU_DEP_2)
	v_cndmask_b32_e64 v8, 0, -1, s8
	s_subb_u32 s22, s23, 0
	s_cmp_eq_u32 s23, 0
	v_cndmask_b32_e64 v9, 0, -1, vcc_lo
	s_cselect_b32 vcc_lo, -1, 0
	s_cmp_eq_u32 s9, 0
	v_cndmask_b32_e32 v8, -1, v8, vcc_lo
	s_cselect_b32 vcc_lo, -1, 0
	v_dual_mov_b32 v10, s22 :: v_dual_cndmask_b32 v9, -1, v9
	s_delay_alu instid0(VALU_DEP_2) | instskip(NEXT) | instid1(VALU_DEP_2)
	v_cmp_ne_u32_e32 vcc_lo, 0, v8
	v_cmp_ne_u32_e64 s8, 0, v9
	s_delay_alu instid0(VALU_DEP_3) | instskip(SKIP_1) | instid1(VALU_DEP_2)
	v_cndmask_b32_e32 v8, s23, v10, vcc_lo
	v_cndmask_b32_e32 v4, v4, v5, vcc_lo
	v_cndmask_b32_e64 v5, s9, v8, s8
	s_delay_alu instid0(VALU_DEP_2)
	v_cndmask_b32_e64 v4, v2, v4, s8
	s_cbranch_execnz .LBB186_207
.LBB186_206:                            ;   in Loop: Header=BB186_18 Depth=1
	v_cvt_f32_u32_e32 v2, s35
	s_sub_i32 s8, 0, s35
	s_delay_alu instid0(VALU_DEP_1) | instskip(SKIP_2) | instid1(VALU_DEP_1)
	v_rcp_iflag_f32_e32 v2, v2
	s_waitcnt_depctr 0xfff
	v_mul_f32_e32 v2, 0x4f7ffffe, v2
	v_cvt_u32_f32_e32 v2, v2
	s_delay_alu instid0(VALU_DEP_1) | instskip(NEXT) | instid1(VALU_DEP_1)
	v_mul_lo_u32 v4, s8, v2
	v_mul_hi_u32 v4, v2, v4
	s_delay_alu instid0(VALU_DEP_1) | instskip(NEXT) | instid1(VALU_DEP_1)
	v_add_nc_u32_e32 v2, v2, v4
	v_mul_hi_u32 v2, s88, v2
	s_delay_alu instid0(VALU_DEP_1) | instskip(NEXT) | instid1(VALU_DEP_1)
	v_mul_lo_u32 v2, v2, s35
	v_sub_nc_u32_e32 v2, s88, v2
	s_delay_alu instid0(VALU_DEP_1) | instskip(SKIP_1) | instid1(VALU_DEP_2)
	v_subrev_nc_u32_e32 v4, s35, v2
	v_cmp_le_u32_e32 vcc_lo, s35, v2
	v_cndmask_b32_e32 v2, v2, v4, vcc_lo
	s_delay_alu instid0(VALU_DEP_1) | instskip(SKIP_1) | instid1(VALU_DEP_2)
	v_subrev_nc_u32_e32 v4, s35, v2
	v_cmp_le_u32_e32 vcc_lo, s35, v2
	v_cndmask_b32_e32 v18, v2, v4, vcc_lo
	s_delay_alu instid0(VALU_DEP_1)
	v_dual_mov_b32 v4, v18 :: v_dual_mov_b32 v5, v19
.LBB186_207:                            ;   in Loop: Header=BB186_18 Depth=1
	s_delay_alu instid0(VALU_DEP_1) | instskip(NEXT) | instid1(VALU_DEP_2)
	v_sub_co_u32 v28, vcc_lo, s88, v4
	v_sub_co_ci_u32_e32 v29, vcc_lo, s27, v5, vcc_lo
	s_mov_b32 s8, 0
	s_mov_b32 s9, exec_lo
                                        ; implicit-def: $vgpr10_vgpr11
	s_delay_alu instid0(VALU_DEP_1)
	v_cmpx_gt_u64_e64 v[28:29], v[0:1]
	s_cbranch_execz .LBB186_216
; %bb.208:                              ;   in Loop: Header=BB186_18 Depth=1
	v_dual_mov_b32 v33, v1 :: v_dual_mov_b32 v32, v0
	s_mov_b32 s23, 0
                                        ; implicit-def: $sgpr22
	s_branch .LBB186_210
.LBB186_209:                            ;   in Loop: Header=BB186_210 Depth=2
	s_or_b32 exec_lo, exec_lo, s8
	s_waitcnt vmcnt(0) lgkmcnt(0)
	s_barrier
	buffer_gl0_inv
	ds_load_b128 v[8:11], v19 offset:3072
	v_add_co_u32 v32, s8, v32, s35
	s_delay_alu instid0(VALU_DEP_1)
	v_add_co_ci_u32_e64 v33, s8, 0, v33, s8
	s_waitcnt lgkmcnt(0)
	s_barrier
	buffer_gl0_inv
	v_cmp_ge_u64_e64 s8, v[32:33], v[28:29]
	v_cmp_neq_f64_e32 vcc_lo, 0, v[8:9]
	s_delay_alu instid0(VALU_DEP_2) | instskip(NEXT) | instid1(SALU_CYCLE_1)
	s_or_b32 s8, s8, vcc_lo
	s_and_b32 s8, exec_lo, s8
	s_delay_alu instid0(SALU_CYCLE_1) | instskip(SKIP_2) | instid1(SALU_CYCLE_1)
	s_or_b32 s23, s8, s23
	s_and_not1_b32 s8, s22, exec_lo
	s_and_b32 s22, vcc_lo, exec_lo
	s_or_b32 s22, s8, s22
	s_and_not1_b32 exec_lo, exec_lo, s23
	s_cbranch_execz .LBB186_215
.LBB186_210:                            ;   Parent Loop BB186_18 Depth=1
                                        ; =>  This Inner Loop Header: Depth=2
	s_delay_alu instid0(VALU_DEP_1)
	v_cmp_gt_u64_e32 vcc_lo, s[36:37], v[32:33]
	v_mov_b32_e32 v4, 0
	v_mov_b32_e32 v5, 0
	s_and_saveexec_b32 s26, vcc_lo
	s_cbranch_execz .LBB186_212
; %bb.211:                              ;   in Loop: Header=BB186_210 Depth=2
	v_mul_lo_u32 v2, v33, s30
	v_mul_lo_u32 v8, v32, s31
	v_mad_u64_u32 v[4:5], null, v32, s30, 0
	s_delay_alu instid0(VALU_DEP_1) | instskip(NEXT) | instid1(VALU_DEP_1)
	v_add3_u32 v5, v5, v8, v2
	v_lshlrev_b64 v[4:5], 3, v[4:5]
	s_delay_alu instid0(VALU_DEP_1) | instskip(NEXT) | instid1(VALU_DEP_1)
	v_add_co_u32 v4, s8, s29, v4
	v_add_co_ci_u32_e64 v5, s8, s33, v5, s8
	global_load_b64 v[4:5], v[4:5], off
.LBB186_212:                            ;   in Loop: Header=BB186_210 Depth=2
	s_or_b32 exec_lo, exec_lo, s26
	s_and_saveexec_b32 s8, vcc_lo
	s_cbranch_execz .LBB186_209
; %bb.213:                              ;   in Loop: Header=BB186_210 Depth=2
	s_waitcnt vmcnt(0)
	v_cmp_o_f64_e32 vcc_lo, v[4:5], v[4:5]
	v_ashrrev_i32_e32 v2, 31, v5
	s_delay_alu instid0(VALU_DEP_1) | instskip(SKIP_1) | instid1(VALU_DEP_2)
	v_or_b32_e32 v8, 0x80000000, v2
	v_xor_b32_e32 v2, v2, v4
	v_xor_b32_e32 v8, v8, v5
	s_delay_alu instid0(VALU_DEP_1) | instskip(NEXT) | instid1(VALU_DEP_1)
	v_cndmask_b32_e32 v8, -1, v8, vcc_lo
	v_dual_cndmask_b32 v2, -1, v2 :: v_dual_and_b32 v9, v8, v15
	s_delay_alu instid0(VALU_DEP_1) | instskip(NEXT) | instid1(VALU_DEP_1)
	v_and_b32_e32 v8, v2, v14
	v_cmp_eq_u64_e32 vcc_lo, v[8:9], v[12:13]
	s_and_b32 exec_lo, exec_lo, vcc_lo
	s_cbranch_execz .LBB186_209
; %bb.214:                              ;   in Loop: Header=BB186_210 Depth=2
	v_mov_b32_e32 v2, v19
	ds_store_b128 v19, v[2:5] offset:3072
	s_branch .LBB186_209
.LBB186_215:                            ;   in Loop: Header=BB186_18 Depth=1
	s_or_b32 exec_lo, exec_lo, s23
	s_delay_alu instid0(SALU_CYCLE_1)
	s_and_b32 s8, s22, exec_lo
.LBB186_216:                            ;   in Loop: Header=BB186_18 Depth=1
	s_or_b32 exec_lo, exec_lo, s9
	s_mov_b32 s69, -1
	s_mov_b32 s83, 0
	s_mov_b32 s68, 0
.LBB186_217:                            ;   in Loop: Header=BB186_18 Depth=1
	s_or_not1_b32 s8, s8, exec_lo
.LBB186_218:                            ;   in Loop: Header=BB186_18 Depth=1
	s_or_b32 exec_lo, exec_lo, s60
	s_mov_b32 s26, 0
                                        ; implicit-def: $vgpr2
	s_and_saveexec_b32 s60, s8
	s_cbranch_execz .LBB186_283
; %bb.219:                              ;   in Loop: Header=BB186_18 Depth=1
	v_mov_b32_e32 v28, 1
	v_dual_mov_b32 v29, 0 :: v_dual_mov_b32 v2, 1
	s_xor_b32 s9, s61, -1
	s_delay_alu instid0(SALU_CYCLE_1)
	s_and_saveexec_b32 s8, s9
	s_cbranch_execz .LBB186_229
; %bb.220:                              ;   in Loop: Header=BB186_18 Depth=1
	s_mov_b32 s22, exec_lo
                                        ; implicit-def: $sgpr23
                                        ; implicit-def: $sgpr9
	v_cmpx_ge_u64_e64 s[18:19], v[30:31]
	s_xor_b32 s22, exec_lo, s22
	s_cbranch_execz .LBB186_226
; %bb.221:                              ;   in Loop: Header=BB186_18 Depth=1
	ds_load_b64 v[4:5], v19 offset:5120
	s_waitcnt lgkmcnt(0)
	v_cmp_ne_u64_e32 vcc_lo, 0, v[4:5]
	s_cbranch_vccnz .LBB186_225
; %bb.222:                              ;   in Loop: Header=BB186_18 Depth=1
	s_and_saveexec_b32 s9, s5
	s_cbranch_execz .LBB186_224
; %bb.223:                              ;   in Loop: Header=BB186_18 Depth=1
	v_dual_mov_b32 v4, s18 :: v_dual_mov_b32 v5, s19
	ds_store_b64 v19, v[4:5] offset:5128
.LBB186_224:                            ;   in Loop: Header=BB186_18 Depth=1
	s_or_b32 exec_lo, exec_lo, s9
	s_waitcnt lgkmcnt(0)
	s_barrier
	buffer_gl0_inv
.LBB186_225:                            ;   in Loop: Header=BB186_18 Depth=1
	v_and_b32_e32 v2, s15, v13
	v_and_b32_e32 v4, s14, v12
	s_lshl_b64 s[48:49], 2, s24
	v_or_b32_e32 v15, s13, v15
	v_or_b32_e32 v14, s12, v14
	;; [unrolled: 1-line block ×4, first 2 shown]
	s_mov_b32 s9, 0
	s_mov_b32 s23, 8
.LBB186_226:                            ;   in Loop: Header=BB186_18 Depth=1
	s_or_saveexec_b32 s22, s22
	v_mov_b32_e32 v2, s23
	s_xor_b32 exec_lo, exec_lo, s22
; %bb.227:                              ;   in Loop: Header=BB186_18 Depth=1
	v_sub_co_u32 v30, vcc_lo, v30, s18
	v_subrev_co_ci_u32_e32 v31, vcc_lo, s19, v31, vcc_lo
	v_mov_b32_e32 v2, 0
	s_or_b32 s9, s9, exec_lo
; %bb.228:                              ;   in Loop: Header=BB186_18 Depth=1
	s_or_b32 exec_lo, exec_lo, s22
	s_delay_alu instid0(VALU_DEP_2)
	v_dual_mov_b32 v28, v30 :: v_dual_mov_b32 v29, v31
	s_and_b32 s26, s9, exec_lo
.LBB186_229:                            ;   in Loop: Header=BB186_18 Depth=1
	s_or_b32 exec_lo, exec_lo, s8
	s_mov_b32 s23, -1
                                        ; implicit-def: $sgpr8
                                        ; implicit-def: $sgpr22
                                        ; implicit-def: $sgpr9
	s_and_saveexec_b32 s61, s26
	s_cbranch_execz .LBB186_282
; %bb.230:                              ;   in Loop: Header=BB186_18 Depth=1
	v_cmp_eq_u64_e32 vcc_lo, 1, v[28:29]
	s_cmp_eq_u64 s[20:21], 1
	s_mov_b32 s26, -1
	s_cselect_b32 s8, -1, 0
                                        ; implicit-def: $sgpr22
                                        ; implicit-def: $sgpr9
	s_delay_alu instid0(SALU_CYCLE_1) | instskip(NEXT) | instid1(SALU_CYCLE_1)
	s_and_b32 s62, s8, vcc_lo
                                        ; implicit-def: $sgpr8
	s_and_saveexec_b32 s63, s62
	s_cbranch_execz .LBB186_269
; %bb.231:                              ;   in Loop: Header=BB186_18 Depth=1
	ds_load_b64 v[4:5], v19 offset:5120
	s_waitcnt lgkmcnt(0)
	s_barrier
	buffer_gl0_inv
	v_readfirstlane_b32 s22, v4
	v_readfirstlane_b32 s23, v5
	s_and_saveexec_b32 s8, s6
	s_cbranch_execz .LBB186_233
; %bb.232:                              ;   in Loop: Header=BB186_18 Depth=1
	v_mov_b32_e32 v18, v19
	ds_store_b64 v38, v[18:19]
.LBB186_233:                            ;   in Loop: Header=BB186_18 Depth=1
	s_or_b32 exec_lo, exec_lo, s8
	v_or_b32_e32 v13, s13, v13
	v_or_b32_e32 v12, s12, v12
	;; [unrolled: 1-line block ×4, first 2 shown]
	s_cmp_eq_u64 s[22:23], 0
	s_waitcnt lgkmcnt(0)
	s_barrier
	buffer_gl0_inv
	s_cbranch_scc1 .LBB186_238
; %bb.234:                              ;   in Loop: Header=BB186_18 Depth=1
	s_add_u32 s26, s86, s22
	s_addc_u32 s9, s87, s23
	s_mov_b32 s8, s71
	s_delay_alu instid0(SALU_CYCLE_1)
	s_cmp_lg_u64 s[8:9], 0
	s_cbranch_scc0 .LBB186_239
; %bb.235:                              ;   in Loop: Header=BB186_18 Depth=1
	v_cvt_f32_u32_e32 v2, s35
	s_sub_u32 s49, 0, s35
	s_subb_u32 s50, 0, 0
	s_delay_alu instid0(VALU_DEP_1) | instskip(NEXT) | instid1(VALU_DEP_1)
	v_fmac_f32_e64 v2, 0, 0x4f800000
	v_rcp_f32_e32 v2, v2
	s_waitcnt_depctr 0xfff
	v_mul_f32_e32 v2, 0x5f7ffffc, v2
	s_delay_alu instid0(VALU_DEP_1) | instskip(NEXT) | instid1(VALU_DEP_1)
	v_mul_f32_e32 v4, 0x2f800000, v2
	v_trunc_f32_e32 v4, v4
	s_delay_alu instid0(VALU_DEP_1) | instskip(SKIP_1) | instid1(VALU_DEP_2)
	v_fmac_f32_e32 v2, 0xcf800000, v4
	v_cvt_u32_f32_e32 v4, v4
	v_cvt_u32_f32_e32 v2, v2
	s_delay_alu instid0(VALU_DEP_2) | instskip(NEXT) | instid1(VALU_DEP_2)
	v_readfirstlane_b32 s8, v4
	v_readfirstlane_b32 s48, v2
	s_delay_alu instid0(VALU_DEP_2) | instskip(NEXT) | instid1(VALU_DEP_1)
	s_mul_i32 s51, s49, s8
	s_mul_hi_u32 s52, s49, s48
	s_mul_i32 vcc_lo, s50, s48
	s_add_i32 s51, s52, s51
	s_mul_i32 s53, s49, s48
	s_add_i32 s51, s51, vcc_lo
	s_mul_hi_u32 s52, s48, s53
	s_mul_hi_u32 s55, s48, s51
	s_mul_i32 s48, s48, s51
	s_mul_hi_u32 s54, s8, s53
	s_mul_i32 s53, s8, s53
	s_add_u32 s48, s52, s48
	s_addc_u32 s52, 0, s55
	s_mul_hi_u32 vcc_lo, s8, s51
	s_add_u32 s48, s48, s53
	s_mul_i32 s51, s8, s51
	s_addc_u32 s48, s52, s54
	s_addc_u32 s52, vcc_lo, 0
	s_add_u32 s48, s48, s51
	s_addc_u32 s51, 0, s52
	v_add_co_u32 v2, s48, v2, s48
	s_delay_alu instid0(VALU_DEP_1) | instskip(SKIP_1) | instid1(VALU_DEP_1)
	s_cmp_lg_u32 s48, 0
	s_addc_u32 s8, s8, s51
	v_readfirstlane_b32 s48, v2
	s_mul_i32 s51, s49, s8
	s_delay_alu instid0(VALU_DEP_1)
	s_mul_hi_u32 s52, s49, s48
	s_mul_i32 s50, s50, s48
	s_add_i32 s51, s52, s51
	s_mul_i32 s49, s49, s48
	s_add_i32 s51, s51, s50
	s_mul_hi_u32 s52, s8, s49
	s_mul_i32 s53, s8, s49
	s_mul_hi_u32 s49, s48, s49
	s_mul_hi_u32 s54, s48, s51
	s_mul_i32 s48, s48, s51
	s_mul_hi_u32 s50, s8, s51
	s_add_u32 s48, s49, s48
	s_addc_u32 s49, 0, s54
	s_add_u32 s48, s48, s53
	s_mul_i32 s51, s8, s51
	s_addc_u32 s48, s49, s52
	s_addc_u32 s49, s50, 0
	s_add_u32 s48, s48, s51
	s_addc_u32 s49, 0, s49
	v_add_co_u32 v2, s48, v2, s48
	s_delay_alu instid0(VALU_DEP_1) | instskip(SKIP_1) | instid1(VALU_DEP_1)
	s_cmp_lg_u32 s48, 0
	s_addc_u32 s8, s8, s49
	v_readfirstlane_b32 s48, v2
	s_mul_i32 s50, s26, s8
	s_mul_hi_u32 s49, s26, s8
	s_mul_hi_u32 s51, s9, s8
	s_mul_i32 s8, s9, s8
	s_mul_hi_u32 s52, s26, s48
	s_mul_hi_u32 s53, s9, s48
	s_mul_i32 s48, s9, s48
	s_add_u32 s50, s52, s50
	s_addc_u32 s49, 0, s49
	s_add_u32 s48, s50, s48
	s_addc_u32 s48, s49, s53
	s_addc_u32 s49, s51, 0
	s_add_u32 s8, s48, s8
	s_addc_u32 s48, 0, s49
	s_mul_hi_u32 s49, s35, s8
	s_mul_i32 s8, s35, s8
	s_mul_i32 s48, s35, s48
	v_sub_co_u32 v2, s8, s26, s8
	s_add_i32 s49, s49, s48
	s_cmp_lg_u32 s8, 0
	s_delay_alu instid0(VALU_DEP_1) | instskip(SKIP_3) | instid1(VALU_DEP_2)
	v_sub_co_u32 v4, s8, v2, s35
	s_subb_u32 s48, s9, s49
	s_cmp_lg_u32 s8, 0
	v_cmp_le_u32_e32 vcc_lo, s35, v2
	v_cmp_le_u32_e64 s8, s35, v4
	v_sub_co_u32 v5, s49, v4, s35
	s_subb_u32 s50, s48, 0
	s_cmp_lg_u32 s49, 0
	s_delay_alu instid0(VALU_DEP_2)
	v_cndmask_b32_e64 v8, 0, -1, s8
	s_subb_u32 s49, s50, 0
	s_cmp_eq_u32 s50, 0
	v_cndmask_b32_e64 v9, 0, -1, vcc_lo
	s_cselect_b32 vcc_lo, -1, 0
	s_cmp_eq_u32 s48, 0
	v_cndmask_b32_e32 v8, -1, v8, vcc_lo
	s_cselect_b32 vcc_lo, -1, 0
	v_dual_mov_b32 v10, s49 :: v_dual_cndmask_b32 v9, -1, v9
	s_delay_alu instid0(VALU_DEP_2) | instskip(NEXT) | instid1(VALU_DEP_2)
	v_cmp_ne_u32_e32 vcc_lo, 0, v8
	v_cmp_ne_u32_e64 s8, 0, v9
	s_delay_alu instid0(VALU_DEP_3) | instskip(SKIP_1) | instid1(VALU_DEP_2)
	v_cndmask_b32_e32 v8, s50, v10, vcc_lo
	v_cndmask_b32_e32 v4, v4, v5, vcc_lo
	v_cndmask_b32_e64 v5, s48, v8, s8
	s_delay_alu instid0(VALU_DEP_2)
	v_cndmask_b32_e64 v4, v2, v4, s8
	s_mov_b32 s8, 0
	s_branch .LBB186_240
.LBB186_236:                            ;   in Loop: Header=BB186_18 Depth=1
                                        ; implicit-def: $vgpr4_vgpr5
	s_branch .LBB186_190
.LBB186_237:                            ;   in Loop: Header=BB186_18 Depth=1
                                        ; implicit-def: $vgpr4_vgpr5
	s_branch .LBB186_206
.LBB186_238:                            ;   in Loop: Header=BB186_18 Depth=1
	s_mov_b32 s8, -1
	s_mov_b32 s26, 0
                                        ; implicit-def: $sgpr9
                                        ; implicit-def: $vgpr10_vgpr11
	s_branch .LBB186_252
.LBB186_239:                            ;   in Loop: Header=BB186_18 Depth=1
	s_mov_b32 s8, -1
                                        ; implicit-def: $vgpr4_vgpr5
.LBB186_240:                            ;   in Loop: Header=BB186_18 Depth=1
	s_delay_alu instid0(SALU_CYCLE_1)
	s_and_not1_b32 vcc_lo, exec_lo, s8
	s_cbranch_vccnz .LBB186_242
; %bb.241:                              ;   in Loop: Header=BB186_18 Depth=1
	v_cvt_f32_u32_e32 v2, s35
	s_sub_i32 s8, 0, s35
	s_delay_alu instid0(VALU_DEP_1) | instskip(SKIP_2) | instid1(VALU_DEP_1)
	v_rcp_iflag_f32_e32 v2, v2
	s_waitcnt_depctr 0xfff
	v_mul_f32_e32 v2, 0x4f7ffffe, v2
	v_cvt_u32_f32_e32 v2, v2
	s_delay_alu instid0(VALU_DEP_1) | instskip(NEXT) | instid1(VALU_DEP_1)
	v_mul_lo_u32 v4, s8, v2
	v_mul_hi_u32 v4, v2, v4
	s_delay_alu instid0(VALU_DEP_1) | instskip(NEXT) | instid1(VALU_DEP_1)
	v_add_nc_u32_e32 v2, v2, v4
	v_mul_hi_u32 v2, s26, v2
	s_delay_alu instid0(VALU_DEP_1) | instskip(NEXT) | instid1(VALU_DEP_1)
	v_mul_lo_u32 v2, v2, s35
	v_sub_nc_u32_e32 v2, s26, v2
	s_delay_alu instid0(VALU_DEP_1) | instskip(SKIP_1) | instid1(VALU_DEP_2)
	v_subrev_nc_u32_e32 v4, s35, v2
	v_cmp_le_u32_e32 vcc_lo, s35, v2
	v_cndmask_b32_e32 v2, v2, v4, vcc_lo
	s_delay_alu instid0(VALU_DEP_1) | instskip(SKIP_1) | instid1(VALU_DEP_2)
	v_subrev_nc_u32_e32 v4, s35, v2
	v_cmp_le_u32_e32 vcc_lo, s35, v2
	v_cndmask_b32_e32 v18, v2, v4, vcc_lo
	s_delay_alu instid0(VALU_DEP_1)
	v_dual_mov_b32 v4, v18 :: v_dual_mov_b32 v5, v19
.LBB186_242:                            ;   in Loop: Header=BB186_18 Depth=1
	s_delay_alu instid0(VALU_DEP_1) | instskip(NEXT) | instid1(VALU_DEP_2)
	v_sub_co_u32 v30, vcc_lo, s26, v4
	v_sub_co_ci_u32_e32 v31, vcc_lo, s9, v5, vcc_lo
	s_mov_b32 s26, 0
	s_mov_b32 s9, exec_lo
                                        ; implicit-def: $vgpr10_vgpr11
	s_delay_alu instid0(VALU_DEP_1)
	v_cmpx_gt_u64_e64 v[30:31], v[0:1]
	s_cbranch_execz .LBB186_251
; %bb.243:                              ;   in Loop: Header=BB186_18 Depth=1
	v_mov_b32_e32 v18, v37
	v_dual_mov_b32 v33, v1 :: v_dual_mov_b32 v32, v0
	s_mov_b32 s48, 0
                                        ; implicit-def: $sgpr26
	s_set_inst_prefetch_distance 0x1
	s_branch .LBB186_245
	.p2align	6
.LBB186_244:                            ;   in Loop: Header=BB186_245 Depth=2
	s_or_b32 exec_lo, exec_lo, s8
	s_waitcnt lgkmcnt(0)
	s_barrier
	buffer_gl0_inv
	ds_load_b128 v[8:11], v19 offset:3072
	v_add_co_u32 v32, s8, v32, s35
	s_delay_alu instid0(VALU_DEP_1) | instskip(SKIP_3) | instid1(VALU_DEP_2)
	v_add_co_ci_u32_e64 v33, s8, 0, v33, s8
	v_add_nc_u32_e32 v18, s94, v18
	s_waitcnt lgkmcnt(0)
	s_barrier
	v_cmp_ge_u64_e64 s8, v[32:33], v[30:31]
	buffer_gl0_inv
	v_cmp_neq_f64_e32 vcc_lo, 0, v[8:9]
	s_or_b32 s8, s8, vcc_lo
	s_delay_alu instid0(SALU_CYCLE_1) | instskip(NEXT) | instid1(SALU_CYCLE_1)
	s_and_b32 s8, exec_lo, s8
	s_or_b32 s48, s8, s48
	s_and_not1_b32 s8, s26, exec_lo
	s_and_b32 s26, vcc_lo, exec_lo
	s_delay_alu instid0(SALU_CYCLE_1)
	s_or_b32 s26, s8, s26
	s_and_not1_b32 exec_lo, exec_lo, s48
	s_cbranch_execz .LBB186_250
.LBB186_245:                            ;   Parent Loop BB186_18 Depth=1
                                        ; =>  This Inner Loop Header: Depth=2
	s_delay_alu instid0(VALU_DEP_1)
	v_cmp_gt_u64_e32 vcc_lo, s[22:23], v[32:33]
	v_mov_b32_e32 v4, 0
	v_mov_b32_e32 v5, 0
	s_and_saveexec_b32 s8, vcc_lo
	s_cbranch_execz .LBB186_247
; %bb.246:                              ;   in Loop: Header=BB186_245 Depth=2
	ds_load_b64 v[4:5], v18
.LBB186_247:                            ;   in Loop: Header=BB186_245 Depth=2
	s_or_b32 exec_lo, exec_lo, s8
	s_and_saveexec_b32 s8, vcc_lo
	s_cbranch_execz .LBB186_244
; %bb.248:                              ;   in Loop: Header=BB186_245 Depth=2
	s_waitcnt lgkmcnt(0)
	v_cmp_o_f64_e32 vcc_lo, v[4:5], v[4:5]
	v_ashrrev_i32_e32 v2, 31, v5
	s_delay_alu instid0(VALU_DEP_1) | instskip(SKIP_1) | instid1(VALU_DEP_2)
	v_or_b32_e32 v8, 0x80000000, v2
	v_xor_b32_e32 v2, v2, v4
	v_xor_b32_e32 v8, v8, v5
	s_delay_alu instid0(VALU_DEP_1) | instskip(NEXT) | instid1(VALU_DEP_1)
	v_cndmask_b32_e32 v8, -1, v8, vcc_lo
	v_dual_cndmask_b32 v2, -1, v2 :: v_dual_and_b32 v9, v8, v15
	s_delay_alu instid0(VALU_DEP_1) | instskip(NEXT) | instid1(VALU_DEP_1)
	v_and_b32_e32 v8, v2, v14
	v_cmp_eq_u64_e32 vcc_lo, v[8:9], v[12:13]
	s_and_b32 exec_lo, exec_lo, vcc_lo
	s_cbranch_execz .LBB186_244
; %bb.249:                              ;   in Loop: Header=BB186_245 Depth=2
	v_mov_b32_e32 v2, v19
	ds_store_b128 v19, v[2:5] offset:3072
	s_branch .LBB186_244
.LBB186_250:                            ;   in Loop: Header=BB186_18 Depth=1
	s_set_inst_prefetch_distance 0x2
	s_or_b32 exec_lo, exec_lo, s48
	s_delay_alu instid0(SALU_CYCLE_1)
	s_and_b32 s26, s26, exec_lo
.LBB186_251:                            ;   in Loop: Header=BB186_18 Depth=1
	s_or_b32 exec_lo, exec_lo, s9
	s_mov_b32 s9, -1
	s_mov_b32 s8, 0
.LBB186_252:                            ;   in Loop: Header=BB186_18 Depth=1
	s_delay_alu instid0(SALU_CYCLE_1)
	s_and_b32 vcc_lo, exec_lo, s8
	s_mov_b32 s22, s8
	s_cbranch_vccz .LBB186_268
; %bb.253:                              ;   in Loop: Header=BB186_18 Depth=1
	s_mov_b32 s26, s71
	s_delay_alu instid0(SALU_CYCLE_1)
	s_cmp_lg_u64 s[26:27], 0
	s_cbranch_scc0 .LBB186_255
; %bb.254:                              ;   in Loop: Header=BB186_18 Depth=1
	v_cvt_f32_u32_e32 v2, s35
	s_sub_u32 s22, 0, s35
	s_subb_u32 s23, 0, 0
	s_delay_alu instid0(VALU_DEP_1) | instskip(NEXT) | instid1(VALU_DEP_1)
	v_fmac_f32_e64 v2, 0, 0x4f800000
	v_rcp_f32_e32 v2, v2
	s_waitcnt_depctr 0xfff
	v_mul_f32_e32 v2, 0x5f7ffffc, v2
	s_delay_alu instid0(VALU_DEP_1) | instskip(NEXT) | instid1(VALU_DEP_1)
	v_mul_f32_e32 v4, 0x2f800000, v2
	v_trunc_f32_e32 v4, v4
	s_delay_alu instid0(VALU_DEP_1) | instskip(SKIP_1) | instid1(VALU_DEP_2)
	v_fmac_f32_e32 v2, 0xcf800000, v4
	v_cvt_u32_f32_e32 v4, v4
	v_cvt_u32_f32_e32 v2, v2
	s_delay_alu instid0(VALU_DEP_2) | instskip(NEXT) | instid1(VALU_DEP_2)
	v_readfirstlane_b32 s8, v4
	v_readfirstlane_b32 s9, v2
	s_delay_alu instid0(VALU_DEP_2) | instskip(NEXT) | instid1(VALU_DEP_1)
	s_mul_i32 s26, s22, s8
	s_mul_hi_u32 s49, s22, s9
	s_mul_i32 s48, s23, s9
	s_add_i32 s26, s49, s26
	s_mul_i32 s50, s22, s9
	s_add_i32 s26, s26, s48
	s_mul_hi_u32 s49, s9, s50
	s_mul_hi_u32 s51, s8, s50
	s_mul_i32 s48, s8, s50
	s_mul_hi_u32 s50, s9, s26
	s_mul_i32 s9, s9, s26
	s_mul_hi_u32 s52, s8, s26
	s_add_u32 s9, s49, s9
	s_addc_u32 s49, 0, s50
	s_add_u32 s9, s9, s48
	s_mul_i32 s26, s8, s26
	s_addc_u32 s9, s49, s51
	s_addc_u32 s48, s52, 0
	s_add_u32 s9, s9, s26
	s_addc_u32 s26, 0, s48
	v_add_co_u32 v2, s9, v2, s9
	s_delay_alu instid0(VALU_DEP_1) | instskip(SKIP_1) | instid1(VALU_DEP_1)
	s_cmp_lg_u32 s9, 0
	s_addc_u32 s8, s8, s26
	v_readfirstlane_b32 s9, v2
	s_mul_i32 s26, s22, s8
	s_delay_alu instid0(VALU_DEP_1)
	s_mul_hi_u32 s48, s22, s9
	s_mul_i32 s23, s23, s9
	s_add_i32 s26, s48, s26
	s_mul_i32 s22, s22, s9
	s_add_i32 s26, s26, s23
	s_mul_hi_u32 s48, s8, s22
	s_mul_i32 s49, s8, s22
	s_mul_hi_u32 s22, s9, s22
	s_mul_hi_u32 s50, s9, s26
	s_mul_i32 s9, s9, s26
	s_mul_hi_u32 s23, s8, s26
	s_add_u32 s9, s22, s9
	s_addc_u32 s22, 0, s50
	s_add_u32 s9, s9, s49
	s_mul_i32 s26, s8, s26
	s_addc_u32 s9, s22, s48
	s_addc_u32 s22, s23, 0
	s_add_u32 s9, s9, s26
	s_addc_u32 s22, 0, s22
	v_add_co_u32 v2, s9, v2, s9
	s_delay_alu instid0(VALU_DEP_1) | instskip(SKIP_1) | instid1(VALU_DEP_1)
	s_cmp_lg_u32 s9, 0
	s_addc_u32 s8, s8, s22
	v_readfirstlane_b32 s9, v2
	s_mul_i32 s23, s88, s8
	s_mul_hi_u32 s22, s88, s8
	s_mul_hi_u32 s26, s27, s8
	s_mul_i32 s8, s27, s8
	s_mul_hi_u32 s48, s88, s9
	s_mul_hi_u32 s49, s27, s9
	s_mul_i32 s9, s27, s9
	s_add_u32 s23, s48, s23
	s_addc_u32 s22, 0, s22
	s_add_u32 s9, s23, s9
	s_addc_u32 s9, s22, s49
	s_addc_u32 s22, s26, 0
	s_add_u32 s8, s9, s8
	s_addc_u32 s9, 0, s22
	s_mul_hi_u32 s22, s35, s8
	s_mul_i32 s8, s35, s8
	s_mul_i32 s9, s35, s9
	v_sub_co_u32 v2, s8, s88, s8
	s_add_i32 s22, s22, s9
	s_cmp_lg_u32 s8, 0
	s_delay_alu instid0(VALU_DEP_1) | instskip(SKIP_3) | instid1(VALU_DEP_2)
	v_sub_co_u32 v4, s8, v2, s35
	s_subb_u32 s9, s27, s22
	s_cmp_lg_u32 s8, 0
	v_cmp_le_u32_e32 vcc_lo, s35, v2
	v_cmp_le_u32_e64 s8, s35, v4
	v_sub_co_u32 v5, s22, v4, s35
	s_subb_u32 s23, s9, 0
	s_cmp_lg_u32 s22, 0
	s_delay_alu instid0(VALU_DEP_2)
	v_cndmask_b32_e64 v8, 0, -1, s8
	s_subb_u32 s22, s23, 0
	s_cmp_eq_u32 s23, 0
	v_cndmask_b32_e64 v9, 0, -1, vcc_lo
	s_cselect_b32 vcc_lo, -1, 0
	s_cmp_eq_u32 s9, 0
	v_cndmask_b32_e32 v8, -1, v8, vcc_lo
	s_cselect_b32 vcc_lo, -1, 0
	v_dual_mov_b32 v10, s22 :: v_dual_cndmask_b32 v9, -1, v9
	s_delay_alu instid0(VALU_DEP_2) | instskip(NEXT) | instid1(VALU_DEP_2)
	v_cmp_ne_u32_e32 vcc_lo, 0, v8
	v_cmp_ne_u32_e64 s8, 0, v9
	s_delay_alu instid0(VALU_DEP_3) | instskip(SKIP_1) | instid1(VALU_DEP_2)
	v_cndmask_b32_e32 v8, s23, v10, vcc_lo
	v_cndmask_b32_e32 v4, v4, v5, vcc_lo
	v_cndmask_b32_e64 v5, s9, v8, s8
	s_delay_alu instid0(VALU_DEP_2)
	v_cndmask_b32_e64 v4, v2, v4, s8
	s_mov_b32 s8, 0
	s_branch .LBB186_256
.LBB186_255:                            ;   in Loop: Header=BB186_18 Depth=1
	s_mov_b32 s8, -1
                                        ; implicit-def: $vgpr4_vgpr5
.LBB186_256:                            ;   in Loop: Header=BB186_18 Depth=1
	s_delay_alu instid0(SALU_CYCLE_1)
	s_and_not1_b32 vcc_lo, exec_lo, s8
	s_cbranch_vccnz .LBB186_258
; %bb.257:                              ;   in Loop: Header=BB186_18 Depth=1
	v_cvt_f32_u32_e32 v2, s35
	s_sub_i32 s8, 0, s35
	s_delay_alu instid0(VALU_DEP_1) | instskip(SKIP_2) | instid1(VALU_DEP_1)
	v_rcp_iflag_f32_e32 v2, v2
	s_waitcnt_depctr 0xfff
	v_mul_f32_e32 v2, 0x4f7ffffe, v2
	v_cvt_u32_f32_e32 v2, v2
	s_delay_alu instid0(VALU_DEP_1) | instskip(NEXT) | instid1(VALU_DEP_1)
	v_mul_lo_u32 v4, s8, v2
	v_mul_hi_u32 v4, v2, v4
	s_delay_alu instid0(VALU_DEP_1) | instskip(NEXT) | instid1(VALU_DEP_1)
	v_add_nc_u32_e32 v2, v2, v4
	v_mul_hi_u32 v2, s88, v2
	s_delay_alu instid0(VALU_DEP_1) | instskip(NEXT) | instid1(VALU_DEP_1)
	v_mul_lo_u32 v2, v2, s35
	v_sub_nc_u32_e32 v2, s88, v2
	s_delay_alu instid0(VALU_DEP_1) | instskip(SKIP_1) | instid1(VALU_DEP_2)
	v_subrev_nc_u32_e32 v4, s35, v2
	v_cmp_le_u32_e32 vcc_lo, s35, v2
	v_cndmask_b32_e32 v2, v2, v4, vcc_lo
	s_delay_alu instid0(VALU_DEP_1) | instskip(SKIP_1) | instid1(VALU_DEP_2)
	v_subrev_nc_u32_e32 v4, s35, v2
	v_cmp_le_u32_e32 vcc_lo, s35, v2
	v_cndmask_b32_e32 v18, v2, v4, vcc_lo
	s_delay_alu instid0(VALU_DEP_1)
	v_dual_mov_b32 v4, v18 :: v_dual_mov_b32 v5, v19
.LBB186_258:                            ;   in Loop: Header=BB186_18 Depth=1
	s_delay_alu instid0(VALU_DEP_1) | instskip(NEXT) | instid1(VALU_DEP_2)
	v_sub_co_u32 v30, vcc_lo, s88, v4
	v_sub_co_ci_u32_e32 v31, vcc_lo, s27, v5, vcc_lo
	s_mov_b32 s26, 0
	s_mov_b32 s9, exec_lo
                                        ; implicit-def: $vgpr10_vgpr11
	s_delay_alu instid0(VALU_DEP_1)
	v_cmpx_gt_u64_e64 v[30:31], v[0:1]
	s_cbranch_execz .LBB186_267
; %bb.259:                              ;   in Loop: Header=BB186_18 Depth=1
	v_dual_mov_b32 v33, v1 :: v_dual_mov_b32 v32, v0
	s_mov_b32 s23, 0
                                        ; implicit-def: $sgpr22
	s_branch .LBB186_261
.LBB186_260:                            ;   in Loop: Header=BB186_261 Depth=2
	s_or_b32 exec_lo, exec_lo, s8
	s_waitcnt vmcnt(0) lgkmcnt(0)
	s_barrier
	buffer_gl0_inv
	ds_load_b128 v[8:11], v19 offset:3072
	v_add_co_u32 v32, s8, v32, s35
	s_delay_alu instid0(VALU_DEP_1)
	v_add_co_ci_u32_e64 v33, s8, 0, v33, s8
	s_waitcnt lgkmcnt(0)
	s_barrier
	buffer_gl0_inv
	v_cmp_ge_u64_e64 s8, v[32:33], v[30:31]
	v_cmp_neq_f64_e32 vcc_lo, 0, v[8:9]
	s_delay_alu instid0(VALU_DEP_2) | instskip(NEXT) | instid1(SALU_CYCLE_1)
	s_or_b32 s8, s8, vcc_lo
	s_and_b32 s8, exec_lo, s8
	s_delay_alu instid0(SALU_CYCLE_1) | instskip(SKIP_2) | instid1(SALU_CYCLE_1)
	s_or_b32 s23, s8, s23
	s_and_not1_b32 s8, s22, exec_lo
	s_and_b32 s22, vcc_lo, exec_lo
	s_or_b32 s22, s8, s22
	s_and_not1_b32 exec_lo, exec_lo, s23
	s_cbranch_execz .LBB186_266
.LBB186_261:                            ;   Parent Loop BB186_18 Depth=1
                                        ; =>  This Inner Loop Header: Depth=2
	s_delay_alu instid0(VALU_DEP_1)
	v_cmp_gt_u64_e32 vcc_lo, s[36:37], v[32:33]
	v_mov_b32_e32 v4, 0
	v_mov_b32_e32 v5, 0
	s_and_saveexec_b32 s26, vcc_lo
	s_cbranch_execz .LBB186_263
; %bb.262:                              ;   in Loop: Header=BB186_261 Depth=2
	v_mul_lo_u32 v2, v33, s30
	v_mul_lo_u32 v8, v32, s31
	v_mad_u64_u32 v[4:5], null, v32, s30, 0
	s_delay_alu instid0(VALU_DEP_1) | instskip(NEXT) | instid1(VALU_DEP_1)
	v_add3_u32 v5, v5, v8, v2
	v_lshlrev_b64 v[4:5], 3, v[4:5]
	s_delay_alu instid0(VALU_DEP_1) | instskip(NEXT) | instid1(VALU_DEP_1)
	v_add_co_u32 v4, s8, s29, v4
	v_add_co_ci_u32_e64 v5, s8, s33, v5, s8
	global_load_b64 v[4:5], v[4:5], off
.LBB186_263:                            ;   in Loop: Header=BB186_261 Depth=2
	s_or_b32 exec_lo, exec_lo, s26
	s_and_saveexec_b32 s8, vcc_lo
	s_cbranch_execz .LBB186_260
; %bb.264:                              ;   in Loop: Header=BB186_261 Depth=2
	s_waitcnt vmcnt(0)
	v_cmp_o_f64_e32 vcc_lo, v[4:5], v[4:5]
	v_ashrrev_i32_e32 v2, 31, v5
	s_delay_alu instid0(VALU_DEP_1) | instskip(SKIP_1) | instid1(VALU_DEP_2)
	v_or_b32_e32 v8, 0x80000000, v2
	v_xor_b32_e32 v2, v2, v4
	v_xor_b32_e32 v8, v8, v5
	s_delay_alu instid0(VALU_DEP_1) | instskip(NEXT) | instid1(VALU_DEP_1)
	v_cndmask_b32_e32 v8, -1, v8, vcc_lo
	v_dual_cndmask_b32 v2, -1, v2 :: v_dual_and_b32 v9, v8, v15
	s_delay_alu instid0(VALU_DEP_1) | instskip(NEXT) | instid1(VALU_DEP_1)
	v_and_b32_e32 v8, v2, v14
	v_cmp_eq_u64_e32 vcc_lo, v[8:9], v[12:13]
	s_and_b32 exec_lo, exec_lo, vcc_lo
	s_cbranch_execz .LBB186_260
; %bb.265:                              ;   in Loop: Header=BB186_261 Depth=2
	v_mov_b32_e32 v2, v19
	ds_store_b128 v19, v[2:5] offset:3072
	s_branch .LBB186_260
.LBB186_266:                            ;   in Loop: Header=BB186_18 Depth=1
	s_or_b32 exec_lo, exec_lo, s23
	s_delay_alu instid0(SALU_CYCLE_1)
	s_and_b32 s26, s22, exec_lo
.LBB186_267:                            ;   in Loop: Header=BB186_18 Depth=1
	s_or_b32 exec_lo, exec_lo, s9
	s_mov_b32 s22, -1
	s_mov_b32 s8, 0
	s_mov_b32 s9, 0
.LBB186_268:                            ;   in Loop: Header=BB186_18 Depth=1
	s_or_not1_b32 s26, s26, exec_lo
.LBB186_269:                            ;   in Loop: Header=BB186_18 Depth=1
	s_or_b32 exec_lo, exec_lo, s63
	s_mov_b32 s48, 0
                                        ; implicit-def: $vgpr2
                                        ; implicit-def: $vgpr4_vgpr5
	s_and_saveexec_b32 s23, s26
	s_cbranch_execz .LBB186_281
; %bb.270:                              ;   in Loop: Header=BB186_18 Depth=1
	v_mov_b32_e32 v4, 1
	v_dual_mov_b32 v5, 0 :: v_dual_mov_b32 v2, 1
	s_xor_b32 s48, s62, -1
	s_delay_alu instid0(SALU_CYCLE_1)
	s_and_saveexec_b32 s26, s48
	s_cbranch_execz .LBB186_280
; %bb.271:                              ;   in Loop: Header=BB186_18 Depth=1
	s_mov_b32 s48, exec_lo
                                        ; implicit-def: $sgpr49
	v_cmpx_ge_u64_e64 s[20:21], v[28:29]
	s_xor_b32 s48, exec_lo, s48
	s_cbranch_execz .LBB186_277
; %bb.272:                              ;   in Loop: Header=BB186_18 Depth=1
	ds_load_b64 v[4:5], v19 offset:5120
	s_waitcnt lgkmcnt(0)
	v_cmp_ne_u64_e32 vcc_lo, 0, v[4:5]
	s_cbranch_vccnz .LBB186_276
; %bb.273:                              ;   in Loop: Header=BB186_18 Depth=1
	s_and_saveexec_b32 s49, s5
	s_cbranch_execz .LBB186_275
; %bb.274:                              ;   in Loop: Header=BB186_18 Depth=1
	v_dual_mov_b32 v4, s20 :: v_dual_mov_b32 v5, s21
	ds_store_b64 v19, v[4:5] offset:5128
.LBB186_275:                            ;   in Loop: Header=BB186_18 Depth=1
	s_or_b32 exec_lo, exec_lo, s49
	s_waitcnt lgkmcnt(0)
	s_barrier
	buffer_gl0_inv
.LBB186_276:                            ;   in Loop: Header=BB186_18 Depth=1
	v_or_b32_e32 v13, s13, v13
	v_or_b32_e32 v12, s12, v12
	;; [unrolled: 1-line block ×4, first 2 shown]
	s_mov_b32 s49, 8
.LBB186_277:                            ;   in Loop: Header=BB186_18 Depth=1
	s_or_saveexec_b32 s48, s48
	v_mov_b32_e32 v2, s49
	s_xor_b32 exec_lo, exec_lo, s48
; %bb.278:                              ;   in Loop: Header=BB186_18 Depth=1
	v_sub_co_u32 v28, vcc_lo, v28, s20
	v_subrev_co_ci_u32_e32 v29, vcc_lo, s21, v29, vcc_lo
	v_mov_b32_e32 v2, 8
; %bb.279:                              ;   in Loop: Header=BB186_18 Depth=1
	s_or_b32 exec_lo, exec_lo, s48
	s_delay_alu instid0(VALU_DEP_2)
	v_dual_mov_b32 v4, v28 :: v_dual_mov_b32 v5, v29
.LBB186_280:                            ;   in Loop: Header=BB186_18 Depth=1
	s_or_b32 exec_lo, exec_lo, s26
	s_delay_alu instid0(SALU_CYCLE_1)
	s_mov_b32 s48, exec_lo
.LBB186_281:                            ;   in Loop: Header=BB186_18 Depth=1
	s_or_b32 exec_lo, exec_lo, s23
	s_delay_alu instid0(VALU_DEP_1)
	v_dual_mov_b32 v29, v5 :: v_dual_mov_b32 v28, v4
	s_or_not1_b32 s23, s48, exec_lo
.LBB186_282:                            ;   in Loop: Header=BB186_18 Depth=1
	s_or_b32 exec_lo, exec_lo, s61
	s_delay_alu instid0(SALU_CYCLE_1)
	s_and_not1_b32 s26, s83, exec_lo
	s_and_b32 s8, s8, exec_lo
	v_dual_mov_b32 v31, v29 :: v_dual_mov_b32 v30, v28
	s_or_b32 s83, s26, s8
	s_and_not1_b32 s8, s69, exec_lo
	s_and_b32 s22, s22, exec_lo
	s_and_not1_b32 s26, s68, exec_lo
	s_and_b32 s9, s9, exec_lo
	s_or_b32 s69, s8, s22
	s_or_b32 s68, s26, s9
	s_and_b32 s26, s23, exec_lo
.LBB186_283:                            ;   in Loop: Header=BB186_18 Depth=1
	s_or_b32 exec_lo, exec_lo, s60
	s_delay_alu instid0(SALU_CYCLE_1)
	s_and_b32 s23, s83, exec_lo
	s_and_b32 s22, s69, exec_lo
	;; [unrolled: 1-line block ×3, first 2 shown]
	s_or_not1_b32 s8, s26, exec_lo
.LBB186_284:                            ;   in Loop: Header=BB186_18 Depth=1
	s_or_b32 exec_lo, exec_lo, s82
	s_delay_alu instid0(SALU_CYCLE_1)
	s_and_not1_b32 s26, s74, exec_lo
	s_and_b32 s23, s23, exec_lo
	v_dual_mov_b32 v28, v30 :: v_dual_mov_b32 v29, v31
	s_or_b32 s74, s26, s23
	s_and_not1_b32 s23, s80, exec_lo
	s_and_b32 s22, s22, exec_lo
	s_and_not1_b32 s26, s79, exec_lo
	s_and_b32 s9, s9, exec_lo
	s_or_b32 s80, s23, s22
	s_or_b32 s79, s26, s9
	s_and_b32 s26, s8, exec_lo
.LBB186_285:                            ;   in Loop: Header=BB186_18 Depth=1
	s_or_b32 exec_lo, exec_lo, s81
	s_delay_alu instid0(SALU_CYCLE_1)
	s_and_b32 s23, s74, exec_lo
	s_and_b32 s22, s80, exec_lo
	;; [unrolled: 1-line block ×3, first 2 shown]
	s_or_not1_b32 s48, s26, exec_lo
.LBB186_286:                            ;   in Loop: Header=BB186_18 Depth=1
	s_or_b32 exec_lo, exec_lo, s70
	s_mov_b32 s8, 0
	s_mov_b32 s26, 0
	s_and_saveexec_b32 s49, s48
	s_delay_alu instid0(SALU_CYCLE_1)
	s_xor_b32 s48, exec_lo, s49
; %bb.287:                              ;   in Loop: Header=BB186_18 Depth=1
	v_cmp_ne_u32_e32 vcc_lo, 8, v2
	v_cmp_eq_u32_e64 s8, 8, v2
	s_and_not1_b32 s23, s23, exec_lo
	s_and_not1_b32 s22, s22, exec_lo
	;; [unrolled: 1-line block ×3, first 2 shown]
	s_and_b32 s26, vcc_lo, exec_lo
	s_and_b32 s8, s8, exec_lo
; %bb.288:                              ;   in Loop: Header=BB186_18 Depth=1
	s_or_b32 exec_lo, exec_lo, s48
	s_delay_alu instid0(SALU_CYCLE_1)
	s_and_not1_b32 s25, s25, exec_lo
	s_and_b32 s23, s23, exec_lo
	s_and_b32 s22, s22, exec_lo
	s_or_b32 s25, s25, s23
	s_and_not1_b32 s23, s76, exec_lo
	s_and_not1_b32 s48, s75, exec_lo
	s_and_b32 s9, s9, exec_lo
	s_or_b32 s76, s23, s22
	s_or_b32 s75, s48, s9
	s_and_b32 s70, s26, exec_lo
	s_and_b32 s74, s8, exec_lo
.LBB186_289:                            ;   in Loop: Header=BB186_18 Depth=1
	s_or_b32 exec_lo, exec_lo, s78
	s_delay_alu instid0(SALU_CYCLE_1)
	s_and_b32 vcc_lo, exec_lo, s77
	s_cbranch_vccz .LBB186_108
.LBB186_290:                            ;   in Loop: Header=BB186_18 Depth=1
	s_delay_alu instid0(VALU_DEP_1) | instskip(SKIP_1) | instid1(SALU_CYCLE_1)
	s_cmp_eq_u64 s[20:21], 1
                                        ; implicit-def: $sgpr22
                                        ; implicit-def: $sgpr23
                                        ; implicit-def: $sgpr25
	s_cselect_b32 s8, -1, 0
	s_and_b32 s60, s8, s7
	s_mov_b32 s7, -1
	s_and_saveexec_b32 s61, s60
	s_cbranch_execz .LBB186_322
; %bb.291:                              ;   in Loop: Header=BB186_18 Depth=1
	ds_load_b64 v[4:5], v19 offset:5120
	s_waitcnt lgkmcnt(0)
	s_barrier
	buffer_gl0_inv
	v_readfirstlane_b32 s8, v4
	v_readfirstlane_b32 s9, v5
	s_and_saveexec_b32 s7, s6
	s_cbranch_execz .LBB186_293
; %bb.292:                              ;   in Loop: Header=BB186_18 Depth=1
	v_mov_b32_e32 v18, v19
	ds_store_b64 v38, v[18:19]
.LBB186_293:                            ;   in Loop: Header=BB186_18 Depth=1
	s_or_b32 exec_lo, exec_lo, s7
	v_or_b32_e32 v25, s13, v25
	v_or_b32_e32 v24, s12, v24
	v_or_b32_e32 v23, s13, v23
	v_or_b32_e32 v22, s12, v22
	s_cmp_eq_u64 s[8:9], 0
	s_waitcnt lgkmcnt(0)
	s_barrier
	buffer_gl0_inv
	s_cbranch_scc1 .LBB186_305
; %bb.294:                              ;   in Loop: Header=BB186_18 Depth=1
	s_add_u32 s25, s86, s8
	s_addc_u32 s23, s87, s9
	s_mov_b32 s22, s71
	s_delay_alu instid0(SALU_CYCLE_1)
	s_cmp_lg_u64 s[22:23], 0
	s_cbranch_scc0 .LBB186_349
; %bb.295:                              ;   in Loop: Header=BB186_18 Depth=1
	v_cvt_f32_u32_e32 v2, s35
	s_sub_u32 s26, 0, s35
	s_subb_u32 s48, 0, 0
	s_delay_alu instid0(VALU_DEP_1) | instskip(NEXT) | instid1(VALU_DEP_1)
	v_fmac_f32_e64 v2, 0, 0x4f800000
	v_rcp_f32_e32 v2, v2
	s_waitcnt_depctr 0xfff
	v_mul_f32_e32 v2, 0x5f7ffffc, v2
	s_delay_alu instid0(VALU_DEP_1) | instskip(NEXT) | instid1(VALU_DEP_1)
	v_mul_f32_e32 v4, 0x2f800000, v2
	v_trunc_f32_e32 v4, v4
	s_delay_alu instid0(VALU_DEP_1) | instskip(SKIP_1) | instid1(VALU_DEP_2)
	v_fmac_f32_e32 v2, 0xcf800000, v4
	v_cvt_u32_f32_e32 v4, v4
	v_cvt_u32_f32_e32 v2, v2
	s_delay_alu instid0(VALU_DEP_2) | instskip(NEXT) | instid1(VALU_DEP_2)
	v_readfirstlane_b32 s7, v4
	v_readfirstlane_b32 s22, v2
	s_delay_alu instid0(VALU_DEP_2) | instskip(NEXT) | instid1(VALU_DEP_1)
	s_mul_i32 s49, s26, s7
	s_mul_hi_u32 s51, s26, s22
	s_mul_i32 s50, s48, s22
	s_add_i32 s49, s51, s49
	s_mul_i32 s62, s26, s22
	s_add_i32 s49, s49, s50
	s_mul_hi_u32 s51, s22, s62
	s_mul_hi_u32 s63, s7, s62
	s_mul_i32 s50, s7, s62
	s_mul_hi_u32 s62, s22, s49
	s_mul_i32 s22, s22, s49
	s_mul_hi_u32 s68, s7, s49
	s_add_u32 s22, s51, s22
	s_addc_u32 s51, 0, s62
	s_add_u32 s22, s22, s50
	s_mul_i32 s49, s7, s49
	s_addc_u32 s22, s51, s63
	s_addc_u32 s50, s68, 0
	s_add_u32 s22, s22, s49
	s_addc_u32 s49, 0, s50
	v_add_co_u32 v2, s22, v2, s22
	s_delay_alu instid0(VALU_DEP_1) | instskip(SKIP_1) | instid1(VALU_DEP_1)
	s_cmp_lg_u32 s22, 0
	s_addc_u32 s7, s7, s49
	v_readfirstlane_b32 s22, v2
	s_mul_i32 s49, s26, s7
	s_delay_alu instid0(VALU_DEP_1)
	s_mul_hi_u32 s50, s26, s22
	s_mul_i32 s48, s48, s22
	s_add_i32 s49, s50, s49
	s_mul_i32 s26, s26, s22
	s_add_i32 s49, s49, s48
	s_mul_hi_u32 s50, s7, s26
	s_mul_i32 s51, s7, s26
	s_mul_hi_u32 s26, s22, s26
	s_mul_hi_u32 s62, s22, s49
	s_mul_i32 s22, s22, s49
	s_mul_hi_u32 s48, s7, s49
	s_add_u32 s22, s26, s22
	s_addc_u32 s26, 0, s62
	s_add_u32 s22, s22, s51
	s_mul_i32 s49, s7, s49
	s_addc_u32 s22, s26, s50
	s_addc_u32 s26, s48, 0
	s_add_u32 s22, s22, s49
	s_addc_u32 s26, 0, s26
	v_add_co_u32 v2, s22, v2, s22
	s_delay_alu instid0(VALU_DEP_1) | instskip(SKIP_1) | instid1(VALU_DEP_1)
	s_cmp_lg_u32 s22, 0
	s_addc_u32 s7, s7, s26
	v_readfirstlane_b32 s22, v2
	s_mul_i32 s48, s25, s7
	s_mul_hi_u32 s26, s25, s7
	s_mul_hi_u32 s49, s23, s7
	s_mul_i32 s7, s23, s7
	s_mul_hi_u32 s50, s25, s22
	s_mul_hi_u32 s51, s23, s22
	s_mul_i32 s22, s23, s22
	s_add_u32 s48, s50, s48
	s_addc_u32 s26, 0, s26
	s_add_u32 s22, s48, s22
	s_addc_u32 s22, s26, s51
	s_addc_u32 s26, s49, 0
	s_add_u32 s7, s22, s7
	s_addc_u32 s22, 0, s26
	s_mul_hi_u32 s26, s35, s7
	s_mul_i32 s7, s35, s7
	s_mul_i32 s22, s35, s22
	v_sub_co_u32 v2, s7, s25, s7
	s_add_i32 s26, s26, s22
	s_cmp_lg_u32 s7, 0
	s_delay_alu instid0(VALU_DEP_1) | instskip(SKIP_3) | instid1(VALU_DEP_2)
	v_sub_co_u32 v4, s7, v2, s35
	s_subb_u32 s22, s23, s26
	s_cmp_lg_u32 s7, 0
	v_cmp_le_u32_e32 vcc_lo, s35, v2
	v_cmp_le_u32_e64 s7, s35, v4
	v_sub_co_u32 v5, s26, v4, s35
	s_subb_u32 s48, s22, 0
	s_cmp_lg_u32 s26, 0
	s_delay_alu instid0(VALU_DEP_2)
	v_cndmask_b32_e64 v6, 0, -1, s7
	s_subb_u32 s26, s48, 0
	s_cmp_eq_u32 s48, 0
	v_cndmask_b32_e64 v7, 0, -1, vcc_lo
	s_cselect_b32 vcc_lo, -1, 0
	s_cmp_eq_u32 s22, 0
	v_cndmask_b32_e32 v6, -1, v6, vcc_lo
	s_cselect_b32 vcc_lo, -1, 0
	v_dual_mov_b32 v8, s26 :: v_dual_cndmask_b32 v7, -1, v7
	s_delay_alu instid0(VALU_DEP_2) | instskip(NEXT) | instid1(VALU_DEP_2)
	v_cmp_ne_u32_e32 vcc_lo, 0, v6
	v_cmp_ne_u32_e64 s7, 0, v7
	s_delay_alu instid0(VALU_DEP_3) | instskip(SKIP_1) | instid1(VALU_DEP_2)
	v_cndmask_b32_e32 v6, s48, v8, vcc_lo
	v_cndmask_b32_e32 v4, v4, v5, vcc_lo
	v_cndmask_b32_e64 v5, s22, v6, s7
	s_delay_alu instid0(VALU_DEP_2)
	v_cndmask_b32_e64 v4, v2, v4, s7
	s_cbranch_execnz .LBB186_297
.LBB186_296:                            ;   in Loop: Header=BB186_18 Depth=1
	v_cvt_f32_u32_e32 v2, s35
	s_sub_i32 s7, 0, s35
	s_delay_alu instid0(VALU_DEP_1) | instskip(SKIP_2) | instid1(VALU_DEP_1)
	v_rcp_iflag_f32_e32 v2, v2
	s_waitcnt_depctr 0xfff
	v_mul_f32_e32 v2, 0x4f7ffffe, v2
	v_cvt_u32_f32_e32 v2, v2
	s_delay_alu instid0(VALU_DEP_1) | instskip(NEXT) | instid1(VALU_DEP_1)
	v_mul_lo_u32 v4, s7, v2
	v_mul_hi_u32 v4, v2, v4
	s_delay_alu instid0(VALU_DEP_1) | instskip(NEXT) | instid1(VALU_DEP_1)
	v_add_nc_u32_e32 v2, v2, v4
	v_mul_hi_u32 v2, s25, v2
	s_delay_alu instid0(VALU_DEP_1) | instskip(NEXT) | instid1(VALU_DEP_1)
	v_mul_lo_u32 v2, v2, s35
	v_sub_nc_u32_e32 v2, s25, v2
	s_delay_alu instid0(VALU_DEP_1) | instskip(SKIP_1) | instid1(VALU_DEP_2)
	v_subrev_nc_u32_e32 v4, s35, v2
	v_cmp_le_u32_e32 vcc_lo, s35, v2
	v_cndmask_b32_e32 v2, v2, v4, vcc_lo
	s_delay_alu instid0(VALU_DEP_1) | instskip(SKIP_1) | instid1(VALU_DEP_2)
	v_subrev_nc_u32_e32 v4, s35, v2
	v_cmp_le_u32_e32 vcc_lo, s35, v2
	v_cndmask_b32_e32 v18, v2, v4, vcc_lo
	s_delay_alu instid0(VALU_DEP_1)
	v_dual_mov_b32 v4, v18 :: v_dual_mov_b32 v5, v19
.LBB186_297:                            ;   in Loop: Header=BB186_18 Depth=1
	s_delay_alu instid0(VALU_DEP_1) | instskip(NEXT) | instid1(VALU_DEP_2)
	v_sub_co_u32 v8, vcc_lo, s25, v4
	v_sub_co_ci_u32_e32 v9, vcc_lo, s23, v5, vcc_lo
	s_mov_b32 s7, 0
	s_mov_b32 s22, exec_lo
                                        ; implicit-def: $vgpr6_vgpr7
	s_delay_alu instid0(VALU_DEP_1)
	v_cmpx_gt_u64_e64 v[8:9], v[0:1]
	s_cbranch_execz .LBB186_307
; %bb.298:                              ;   in Loop: Header=BB186_18 Depth=1
	v_mov_b32_e32 v12, v37
	v_dual_mov_b32 v11, v1 :: v_dual_mov_b32 v10, v0
	s_mov_b32 s25, 0
                                        ; implicit-def: $sgpr23
	s_set_inst_prefetch_distance 0x1
	s_branch .LBB186_300
	.p2align	6
.LBB186_299:                            ;   in Loop: Header=BB186_300 Depth=2
	s_or_b32 exec_lo, exec_lo, s7
	s_waitcnt lgkmcnt(0)
	s_barrier
	buffer_gl0_inv
	ds_load_b128 v[4:7], v19 offset:3072
	v_add_co_u32 v10, s7, v10, s35
	s_delay_alu instid0(VALU_DEP_1) | instskip(SKIP_3) | instid1(VALU_DEP_2)
	v_add_co_ci_u32_e64 v11, s7, 0, v11, s7
	v_add_nc_u32_e32 v12, s94, v12
	s_waitcnt lgkmcnt(0)
	s_barrier
	v_cmp_ge_u64_e64 s7, v[10:11], v[8:9]
	buffer_gl0_inv
	v_cmp_neq_f64_e32 vcc_lo, 0, v[4:5]
	s_or_b32 s7, s7, vcc_lo
	s_delay_alu instid0(SALU_CYCLE_1) | instskip(NEXT) | instid1(SALU_CYCLE_1)
	s_and_b32 s7, exec_lo, s7
	s_or_b32 s25, s7, s25
	s_and_not1_b32 s7, s23, exec_lo
	s_and_b32 s23, vcc_lo, exec_lo
	s_delay_alu instid0(SALU_CYCLE_1)
	s_or_b32 s23, s7, s23
	s_and_not1_b32 exec_lo, exec_lo, s25
	s_cbranch_execz .LBB186_306
.LBB186_300:                            ;   Parent Loop BB186_18 Depth=1
                                        ; =>  This Inner Loop Header: Depth=2
	s_delay_alu instid0(VALU_DEP_1)
	v_cmp_gt_u64_e32 vcc_lo, s[8:9], v[10:11]
	v_mov_b32_e32 v4, 0
	v_mov_b32_e32 v5, 0
	s_and_saveexec_b32 s7, vcc_lo
	s_cbranch_execz .LBB186_302
; %bb.301:                              ;   in Loop: Header=BB186_300 Depth=2
	ds_load_b64 v[4:5], v12
.LBB186_302:                            ;   in Loop: Header=BB186_300 Depth=2
	s_or_b32 exec_lo, exec_lo, s7
	s_and_saveexec_b32 s7, vcc_lo
	s_cbranch_execz .LBB186_299
; %bb.303:                              ;   in Loop: Header=BB186_300 Depth=2
	s_waitcnt lgkmcnt(0)
	v_cmp_o_f64_e32 vcc_lo, v[4:5], v[4:5]
	v_ashrrev_i32_e32 v2, 31, v5
	s_delay_alu instid0(VALU_DEP_1) | instskip(SKIP_1) | instid1(VALU_DEP_2)
	v_or_b32_e32 v6, 0x80000000, v2
	v_xor_b32_e32 v2, v2, v4
	v_xor_b32_e32 v6, v6, v5
	s_delay_alu instid0(VALU_DEP_1) | instskip(NEXT) | instid1(VALU_DEP_1)
	v_cndmask_b32_e32 v6, -1, v6, vcc_lo
	v_dual_cndmask_b32 v2, -1, v2 :: v_dual_and_b32 v7, v6, v23
	s_delay_alu instid0(VALU_DEP_1) | instskip(NEXT) | instid1(VALU_DEP_1)
	v_and_b32_e32 v6, v2, v22
	v_cmp_eq_u64_e32 vcc_lo, v[6:7], v[24:25]
	s_and_b32 exec_lo, exec_lo, vcc_lo
	s_cbranch_execz .LBB186_299
; %bb.304:                              ;   in Loop: Header=BB186_300 Depth=2
	v_mov_b32_e32 v2, v19
	ds_store_b128 v19, v[2:5] offset:3072
	s_branch .LBB186_299
.LBB186_305:                            ;   in Loop: Header=BB186_18 Depth=1
	s_mov_b32 s22, -1
	s_mov_b32 s7, 0
                                        ; implicit-def: $sgpr23
                                        ; implicit-def: $vgpr6_vgpr7
	s_mov_b32 s25, s22
	s_cbranch_execnz .LBB186_308
	s_branch .LBB186_321
.LBB186_306:                            ;   in Loop: Header=BB186_18 Depth=1
	s_set_inst_prefetch_distance 0x2
	s_or_b32 exec_lo, exec_lo, s25
	s_delay_alu instid0(SALU_CYCLE_1)
	s_and_b32 s7, s23, exec_lo
.LBB186_307:                            ;   in Loop: Header=BB186_18 Depth=1
	s_or_b32 exec_lo, exec_lo, s22
	s_mov_b32 s22, 0
	s_mov_b32 s23, -1
	s_mov_b32 s25, s22
	s_branch .LBB186_321
.LBB186_308:                            ;   in Loop: Header=BB186_18 Depth=1
	s_mov_b32 s26, s71
	s_delay_alu instid0(SALU_CYCLE_1)
	s_cmp_lg_u64 s[26:27], 0
	s_cbranch_scc0 .LBB186_350
; %bb.309:                              ;   in Loop: Header=BB186_18 Depth=1
	v_cvt_f32_u32_e32 v2, s35
	s_sub_u32 s9, 0, s35
	s_subb_u32 s22, 0, 0
	s_delay_alu instid0(VALU_DEP_1) | instskip(NEXT) | instid1(VALU_DEP_1)
	v_fmac_f32_e64 v2, 0, 0x4f800000
	v_rcp_f32_e32 v2, v2
	s_waitcnt_depctr 0xfff
	v_mul_f32_e32 v2, 0x5f7ffffc, v2
	s_delay_alu instid0(VALU_DEP_1) | instskip(NEXT) | instid1(VALU_DEP_1)
	v_mul_f32_e32 v4, 0x2f800000, v2
	v_trunc_f32_e32 v4, v4
	s_delay_alu instid0(VALU_DEP_1) | instskip(SKIP_1) | instid1(VALU_DEP_2)
	v_fmac_f32_e32 v2, 0xcf800000, v4
	v_cvt_u32_f32_e32 v4, v4
	v_cvt_u32_f32_e32 v2, v2
	s_delay_alu instid0(VALU_DEP_2) | instskip(NEXT) | instid1(VALU_DEP_2)
	v_readfirstlane_b32 s7, v4
	v_readfirstlane_b32 s8, v2
	s_delay_alu instid0(VALU_DEP_2) | instskip(NEXT) | instid1(VALU_DEP_1)
	s_mul_i32 s23, s9, s7
	s_mul_hi_u32 s26, s9, s8
	s_mul_i32 s25, s22, s8
	s_add_i32 s23, s26, s23
	s_mul_i32 s48, s9, s8
	s_add_i32 s23, s23, s25
	s_mul_hi_u32 s26, s8, s48
	s_mul_hi_u32 s49, s7, s48
	s_mul_i32 s25, s7, s48
	s_mul_hi_u32 s48, s8, s23
	s_mul_i32 s8, s8, s23
	s_mul_hi_u32 s50, s7, s23
	s_add_u32 s8, s26, s8
	s_addc_u32 s26, 0, s48
	s_add_u32 s8, s8, s25
	s_mul_i32 s23, s7, s23
	s_addc_u32 s8, s26, s49
	s_addc_u32 s25, s50, 0
	s_add_u32 s8, s8, s23
	s_addc_u32 s23, 0, s25
	v_add_co_u32 v2, s8, v2, s8
	s_delay_alu instid0(VALU_DEP_1) | instskip(SKIP_1) | instid1(VALU_DEP_1)
	s_cmp_lg_u32 s8, 0
	s_addc_u32 s7, s7, s23
	v_readfirstlane_b32 s8, v2
	s_mul_i32 s23, s9, s7
	s_delay_alu instid0(VALU_DEP_1)
	s_mul_hi_u32 s25, s9, s8
	s_mul_i32 s22, s22, s8
	s_add_i32 s23, s25, s23
	s_mul_i32 s9, s9, s8
	s_add_i32 s23, s23, s22
	s_mul_hi_u32 s25, s7, s9
	s_mul_i32 s26, s7, s9
	s_mul_hi_u32 s9, s8, s9
	s_mul_hi_u32 s48, s8, s23
	s_mul_i32 s8, s8, s23
	s_mul_hi_u32 s22, s7, s23
	s_add_u32 s8, s9, s8
	s_addc_u32 s9, 0, s48
	s_add_u32 s8, s8, s26
	s_mul_i32 s23, s7, s23
	s_addc_u32 s8, s9, s25
	s_addc_u32 s9, s22, 0
	s_add_u32 s8, s8, s23
	s_addc_u32 s9, 0, s9
	v_add_co_u32 v2, s8, v2, s8
	s_delay_alu instid0(VALU_DEP_1) | instskip(SKIP_1) | instid1(VALU_DEP_1)
	s_cmp_lg_u32 s8, 0
	s_addc_u32 s7, s7, s9
	v_readfirstlane_b32 s8, v2
	s_mul_i32 s22, s88, s7
	s_mul_hi_u32 s9, s88, s7
	s_mul_hi_u32 s23, s27, s7
	s_mul_i32 s7, s27, s7
	s_mul_hi_u32 s25, s88, s8
	s_mul_hi_u32 s26, s27, s8
	s_mul_i32 s8, s27, s8
	s_add_u32 s22, s25, s22
	s_addc_u32 s9, 0, s9
	s_add_u32 s8, s22, s8
	s_addc_u32 s8, s9, s26
	s_addc_u32 s9, s23, 0
	s_add_u32 s7, s8, s7
	s_addc_u32 s8, 0, s9
	s_mul_hi_u32 s9, s35, s7
	s_mul_i32 s7, s35, s7
	s_mul_i32 s8, s35, s8
	v_sub_co_u32 v2, s7, s88, s7
	s_add_i32 s9, s9, s8
	s_cmp_lg_u32 s7, 0
	s_delay_alu instid0(VALU_DEP_1) | instskip(SKIP_2) | instid1(VALU_DEP_1)
	v_sub_co_u32 v4, s7, v2, s35
	s_subb_u32 s8, s27, s9
	s_cmp_lg_u32 s7, 0
	v_cmp_le_u32_e32 vcc_lo, s35, v4
	v_sub_co_u32 v5, s7, v4, s35
	s_subb_u32 s9, s8, 0
	s_cmp_lg_u32 s7, 0
	v_cndmask_b32_e64 v6, 0, -1, vcc_lo
	s_subb_u32 s7, s9, 0
	s_cmp_eq_u32 s9, 0
	v_mov_b32_e32 v8, s7
	s_cselect_b32 vcc_lo, -1, 0
	s_cmp_eq_u32 s8, 0
	v_cndmask_b32_e32 v6, -1, v6, vcc_lo
	v_cmp_le_u32_e32 vcc_lo, s35, v2
	s_cselect_b32 s7, -1, 0
	v_cndmask_b32_e64 v7, 0, -1, vcc_lo
	s_delay_alu instid0(VALU_DEP_3) | instskip(NEXT) | instid1(VALU_DEP_2)
	v_cmp_ne_u32_e32 vcc_lo, 0, v6
	v_cndmask_b32_e64 v6, -1, v7, s7
	v_cndmask_b32_e32 v7, s9, v8, vcc_lo
	v_cndmask_b32_e32 v4, v4, v5, vcc_lo
	s_delay_alu instid0(VALU_DEP_3) | instskip(NEXT) | instid1(VALU_DEP_3)
	v_cmp_ne_u32_e32 vcc_lo, 0, v6
	v_cndmask_b32_e32 v5, s8, v7, vcc_lo
	s_delay_alu instid0(VALU_DEP_3)
	v_cndmask_b32_e32 v4, v2, v4, vcc_lo
	s_cbranch_execnz .LBB186_311
.LBB186_310:                            ;   in Loop: Header=BB186_18 Depth=1
	v_cvt_f32_u32_e32 v2, s35
	s_sub_i32 s7, 0, s35
	s_delay_alu instid0(VALU_DEP_1) | instskip(SKIP_2) | instid1(VALU_DEP_1)
	v_rcp_iflag_f32_e32 v2, v2
	s_waitcnt_depctr 0xfff
	v_mul_f32_e32 v2, 0x4f7ffffe, v2
	v_cvt_u32_f32_e32 v2, v2
	s_delay_alu instid0(VALU_DEP_1) | instskip(NEXT) | instid1(VALU_DEP_1)
	v_mul_lo_u32 v4, s7, v2
	v_mul_hi_u32 v4, v2, v4
	s_delay_alu instid0(VALU_DEP_1) | instskip(NEXT) | instid1(VALU_DEP_1)
	v_add_nc_u32_e32 v2, v2, v4
	v_mul_hi_u32 v2, s88, v2
	s_delay_alu instid0(VALU_DEP_1) | instskip(NEXT) | instid1(VALU_DEP_1)
	v_mul_lo_u32 v2, v2, s35
	v_sub_nc_u32_e32 v2, s88, v2
	s_delay_alu instid0(VALU_DEP_1) | instskip(SKIP_1) | instid1(VALU_DEP_2)
	v_subrev_nc_u32_e32 v4, s35, v2
	v_cmp_le_u32_e32 vcc_lo, s35, v2
	v_cndmask_b32_e32 v2, v2, v4, vcc_lo
	s_delay_alu instid0(VALU_DEP_1) | instskip(SKIP_1) | instid1(VALU_DEP_2)
	v_subrev_nc_u32_e32 v4, s35, v2
	v_cmp_le_u32_e32 vcc_lo, s35, v2
	v_cndmask_b32_e32 v18, v2, v4, vcc_lo
	s_delay_alu instid0(VALU_DEP_1)
	v_dual_mov_b32 v4, v18 :: v_dual_mov_b32 v5, v19
.LBB186_311:                            ;   in Loop: Header=BB186_18 Depth=1
	s_delay_alu instid0(VALU_DEP_1) | instskip(NEXT) | instid1(VALU_DEP_2)
	v_sub_co_u32 v8, vcc_lo, s88, v4
	v_sub_co_ci_u32_e32 v9, vcc_lo, s27, v5, vcc_lo
	s_mov_b32 s7, 0
	s_mov_b32 s8, exec_lo
                                        ; implicit-def: $vgpr6_vgpr7
	s_delay_alu instid0(VALU_DEP_1)
	v_cmpx_gt_u64_e64 v[8:9], v[0:1]
	s_cbranch_execz .LBB186_320
; %bb.312:                              ;   in Loop: Header=BB186_18 Depth=1
	v_dual_mov_b32 v11, v1 :: v_dual_mov_b32 v10, v0
	s_mov_b32 s22, 0
                                        ; implicit-def: $sgpr9
	s_branch .LBB186_314
.LBB186_313:                            ;   in Loop: Header=BB186_314 Depth=2
	s_or_b32 exec_lo, exec_lo, s7
	s_waitcnt vmcnt(0) lgkmcnt(0)
	s_barrier
	buffer_gl0_inv
	ds_load_b128 v[4:7], v19 offset:3072
	v_add_co_u32 v10, s7, v10, s35
	s_delay_alu instid0(VALU_DEP_1)
	v_add_co_ci_u32_e64 v11, s7, 0, v11, s7
	s_waitcnt lgkmcnt(0)
	s_barrier
	buffer_gl0_inv
	v_cmp_ge_u64_e64 s7, v[10:11], v[8:9]
	v_cmp_neq_f64_e32 vcc_lo, 0, v[4:5]
	s_delay_alu instid0(VALU_DEP_2) | instskip(NEXT) | instid1(SALU_CYCLE_1)
	s_or_b32 s7, s7, vcc_lo
	s_and_b32 s7, exec_lo, s7
	s_delay_alu instid0(SALU_CYCLE_1) | instskip(SKIP_2) | instid1(SALU_CYCLE_1)
	s_or_b32 s22, s7, s22
	s_and_not1_b32 s7, s9, exec_lo
	s_and_b32 s9, vcc_lo, exec_lo
	s_or_b32 s9, s7, s9
	s_and_not1_b32 exec_lo, exec_lo, s22
	s_cbranch_execz .LBB186_319
.LBB186_314:                            ;   Parent Loop BB186_18 Depth=1
                                        ; =>  This Inner Loop Header: Depth=2
	s_delay_alu instid0(VALU_DEP_1)
	v_cmp_gt_u64_e32 vcc_lo, s[36:37], v[10:11]
	v_mov_b32_e32 v4, 0
	v_mov_b32_e32 v5, 0
	s_and_saveexec_b32 s23, vcc_lo
	s_cbranch_execz .LBB186_316
; %bb.315:                              ;   in Loop: Header=BB186_314 Depth=2
	v_mul_lo_u32 v2, v11, s30
	v_mul_lo_u32 v6, v10, s31
	v_mad_u64_u32 v[4:5], null, v10, s30, 0
	s_delay_alu instid0(VALU_DEP_1) | instskip(NEXT) | instid1(VALU_DEP_1)
	v_add3_u32 v5, v5, v6, v2
	v_lshlrev_b64 v[4:5], 3, v[4:5]
	s_delay_alu instid0(VALU_DEP_1) | instskip(NEXT) | instid1(VALU_DEP_1)
	v_add_co_u32 v4, s7, s29, v4
	v_add_co_ci_u32_e64 v5, s7, s33, v5, s7
	global_load_b64 v[4:5], v[4:5], off
.LBB186_316:                            ;   in Loop: Header=BB186_314 Depth=2
	s_or_b32 exec_lo, exec_lo, s23
	s_and_saveexec_b32 s7, vcc_lo
	s_cbranch_execz .LBB186_313
; %bb.317:                              ;   in Loop: Header=BB186_314 Depth=2
	s_waitcnt vmcnt(0)
	v_cmp_o_f64_e32 vcc_lo, v[4:5], v[4:5]
	v_ashrrev_i32_e32 v2, 31, v5
	s_delay_alu instid0(VALU_DEP_1) | instskip(SKIP_1) | instid1(VALU_DEP_2)
	v_or_b32_e32 v6, 0x80000000, v2
	v_xor_b32_e32 v2, v2, v4
	v_xor_b32_e32 v6, v6, v5
	s_delay_alu instid0(VALU_DEP_1) | instskip(NEXT) | instid1(VALU_DEP_1)
	v_cndmask_b32_e32 v6, -1, v6, vcc_lo
	v_dual_cndmask_b32 v2, -1, v2 :: v_dual_and_b32 v7, v6, v23
	s_delay_alu instid0(VALU_DEP_1) | instskip(NEXT) | instid1(VALU_DEP_1)
	v_and_b32_e32 v6, v2, v22
	v_cmp_eq_u64_e32 vcc_lo, v[6:7], v[24:25]
	s_and_b32 exec_lo, exec_lo, vcc_lo
	s_cbranch_execz .LBB186_313
; %bb.318:                              ;   in Loop: Header=BB186_314 Depth=2
	v_mov_b32_e32 v2, v19
	ds_store_b128 v19, v[2:5] offset:3072
	s_branch .LBB186_313
.LBB186_319:                            ;   in Loop: Header=BB186_18 Depth=1
	s_or_b32 exec_lo, exec_lo, s22
	s_delay_alu instid0(SALU_CYCLE_1)
	s_and_b32 s7, s9, exec_lo
.LBB186_320:                            ;   in Loop: Header=BB186_18 Depth=1
	s_or_b32 exec_lo, exec_lo, s8
	s_mov_b32 s23, 0
	s_mov_b32 s22, -1
	s_mov_b32 s25, 0
.LBB186_321:                            ;   in Loop: Header=BB186_18 Depth=1
	s_or_not1_b32 s7, s7, exec_lo
.LBB186_322:                            ;   in Loop: Header=BB186_18 Depth=1
	s_or_b32 exec_lo, exec_lo, s61
                                        ; implicit-def: $vgpr2
                                        ; implicit-def: $vgpr28_vgpr29
                                        ; implicit-def: $vgpr12_vgpr13
                                        ; implicit-def: $vgpr14_vgpr15
                                        ; implicit-def: $vgpr10_vgpr11
	s_and_saveexec_b32 s75, s7
	s_cbranch_execz .LBB186_485
; %bb.323:                              ;   in Loop: Header=BB186_18 Depth=1
	v_mov_b32_e32 v28, 1
	v_dual_mov_b32 v29, 0 :: v_dual_mov_b32 v2, 1
	s_xor_b32 s8, s60, -1
	s_mov_b32 s26, 0
	s_and_saveexec_b32 s7, s8
	s_cbranch_execz .LBB186_333
; %bb.324:                              ;   in Loop: Header=BB186_18 Depth=1
	s_mov_b32 s9, exec_lo
                                        ; implicit-def: $sgpr26
                                        ; implicit-def: $sgpr8
	v_cmpx_ge_u64_e64 s[20:21], v[26:27]
	s_xor_b32 s9, exec_lo, s9
	s_cbranch_execz .LBB186_330
; %bb.325:                              ;   in Loop: Header=BB186_18 Depth=1
	ds_load_b64 v[4:5], v19 offset:5120
	s_waitcnt lgkmcnt(0)
	v_cmp_ne_u64_e32 vcc_lo, 0, v[4:5]
	s_cbranch_vccnz .LBB186_329
; %bb.326:                              ;   in Loop: Header=BB186_18 Depth=1
	s_and_saveexec_b32 s8, s5
	s_cbranch_execz .LBB186_328
; %bb.327:                              ;   in Loop: Header=BB186_18 Depth=1
	v_dual_mov_b32 v4, s20 :: v_dual_mov_b32 v5, s21
	ds_store_b64 v19, v[4:5] offset:5128
.LBB186_328:                            ;   in Loop: Header=BB186_18 Depth=1
	s_or_b32 exec_lo, exec_lo, s8
	s_waitcnt lgkmcnt(0)
	s_barrier
	buffer_gl0_inv
.LBB186_329:                            ;   in Loop: Header=BB186_18 Depth=1
	v_or_b32_e32 v25, s13, v25
	v_or_b32_e32 v24, s12, v24
	;; [unrolled: 1-line block ×4, first 2 shown]
	s_mov_b32 s8, 0
	s_mov_b32 s26, 5
.LBB186_330:                            ;   in Loop: Header=BB186_18 Depth=1
	s_or_saveexec_b32 s9, s9
	v_mov_b32_e32 v2, s26
	s_xor_b32 exec_lo, exec_lo, s9
; %bb.331:                              ;   in Loop: Header=BB186_18 Depth=1
	v_sub_co_u32 v26, vcc_lo, v26, s20
	v_subrev_co_ci_u32_e32 v27, vcc_lo, s21, v27, vcc_lo
	v_mov_b32_e32 v2, 0
	s_or_b32 s8, s8, exec_lo
; %bb.332:                              ;   in Loop: Header=BB186_18 Depth=1
	s_or_b32 exec_lo, exec_lo, s9
	s_delay_alu instid0(VALU_DEP_2)
	v_dual_mov_b32 v29, v27 :: v_dual_mov_b32 v28, v26
	s_and_b32 s26, s8, exec_lo
.LBB186_333:                            ;   in Loop: Header=BB186_18 Depth=1
	s_or_b32 exec_lo, exec_lo, s7
	s_mov_b32 s21, -1
                                        ; implicit-def: $sgpr8
                                        ; implicit-def: $sgpr9
                                        ; implicit-def: $sgpr20
	s_and_saveexec_b32 s7, s26
	s_delay_alu instid0(SALU_CYCLE_1)
	s_xor_b32 s76, exec_lo, s7
	s_cbranch_execz .LBB186_482
; %bb.334:                              ;   in Loop: Header=BB186_18 Depth=1
	v_cmp_eq_u64_e32 vcc_lo, 1, v[28:29]
	s_cmp_eq_u64 s[18:19], 1
                                        ; implicit-def: $sgpr20
                                        ; implicit-def: $sgpr21
                                        ; implicit-def: $sgpr77
	s_cselect_b32 s7, -1, 0
	s_delay_alu instid0(SALU_CYCLE_1)
	s_and_b32 s60, s7, vcc_lo
	s_mov_b32 s7, -1
	s_and_saveexec_b32 s61, s60
	s_cbranch_execz .LBB186_368
; %bb.335:                              ;   in Loop: Header=BB186_18 Depth=1
	ds_load_b64 v[4:5], v19 offset:5120
	s_waitcnt lgkmcnt(0)
	s_barrier
	buffer_gl0_inv
	v_readfirstlane_b32 s8, v4
	v_readfirstlane_b32 s9, v5
	s_and_saveexec_b32 s7, s6
	s_cbranch_execz .LBB186_337
; %bb.336:                              ;   in Loop: Header=BB186_18 Depth=1
	v_mov_b32_e32 v18, v19
	ds_store_b64 v38, v[18:19]
.LBB186_337:                            ;   in Loop: Header=BB186_18 Depth=1
	s_or_b32 exec_lo, exec_lo, s7
	v_and_b32_e32 v2, s15, v25
	v_and_b32_e32 v4, s14, v24
	s_lshl_b64 s[20:21], 2, s24
	v_or_b32_e32 v23, s13, v23
	v_or_b32_e32 v22, s12, v22
	v_or_b32_e32 v25, s21, v2
	v_or_b32_e32 v24, s20, v4
	s_cmp_eq_u64 s[8:9], 0
	s_waitcnt lgkmcnt(0)
	s_barrier
	buffer_gl0_inv
	s_cbranch_scc1 .LBB186_351
; %bb.338:                              ;   in Loop: Header=BB186_18 Depth=1
	s_add_u32 s26, s86, s8
	s_addc_u32 s21, s87, s9
	s_mov_b32 s20, s71
	s_delay_alu instid0(SALU_CYCLE_1)
	s_cmp_lg_u64 s[20:21], 0
	s_cbranch_scc0 .LBB186_395
; %bb.339:                              ;   in Loop: Header=BB186_18 Depth=1
	v_cvt_f32_u32_e32 v2, s35
	s_sub_u32 s48, 0, s35
	s_subb_u32 s49, 0, 0
	s_delay_alu instid0(VALU_DEP_1) | instskip(NEXT) | instid1(VALU_DEP_1)
	v_fmac_f32_e64 v2, 0, 0x4f800000
	v_rcp_f32_e32 v2, v2
	s_waitcnt_depctr 0xfff
	v_mul_f32_e32 v2, 0x5f7ffffc, v2
	s_delay_alu instid0(VALU_DEP_1) | instskip(NEXT) | instid1(VALU_DEP_1)
	v_mul_f32_e32 v4, 0x2f800000, v2
	v_trunc_f32_e32 v4, v4
	s_delay_alu instid0(VALU_DEP_1) | instskip(SKIP_1) | instid1(VALU_DEP_2)
	v_fmac_f32_e32 v2, 0xcf800000, v4
	v_cvt_u32_f32_e32 v4, v4
	v_cvt_u32_f32_e32 v2, v2
	s_delay_alu instid0(VALU_DEP_2) | instskip(NEXT) | instid1(VALU_DEP_2)
	v_readfirstlane_b32 s7, v4
	v_readfirstlane_b32 s20, v2
	s_delay_alu instid0(VALU_DEP_2) | instskip(NEXT) | instid1(VALU_DEP_1)
	s_mul_i32 s50, s48, s7
	s_mul_hi_u32 s62, s48, s20
	s_mul_i32 s51, s49, s20
	s_add_i32 s50, s62, s50
	s_mul_i32 s63, s48, s20
	s_add_i32 s50, s50, s51
	s_mul_hi_u32 s62, s20, s63
	s_mul_hi_u32 s68, s7, s63
	s_mul_i32 s51, s7, s63
	s_mul_hi_u32 s63, s20, s50
	s_mul_i32 s20, s20, s50
	s_mul_hi_u32 s69, s7, s50
	s_add_u32 s20, s62, s20
	s_addc_u32 s62, 0, s63
	s_add_u32 s20, s20, s51
	s_mul_i32 s50, s7, s50
	s_addc_u32 s20, s62, s68
	s_addc_u32 s51, s69, 0
	s_add_u32 s20, s20, s50
	s_addc_u32 s50, 0, s51
	v_add_co_u32 v2, s20, v2, s20
	s_delay_alu instid0(VALU_DEP_1) | instskip(SKIP_1) | instid1(VALU_DEP_1)
	s_cmp_lg_u32 s20, 0
	s_addc_u32 s7, s7, s50
	v_readfirstlane_b32 s20, v2
	s_mul_i32 s50, s48, s7
	s_delay_alu instid0(VALU_DEP_1)
	s_mul_hi_u32 s51, s48, s20
	s_mul_i32 s49, s49, s20
	s_add_i32 s50, s51, s50
	s_mul_i32 s48, s48, s20
	s_add_i32 s50, s50, s49
	s_mul_hi_u32 s51, s7, s48
	s_mul_i32 s62, s7, s48
	s_mul_hi_u32 s48, s20, s48
	s_mul_hi_u32 s63, s20, s50
	s_mul_i32 s20, s20, s50
	s_mul_hi_u32 s49, s7, s50
	s_add_u32 s20, s48, s20
	s_addc_u32 s48, 0, s63
	s_add_u32 s20, s20, s62
	s_mul_i32 s50, s7, s50
	s_addc_u32 s20, s48, s51
	s_addc_u32 s48, s49, 0
	s_add_u32 s20, s20, s50
	s_addc_u32 s48, 0, s48
	v_add_co_u32 v2, s20, v2, s20
	s_delay_alu instid0(VALU_DEP_1) | instskip(SKIP_1) | instid1(VALU_DEP_1)
	s_cmp_lg_u32 s20, 0
	s_addc_u32 s7, s7, s48
	v_readfirstlane_b32 s20, v2
	s_mul_i32 s49, s26, s7
	s_mul_hi_u32 s48, s26, s7
	s_mul_hi_u32 s50, s21, s7
	s_mul_i32 s7, s21, s7
	s_mul_hi_u32 s51, s26, s20
	s_mul_hi_u32 s62, s21, s20
	s_mul_i32 s20, s21, s20
	s_add_u32 s49, s51, s49
	s_addc_u32 s48, 0, s48
	s_add_u32 s20, s49, s20
	s_addc_u32 s20, s48, s62
	s_addc_u32 s48, s50, 0
	s_add_u32 s7, s20, s7
	s_addc_u32 s20, 0, s48
	s_mul_hi_u32 s48, s35, s7
	s_mul_i32 s7, s35, s7
	s_mul_i32 s20, s35, s20
	v_sub_co_u32 v2, s7, s26, s7
	s_add_i32 s48, s48, s20
	s_cmp_lg_u32 s7, 0
	s_delay_alu instid0(VALU_DEP_1) | instskip(SKIP_3) | instid1(VALU_DEP_2)
	v_sub_co_u32 v4, s7, v2, s35
	s_subb_u32 s20, s21, s48
	s_cmp_lg_u32 s7, 0
	v_cmp_le_u32_e32 vcc_lo, s35, v2
	v_cmp_le_u32_e64 s7, s35, v4
	v_sub_co_u32 v5, s48, v4, s35
	s_subb_u32 s49, s20, 0
	s_cmp_lg_u32 s48, 0
	s_delay_alu instid0(VALU_DEP_2)
	v_cndmask_b32_e64 v6, 0, -1, s7
	s_subb_u32 s48, s49, 0
	s_cmp_eq_u32 s49, 0
	v_cndmask_b32_e64 v7, 0, -1, vcc_lo
	s_cselect_b32 vcc_lo, -1, 0
	s_cmp_eq_u32 s20, 0
	v_cndmask_b32_e32 v6, -1, v6, vcc_lo
	s_cselect_b32 vcc_lo, -1, 0
	v_dual_mov_b32 v8, s48 :: v_dual_cndmask_b32 v7, -1, v7
	s_delay_alu instid0(VALU_DEP_2) | instskip(NEXT) | instid1(VALU_DEP_2)
	v_cmp_ne_u32_e32 vcc_lo, 0, v6
	v_cmp_ne_u32_e64 s7, 0, v7
	s_delay_alu instid0(VALU_DEP_3) | instskip(SKIP_1) | instid1(VALU_DEP_2)
	v_cndmask_b32_e32 v6, s49, v8, vcc_lo
	v_cndmask_b32_e32 v4, v4, v5, vcc_lo
	v_cndmask_b32_e64 v5, s20, v6, s7
	s_delay_alu instid0(VALU_DEP_2)
	v_cndmask_b32_e64 v4, v2, v4, s7
	s_cbranch_execnz .LBB186_341
.LBB186_340:                            ;   in Loop: Header=BB186_18 Depth=1
	v_cvt_f32_u32_e32 v2, s35
	s_sub_i32 s7, 0, s35
	s_delay_alu instid0(VALU_DEP_1) | instskip(SKIP_2) | instid1(VALU_DEP_1)
	v_rcp_iflag_f32_e32 v2, v2
	s_waitcnt_depctr 0xfff
	v_mul_f32_e32 v2, 0x4f7ffffe, v2
	v_cvt_u32_f32_e32 v2, v2
	s_delay_alu instid0(VALU_DEP_1) | instskip(NEXT) | instid1(VALU_DEP_1)
	v_mul_lo_u32 v4, s7, v2
	v_mul_hi_u32 v4, v2, v4
	s_delay_alu instid0(VALU_DEP_1) | instskip(NEXT) | instid1(VALU_DEP_1)
	v_add_nc_u32_e32 v2, v2, v4
	v_mul_hi_u32 v2, s26, v2
	s_delay_alu instid0(VALU_DEP_1) | instskip(NEXT) | instid1(VALU_DEP_1)
	v_mul_lo_u32 v2, v2, s35
	v_sub_nc_u32_e32 v2, s26, v2
	s_delay_alu instid0(VALU_DEP_1) | instskip(SKIP_1) | instid1(VALU_DEP_2)
	v_subrev_nc_u32_e32 v4, s35, v2
	v_cmp_le_u32_e32 vcc_lo, s35, v2
	v_cndmask_b32_e32 v2, v2, v4, vcc_lo
	s_delay_alu instid0(VALU_DEP_1) | instskip(SKIP_1) | instid1(VALU_DEP_2)
	v_subrev_nc_u32_e32 v4, s35, v2
	v_cmp_le_u32_e32 vcc_lo, s35, v2
	v_cndmask_b32_e32 v18, v2, v4, vcc_lo
	s_delay_alu instid0(VALU_DEP_1)
	v_dual_mov_b32 v4, v18 :: v_dual_mov_b32 v5, v19
.LBB186_341:                            ;   in Loop: Header=BB186_18 Depth=1
	s_delay_alu instid0(VALU_DEP_1) | instskip(NEXT) | instid1(VALU_DEP_2)
	v_sub_co_u32 v8, vcc_lo, s26, v4
	v_sub_co_ci_u32_e32 v9, vcc_lo, s21, v5, vcc_lo
	s_mov_b32 s7, 0
	s_mov_b32 s20, exec_lo
                                        ; implicit-def: $vgpr6_vgpr7
	s_delay_alu instid0(VALU_DEP_1)
	v_cmpx_gt_u64_e64 v[8:9], v[0:1]
	s_cbranch_execz .LBB186_353
; %bb.342:                              ;   in Loop: Header=BB186_18 Depth=1
	v_mov_b32_e32 v12, v37
	v_dual_mov_b32 v11, v1 :: v_dual_mov_b32 v10, v0
	s_mov_b32 s26, 0
                                        ; implicit-def: $sgpr21
	s_set_inst_prefetch_distance 0x1
	s_branch .LBB186_344
	.p2align	6
.LBB186_343:                            ;   in Loop: Header=BB186_344 Depth=2
	s_or_b32 exec_lo, exec_lo, s7
	s_waitcnt lgkmcnt(0)
	s_barrier
	buffer_gl0_inv
	ds_load_b128 v[4:7], v19 offset:3072
	v_add_co_u32 v10, s7, v10, s35
	s_delay_alu instid0(VALU_DEP_1) | instskip(SKIP_3) | instid1(VALU_DEP_2)
	v_add_co_ci_u32_e64 v11, s7, 0, v11, s7
	v_add_nc_u32_e32 v12, s94, v12
	s_waitcnt lgkmcnt(0)
	s_barrier
	v_cmp_ge_u64_e64 s7, v[10:11], v[8:9]
	buffer_gl0_inv
	v_cmp_neq_f64_e32 vcc_lo, 0, v[4:5]
	s_or_b32 s7, s7, vcc_lo
	s_delay_alu instid0(SALU_CYCLE_1) | instskip(NEXT) | instid1(SALU_CYCLE_1)
	s_and_b32 s7, exec_lo, s7
	s_or_b32 s26, s7, s26
	s_and_not1_b32 s7, s21, exec_lo
	s_and_b32 s21, vcc_lo, exec_lo
	s_delay_alu instid0(SALU_CYCLE_1)
	s_or_b32 s21, s7, s21
	s_and_not1_b32 exec_lo, exec_lo, s26
	s_cbranch_execz .LBB186_352
.LBB186_344:                            ;   Parent Loop BB186_18 Depth=1
                                        ; =>  This Inner Loop Header: Depth=2
	s_delay_alu instid0(VALU_DEP_1)
	v_cmp_gt_u64_e32 vcc_lo, s[8:9], v[10:11]
	v_mov_b32_e32 v4, 0
	v_mov_b32_e32 v5, 0
	s_and_saveexec_b32 s7, vcc_lo
	s_cbranch_execz .LBB186_346
; %bb.345:                              ;   in Loop: Header=BB186_344 Depth=2
	ds_load_b64 v[4:5], v12
.LBB186_346:                            ;   in Loop: Header=BB186_344 Depth=2
	s_or_b32 exec_lo, exec_lo, s7
	s_and_saveexec_b32 s7, vcc_lo
	s_cbranch_execz .LBB186_343
; %bb.347:                              ;   in Loop: Header=BB186_344 Depth=2
	s_waitcnt lgkmcnt(0)
	v_cmp_o_f64_e32 vcc_lo, v[4:5], v[4:5]
	v_ashrrev_i32_e32 v2, 31, v5
	s_delay_alu instid0(VALU_DEP_1) | instskip(SKIP_1) | instid1(VALU_DEP_2)
	v_or_b32_e32 v6, 0x80000000, v2
	v_xor_b32_e32 v2, v2, v4
	v_xor_b32_e32 v6, v6, v5
	s_delay_alu instid0(VALU_DEP_1) | instskip(NEXT) | instid1(VALU_DEP_1)
	v_cndmask_b32_e32 v6, -1, v6, vcc_lo
	v_dual_cndmask_b32 v2, -1, v2 :: v_dual_and_b32 v7, v6, v23
	s_delay_alu instid0(VALU_DEP_1) | instskip(NEXT) | instid1(VALU_DEP_1)
	v_and_b32_e32 v6, v2, v22
	v_cmp_eq_u64_e32 vcc_lo, v[6:7], v[24:25]
	s_and_b32 exec_lo, exec_lo, vcc_lo
	s_cbranch_execz .LBB186_343
; %bb.348:                              ;   in Loop: Header=BB186_344 Depth=2
	v_mov_b32_e32 v2, v19
	ds_store_b128 v19, v[2:5] offset:3072
	s_branch .LBB186_343
.LBB186_349:                            ;   in Loop: Header=BB186_18 Depth=1
                                        ; implicit-def: $vgpr4_vgpr5
	s_branch .LBB186_296
.LBB186_350:                            ;   in Loop: Header=BB186_18 Depth=1
                                        ; implicit-def: $vgpr4_vgpr5
	s_branch .LBB186_310
.LBB186_351:                            ;   in Loop: Header=BB186_18 Depth=1
	s_mov_b32 s20, -1
	s_mov_b32 s7, 0
                                        ; implicit-def: $sgpr21
                                        ; implicit-def: $vgpr6_vgpr7
	s_mov_b32 s77, s20
	s_cbranch_execnz .LBB186_354
	s_branch .LBB186_367
.LBB186_352:                            ;   in Loop: Header=BB186_18 Depth=1
	s_set_inst_prefetch_distance 0x2
	s_or_b32 exec_lo, exec_lo, s26
	s_delay_alu instid0(SALU_CYCLE_1)
	s_and_b32 s7, s21, exec_lo
.LBB186_353:                            ;   in Loop: Header=BB186_18 Depth=1
	s_or_b32 exec_lo, exec_lo, s20
	s_mov_b32 s20, 0
	s_mov_b32 s21, -1
	s_mov_b32 s77, s20
	s_branch .LBB186_367
.LBB186_354:                            ;   in Loop: Header=BB186_18 Depth=1
	s_mov_b32 s26, s71
	s_delay_alu instid0(SALU_CYCLE_1)
	s_cmp_lg_u64 s[26:27], 0
	s_cbranch_scc0 .LBB186_396
; %bb.355:                              ;   in Loop: Header=BB186_18 Depth=1
	v_cvt_f32_u32_e32 v2, s35
	s_sub_u32 s9, 0, s35
	s_subb_u32 s20, 0, 0
	s_delay_alu instid0(VALU_DEP_1) | instskip(NEXT) | instid1(VALU_DEP_1)
	v_fmac_f32_e64 v2, 0, 0x4f800000
	v_rcp_f32_e32 v2, v2
	s_waitcnt_depctr 0xfff
	v_mul_f32_e32 v2, 0x5f7ffffc, v2
	s_delay_alu instid0(VALU_DEP_1) | instskip(NEXT) | instid1(VALU_DEP_1)
	v_mul_f32_e32 v4, 0x2f800000, v2
	v_trunc_f32_e32 v4, v4
	s_delay_alu instid0(VALU_DEP_1) | instskip(SKIP_1) | instid1(VALU_DEP_2)
	v_fmac_f32_e32 v2, 0xcf800000, v4
	v_cvt_u32_f32_e32 v4, v4
	v_cvt_u32_f32_e32 v2, v2
	s_delay_alu instid0(VALU_DEP_2) | instskip(NEXT) | instid1(VALU_DEP_2)
	v_readfirstlane_b32 s7, v4
	v_readfirstlane_b32 s8, v2
	s_delay_alu instid0(VALU_DEP_2) | instskip(NEXT) | instid1(VALU_DEP_1)
	s_mul_i32 s21, s9, s7
	s_mul_hi_u32 s48, s9, s8
	s_mul_i32 s26, s20, s8
	s_add_i32 s21, s48, s21
	s_mul_i32 s49, s9, s8
	s_add_i32 s21, s21, s26
	s_mul_hi_u32 s48, s8, s49
	s_mul_hi_u32 s50, s7, s49
	s_mul_i32 s26, s7, s49
	s_mul_hi_u32 s49, s8, s21
	s_mul_i32 s8, s8, s21
	s_mul_hi_u32 s51, s7, s21
	s_add_u32 s8, s48, s8
	s_addc_u32 s48, 0, s49
	s_add_u32 s8, s8, s26
	s_mul_i32 s21, s7, s21
	s_addc_u32 s8, s48, s50
	s_addc_u32 s26, s51, 0
	s_add_u32 s8, s8, s21
	s_addc_u32 s21, 0, s26
	v_add_co_u32 v2, s8, v2, s8
	s_delay_alu instid0(VALU_DEP_1) | instskip(SKIP_1) | instid1(VALU_DEP_1)
	s_cmp_lg_u32 s8, 0
	s_addc_u32 s7, s7, s21
	v_readfirstlane_b32 s8, v2
	s_mul_i32 s21, s9, s7
	s_delay_alu instid0(VALU_DEP_1)
	s_mul_hi_u32 s26, s9, s8
	s_mul_i32 s20, s20, s8
	s_add_i32 s21, s26, s21
	s_mul_i32 s9, s9, s8
	s_add_i32 s21, s21, s20
	s_mul_hi_u32 s26, s7, s9
	s_mul_i32 s48, s7, s9
	s_mul_hi_u32 s9, s8, s9
	s_mul_hi_u32 s49, s8, s21
	s_mul_i32 s8, s8, s21
	s_mul_hi_u32 s20, s7, s21
	s_add_u32 s8, s9, s8
	s_addc_u32 s9, 0, s49
	s_add_u32 s8, s8, s48
	s_mul_i32 s21, s7, s21
	s_addc_u32 s8, s9, s26
	s_addc_u32 s9, s20, 0
	s_add_u32 s8, s8, s21
	s_addc_u32 s9, 0, s9
	v_add_co_u32 v2, s8, v2, s8
	s_delay_alu instid0(VALU_DEP_1) | instskip(SKIP_1) | instid1(VALU_DEP_1)
	s_cmp_lg_u32 s8, 0
	s_addc_u32 s7, s7, s9
	v_readfirstlane_b32 s8, v2
	s_mul_i32 s20, s88, s7
	s_mul_hi_u32 s9, s88, s7
	s_mul_hi_u32 s21, s27, s7
	s_mul_i32 s7, s27, s7
	s_mul_hi_u32 s26, s88, s8
	s_mul_hi_u32 s48, s27, s8
	s_mul_i32 s8, s27, s8
	s_add_u32 s20, s26, s20
	s_addc_u32 s9, 0, s9
	s_add_u32 s8, s20, s8
	s_addc_u32 s8, s9, s48
	s_addc_u32 s9, s21, 0
	s_add_u32 s7, s8, s7
	s_addc_u32 s8, 0, s9
	s_mul_hi_u32 s9, s35, s7
	s_mul_i32 s7, s35, s7
	s_mul_i32 s8, s35, s8
	v_sub_co_u32 v2, s7, s88, s7
	s_add_i32 s9, s9, s8
	s_cmp_lg_u32 s7, 0
	s_delay_alu instid0(VALU_DEP_1) | instskip(SKIP_3) | instid1(VALU_DEP_2)
	v_sub_co_u32 v4, s7, v2, s35
	s_subb_u32 s8, s27, s9
	s_cmp_lg_u32 s7, 0
	v_cmp_le_u32_e32 vcc_lo, s35, v2
	v_cmp_le_u32_e64 s7, s35, v4
	v_sub_co_u32 v5, s9, v4, s35
	s_subb_u32 s20, s8, 0
	s_cmp_lg_u32 s9, 0
	s_delay_alu instid0(VALU_DEP_2)
	v_cndmask_b32_e64 v6, 0, -1, s7
	s_subb_u32 s9, s20, 0
	s_cmp_eq_u32 s20, 0
	v_cndmask_b32_e64 v7, 0, -1, vcc_lo
	s_cselect_b32 vcc_lo, -1, 0
	s_cmp_eq_u32 s8, 0
	v_cndmask_b32_e32 v6, -1, v6, vcc_lo
	s_cselect_b32 vcc_lo, -1, 0
	v_dual_mov_b32 v8, s9 :: v_dual_cndmask_b32 v7, -1, v7
	s_delay_alu instid0(VALU_DEP_2) | instskip(NEXT) | instid1(VALU_DEP_2)
	v_cmp_ne_u32_e32 vcc_lo, 0, v6
	v_cmp_ne_u32_e64 s7, 0, v7
	s_delay_alu instid0(VALU_DEP_3) | instskip(SKIP_1) | instid1(VALU_DEP_2)
	v_cndmask_b32_e32 v6, s20, v8, vcc_lo
	v_cndmask_b32_e32 v4, v4, v5, vcc_lo
	v_cndmask_b32_e64 v5, s8, v6, s7
	s_delay_alu instid0(VALU_DEP_2)
	v_cndmask_b32_e64 v4, v2, v4, s7
	s_cbranch_execnz .LBB186_357
.LBB186_356:                            ;   in Loop: Header=BB186_18 Depth=1
	v_cvt_f32_u32_e32 v2, s35
	s_sub_i32 s7, 0, s35
	s_delay_alu instid0(VALU_DEP_1) | instskip(SKIP_2) | instid1(VALU_DEP_1)
	v_rcp_iflag_f32_e32 v2, v2
	s_waitcnt_depctr 0xfff
	v_mul_f32_e32 v2, 0x4f7ffffe, v2
	v_cvt_u32_f32_e32 v2, v2
	s_delay_alu instid0(VALU_DEP_1) | instskip(NEXT) | instid1(VALU_DEP_1)
	v_mul_lo_u32 v4, s7, v2
	v_mul_hi_u32 v4, v2, v4
	s_delay_alu instid0(VALU_DEP_1) | instskip(NEXT) | instid1(VALU_DEP_1)
	v_add_nc_u32_e32 v2, v2, v4
	v_mul_hi_u32 v2, s88, v2
	s_delay_alu instid0(VALU_DEP_1) | instskip(NEXT) | instid1(VALU_DEP_1)
	v_mul_lo_u32 v2, v2, s35
	v_sub_nc_u32_e32 v2, s88, v2
	s_delay_alu instid0(VALU_DEP_1) | instskip(SKIP_1) | instid1(VALU_DEP_2)
	v_subrev_nc_u32_e32 v4, s35, v2
	v_cmp_le_u32_e32 vcc_lo, s35, v2
	v_cndmask_b32_e32 v2, v2, v4, vcc_lo
	s_delay_alu instid0(VALU_DEP_1) | instskip(SKIP_1) | instid1(VALU_DEP_2)
	v_subrev_nc_u32_e32 v4, s35, v2
	v_cmp_le_u32_e32 vcc_lo, s35, v2
	v_cndmask_b32_e32 v18, v2, v4, vcc_lo
	s_delay_alu instid0(VALU_DEP_1)
	v_dual_mov_b32 v4, v18 :: v_dual_mov_b32 v5, v19
.LBB186_357:                            ;   in Loop: Header=BB186_18 Depth=1
	s_delay_alu instid0(VALU_DEP_1) | instskip(NEXT) | instid1(VALU_DEP_2)
	v_sub_co_u32 v8, vcc_lo, s88, v4
	v_sub_co_ci_u32_e32 v9, vcc_lo, s27, v5, vcc_lo
	s_mov_b32 s7, 0
	s_mov_b32 s8, exec_lo
                                        ; implicit-def: $vgpr6_vgpr7
	s_delay_alu instid0(VALU_DEP_1)
	v_cmpx_gt_u64_e64 v[8:9], v[0:1]
	s_cbranch_execz .LBB186_366
; %bb.358:                              ;   in Loop: Header=BB186_18 Depth=1
	v_dual_mov_b32 v11, v1 :: v_dual_mov_b32 v10, v0
	s_mov_b32 s20, 0
                                        ; implicit-def: $sgpr9
	s_branch .LBB186_360
.LBB186_359:                            ;   in Loop: Header=BB186_360 Depth=2
	s_or_b32 exec_lo, exec_lo, s7
	s_waitcnt vmcnt(0) lgkmcnt(0)
	s_barrier
	buffer_gl0_inv
	ds_load_b128 v[4:7], v19 offset:3072
	v_add_co_u32 v10, s7, v10, s35
	s_delay_alu instid0(VALU_DEP_1)
	v_add_co_ci_u32_e64 v11, s7, 0, v11, s7
	s_waitcnt lgkmcnt(0)
	s_barrier
	buffer_gl0_inv
	v_cmp_ge_u64_e64 s7, v[10:11], v[8:9]
	v_cmp_neq_f64_e32 vcc_lo, 0, v[4:5]
	s_delay_alu instid0(VALU_DEP_2) | instskip(NEXT) | instid1(SALU_CYCLE_1)
	s_or_b32 s7, s7, vcc_lo
	s_and_b32 s7, exec_lo, s7
	s_delay_alu instid0(SALU_CYCLE_1) | instskip(SKIP_2) | instid1(SALU_CYCLE_1)
	s_or_b32 s20, s7, s20
	s_and_not1_b32 s7, s9, exec_lo
	s_and_b32 s9, vcc_lo, exec_lo
	s_or_b32 s9, s7, s9
	s_and_not1_b32 exec_lo, exec_lo, s20
	s_cbranch_execz .LBB186_365
.LBB186_360:                            ;   Parent Loop BB186_18 Depth=1
                                        ; =>  This Inner Loop Header: Depth=2
	s_delay_alu instid0(VALU_DEP_1)
	v_cmp_gt_u64_e32 vcc_lo, s[36:37], v[10:11]
	v_mov_b32_e32 v4, 0
	v_mov_b32_e32 v5, 0
	s_and_saveexec_b32 s21, vcc_lo
	s_cbranch_execz .LBB186_362
; %bb.361:                              ;   in Loop: Header=BB186_360 Depth=2
	v_mul_lo_u32 v2, v11, s30
	v_mul_lo_u32 v6, v10, s31
	v_mad_u64_u32 v[4:5], null, v10, s30, 0
	s_delay_alu instid0(VALU_DEP_1) | instskip(NEXT) | instid1(VALU_DEP_1)
	v_add3_u32 v5, v5, v6, v2
	v_lshlrev_b64 v[4:5], 3, v[4:5]
	s_delay_alu instid0(VALU_DEP_1) | instskip(NEXT) | instid1(VALU_DEP_1)
	v_add_co_u32 v4, s7, s29, v4
	v_add_co_ci_u32_e64 v5, s7, s33, v5, s7
	global_load_b64 v[4:5], v[4:5], off
.LBB186_362:                            ;   in Loop: Header=BB186_360 Depth=2
	s_or_b32 exec_lo, exec_lo, s21
	s_and_saveexec_b32 s7, vcc_lo
	s_cbranch_execz .LBB186_359
; %bb.363:                              ;   in Loop: Header=BB186_360 Depth=2
	s_waitcnt vmcnt(0)
	v_cmp_o_f64_e32 vcc_lo, v[4:5], v[4:5]
	v_ashrrev_i32_e32 v2, 31, v5
	s_delay_alu instid0(VALU_DEP_1) | instskip(SKIP_1) | instid1(VALU_DEP_2)
	v_or_b32_e32 v6, 0x80000000, v2
	v_xor_b32_e32 v2, v2, v4
	v_xor_b32_e32 v6, v6, v5
	s_delay_alu instid0(VALU_DEP_1) | instskip(NEXT) | instid1(VALU_DEP_1)
	v_cndmask_b32_e32 v6, -1, v6, vcc_lo
	v_dual_cndmask_b32 v2, -1, v2 :: v_dual_and_b32 v7, v6, v23
	s_delay_alu instid0(VALU_DEP_1) | instskip(NEXT) | instid1(VALU_DEP_1)
	v_and_b32_e32 v6, v2, v22
	v_cmp_eq_u64_e32 vcc_lo, v[6:7], v[24:25]
	s_and_b32 exec_lo, exec_lo, vcc_lo
	s_cbranch_execz .LBB186_359
; %bb.364:                              ;   in Loop: Header=BB186_360 Depth=2
	v_mov_b32_e32 v2, v19
	ds_store_b128 v19, v[2:5] offset:3072
	s_branch .LBB186_359
.LBB186_365:                            ;   in Loop: Header=BB186_18 Depth=1
	s_or_b32 exec_lo, exec_lo, s20
	s_delay_alu instid0(SALU_CYCLE_1)
	s_and_b32 s7, s9, exec_lo
.LBB186_366:                            ;   in Loop: Header=BB186_18 Depth=1
	s_or_b32 exec_lo, exec_lo, s8
	s_mov_b32 s21, 0
	s_mov_b32 s20, -1
	s_mov_b32 s77, 0
.LBB186_367:                            ;   in Loop: Header=BB186_18 Depth=1
	s_or_not1_b32 s7, s7, exec_lo
.LBB186_368:                            ;   in Loop: Header=BB186_18 Depth=1
	s_or_b32 exec_lo, exec_lo, s61
	s_mov_b32 s26, 0
                                        ; implicit-def: $vgpr2
	s_and_saveexec_b32 s78, s7
	s_cbranch_execz .LBB186_481
; %bb.369:                              ;   in Loop: Header=BB186_18 Depth=1
	v_mov_b32_e32 v8, 1
	v_dual_mov_b32 v9, 0 :: v_dual_mov_b32 v2, 1
	s_xor_b32 s8, s60, -1
	s_delay_alu instid0(SALU_CYCLE_1)
	s_and_saveexec_b32 s7, s8
	s_cbranch_execz .LBB186_379
; %bb.370:                              ;   in Loop: Header=BB186_18 Depth=1
	s_mov_b32 s9, exec_lo
                                        ; implicit-def: $sgpr26
                                        ; implicit-def: $sgpr8
	v_cmpx_ge_u64_e64 s[18:19], v[28:29]
	s_xor_b32 s9, exec_lo, s9
	s_cbranch_execz .LBB186_376
; %bb.371:                              ;   in Loop: Header=BB186_18 Depth=1
	ds_load_b64 v[4:5], v19 offset:5120
	s_waitcnt lgkmcnt(0)
	v_cmp_ne_u64_e32 vcc_lo, 0, v[4:5]
	s_cbranch_vccnz .LBB186_375
; %bb.372:                              ;   in Loop: Header=BB186_18 Depth=1
	s_and_saveexec_b32 s8, s5
	s_cbranch_execz .LBB186_374
; %bb.373:                              ;   in Loop: Header=BB186_18 Depth=1
	v_dual_mov_b32 v4, s18 :: v_dual_mov_b32 v5, s19
	ds_store_b64 v19, v[4:5] offset:5128
.LBB186_374:                            ;   in Loop: Header=BB186_18 Depth=1
	s_or_b32 exec_lo, exec_lo, s8
	s_waitcnt lgkmcnt(0)
	s_barrier
	buffer_gl0_inv
.LBB186_375:                            ;   in Loop: Header=BB186_18 Depth=1
	v_and_b32_e32 v2, s15, v25
	v_and_b32_e32 v4, s14, v24
	s_lshl_b64 s[48:49], 2, s24
	v_or_b32_e32 v23, s13, v23
	v_or_b32_e32 v22, s12, v22
	;; [unrolled: 1-line block ×4, first 2 shown]
	s_mov_b32 s8, 0
	s_mov_b32 s26, 5
.LBB186_376:                            ;   in Loop: Header=BB186_18 Depth=1
	s_or_saveexec_b32 s9, s9
	v_mov_b32_e32 v2, s26
	s_xor_b32 exec_lo, exec_lo, s9
; %bb.377:                              ;   in Loop: Header=BB186_18 Depth=1
	v_sub_co_u32 v28, vcc_lo, v28, s18
	v_subrev_co_ci_u32_e32 v29, vcc_lo, s19, v29, vcc_lo
	v_mov_b32_e32 v2, 0
	s_or_b32 s8, s8, exec_lo
; %bb.378:                              ;   in Loop: Header=BB186_18 Depth=1
	s_or_b32 exec_lo, exec_lo, s9
	s_delay_alu instid0(VALU_DEP_2)
	v_dual_mov_b32 v8, v28 :: v_dual_mov_b32 v9, v29
	s_and_b32 s26, s8, exec_lo
.LBB186_379:                            ;   in Loop: Header=BB186_18 Depth=1
	s_or_b32 exec_lo, exec_lo, s7
	s_mov_b32 s7, -1
                                        ; implicit-def: $sgpr8
                                        ; implicit-def: $sgpr9
                                        ; implicit-def: $sgpr18
	s_and_saveexec_b32 s79, s26
	s_cbranch_execz .LBB186_480
; %bb.380:                              ;   in Loop: Header=BB186_18 Depth=1
	v_cmp_eq_u64_e32 vcc_lo, 1, v[8:9]
	s_cmp_eq_u64 s[16:17], 1
                                        ; implicit-def: $sgpr18
                                        ; implicit-def: $sgpr19
                                        ; implicit-def: $sgpr68
	s_cselect_b32 s7, -1, 0
	s_delay_alu instid0(SALU_CYCLE_1)
	s_and_b32 s61, s7, vcc_lo
	s_mov_b32 s7, -1
	s_and_saveexec_b32 s60, s61
	s_cbranch_execz .LBB186_414
; %bb.381:                              ;   in Loop: Header=BB186_18 Depth=1
	ds_load_b64 v[4:5], v19 offset:5120
	s_waitcnt lgkmcnt(0)
	s_barrier
	buffer_gl0_inv
	v_readfirstlane_b32 s8, v4
	v_readfirstlane_b32 s9, v5
	s_and_saveexec_b32 s7, s6
	s_cbranch_execz .LBB186_383
; %bb.382:                              ;   in Loop: Header=BB186_18 Depth=1
	v_mov_b32_e32 v18, v19
	ds_store_b64 v38, v[18:19]
.LBB186_383:                            ;   in Loop: Header=BB186_18 Depth=1
	s_or_b32 exec_lo, exec_lo, s7
	v_and_b32_e32 v2, s15, v25
	v_and_b32_e32 v4, s14, v24
	s_lshl_b64 s[18:19], 1, s24
	v_or_b32_e32 v23, s13, v23
	v_or_b32_e32 v22, s12, v22
	;; [unrolled: 1-line block ×4, first 2 shown]
	s_cmp_eq_u64 s[8:9], 0
	s_waitcnt lgkmcnt(0)
	s_barrier
	buffer_gl0_inv
	s_cbranch_scc1 .LBB186_397
; %bb.384:                              ;   in Loop: Header=BB186_18 Depth=1
	s_add_u32 s26, s86, s8
	s_addc_u32 s19, s87, s9
	s_mov_b32 s18, s71
	s_delay_alu instid0(SALU_CYCLE_1)
	s_cmp_lg_u64 s[18:19], 0
	s_cbranch_scc0 .LBB186_432
; %bb.385:                              ;   in Loop: Header=BB186_18 Depth=1
	v_cvt_f32_u32_e32 v2, s35
	s_sub_u32 s48, 0, s35
	s_subb_u32 s49, 0, 0
	s_delay_alu instid0(VALU_DEP_1) | instskip(NEXT) | instid1(VALU_DEP_1)
	v_fmac_f32_e64 v2, 0, 0x4f800000
	v_rcp_f32_e32 v2, v2
	s_waitcnt_depctr 0xfff
	v_mul_f32_e32 v2, 0x5f7ffffc, v2
	s_delay_alu instid0(VALU_DEP_1) | instskip(NEXT) | instid1(VALU_DEP_1)
	v_mul_f32_e32 v4, 0x2f800000, v2
	v_trunc_f32_e32 v4, v4
	s_delay_alu instid0(VALU_DEP_1) | instskip(SKIP_1) | instid1(VALU_DEP_2)
	v_fmac_f32_e32 v2, 0xcf800000, v4
	v_cvt_u32_f32_e32 v4, v4
	v_cvt_u32_f32_e32 v2, v2
	s_delay_alu instid0(VALU_DEP_2) | instskip(NEXT) | instid1(VALU_DEP_2)
	v_readfirstlane_b32 s7, v4
	v_readfirstlane_b32 s18, v2
	s_delay_alu instid0(VALU_DEP_2) | instskip(NEXT) | instid1(VALU_DEP_1)
	s_mul_i32 s50, s48, s7
	s_mul_hi_u32 s62, s48, s18
	s_mul_i32 s51, s49, s18
	s_add_i32 s50, s62, s50
	s_mul_i32 s63, s48, s18
	s_add_i32 s50, s50, s51
	s_mul_hi_u32 s62, s18, s63
	s_mul_hi_u32 s68, s7, s63
	s_mul_i32 s51, s7, s63
	s_mul_hi_u32 s63, s18, s50
	s_mul_i32 s18, s18, s50
	s_mul_hi_u32 s69, s7, s50
	s_add_u32 s18, s62, s18
	s_addc_u32 s62, 0, s63
	s_add_u32 s18, s18, s51
	s_mul_i32 s50, s7, s50
	s_addc_u32 s18, s62, s68
	s_addc_u32 s51, s69, 0
	s_add_u32 s18, s18, s50
	s_addc_u32 s50, 0, s51
	v_add_co_u32 v2, s18, v2, s18
	s_delay_alu instid0(VALU_DEP_1) | instskip(SKIP_1) | instid1(VALU_DEP_1)
	s_cmp_lg_u32 s18, 0
	s_addc_u32 s7, s7, s50
	v_readfirstlane_b32 s18, v2
	s_mul_i32 s50, s48, s7
	s_delay_alu instid0(VALU_DEP_1)
	s_mul_hi_u32 s51, s48, s18
	s_mul_i32 s49, s49, s18
	s_add_i32 s50, s51, s50
	s_mul_i32 s48, s48, s18
	s_add_i32 s50, s50, s49
	s_mul_hi_u32 s51, s7, s48
	s_mul_i32 s62, s7, s48
	s_mul_hi_u32 s48, s18, s48
	s_mul_hi_u32 s63, s18, s50
	s_mul_i32 s18, s18, s50
	s_mul_hi_u32 s49, s7, s50
	s_add_u32 s18, s48, s18
	s_addc_u32 s48, 0, s63
	s_add_u32 s18, s18, s62
	s_mul_i32 s50, s7, s50
	s_addc_u32 s18, s48, s51
	s_addc_u32 s48, s49, 0
	s_add_u32 s18, s18, s50
	s_addc_u32 s48, 0, s48
	v_add_co_u32 v2, s18, v2, s18
	s_delay_alu instid0(VALU_DEP_1) | instskip(SKIP_1) | instid1(VALU_DEP_1)
	s_cmp_lg_u32 s18, 0
	s_addc_u32 s7, s7, s48
	v_readfirstlane_b32 s18, v2
	s_mul_i32 s49, s26, s7
	s_mul_hi_u32 s48, s26, s7
	s_mul_hi_u32 s50, s19, s7
	s_mul_i32 s7, s19, s7
	s_mul_hi_u32 s51, s26, s18
	s_mul_hi_u32 s62, s19, s18
	s_mul_i32 s18, s19, s18
	s_add_u32 s49, s51, s49
	s_addc_u32 s48, 0, s48
	s_add_u32 s18, s49, s18
	s_addc_u32 s18, s48, s62
	s_addc_u32 s48, s50, 0
	s_add_u32 s7, s18, s7
	s_addc_u32 s18, 0, s48
	s_mul_hi_u32 s48, s35, s7
	s_mul_i32 s7, s35, s7
	s_mul_i32 s18, s35, s18
	v_sub_co_u32 v2, s7, s26, s7
	s_add_i32 s48, s48, s18
	s_cmp_lg_u32 s7, 0
	s_delay_alu instid0(VALU_DEP_1) | instskip(SKIP_3) | instid1(VALU_DEP_2)
	v_sub_co_u32 v4, s7, v2, s35
	s_subb_u32 s18, s19, s48
	s_cmp_lg_u32 s7, 0
	v_cmp_le_u32_e32 vcc_lo, s35, v2
	v_cmp_le_u32_e64 s7, s35, v4
	v_sub_co_u32 v5, s48, v4, s35
	s_subb_u32 s49, s18, 0
	s_cmp_lg_u32 s48, 0
	s_delay_alu instid0(VALU_DEP_2)
	v_cndmask_b32_e64 v6, 0, -1, s7
	s_subb_u32 s48, s49, 0
	s_cmp_eq_u32 s49, 0
	v_cndmask_b32_e64 v7, 0, -1, vcc_lo
	s_cselect_b32 vcc_lo, -1, 0
	s_cmp_eq_u32 s18, 0
	v_cndmask_b32_e32 v6, -1, v6, vcc_lo
	s_cselect_b32 vcc_lo, -1, 0
	v_dual_mov_b32 v10, s48 :: v_dual_cndmask_b32 v7, -1, v7
	s_delay_alu instid0(VALU_DEP_2) | instskip(NEXT) | instid1(VALU_DEP_2)
	v_cmp_ne_u32_e32 vcc_lo, 0, v6
	v_cmp_ne_u32_e64 s7, 0, v7
	s_delay_alu instid0(VALU_DEP_3) | instskip(SKIP_1) | instid1(VALU_DEP_2)
	v_cndmask_b32_e32 v6, s49, v10, vcc_lo
	v_cndmask_b32_e32 v4, v4, v5, vcc_lo
	v_cndmask_b32_e64 v5, s18, v6, s7
	s_delay_alu instid0(VALU_DEP_2)
	v_cndmask_b32_e64 v4, v2, v4, s7
	s_cbranch_execnz .LBB186_387
.LBB186_386:                            ;   in Loop: Header=BB186_18 Depth=1
	v_cvt_f32_u32_e32 v2, s35
	s_sub_i32 s7, 0, s35
	s_delay_alu instid0(VALU_DEP_1) | instskip(SKIP_2) | instid1(VALU_DEP_1)
	v_rcp_iflag_f32_e32 v2, v2
	s_waitcnt_depctr 0xfff
	v_mul_f32_e32 v2, 0x4f7ffffe, v2
	v_cvt_u32_f32_e32 v2, v2
	s_delay_alu instid0(VALU_DEP_1) | instskip(NEXT) | instid1(VALU_DEP_1)
	v_mul_lo_u32 v4, s7, v2
	v_mul_hi_u32 v4, v2, v4
	s_delay_alu instid0(VALU_DEP_1) | instskip(NEXT) | instid1(VALU_DEP_1)
	v_add_nc_u32_e32 v2, v2, v4
	v_mul_hi_u32 v2, s26, v2
	s_delay_alu instid0(VALU_DEP_1) | instskip(NEXT) | instid1(VALU_DEP_1)
	v_mul_lo_u32 v2, v2, s35
	v_sub_nc_u32_e32 v2, s26, v2
	s_delay_alu instid0(VALU_DEP_1) | instskip(SKIP_1) | instid1(VALU_DEP_2)
	v_subrev_nc_u32_e32 v4, s35, v2
	v_cmp_le_u32_e32 vcc_lo, s35, v2
	v_cndmask_b32_e32 v2, v2, v4, vcc_lo
	s_delay_alu instid0(VALU_DEP_1) | instskip(SKIP_1) | instid1(VALU_DEP_2)
	v_subrev_nc_u32_e32 v4, s35, v2
	v_cmp_le_u32_e32 vcc_lo, s35, v2
	v_cndmask_b32_e32 v18, v2, v4, vcc_lo
	s_delay_alu instid0(VALU_DEP_1)
	v_dual_mov_b32 v4, v18 :: v_dual_mov_b32 v5, v19
.LBB186_387:                            ;   in Loop: Header=BB186_18 Depth=1
	s_delay_alu instid0(VALU_DEP_1) | instskip(NEXT) | instid1(VALU_DEP_2)
	v_sub_co_u32 v10, vcc_lo, s26, v4
	v_sub_co_ci_u32_e32 v11, vcc_lo, s19, v5, vcc_lo
	s_mov_b32 s7, 0
	s_mov_b32 s18, exec_lo
                                        ; implicit-def: $vgpr6_vgpr7
	s_delay_alu instid0(VALU_DEP_1)
	v_cmpx_gt_u64_e64 v[10:11], v[0:1]
	s_cbranch_execz .LBB186_399
; %bb.388:                              ;   in Loop: Header=BB186_18 Depth=1
	v_mov_b32_e32 v14, v37
	v_dual_mov_b32 v13, v1 :: v_dual_mov_b32 v12, v0
	s_mov_b32 s26, 0
                                        ; implicit-def: $sgpr19
	s_set_inst_prefetch_distance 0x1
	s_branch .LBB186_390
	.p2align	6
.LBB186_389:                            ;   in Loop: Header=BB186_390 Depth=2
	s_or_b32 exec_lo, exec_lo, s7
	s_waitcnt lgkmcnt(0)
	s_barrier
	buffer_gl0_inv
	ds_load_b128 v[4:7], v19 offset:3072
	v_add_co_u32 v12, s7, v12, s35
	s_delay_alu instid0(VALU_DEP_1) | instskip(SKIP_3) | instid1(VALU_DEP_2)
	v_add_co_ci_u32_e64 v13, s7, 0, v13, s7
	v_add_nc_u32_e32 v14, s94, v14
	s_waitcnt lgkmcnt(0)
	s_barrier
	v_cmp_ge_u64_e64 s7, v[12:13], v[10:11]
	buffer_gl0_inv
	v_cmp_neq_f64_e32 vcc_lo, 0, v[4:5]
	s_or_b32 s7, s7, vcc_lo
	s_delay_alu instid0(SALU_CYCLE_1) | instskip(NEXT) | instid1(SALU_CYCLE_1)
	s_and_b32 s7, exec_lo, s7
	s_or_b32 s26, s7, s26
	s_and_not1_b32 s7, s19, exec_lo
	s_and_b32 s19, vcc_lo, exec_lo
	s_delay_alu instid0(SALU_CYCLE_1)
	s_or_b32 s19, s7, s19
	s_and_not1_b32 exec_lo, exec_lo, s26
	s_cbranch_execz .LBB186_398
.LBB186_390:                            ;   Parent Loop BB186_18 Depth=1
                                        ; =>  This Inner Loop Header: Depth=2
	s_delay_alu instid0(VALU_DEP_1)
	v_cmp_gt_u64_e32 vcc_lo, s[8:9], v[12:13]
	v_mov_b32_e32 v4, 0
	v_mov_b32_e32 v5, 0
	s_and_saveexec_b32 s7, vcc_lo
	s_cbranch_execz .LBB186_392
; %bb.391:                              ;   in Loop: Header=BB186_390 Depth=2
	ds_load_b64 v[4:5], v14
.LBB186_392:                            ;   in Loop: Header=BB186_390 Depth=2
	s_or_b32 exec_lo, exec_lo, s7
	s_and_saveexec_b32 s7, vcc_lo
	s_cbranch_execz .LBB186_389
; %bb.393:                              ;   in Loop: Header=BB186_390 Depth=2
	s_waitcnt lgkmcnt(0)
	v_cmp_o_f64_e32 vcc_lo, v[4:5], v[4:5]
	v_ashrrev_i32_e32 v2, 31, v5
	s_delay_alu instid0(VALU_DEP_1) | instskip(SKIP_1) | instid1(VALU_DEP_2)
	v_or_b32_e32 v6, 0x80000000, v2
	v_xor_b32_e32 v2, v2, v4
	v_xor_b32_e32 v6, v6, v5
	s_delay_alu instid0(VALU_DEP_1) | instskip(NEXT) | instid1(VALU_DEP_1)
	v_cndmask_b32_e32 v6, -1, v6, vcc_lo
	v_dual_cndmask_b32 v2, -1, v2 :: v_dual_and_b32 v7, v6, v23
	s_delay_alu instid0(VALU_DEP_1) | instskip(NEXT) | instid1(VALU_DEP_1)
	v_and_b32_e32 v6, v2, v22
	v_cmp_eq_u64_e32 vcc_lo, v[6:7], v[24:25]
	s_and_b32 exec_lo, exec_lo, vcc_lo
	s_cbranch_execz .LBB186_389
; %bb.394:                              ;   in Loop: Header=BB186_390 Depth=2
	v_mov_b32_e32 v2, v19
	ds_store_b128 v19, v[2:5] offset:3072
	s_branch .LBB186_389
.LBB186_395:                            ;   in Loop: Header=BB186_18 Depth=1
                                        ; implicit-def: $vgpr4_vgpr5
	s_branch .LBB186_340
.LBB186_396:                            ;   in Loop: Header=BB186_18 Depth=1
                                        ; implicit-def: $vgpr4_vgpr5
	s_branch .LBB186_356
.LBB186_397:                            ;   in Loop: Header=BB186_18 Depth=1
	s_mov_b32 s18, -1
	s_mov_b32 s7, 0
                                        ; implicit-def: $sgpr19
                                        ; implicit-def: $vgpr6_vgpr7
	s_mov_b32 s68, s18
	s_cbranch_execnz .LBB186_400
	s_branch .LBB186_413
.LBB186_398:                            ;   in Loop: Header=BB186_18 Depth=1
	s_set_inst_prefetch_distance 0x2
	s_or_b32 exec_lo, exec_lo, s26
	s_delay_alu instid0(SALU_CYCLE_1)
	s_and_b32 s7, s19, exec_lo
.LBB186_399:                            ;   in Loop: Header=BB186_18 Depth=1
	s_or_b32 exec_lo, exec_lo, s18
	s_mov_b32 s18, 0
	s_mov_b32 s19, -1
	s_mov_b32 s68, s18
	s_branch .LBB186_413
.LBB186_400:                            ;   in Loop: Header=BB186_18 Depth=1
	s_mov_b32 s26, s71
	s_delay_alu instid0(SALU_CYCLE_1)
	s_cmp_lg_u64 s[26:27], 0
	s_cbranch_scc0 .LBB186_433
; %bb.401:                              ;   in Loop: Header=BB186_18 Depth=1
	v_cvt_f32_u32_e32 v2, s35
	s_sub_u32 s9, 0, s35
	s_subb_u32 s18, 0, 0
	s_delay_alu instid0(VALU_DEP_1) | instskip(NEXT) | instid1(VALU_DEP_1)
	v_fmac_f32_e64 v2, 0, 0x4f800000
	v_rcp_f32_e32 v2, v2
	s_waitcnt_depctr 0xfff
	v_mul_f32_e32 v2, 0x5f7ffffc, v2
	s_delay_alu instid0(VALU_DEP_1) | instskip(NEXT) | instid1(VALU_DEP_1)
	v_mul_f32_e32 v4, 0x2f800000, v2
	v_trunc_f32_e32 v4, v4
	s_delay_alu instid0(VALU_DEP_1) | instskip(SKIP_1) | instid1(VALU_DEP_2)
	v_fmac_f32_e32 v2, 0xcf800000, v4
	v_cvt_u32_f32_e32 v4, v4
	v_cvt_u32_f32_e32 v2, v2
	s_delay_alu instid0(VALU_DEP_2) | instskip(NEXT) | instid1(VALU_DEP_2)
	v_readfirstlane_b32 s7, v4
	v_readfirstlane_b32 s8, v2
	s_delay_alu instid0(VALU_DEP_2) | instskip(NEXT) | instid1(VALU_DEP_1)
	s_mul_i32 s19, s9, s7
	s_mul_hi_u32 s48, s9, s8
	s_mul_i32 s26, s18, s8
	s_add_i32 s19, s48, s19
	s_mul_i32 s49, s9, s8
	s_add_i32 s19, s19, s26
	s_mul_hi_u32 s48, s8, s49
	s_mul_hi_u32 s50, s7, s49
	s_mul_i32 s26, s7, s49
	s_mul_hi_u32 s49, s8, s19
	s_mul_i32 s8, s8, s19
	s_mul_hi_u32 s51, s7, s19
	s_add_u32 s8, s48, s8
	s_addc_u32 s48, 0, s49
	s_add_u32 s8, s8, s26
	s_mul_i32 s19, s7, s19
	s_addc_u32 s8, s48, s50
	s_addc_u32 s26, s51, 0
	s_add_u32 s8, s8, s19
	s_addc_u32 s19, 0, s26
	v_add_co_u32 v2, s8, v2, s8
	s_delay_alu instid0(VALU_DEP_1) | instskip(SKIP_1) | instid1(VALU_DEP_1)
	s_cmp_lg_u32 s8, 0
	s_addc_u32 s7, s7, s19
	v_readfirstlane_b32 s8, v2
	s_mul_i32 s19, s9, s7
	s_delay_alu instid0(VALU_DEP_1)
	s_mul_hi_u32 s26, s9, s8
	s_mul_i32 s18, s18, s8
	s_add_i32 s19, s26, s19
	s_mul_i32 s9, s9, s8
	s_add_i32 s19, s19, s18
	s_mul_hi_u32 s26, s7, s9
	s_mul_i32 s48, s7, s9
	s_mul_hi_u32 s9, s8, s9
	s_mul_hi_u32 s49, s8, s19
	s_mul_i32 s8, s8, s19
	s_mul_hi_u32 s18, s7, s19
	s_add_u32 s8, s9, s8
	s_addc_u32 s9, 0, s49
	s_add_u32 s8, s8, s48
	s_mul_i32 s19, s7, s19
	s_addc_u32 s8, s9, s26
	s_addc_u32 s9, s18, 0
	s_add_u32 s8, s8, s19
	s_addc_u32 s9, 0, s9
	v_add_co_u32 v2, s8, v2, s8
	s_delay_alu instid0(VALU_DEP_1) | instskip(SKIP_1) | instid1(VALU_DEP_1)
	s_cmp_lg_u32 s8, 0
	s_addc_u32 s7, s7, s9
	v_readfirstlane_b32 s8, v2
	s_mul_i32 s18, s88, s7
	s_mul_hi_u32 s9, s88, s7
	s_mul_hi_u32 s19, s27, s7
	s_mul_i32 s7, s27, s7
	s_mul_hi_u32 s26, s88, s8
	s_mul_hi_u32 s48, s27, s8
	s_mul_i32 s8, s27, s8
	s_add_u32 s18, s26, s18
	s_addc_u32 s9, 0, s9
	s_add_u32 s8, s18, s8
	s_addc_u32 s8, s9, s48
	s_addc_u32 s9, s19, 0
	s_add_u32 s7, s8, s7
	s_addc_u32 s8, 0, s9
	s_mul_hi_u32 s9, s35, s7
	s_mul_i32 s7, s35, s7
	s_mul_i32 s8, s35, s8
	v_sub_co_u32 v2, s7, s88, s7
	s_add_i32 s9, s9, s8
	s_cmp_lg_u32 s7, 0
	s_delay_alu instid0(VALU_DEP_1) | instskip(SKIP_3) | instid1(VALU_DEP_2)
	v_sub_co_u32 v4, s7, v2, s35
	s_subb_u32 s8, s27, s9
	s_cmp_lg_u32 s7, 0
	v_cmp_le_u32_e32 vcc_lo, s35, v2
	v_cmp_le_u32_e64 s7, s35, v4
	v_sub_co_u32 v5, s9, v4, s35
	s_subb_u32 s18, s8, 0
	s_cmp_lg_u32 s9, 0
	s_delay_alu instid0(VALU_DEP_2)
	v_cndmask_b32_e64 v6, 0, -1, s7
	s_subb_u32 s9, s18, 0
	s_cmp_eq_u32 s18, 0
	v_cndmask_b32_e64 v7, 0, -1, vcc_lo
	s_cselect_b32 vcc_lo, -1, 0
	s_cmp_eq_u32 s8, 0
	v_cndmask_b32_e32 v6, -1, v6, vcc_lo
	s_cselect_b32 vcc_lo, -1, 0
	v_dual_mov_b32 v10, s9 :: v_dual_cndmask_b32 v7, -1, v7
	s_delay_alu instid0(VALU_DEP_2) | instskip(NEXT) | instid1(VALU_DEP_2)
	v_cmp_ne_u32_e32 vcc_lo, 0, v6
	v_cmp_ne_u32_e64 s7, 0, v7
	s_delay_alu instid0(VALU_DEP_3) | instskip(SKIP_1) | instid1(VALU_DEP_2)
	v_cndmask_b32_e32 v6, s18, v10, vcc_lo
	v_cndmask_b32_e32 v4, v4, v5, vcc_lo
	v_cndmask_b32_e64 v5, s8, v6, s7
	s_delay_alu instid0(VALU_DEP_2)
	v_cndmask_b32_e64 v4, v2, v4, s7
	s_cbranch_execnz .LBB186_403
.LBB186_402:                            ;   in Loop: Header=BB186_18 Depth=1
	v_cvt_f32_u32_e32 v2, s35
	s_sub_i32 s7, 0, s35
	s_delay_alu instid0(VALU_DEP_1) | instskip(SKIP_2) | instid1(VALU_DEP_1)
	v_rcp_iflag_f32_e32 v2, v2
	s_waitcnt_depctr 0xfff
	v_mul_f32_e32 v2, 0x4f7ffffe, v2
	v_cvt_u32_f32_e32 v2, v2
	s_delay_alu instid0(VALU_DEP_1) | instskip(NEXT) | instid1(VALU_DEP_1)
	v_mul_lo_u32 v4, s7, v2
	v_mul_hi_u32 v4, v2, v4
	s_delay_alu instid0(VALU_DEP_1) | instskip(NEXT) | instid1(VALU_DEP_1)
	v_add_nc_u32_e32 v2, v2, v4
	v_mul_hi_u32 v2, s88, v2
	s_delay_alu instid0(VALU_DEP_1) | instskip(NEXT) | instid1(VALU_DEP_1)
	v_mul_lo_u32 v2, v2, s35
	v_sub_nc_u32_e32 v2, s88, v2
	s_delay_alu instid0(VALU_DEP_1) | instskip(SKIP_1) | instid1(VALU_DEP_2)
	v_subrev_nc_u32_e32 v4, s35, v2
	v_cmp_le_u32_e32 vcc_lo, s35, v2
	v_cndmask_b32_e32 v2, v2, v4, vcc_lo
	s_delay_alu instid0(VALU_DEP_1) | instskip(SKIP_1) | instid1(VALU_DEP_2)
	v_subrev_nc_u32_e32 v4, s35, v2
	v_cmp_le_u32_e32 vcc_lo, s35, v2
	v_cndmask_b32_e32 v18, v2, v4, vcc_lo
	s_delay_alu instid0(VALU_DEP_1)
	v_dual_mov_b32 v4, v18 :: v_dual_mov_b32 v5, v19
.LBB186_403:                            ;   in Loop: Header=BB186_18 Depth=1
	s_delay_alu instid0(VALU_DEP_1) | instskip(NEXT) | instid1(VALU_DEP_2)
	v_sub_co_u32 v10, vcc_lo, s88, v4
	v_sub_co_ci_u32_e32 v11, vcc_lo, s27, v5, vcc_lo
	s_mov_b32 s7, 0
	s_mov_b32 s8, exec_lo
                                        ; implicit-def: $vgpr6_vgpr7
	s_delay_alu instid0(VALU_DEP_1)
	v_cmpx_gt_u64_e64 v[10:11], v[0:1]
	s_cbranch_execz .LBB186_412
; %bb.404:                              ;   in Loop: Header=BB186_18 Depth=1
	v_dual_mov_b32 v13, v1 :: v_dual_mov_b32 v12, v0
	s_mov_b32 s18, 0
                                        ; implicit-def: $sgpr9
	s_branch .LBB186_406
.LBB186_405:                            ;   in Loop: Header=BB186_406 Depth=2
	s_or_b32 exec_lo, exec_lo, s7
	s_waitcnt vmcnt(0) lgkmcnt(0)
	s_barrier
	buffer_gl0_inv
	ds_load_b128 v[4:7], v19 offset:3072
	v_add_co_u32 v12, s7, v12, s35
	s_delay_alu instid0(VALU_DEP_1)
	v_add_co_ci_u32_e64 v13, s7, 0, v13, s7
	s_waitcnt lgkmcnt(0)
	s_barrier
	buffer_gl0_inv
	v_cmp_ge_u64_e64 s7, v[12:13], v[10:11]
	v_cmp_neq_f64_e32 vcc_lo, 0, v[4:5]
	s_delay_alu instid0(VALU_DEP_2) | instskip(NEXT) | instid1(SALU_CYCLE_1)
	s_or_b32 s7, s7, vcc_lo
	s_and_b32 s7, exec_lo, s7
	s_delay_alu instid0(SALU_CYCLE_1) | instskip(SKIP_2) | instid1(SALU_CYCLE_1)
	s_or_b32 s18, s7, s18
	s_and_not1_b32 s7, s9, exec_lo
	s_and_b32 s9, vcc_lo, exec_lo
	s_or_b32 s9, s7, s9
	s_and_not1_b32 exec_lo, exec_lo, s18
	s_cbranch_execz .LBB186_411
.LBB186_406:                            ;   Parent Loop BB186_18 Depth=1
                                        ; =>  This Inner Loop Header: Depth=2
	s_delay_alu instid0(VALU_DEP_1)
	v_cmp_gt_u64_e32 vcc_lo, s[36:37], v[12:13]
	v_mov_b32_e32 v4, 0
	v_mov_b32_e32 v5, 0
	s_and_saveexec_b32 s19, vcc_lo
	s_cbranch_execz .LBB186_408
; %bb.407:                              ;   in Loop: Header=BB186_406 Depth=2
	v_mul_lo_u32 v2, v13, s30
	v_mul_lo_u32 v6, v12, s31
	v_mad_u64_u32 v[4:5], null, v12, s30, 0
	s_delay_alu instid0(VALU_DEP_1) | instskip(NEXT) | instid1(VALU_DEP_1)
	v_add3_u32 v5, v5, v6, v2
	v_lshlrev_b64 v[4:5], 3, v[4:5]
	s_delay_alu instid0(VALU_DEP_1) | instskip(NEXT) | instid1(VALU_DEP_1)
	v_add_co_u32 v4, s7, s29, v4
	v_add_co_ci_u32_e64 v5, s7, s33, v5, s7
	global_load_b64 v[4:5], v[4:5], off
.LBB186_408:                            ;   in Loop: Header=BB186_406 Depth=2
	s_or_b32 exec_lo, exec_lo, s19
	s_and_saveexec_b32 s7, vcc_lo
	s_cbranch_execz .LBB186_405
; %bb.409:                              ;   in Loop: Header=BB186_406 Depth=2
	s_waitcnt vmcnt(0)
	v_cmp_o_f64_e32 vcc_lo, v[4:5], v[4:5]
	v_ashrrev_i32_e32 v2, 31, v5
	s_delay_alu instid0(VALU_DEP_1) | instskip(SKIP_1) | instid1(VALU_DEP_2)
	v_or_b32_e32 v6, 0x80000000, v2
	v_xor_b32_e32 v2, v2, v4
	v_xor_b32_e32 v6, v6, v5
	s_delay_alu instid0(VALU_DEP_1) | instskip(NEXT) | instid1(VALU_DEP_1)
	v_cndmask_b32_e32 v6, -1, v6, vcc_lo
	v_dual_cndmask_b32 v2, -1, v2 :: v_dual_and_b32 v7, v6, v23
	s_delay_alu instid0(VALU_DEP_1) | instskip(NEXT) | instid1(VALU_DEP_1)
	v_and_b32_e32 v6, v2, v22
	v_cmp_eq_u64_e32 vcc_lo, v[6:7], v[24:25]
	s_and_b32 exec_lo, exec_lo, vcc_lo
	s_cbranch_execz .LBB186_405
; %bb.410:                              ;   in Loop: Header=BB186_406 Depth=2
	v_mov_b32_e32 v2, v19
	ds_store_b128 v19, v[2:5] offset:3072
	s_branch .LBB186_405
.LBB186_411:                            ;   in Loop: Header=BB186_18 Depth=1
	s_or_b32 exec_lo, exec_lo, s18
	s_delay_alu instid0(SALU_CYCLE_1)
	s_and_b32 s7, s9, exec_lo
.LBB186_412:                            ;   in Loop: Header=BB186_18 Depth=1
	s_or_b32 exec_lo, exec_lo, s8
	s_mov_b32 s19, 0
	s_mov_b32 s18, -1
	s_mov_b32 s68, 0
.LBB186_413:                            ;   in Loop: Header=BB186_18 Depth=1
	s_or_not1_b32 s7, s7, exec_lo
.LBB186_414:                            ;   in Loop: Header=BB186_18 Depth=1
	s_or_b32 exec_lo, exec_lo, s60
	s_mov_b32 s26, 0
                                        ; implicit-def: $vgpr2
	s_and_saveexec_b32 s60, s7
	s_cbranch_execz .LBB186_479
; %bb.415:                              ;   in Loop: Header=BB186_18 Depth=1
	v_mov_b32_e32 v10, 1
	v_dual_mov_b32 v11, 0 :: v_dual_mov_b32 v2, 1
	s_xor_b32 s8, s61, -1
	s_delay_alu instid0(SALU_CYCLE_1)
	s_and_saveexec_b32 s7, s8
	s_cbranch_execz .LBB186_425
; %bb.416:                              ;   in Loop: Header=BB186_18 Depth=1
	s_mov_b32 s9, exec_lo
                                        ; implicit-def: $sgpr26
                                        ; implicit-def: $sgpr8
	v_cmpx_ge_u64_e64 s[16:17], v[8:9]
	s_xor_b32 s9, exec_lo, s9
	s_cbranch_execz .LBB186_422
; %bb.417:                              ;   in Loop: Header=BB186_18 Depth=1
	ds_load_b64 v[4:5], v19 offset:5120
	s_waitcnt lgkmcnt(0)
	v_cmp_ne_u64_e32 vcc_lo, 0, v[4:5]
	s_cbranch_vccnz .LBB186_421
; %bb.418:                              ;   in Loop: Header=BB186_18 Depth=1
	s_and_saveexec_b32 s8, s5
	s_cbranch_execz .LBB186_420
; %bb.419:                              ;   in Loop: Header=BB186_18 Depth=1
	v_dual_mov_b32 v4, s16 :: v_dual_mov_b32 v5, s17
	ds_store_b64 v19, v[4:5] offset:5128
.LBB186_420:                            ;   in Loop: Header=BB186_18 Depth=1
	s_or_b32 exec_lo, exec_lo, s8
	s_waitcnt lgkmcnt(0)
	s_barrier
	buffer_gl0_inv
.LBB186_421:                            ;   in Loop: Header=BB186_18 Depth=1
	v_and_b32_e32 v2, s15, v25
	v_and_b32_e32 v4, s14, v24
	s_lshl_b64 s[48:49], 1, s24
	v_or_b32_e32 v23, s13, v23
	v_or_b32_e32 v22, s12, v22
	;; [unrolled: 1-line block ×4, first 2 shown]
	s_mov_b32 s8, 0
	s_mov_b32 s26, 5
.LBB186_422:                            ;   in Loop: Header=BB186_18 Depth=1
	s_or_saveexec_b32 s9, s9
	v_mov_b32_e32 v2, s26
	s_xor_b32 exec_lo, exec_lo, s9
; %bb.423:                              ;   in Loop: Header=BB186_18 Depth=1
	v_sub_co_u32 v8, vcc_lo, v8, s16
	v_subrev_co_ci_u32_e32 v9, vcc_lo, s17, v9, vcc_lo
	v_mov_b32_e32 v2, 0
	s_or_b32 s8, s8, exec_lo
; %bb.424:                              ;   in Loop: Header=BB186_18 Depth=1
	s_or_b32 exec_lo, exec_lo, s9
	s_delay_alu instid0(VALU_DEP_2)
	v_dual_mov_b32 v11, v9 :: v_dual_mov_b32 v10, v8
	s_and_b32 s26, s8, exec_lo
.LBB186_425:                            ;   in Loop: Header=BB186_18 Depth=1
	s_or_b32 exec_lo, exec_lo, s7
	s_mov_b32 s16, -1
                                        ; implicit-def: $sgpr7
                                        ; implicit-def: $sgpr8
                                        ; implicit-def: $sgpr9
	s_and_saveexec_b32 s24, s26
	s_cbranch_execz .LBB186_478
; %bb.426:                              ;   in Loop: Header=BB186_18 Depth=1
	v_cmp_eq_u64_e32 vcc_lo, 1, v[10:11]
	s_cmp_eq_u64 s[10:11], 1
	s_mov_b32 s17, -1
	s_cselect_b32 s7, -1, 0
                                        ; implicit-def: $sgpr8
                                        ; implicit-def: $sgpr9
	s_delay_alu instid0(SALU_CYCLE_1) | instskip(NEXT) | instid1(SALU_CYCLE_1)
	s_and_b32 s61, s7, vcc_lo
                                        ; implicit-def: $sgpr7
	s_and_saveexec_b32 s62, s61
	s_cbranch_execz .LBB186_465
; %bb.427:                              ;   in Loop: Header=BB186_18 Depth=1
	ds_load_b64 v[4:5], v19 offset:5120
	s_waitcnt lgkmcnt(0)
	s_barrier
	buffer_gl0_inv
	v_readfirstlane_b32 s8, v4
	v_readfirstlane_b32 s9, v5
	s_and_saveexec_b32 s7, s6
	s_cbranch_execz .LBB186_429
; %bb.428:                              ;   in Loop: Header=BB186_18 Depth=1
	v_mov_b32_e32 v18, v19
	ds_store_b64 v38, v[18:19]
.LBB186_429:                            ;   in Loop: Header=BB186_18 Depth=1
	s_or_b32 exec_lo, exec_lo, s7
	v_and_b32_e32 v25, s15, v25
	v_and_b32_e32 v24, s14, v24
	v_or_b32_e32 v23, s13, v23
	v_or_b32_e32 v22, s12, v22
	s_cmp_eq_u64 s[8:9], 0
	s_waitcnt lgkmcnt(0)
	s_barrier
	buffer_gl0_inv
	s_cbranch_scc1 .LBB186_434
; %bb.430:                              ;   in Loop: Header=BB186_18 Depth=1
	s_add_u32 s26, s86, s8
	s_addc_u32 s17, s87, s9
	s_mov_b32 s16, s71
	s_delay_alu instid0(SALU_CYCLE_1)
	s_cmp_lg_u64 s[16:17], 0
	s_cbranch_scc0 .LBB186_435
; %bb.431:                              ;   in Loop: Header=BB186_18 Depth=1
	v_cvt_f32_u32_e32 v2, s35
	s_sub_u32 s48, 0, s35
	s_subb_u32 s49, 0, 0
	s_delay_alu instid0(VALU_DEP_1) | instskip(NEXT) | instid1(VALU_DEP_1)
	v_fmac_f32_e64 v2, 0, 0x4f800000
	v_rcp_f32_e32 v2, v2
	s_waitcnt_depctr 0xfff
	v_mul_f32_e32 v2, 0x5f7ffffc, v2
	s_delay_alu instid0(VALU_DEP_1) | instskip(NEXT) | instid1(VALU_DEP_1)
	v_mul_f32_e32 v4, 0x2f800000, v2
	v_trunc_f32_e32 v4, v4
	s_delay_alu instid0(VALU_DEP_1) | instskip(SKIP_1) | instid1(VALU_DEP_2)
	v_fmac_f32_e32 v2, 0xcf800000, v4
	v_cvt_u32_f32_e32 v4, v4
	v_cvt_u32_f32_e32 v2, v2
	s_delay_alu instid0(VALU_DEP_2) | instskip(NEXT) | instid1(VALU_DEP_2)
	v_readfirstlane_b32 s7, v4
	v_readfirstlane_b32 s16, v2
	s_delay_alu instid0(VALU_DEP_2) | instskip(NEXT) | instid1(VALU_DEP_1)
	s_mul_i32 s50, s48, s7
	s_mul_hi_u32 s63, s48, s16
	s_mul_i32 s51, s49, s16
	s_add_i32 s50, s63, s50
	s_mul_i32 s69, s48, s16
	s_add_i32 s50, s50, s51
	s_mul_hi_u32 s63, s16, s69
	s_mul_hi_u32 s80, s7, s69
	s_mul_i32 s51, s7, s69
	s_mul_hi_u32 s69, s16, s50
	s_mul_i32 s16, s16, s50
	s_mul_hi_u32 s81, s7, s50
	s_add_u32 s16, s63, s16
	s_addc_u32 s63, 0, s69
	s_add_u32 s16, s16, s51
	s_mul_i32 s50, s7, s50
	s_addc_u32 s16, s63, s80
	s_addc_u32 s51, s81, 0
	s_add_u32 s16, s16, s50
	s_addc_u32 s50, 0, s51
	v_add_co_u32 v2, s16, v2, s16
	s_delay_alu instid0(VALU_DEP_1) | instskip(SKIP_1) | instid1(VALU_DEP_1)
	s_cmp_lg_u32 s16, 0
	s_addc_u32 s7, s7, s50
	v_readfirstlane_b32 s16, v2
	s_mul_i32 s50, s48, s7
	s_delay_alu instid0(VALU_DEP_1)
	s_mul_hi_u32 s51, s48, s16
	s_mul_i32 s49, s49, s16
	s_add_i32 s50, s51, s50
	s_mul_i32 s48, s48, s16
	s_add_i32 s50, s50, s49
	s_mul_hi_u32 s51, s7, s48
	s_mul_i32 s63, s7, s48
	s_mul_hi_u32 s48, s16, s48
	s_mul_hi_u32 s69, s16, s50
	s_mul_i32 s16, s16, s50
	s_mul_hi_u32 s49, s7, s50
	s_add_u32 s16, s48, s16
	s_addc_u32 s48, 0, s69
	s_add_u32 s16, s16, s63
	s_mul_i32 s50, s7, s50
	s_addc_u32 s16, s48, s51
	s_addc_u32 s48, s49, 0
	s_add_u32 s16, s16, s50
	s_addc_u32 s48, 0, s48
	v_add_co_u32 v2, s16, v2, s16
	s_delay_alu instid0(VALU_DEP_1) | instskip(SKIP_1) | instid1(VALU_DEP_1)
	s_cmp_lg_u32 s16, 0
	s_addc_u32 s7, s7, s48
	v_readfirstlane_b32 s16, v2
	s_mul_i32 s49, s26, s7
	s_mul_hi_u32 s48, s26, s7
	s_mul_hi_u32 s50, s17, s7
	s_mul_i32 s7, s17, s7
	s_mul_hi_u32 s51, s26, s16
	s_mul_hi_u32 s63, s17, s16
	s_mul_i32 s16, s17, s16
	s_add_u32 s49, s51, s49
	s_addc_u32 s48, 0, s48
	s_add_u32 s16, s49, s16
	s_addc_u32 s16, s48, s63
	s_addc_u32 s48, s50, 0
	s_add_u32 s7, s16, s7
	s_addc_u32 s16, 0, s48
	s_mul_hi_u32 s48, s35, s7
	s_mul_i32 s7, s35, s7
	s_mul_i32 s16, s35, s16
	v_sub_co_u32 v2, s7, s26, s7
	s_add_i32 s48, s48, s16
	s_cmp_lg_u32 s7, 0
	s_delay_alu instid0(VALU_DEP_1) | instskip(SKIP_3) | instid1(VALU_DEP_2)
	v_sub_co_u32 v4, s7, v2, s35
	s_subb_u32 s16, s17, s48
	s_cmp_lg_u32 s7, 0
	v_cmp_le_u32_e32 vcc_lo, s35, v2
	v_cmp_le_u32_e64 s7, s35, v4
	v_sub_co_u32 v5, s48, v4, s35
	s_subb_u32 s49, s16, 0
	s_cmp_lg_u32 s48, 0
	s_delay_alu instid0(VALU_DEP_2)
	v_cndmask_b32_e64 v6, 0, -1, s7
	s_subb_u32 s48, s49, 0
	s_cmp_eq_u32 s49, 0
	v_cndmask_b32_e64 v7, 0, -1, vcc_lo
	s_cselect_b32 vcc_lo, -1, 0
	s_cmp_eq_u32 s16, 0
	v_cndmask_b32_e32 v6, -1, v6, vcc_lo
	s_cselect_b32 vcc_lo, -1, 0
	v_dual_mov_b32 v8, s48 :: v_dual_cndmask_b32 v7, -1, v7
	s_delay_alu instid0(VALU_DEP_2) | instskip(NEXT) | instid1(VALU_DEP_2)
	v_cmp_ne_u32_e32 vcc_lo, 0, v6
	v_cmp_ne_u32_e64 s7, 0, v7
	s_delay_alu instid0(VALU_DEP_3) | instskip(SKIP_1) | instid1(VALU_DEP_2)
	v_cndmask_b32_e32 v6, s49, v8, vcc_lo
	v_cndmask_b32_e32 v4, v4, v5, vcc_lo
	v_cndmask_b32_e64 v5, s16, v6, s7
	s_delay_alu instid0(VALU_DEP_2)
	v_cndmask_b32_e64 v4, v2, v4, s7
	s_mov_b32 s7, 0
	s_branch .LBB186_436
.LBB186_432:                            ;   in Loop: Header=BB186_18 Depth=1
                                        ; implicit-def: $vgpr4_vgpr5
	s_branch .LBB186_386
.LBB186_433:                            ;   in Loop: Header=BB186_18 Depth=1
                                        ; implicit-def: $vgpr4_vgpr5
	s_branch .LBB186_402
.LBB186_434:                            ;   in Loop: Header=BB186_18 Depth=1
	s_mov_b32 s7, -1
	s_mov_b32 s17, 0
                                        ; implicit-def: $sgpr8
                                        ; implicit-def: $vgpr6_vgpr7
	s_branch .LBB186_448
.LBB186_435:                            ;   in Loop: Header=BB186_18 Depth=1
	s_mov_b32 s7, -1
                                        ; implicit-def: $vgpr4_vgpr5
.LBB186_436:                            ;   in Loop: Header=BB186_18 Depth=1
	s_delay_alu instid0(SALU_CYCLE_1)
	s_and_not1_b32 vcc_lo, exec_lo, s7
	s_cbranch_vccnz .LBB186_438
; %bb.437:                              ;   in Loop: Header=BB186_18 Depth=1
	v_cvt_f32_u32_e32 v2, s35
	s_sub_i32 s7, 0, s35
	s_delay_alu instid0(VALU_DEP_1) | instskip(SKIP_2) | instid1(VALU_DEP_1)
	v_rcp_iflag_f32_e32 v2, v2
	s_waitcnt_depctr 0xfff
	v_mul_f32_e32 v2, 0x4f7ffffe, v2
	v_cvt_u32_f32_e32 v2, v2
	s_delay_alu instid0(VALU_DEP_1) | instskip(NEXT) | instid1(VALU_DEP_1)
	v_mul_lo_u32 v4, s7, v2
	v_mul_hi_u32 v4, v2, v4
	s_delay_alu instid0(VALU_DEP_1) | instskip(NEXT) | instid1(VALU_DEP_1)
	v_add_nc_u32_e32 v2, v2, v4
	v_mul_hi_u32 v2, s26, v2
	s_delay_alu instid0(VALU_DEP_1) | instskip(NEXT) | instid1(VALU_DEP_1)
	v_mul_lo_u32 v2, v2, s35
	v_sub_nc_u32_e32 v2, s26, v2
	s_delay_alu instid0(VALU_DEP_1) | instskip(SKIP_1) | instid1(VALU_DEP_2)
	v_subrev_nc_u32_e32 v4, s35, v2
	v_cmp_le_u32_e32 vcc_lo, s35, v2
	v_cndmask_b32_e32 v2, v2, v4, vcc_lo
	s_delay_alu instid0(VALU_DEP_1) | instskip(SKIP_1) | instid1(VALU_DEP_2)
	v_subrev_nc_u32_e32 v4, s35, v2
	v_cmp_le_u32_e32 vcc_lo, s35, v2
	v_cndmask_b32_e32 v18, v2, v4, vcc_lo
	s_delay_alu instid0(VALU_DEP_1)
	v_dual_mov_b32 v4, v18 :: v_dual_mov_b32 v5, v19
.LBB186_438:                            ;   in Loop: Header=BB186_18 Depth=1
	s_delay_alu instid0(VALU_DEP_1) | instskip(NEXT) | instid1(VALU_DEP_2)
	v_sub_co_u32 v8, vcc_lo, s26, v4
	v_sub_co_ci_u32_e32 v9, vcc_lo, s17, v5, vcc_lo
	s_mov_b32 s17, 0
	s_mov_b32 s16, exec_lo
                                        ; implicit-def: $vgpr6_vgpr7
	s_delay_alu instid0(VALU_DEP_1)
	v_cmpx_gt_u64_e64 v[8:9], v[0:1]
	s_cbranch_execz .LBB186_447
; %bb.439:                              ;   in Loop: Header=BB186_18 Depth=1
	v_mov_b32_e32 v14, v37
	v_dual_mov_b32 v13, v1 :: v_dual_mov_b32 v12, v0
	s_mov_b32 s26, 0
                                        ; implicit-def: $sgpr17
	s_set_inst_prefetch_distance 0x1
	s_branch .LBB186_441
	.p2align	6
.LBB186_440:                            ;   in Loop: Header=BB186_441 Depth=2
	s_or_b32 exec_lo, exec_lo, s7
	s_waitcnt lgkmcnt(0)
	s_barrier
	buffer_gl0_inv
	ds_load_b128 v[4:7], v19 offset:3072
	v_add_co_u32 v12, s7, v12, s35
	s_delay_alu instid0(VALU_DEP_1) | instskip(SKIP_3) | instid1(VALU_DEP_2)
	v_add_co_ci_u32_e64 v13, s7, 0, v13, s7
	v_add_nc_u32_e32 v14, s94, v14
	s_waitcnt lgkmcnt(0)
	s_barrier
	v_cmp_ge_u64_e64 s7, v[12:13], v[8:9]
	buffer_gl0_inv
	v_cmp_neq_f64_e32 vcc_lo, 0, v[4:5]
	s_or_b32 s7, s7, vcc_lo
	s_delay_alu instid0(SALU_CYCLE_1) | instskip(NEXT) | instid1(SALU_CYCLE_1)
	s_and_b32 s7, exec_lo, s7
	s_or_b32 s26, s7, s26
	s_and_not1_b32 s7, s17, exec_lo
	s_and_b32 s17, vcc_lo, exec_lo
	s_delay_alu instid0(SALU_CYCLE_1)
	s_or_b32 s17, s7, s17
	s_and_not1_b32 exec_lo, exec_lo, s26
	s_cbranch_execz .LBB186_446
.LBB186_441:                            ;   Parent Loop BB186_18 Depth=1
                                        ; =>  This Inner Loop Header: Depth=2
	s_delay_alu instid0(VALU_DEP_1)
	v_cmp_gt_u64_e32 vcc_lo, s[8:9], v[12:13]
	v_mov_b32_e32 v4, 0
	v_mov_b32_e32 v5, 0
	s_and_saveexec_b32 s7, vcc_lo
	s_cbranch_execz .LBB186_443
; %bb.442:                              ;   in Loop: Header=BB186_441 Depth=2
	ds_load_b64 v[4:5], v14
.LBB186_443:                            ;   in Loop: Header=BB186_441 Depth=2
	s_or_b32 exec_lo, exec_lo, s7
	s_and_saveexec_b32 s7, vcc_lo
	s_cbranch_execz .LBB186_440
; %bb.444:                              ;   in Loop: Header=BB186_441 Depth=2
	s_waitcnt lgkmcnt(0)
	v_cmp_o_f64_e32 vcc_lo, v[4:5], v[4:5]
	v_ashrrev_i32_e32 v2, 31, v5
	s_delay_alu instid0(VALU_DEP_1) | instskip(SKIP_1) | instid1(VALU_DEP_2)
	v_or_b32_e32 v6, 0x80000000, v2
	v_xor_b32_e32 v2, v2, v4
	v_xor_b32_e32 v6, v6, v5
	s_delay_alu instid0(VALU_DEP_1) | instskip(NEXT) | instid1(VALU_DEP_1)
	v_cndmask_b32_e32 v6, -1, v6, vcc_lo
	v_dual_cndmask_b32 v2, -1, v2 :: v_dual_and_b32 v7, v6, v23
	s_delay_alu instid0(VALU_DEP_1) | instskip(NEXT) | instid1(VALU_DEP_1)
	v_and_b32_e32 v6, v2, v22
	v_cmp_eq_u64_e32 vcc_lo, v[6:7], v[24:25]
	s_and_b32 exec_lo, exec_lo, vcc_lo
	s_cbranch_execz .LBB186_440
; %bb.445:                              ;   in Loop: Header=BB186_441 Depth=2
	v_mov_b32_e32 v2, v19
	ds_store_b128 v19, v[2:5] offset:3072
	s_branch .LBB186_440
.LBB186_446:                            ;   in Loop: Header=BB186_18 Depth=1
	s_set_inst_prefetch_distance 0x2
	s_or_b32 exec_lo, exec_lo, s26
	s_delay_alu instid0(SALU_CYCLE_1)
	s_and_b32 s17, s17, exec_lo
.LBB186_447:                            ;   in Loop: Header=BB186_18 Depth=1
	s_or_b32 exec_lo, exec_lo, s16
	s_mov_b32 s7, 0
	s_mov_b32 s8, -1
.LBB186_448:                            ;   in Loop: Header=BB186_18 Depth=1
	s_and_b32 vcc_lo, exec_lo, s7
	s_mov_b32 s9, s7
	s_cbranch_vccz .LBB186_464
; %bb.449:                              ;   in Loop: Header=BB186_18 Depth=1
	s_mov_b32 s26, s71
	s_delay_alu instid0(SALU_CYCLE_1)
	s_cmp_lg_u64 s[26:27], 0
	s_cbranch_scc0 .LBB186_451
; %bb.450:                              ;   in Loop: Header=BB186_18 Depth=1
	v_cvt_f32_u32_e32 v2, s35
	s_sub_u32 s9, 0, s35
	s_subb_u32 s16, 0, 0
	s_delay_alu instid0(VALU_DEP_1) | instskip(NEXT) | instid1(VALU_DEP_1)
	v_fmac_f32_e64 v2, 0, 0x4f800000
	v_rcp_f32_e32 v2, v2
	s_waitcnt_depctr 0xfff
	v_mul_f32_e32 v2, 0x5f7ffffc, v2
	s_delay_alu instid0(VALU_DEP_1) | instskip(NEXT) | instid1(VALU_DEP_1)
	v_mul_f32_e32 v4, 0x2f800000, v2
	v_trunc_f32_e32 v4, v4
	s_delay_alu instid0(VALU_DEP_1) | instskip(SKIP_1) | instid1(VALU_DEP_2)
	v_fmac_f32_e32 v2, 0xcf800000, v4
	v_cvt_u32_f32_e32 v4, v4
	v_cvt_u32_f32_e32 v2, v2
	s_delay_alu instid0(VALU_DEP_2) | instskip(NEXT) | instid1(VALU_DEP_2)
	v_readfirstlane_b32 s7, v4
	v_readfirstlane_b32 s8, v2
	s_delay_alu instid0(VALU_DEP_2) | instskip(NEXT) | instid1(VALU_DEP_1)
	s_mul_i32 s17, s9, s7
	s_mul_hi_u32 s48, s9, s8
	s_mul_i32 s26, s16, s8
	s_add_i32 s17, s48, s17
	s_mul_i32 s49, s9, s8
	s_add_i32 s17, s17, s26
	s_mul_hi_u32 s48, s8, s49
	s_mul_hi_u32 s50, s7, s49
	s_mul_i32 s26, s7, s49
	s_mul_hi_u32 s49, s8, s17
	s_mul_i32 s8, s8, s17
	s_mul_hi_u32 s51, s7, s17
	s_add_u32 s8, s48, s8
	s_addc_u32 s48, 0, s49
	s_add_u32 s8, s8, s26
	s_mul_i32 s17, s7, s17
	s_addc_u32 s8, s48, s50
	s_addc_u32 s26, s51, 0
	s_add_u32 s8, s8, s17
	s_addc_u32 s17, 0, s26
	v_add_co_u32 v2, s8, v2, s8
	s_delay_alu instid0(VALU_DEP_1) | instskip(SKIP_1) | instid1(VALU_DEP_1)
	s_cmp_lg_u32 s8, 0
	s_addc_u32 s7, s7, s17
	v_readfirstlane_b32 s8, v2
	s_mul_i32 s17, s9, s7
	s_delay_alu instid0(VALU_DEP_1)
	s_mul_hi_u32 s26, s9, s8
	s_mul_i32 s16, s16, s8
	s_add_i32 s17, s26, s17
	s_mul_i32 s9, s9, s8
	s_add_i32 s17, s17, s16
	s_mul_hi_u32 s26, s7, s9
	s_mul_i32 s48, s7, s9
	s_mul_hi_u32 s9, s8, s9
	s_mul_hi_u32 s49, s8, s17
	s_mul_i32 s8, s8, s17
	s_mul_hi_u32 s16, s7, s17
	s_add_u32 s8, s9, s8
	s_addc_u32 s9, 0, s49
	s_add_u32 s8, s8, s48
	s_mul_i32 s17, s7, s17
	s_addc_u32 s8, s9, s26
	s_addc_u32 s9, s16, 0
	s_add_u32 s8, s8, s17
	s_addc_u32 s9, 0, s9
	v_add_co_u32 v2, s8, v2, s8
	s_delay_alu instid0(VALU_DEP_1) | instskip(SKIP_1) | instid1(VALU_DEP_1)
	s_cmp_lg_u32 s8, 0
	s_addc_u32 s7, s7, s9
	v_readfirstlane_b32 s8, v2
	s_mul_i32 s16, s88, s7
	s_mul_hi_u32 s9, s88, s7
	s_mul_hi_u32 s17, s27, s7
	s_mul_i32 s7, s27, s7
	s_mul_hi_u32 s26, s88, s8
	s_mul_hi_u32 s48, s27, s8
	s_mul_i32 s8, s27, s8
	s_add_u32 s16, s26, s16
	s_addc_u32 s9, 0, s9
	s_add_u32 s8, s16, s8
	s_addc_u32 s8, s9, s48
	s_addc_u32 s9, s17, 0
	s_add_u32 s7, s8, s7
	s_addc_u32 s8, 0, s9
	s_mul_hi_u32 s9, s35, s7
	s_mul_i32 s7, s35, s7
	s_mul_i32 s8, s35, s8
	v_sub_co_u32 v2, s7, s88, s7
	s_add_i32 s9, s9, s8
	s_cmp_lg_u32 s7, 0
	s_delay_alu instid0(VALU_DEP_1) | instskip(SKIP_3) | instid1(VALU_DEP_2)
	v_sub_co_u32 v4, s7, v2, s35
	s_subb_u32 s8, s27, s9
	s_cmp_lg_u32 s7, 0
	v_cmp_le_u32_e32 vcc_lo, s35, v2
	v_cmp_le_u32_e64 s7, s35, v4
	v_sub_co_u32 v5, s9, v4, s35
	s_subb_u32 s16, s8, 0
	s_cmp_lg_u32 s9, 0
	s_delay_alu instid0(VALU_DEP_2)
	v_cndmask_b32_e64 v6, 0, -1, s7
	s_subb_u32 s9, s16, 0
	s_cmp_eq_u32 s16, 0
	v_cndmask_b32_e64 v7, 0, -1, vcc_lo
	s_cselect_b32 vcc_lo, -1, 0
	s_cmp_eq_u32 s8, 0
	v_cndmask_b32_e32 v6, -1, v6, vcc_lo
	s_cselect_b32 vcc_lo, -1, 0
	v_dual_mov_b32 v8, s9 :: v_dual_cndmask_b32 v7, -1, v7
	s_delay_alu instid0(VALU_DEP_2) | instskip(NEXT) | instid1(VALU_DEP_2)
	v_cmp_ne_u32_e32 vcc_lo, 0, v6
	v_cmp_ne_u32_e64 s7, 0, v7
	s_delay_alu instid0(VALU_DEP_3) | instskip(SKIP_1) | instid1(VALU_DEP_2)
	v_cndmask_b32_e32 v6, s16, v8, vcc_lo
	v_cndmask_b32_e32 v4, v4, v5, vcc_lo
	v_cndmask_b32_e64 v5, s8, v6, s7
	s_delay_alu instid0(VALU_DEP_2)
	v_cndmask_b32_e64 v4, v2, v4, s7
	s_mov_b32 s7, 0
	s_branch .LBB186_452
.LBB186_451:                            ;   in Loop: Header=BB186_18 Depth=1
	s_mov_b32 s7, -1
                                        ; implicit-def: $vgpr4_vgpr5
.LBB186_452:                            ;   in Loop: Header=BB186_18 Depth=1
	s_delay_alu instid0(SALU_CYCLE_1)
	s_and_not1_b32 vcc_lo, exec_lo, s7
	s_cbranch_vccnz .LBB186_454
; %bb.453:                              ;   in Loop: Header=BB186_18 Depth=1
	v_cvt_f32_u32_e32 v2, s35
	s_sub_i32 s7, 0, s35
	s_delay_alu instid0(VALU_DEP_1) | instskip(SKIP_2) | instid1(VALU_DEP_1)
	v_rcp_iflag_f32_e32 v2, v2
	s_waitcnt_depctr 0xfff
	v_mul_f32_e32 v2, 0x4f7ffffe, v2
	v_cvt_u32_f32_e32 v2, v2
	s_delay_alu instid0(VALU_DEP_1) | instskip(NEXT) | instid1(VALU_DEP_1)
	v_mul_lo_u32 v4, s7, v2
	v_mul_hi_u32 v4, v2, v4
	s_delay_alu instid0(VALU_DEP_1) | instskip(NEXT) | instid1(VALU_DEP_1)
	v_add_nc_u32_e32 v2, v2, v4
	v_mul_hi_u32 v2, s88, v2
	s_delay_alu instid0(VALU_DEP_1) | instskip(NEXT) | instid1(VALU_DEP_1)
	v_mul_lo_u32 v2, v2, s35
	v_sub_nc_u32_e32 v2, s88, v2
	s_delay_alu instid0(VALU_DEP_1) | instskip(SKIP_1) | instid1(VALU_DEP_2)
	v_subrev_nc_u32_e32 v4, s35, v2
	v_cmp_le_u32_e32 vcc_lo, s35, v2
	v_cndmask_b32_e32 v2, v2, v4, vcc_lo
	s_delay_alu instid0(VALU_DEP_1) | instskip(SKIP_1) | instid1(VALU_DEP_2)
	v_subrev_nc_u32_e32 v4, s35, v2
	v_cmp_le_u32_e32 vcc_lo, s35, v2
	v_cndmask_b32_e32 v18, v2, v4, vcc_lo
	s_delay_alu instid0(VALU_DEP_1)
	v_dual_mov_b32 v4, v18 :: v_dual_mov_b32 v5, v19
.LBB186_454:                            ;   in Loop: Header=BB186_18 Depth=1
	s_delay_alu instid0(VALU_DEP_1) | instskip(NEXT) | instid1(VALU_DEP_2)
	v_sub_co_u32 v8, vcc_lo, s88, v4
	v_sub_co_ci_u32_e32 v9, vcc_lo, s27, v5, vcc_lo
	s_mov_b32 s17, 0
	s_mov_b32 s8, exec_lo
                                        ; implicit-def: $vgpr6_vgpr7
	s_delay_alu instid0(VALU_DEP_1)
	v_cmpx_gt_u64_e64 v[8:9], v[0:1]
	s_cbranch_execz .LBB186_463
; %bb.455:                              ;   in Loop: Header=BB186_18 Depth=1
	v_dual_mov_b32 v13, v1 :: v_dual_mov_b32 v12, v0
	s_mov_b32 s16, 0
                                        ; implicit-def: $sgpr9
	s_branch .LBB186_457
.LBB186_456:                            ;   in Loop: Header=BB186_457 Depth=2
	s_or_b32 exec_lo, exec_lo, s7
	s_waitcnt vmcnt(0) lgkmcnt(0)
	s_barrier
	buffer_gl0_inv
	ds_load_b128 v[4:7], v19 offset:3072
	v_add_co_u32 v12, s7, v12, s35
	s_delay_alu instid0(VALU_DEP_1)
	v_add_co_ci_u32_e64 v13, s7, 0, v13, s7
	s_waitcnt lgkmcnt(0)
	s_barrier
	buffer_gl0_inv
	v_cmp_ge_u64_e64 s7, v[12:13], v[8:9]
	v_cmp_neq_f64_e32 vcc_lo, 0, v[4:5]
	s_delay_alu instid0(VALU_DEP_2) | instskip(NEXT) | instid1(SALU_CYCLE_1)
	s_or_b32 s7, s7, vcc_lo
	s_and_b32 s7, exec_lo, s7
	s_delay_alu instid0(SALU_CYCLE_1) | instskip(SKIP_2) | instid1(SALU_CYCLE_1)
	s_or_b32 s16, s7, s16
	s_and_not1_b32 s7, s9, exec_lo
	s_and_b32 s9, vcc_lo, exec_lo
	s_or_b32 s9, s7, s9
	s_and_not1_b32 exec_lo, exec_lo, s16
	s_cbranch_execz .LBB186_462
.LBB186_457:                            ;   Parent Loop BB186_18 Depth=1
                                        ; =>  This Inner Loop Header: Depth=2
	s_delay_alu instid0(VALU_DEP_1)
	v_cmp_gt_u64_e32 vcc_lo, s[36:37], v[12:13]
	v_mov_b32_e32 v4, 0
	v_mov_b32_e32 v5, 0
	s_and_saveexec_b32 s17, vcc_lo
	s_cbranch_execz .LBB186_459
; %bb.458:                              ;   in Loop: Header=BB186_457 Depth=2
	v_mul_lo_u32 v2, v13, s30
	v_mul_lo_u32 v6, v12, s31
	v_mad_u64_u32 v[4:5], null, v12, s30, 0
	s_delay_alu instid0(VALU_DEP_1) | instskip(NEXT) | instid1(VALU_DEP_1)
	v_add3_u32 v5, v5, v6, v2
	v_lshlrev_b64 v[4:5], 3, v[4:5]
	s_delay_alu instid0(VALU_DEP_1) | instskip(NEXT) | instid1(VALU_DEP_1)
	v_add_co_u32 v4, s7, s29, v4
	v_add_co_ci_u32_e64 v5, s7, s33, v5, s7
	global_load_b64 v[4:5], v[4:5], off
.LBB186_459:                            ;   in Loop: Header=BB186_457 Depth=2
	s_or_b32 exec_lo, exec_lo, s17
	s_and_saveexec_b32 s7, vcc_lo
	s_cbranch_execz .LBB186_456
; %bb.460:                              ;   in Loop: Header=BB186_457 Depth=2
	s_waitcnt vmcnt(0)
	v_cmp_o_f64_e32 vcc_lo, v[4:5], v[4:5]
	v_ashrrev_i32_e32 v2, 31, v5
	s_delay_alu instid0(VALU_DEP_1) | instskip(SKIP_1) | instid1(VALU_DEP_2)
	v_or_b32_e32 v6, 0x80000000, v2
	v_xor_b32_e32 v2, v2, v4
	v_xor_b32_e32 v6, v6, v5
	s_delay_alu instid0(VALU_DEP_1) | instskip(NEXT) | instid1(VALU_DEP_1)
	v_cndmask_b32_e32 v6, -1, v6, vcc_lo
	v_dual_cndmask_b32 v2, -1, v2 :: v_dual_and_b32 v7, v6, v23
	s_delay_alu instid0(VALU_DEP_1) | instskip(NEXT) | instid1(VALU_DEP_1)
	v_and_b32_e32 v6, v2, v22
	v_cmp_eq_u64_e32 vcc_lo, v[6:7], v[24:25]
	s_and_b32 exec_lo, exec_lo, vcc_lo
	s_cbranch_execz .LBB186_456
; %bb.461:                              ;   in Loop: Header=BB186_457 Depth=2
	v_mov_b32_e32 v2, v19
	ds_store_b128 v19, v[2:5] offset:3072
	s_branch .LBB186_456
.LBB186_462:                            ;   in Loop: Header=BB186_18 Depth=1
	s_or_b32 exec_lo, exec_lo, s16
	s_delay_alu instid0(SALU_CYCLE_1)
	s_and_b32 s17, s9, exec_lo
.LBB186_463:                            ;   in Loop: Header=BB186_18 Depth=1
	s_or_b32 exec_lo, exec_lo, s8
	s_mov_b32 s8, 0
	s_mov_b32 s7, -1
	s_mov_b32 s9, 0
.LBB186_464:                            ;   in Loop: Header=BB186_18 Depth=1
	s_or_not1_b32 s17, s17, exec_lo
.LBB186_465:                            ;   in Loop: Header=BB186_18 Depth=1
	s_or_b32 exec_lo, exec_lo, s62
	s_mov_b32 s26, 0
                                        ; implicit-def: $vgpr2
                                        ; implicit-def: $vgpr4_vgpr5
	s_and_saveexec_b32 s16, s17
	s_cbranch_execz .LBB186_477
; %bb.466:                              ;   in Loop: Header=BB186_18 Depth=1
	v_mov_b32_e32 v4, 1
	v_dual_mov_b32 v5, 0 :: v_dual_mov_b32 v2, 1
	s_xor_b32 s26, s61, -1
	s_delay_alu instid0(SALU_CYCLE_1)
	s_and_saveexec_b32 s17, s26
	s_cbranch_execz .LBB186_476
; %bb.467:                              ;   in Loop: Header=BB186_18 Depth=1
	s_mov_b32 s26, exec_lo
                                        ; implicit-def: $sgpr48
	v_cmpx_ge_u64_e64 s[10:11], v[10:11]
	s_xor_b32 s26, exec_lo, s26
	s_cbranch_execz .LBB186_473
; %bb.468:                              ;   in Loop: Header=BB186_18 Depth=1
	ds_load_b64 v[4:5], v19 offset:5120
	s_waitcnt lgkmcnt(0)
	v_cmp_ne_u64_e32 vcc_lo, 0, v[4:5]
	s_cbranch_vccnz .LBB186_472
; %bb.469:                              ;   in Loop: Header=BB186_18 Depth=1
	s_and_saveexec_b32 s48, s5
	s_cbranch_execz .LBB186_471
; %bb.470:                              ;   in Loop: Header=BB186_18 Depth=1
	v_dual_mov_b32 v4, s10 :: v_dual_mov_b32 v5, s11
	ds_store_b64 v19, v[4:5] offset:5128
.LBB186_471:                            ;   in Loop: Header=BB186_18 Depth=1
	s_or_b32 exec_lo, exec_lo, s48
	s_waitcnt lgkmcnt(0)
	s_barrier
	buffer_gl0_inv
.LBB186_472:                            ;   in Loop: Header=BB186_18 Depth=1
	v_and_b32_e32 v25, s15, v25
	v_and_b32_e32 v24, s14, v24
	v_or_b32_e32 v23, s13, v23
	v_or_b32_e32 v22, s12, v22
	s_mov_b32 s48, 5
.LBB186_473:                            ;   in Loop: Header=BB186_18 Depth=1
	s_or_saveexec_b32 s12, s26
	v_mov_b32_e32 v2, s48
	s_xor_b32 exec_lo, exec_lo, s12
; %bb.474:                              ;   in Loop: Header=BB186_18 Depth=1
	v_sub_co_u32 v10, vcc_lo, v10, s10
	v_subrev_co_ci_u32_e32 v11, vcc_lo, s11, v11, vcc_lo
	v_mov_b32_e32 v2, 5
; %bb.475:                              ;   in Loop: Header=BB186_18 Depth=1
	s_or_b32 exec_lo, exec_lo, s12
	s_delay_alu instid0(VALU_DEP_2)
	v_dual_mov_b32 v4, v10 :: v_dual_mov_b32 v5, v11
.LBB186_476:                            ;   in Loop: Header=BB186_18 Depth=1
	s_or_b32 exec_lo, exec_lo, s17
	s_delay_alu instid0(SALU_CYCLE_1)
	s_mov_b32 s26, exec_lo
.LBB186_477:                            ;   in Loop: Header=BB186_18 Depth=1
	s_or_b32 exec_lo, exec_lo, s16
	s_delay_alu instid0(VALU_DEP_1)
	v_dual_mov_b32 v11, v5 :: v_dual_mov_b32 v10, v4
	s_or_not1_b32 s16, s26, exec_lo
.LBB186_478:                            ;   in Loop: Header=BB186_18 Depth=1
	s_or_b32 exec_lo, exec_lo, s24
	s_delay_alu instid0(SALU_CYCLE_1)
	s_and_not1_b32 s10, s18, exec_lo
	s_and_b32 s7, s7, exec_lo
	s_and_b32 s8, s8, exec_lo
	s_or_b32 s18, s10, s7
	s_and_not1_b32 s7, s19, exec_lo
	s_and_not1_b32 s10, s68, exec_lo
	s_and_b32 s9, s9, exec_lo
	v_dual_mov_b32 v8, v10 :: v_dual_mov_b32 v9, v11
	s_or_b32 s19, s7, s8
	s_or_b32 s68, s10, s9
	s_and_b32 s26, s16, exec_lo
.LBB186_479:                            ;   in Loop: Header=BB186_18 Depth=1
	s_or_b32 exec_lo, exec_lo, s60
	s_delay_alu instid0(SALU_CYCLE_1)
	s_and_b32 s18, s18, exec_lo
	s_and_b32 s9, s19, exec_lo
	s_and_b32 s8, s68, exec_lo
	s_or_not1_b32 s7, s26, exec_lo
.LBB186_480:                            ;   in Loop: Header=BB186_18 Depth=1
	s_or_b32 exec_lo, exec_lo, s79
	s_delay_alu instid0(SALU_CYCLE_1)
	s_and_not1_b32 s10, s20, exec_lo
	s_and_b32 s11, s18, exec_lo
	s_and_b32 s9, s9, exec_lo
	s_or_b32 s20, s10, s11
	s_and_not1_b32 s10, s21, exec_lo
	s_and_not1_b32 s11, s77, exec_lo
	s_and_b32 s8, s8, exec_lo
	v_dual_mov_b32 v29, v9 :: v_dual_mov_b32 v28, v8
	s_or_b32 s21, s10, s9
	s_or_b32 s77, s11, s8
	s_and_b32 s26, s7, exec_lo
.LBB186_481:                            ;   in Loop: Header=BB186_18 Depth=1
	s_or_b32 exec_lo, exec_lo, s78
	s_delay_alu instid0(SALU_CYCLE_1)
	s_and_b32 s20, s20, exec_lo
	s_and_b32 s9, s21, exec_lo
	;; [unrolled: 1-line block ×3, first 2 shown]
	s_or_not1_b32 s21, s26, exec_lo
.LBB186_482:                            ;   in Loop: Header=BB186_18 Depth=1
	s_or_b32 exec_lo, exec_lo, s76
	s_mov_b32 s7, s74
	s_mov_b32 s10, s70
	s_and_saveexec_b32 s11, s21
; %bb.483:                              ;   in Loop: Header=BB186_18 Depth=1
	v_cmp_eq_u32_e32 vcc_lo, 5, v2
	v_cmp_ne_u32_e64 s7, 5, v2
	s_and_not1_b32 s10, s70, exec_lo
	s_and_not1_b32 s12, s74, exec_lo
	;; [unrolled: 1-line block ×3, first 2 shown]
	s_and_b32 s13, vcc_lo, exec_lo
	s_and_b32 s7, s7, exec_lo
	s_and_not1_b32 s9, s9, exec_lo
	s_and_not1_b32 s8, s8, exec_lo
	s_or_b32 s10, s10, s7
	s_or_b32 s7, s12, s13
; %bb.484:                              ;   in Loop: Header=BB186_18 Depth=1
	s_or_b32 exec_lo, exec_lo, s11
	s_delay_alu instid0(SALU_CYCLE_1)
	s_and_not1_b32 s11, s22, exec_lo
	s_and_b32 s12, s20, exec_lo
	s_and_b32 s9, s9, exec_lo
	s_or_b32 s22, s11, s12
	s_and_not1_b32 s11, s23, exec_lo
	s_and_not1_b32 s12, s25, exec_lo
	s_and_b32 s8, s8, exec_lo
	v_dual_mov_b32 v12, v24 :: v_dual_mov_b32 v13, v25
	v_dual_mov_b32 v14, v22 :: v_dual_mov_b32 v15, v23
	;; [unrolled: 1-line block ×3, first 2 shown]
	s_or_b32 s23, s11, s9
	s_or_b32 s25, s12, s8
	s_and_not1_b32 s8, s70, exec_lo
	s_and_b32 s9, s10, exec_lo
	s_and_not1_b32 s10, s74, exec_lo
	s_and_b32 s7, s7, exec_lo
	s_or_b32 s70, s8, s9
	s_or_b32 s74, s10, s7
.LBB186_485:                            ;   in Loop: Header=BB186_18 Depth=1
	s_or_b32 exec_lo, exec_lo, s75
	s_mov_b32 s76, s25
	s_mov_b32 s75, s25
	s_and_saveexec_b32 s7, s74
.LBB186_486:                            ;   in Loop: Header=BB186_18 Depth=1
	v_mov_b32_e32 v2, 0
	s_and_not1_b32 s25, s25, exec_lo
	s_and_not1_b32 s22, s22, exec_lo
	;; [unrolled: 1-line block ×5, first 2 shown]
	s_or_b32 s70, s70, exec_lo
.LBB186_487:                            ;   in Loop: Header=BB186_18 Depth=1
	s_or_b32 exec_lo, exec_lo, s7
	s_delay_alu instid0(SALU_CYCLE_1)
	s_and_not1_b32 s7, s67, exec_lo
	s_and_b32 s9, s25, exec_lo
	s_and_not1_b32 s10, s104, exec_lo
	s_or_b32 s67, s7, s9
	s_and_not1_b32 s7, s66, exec_lo
	s_and_b32 s9, s22, exec_lo
	s_and_b32 s11, s23, exec_lo
	s_or_b32 s66, s7, s9
	s_or_b32 s104, s10, s11
	s_and_not1_b32 s7, vcc_hi, exec_lo
	s_and_b32 s9, s76, exec_lo
	s_and_not1_b32 s10, s103, exec_lo
	s_and_b32 s11, s75, exec_lo
	s_mov_b32 s8, -1
	s_or_b32 vcc_hi, s7, s9
	s_or_b32 s103, s10, s11
                                        ; implicit-def: $vgpr22_vgpr23
                                        ; implicit-def: $vgpr24_vgpr25
                                        ; implicit-def: $vgpr26_vgpr27
                                        ; implicit-def: $vgpr6_vgpr7
	s_and_saveexec_b32 s7, s70
	s_delay_alu instid0(SALU_CYCLE_1)
	s_xor_b32 s7, exec_lo, s7
	s_cbranch_execz .LBB186_17
; %bb.488:                              ;   in Loop: Header=BB186_18 Depth=1
	s_mov_b32 s9, -1
	s_mov_b32 s10, exec_lo
	v_cmpx_eq_u32_e32 0, v2
	s_cbranch_execz .LBB186_16
; %bb.489:                              ;   in Loop: Header=BB186_18 Depth=1
	s_xor_b32 s97, s97, 1
	s_add_i32 s11, s101, -2
	s_cmp_eq_u32 s101, 0
	s_mov_b32 s101, s11
	s_cselect_b32 s8, -1, 0
	s_xor_b32 s9, exec_lo, -1
	s_or_not1_b32 s8, s8, exec_lo
	s_branch .LBB186_16
.LBB186_490:
	s_or_b32 exec_lo, exec_lo, s95
	s_xor_b32 s7, s102, -1
	s_xor_b32 s9, s99, -1
	;; [unrolled: 1-line block ×5, first 2 shown]
	s_mov_b32 s8, 0
	s_and_saveexec_b32 s12, s11
	s_delay_alu instid0(SALU_CYCLE_1)
	s_xor_b32 s12, exec_lo, s12
	s_cbranch_execz .LBB186_551
; %bb.491:
	s_and_saveexec_b32 s11, s10
	s_delay_alu instid0(SALU_CYCLE_1)
	s_xor_b32 s13, exec_lo, s11
	s_cbranch_execz .LBB186_549
; %bb.492:
	;; [unrolled: 5-line block ×4, first 2 shown]
	s_and_saveexec_b32 s7, s6
	s_delay_alu instid0(SALU_CYCLE_1)
	s_xor_b32 s6, exec_lo, s7
; %bb.495:
	v_lshrrev_b32_e32 v2, 31, v13
	s_delay_alu instid0(VALU_DEP_1) | instskip(NEXT) | instid1(VALU_DEP_1)
	v_add_co_u32 v2, s7, v2, -1
	v_add_co_ci_u32_e64 v3, null, 0, -1, s7
	s_delay_alu instid0(VALU_DEP_2) | instskip(NEXT) | instid1(VALU_DEP_2)
	v_xor_b32_e32 v10, v2, v12
	v_or_b32_e32 v3, 0x80000000, v3
	s_delay_alu instid0(VALU_DEP_1)
	v_xor_b32_e32 v11, v3, v13
; %bb.496:
	s_or_b32 exec_lo, exec_lo, s6
	s_and_saveexec_b32 s6, s5
	s_cbranch_execz .LBB186_498
; %bb.497:
	v_mov_b32_e32 v2, 0
	s_delay_alu instid0(VALU_DEP_1)
	v_mov_b32_e32 v3, v2
	ds_store_b64 v2, v[2:3] offset:5136
.LBB186_498:
	s_or_b32 exec_lo, exec_lo, s6
	v_mov_b32_e32 v4, 0
	v_mov_b32_e32 v5, 0
	s_waitcnt lgkmcnt(0)
	s_barrier
	buffer_gl0_inv
	s_and_saveexec_b32 s5, s4
	s_cbranch_execz .LBB186_500
; %bb.499:
	global_load_b64 v[4:5], v[16:17], off
.LBB186_500:
	s_or_b32 exec_lo, exec_lo, s5
	s_mul_i32 s11, s28, s41
	s_mul_hi_u32 s16, s28, s40
	s_mul_i32 s18, s28, s40
	s_clause 0x1
	s_load_b64 s[40:41], s[0:1], 0x450
	s_load_b128 s[48:51], s[0:1], 0x298
	s_mul_i32 s22, s56, s43
	s_mul_hi_u32 s23, s56, s42
	s_mul_i32 s24, s56, s42
	s_load_b64 s[42:43], s[0:1], 0x2a8
	s_add_u32 s5, s36, 31
	s_mul_i32 s8, s64, s47
	s_mul_hi_u32 s9, s64, s46
	s_mul_i32 s10, s64, s46
	s_addc_u32 s7, s37, 0
	s_and_b32 s6, s5, 0xffffffe0
	s_add_i32 s9, s9, s8
	s_sub_u32 s27, s34, s10
	s_subb_u32 s5, 0, s9
	s_add_i32 s16, s16, s11
	s_mul_i32 s25, s58, s45
	s_mul_hi_u32 s26, s58, s44
	v_cmp_o_f64_e32 vcc_lo, v[10:11], v[10:11]
	v_ashrrev_i32_e32 v2, 31, v11
	s_waitcnt lgkmcnt(0)
	s_mul_i32 s8, s27, s41
	s_mul_hi_u32 s9, s27, s40
	s_mul_i32 s5, s5, s40
	s_add_i32 s8, s9, s8
	s_mul_i32 s19, s28, s49
	s_add_i32 s17, s8, s5
	s_sub_u32 s5, s56, s18
	s_subb_u32 s8, s57, s16
	s_mul_i32 s10, s5, s51
	s_mul_hi_u32 s11, s5, s50
	s_mul_hi_u32 s20, s28, s48
	s_mul_i32 s8, s8, s50
	s_add_i32 s10, s11, s10
	s_add_i32 s9, s20, s19
	;; [unrolled: 1-line block ×4, first 2 shown]
	s_sub_u32 s16, s34, s24
	s_subb_u32 s8, 0, s23
	s_mul_i32 s10, s16, s43
	s_mul_hi_u32 s18, s16, s42
	s_mul_i32 s8, s8, s42
	s_add_i32 s10, s18, s10
	s_add_i32 s26, s26, s25
	;; [unrolled: 1-line block ×3, first 2 shown]
	s_mul_i32 s8, s58, s44
	s_load_b128 s[44:47], s[0:1], 0x440
	s_sub_u32 s20, s64, s8
	s_mul_i32 s10, s5, s50
	s_subb_u32 s18, s65, s26
	v_or_b32_e32 v3, 0x80000000, v2
	v_xor_b32_e32 v2, v2, v10
	s_mov_b32 s21, -1
	s_delay_alu instid0(VALU_DEP_2) | instskip(NEXT) | instid1(VALU_DEP_1)
	v_xor_b32_e32 v3, v3, v11
	v_dual_cndmask_b32 v2, -1, v2 :: v_dual_cndmask_b32 v3, -1, v3
	s_waitcnt lgkmcnt(0)
	s_mul_i32 s5, s20, s47
	s_mul_hi_u32 s8, s20, s46
	s_mul_i32 s18, s18, s46
	s_add_i32 s5, s8, s5
	s_mul_i32 s8, s28, s48
	s_load_b64 s[48:49], s[0:1], 0x1c8
	s_add_i32 s23, s5, s18
	s_mul_i32 s5, s58, s45
	s_mul_hi_u32 s18, s58, s44
	s_lshl_b64 s[8:9], s[8:9], 3
	s_add_i32 s25, s18, s5
	s_mul_i32 s18, s16, s42
	s_mul_i32 s24, s58, s44
	s_waitcnt lgkmcnt(0)
	s_add_u32 s5, s48, s8
	s_addc_u32 s22, s49, s9
	s_lshl_b64 s[8:9], s[10:11], 3
	s_delay_alu instid0(SALU_CYCLE_1)
	s_add_u32 s5, s5, s8
	s_addc_u32 s16, s22, s9
	s_clause 0x1
	s_load_b64 s[8:9], s[0:1], 0x368
	s_load_b64 s[10:11], s[0:1], 0x510
	s_lshl_b64 s[18:19], s[18:19], 3
	s_mul_i32 s22, s20, s46
	s_add_u32 s1, s5, s18
	s_addc_u32 s5, s16, s19
	s_lshl_b64 s[18:19], s[24:25], 3
	v_readlane_b32 s24, v41, 0
	v_readlane_b32 s25, v41, 1
	s_mul_i32 s16, s27, s40
	s_delay_alu instid0(VALU_DEP_2) | instskip(NEXT) | instid1(VALU_DEP_1)
	s_add_u32 s0, s24, s18
	s_addc_u32 s20, s25, s19
	s_lshl_b64 s[18:19], s[22:23], 3
	s_delay_alu instid0(SALU_CYCLE_1)
	s_add_u32 s0, s0, s18
	s_addc_u32 s18, s20, s19
	s_lshl_b64 s[16:17], s[16:17], 3
	s_mov_b32 s19, 0
	s_add_u32 s16, s0, s16
	s_addc_u32 s17, s18, s17
	s_mov_b32 s18, 0
	s_mov_b32 s20, exec_lo
	v_cmpx_gt_u64_e64 s[6:7], v[0:1]
	s_cbranch_execz .LBB186_518
; %bb.501:
	v_mov_b32_e32 v15, v1
	v_dual_mov_b32 v7, 0 :: v_dual_mov_b32 v14, v0
                                        ; implicit-def: $sgpr21
                                        ; implicit-def: $vgpr10_vgpr11
	s_branch .LBB186_503
.LBB186_502:                            ;   in Loop: Header=BB186_503 Depth=1
	s_or_b32 exec_lo, exec_lo, s22
	s_xor_b32 s22, s24, -1
	s_and_b32 s0, exec_lo, s0
	s_waitcnt vmcnt(0)
	v_dual_mov_b32 v4, v12 :: v_dual_mov_b32 v5, v13
	s_or_b32 s18, s0, s18
	v_dual_mov_b32 v15, v9 :: v_dual_mov_b32 v14, v8
	s_and_not1_b32 s0, s21, exec_lo
	s_and_b32 s21, s22, exec_lo
	s_delay_alu instid0(SALU_CYCLE_1)
	s_or_b32 s21, s0, s21
	s_and_not1_b32 exec_lo, exec_lo, s18
	s_cbranch_execz .LBB186_517
.LBB186_503:                            ; =>This Inner Loop Header: Depth=1
	s_delay_alu instid0(VALU_DEP_1) | instskip(SKIP_4) | instid1(VALU_DEP_2)
	v_add_co_u32 v8, vcc_lo, v14, s35
	v_mov_b32_e32 v12, 0
	v_add_co_ci_u32_e32 v9, vcc_lo, 0, v15, vcc_lo
	v_mov_b32_e32 v13, 0
	s_mov_b32 s0, exec_lo
	v_cmpx_gt_u64_e64 s[36:37], v[8:9]
	s_cbranch_execz .LBB186_505
; %bb.504:                              ;   in Loop: Header=BB186_503 Depth=1
	v_mul_lo_u32 v6, v9, s30
	v_mul_lo_u32 v18, v8, s31
	v_mad_u64_u32 v[12:13], null, v8, s30, 0
	s_delay_alu instid0(VALU_DEP_1) | instskip(NEXT) | instid1(VALU_DEP_1)
	v_add3_u32 v13, v13, v18, v6
	v_lshlrev_b64 v[12:13], 3, v[12:13]
	s_delay_alu instid0(VALU_DEP_1) | instskip(NEXT) | instid1(VALU_DEP_2)
	v_add_co_u32 v12, vcc_lo, s29, v12
	v_add_co_ci_u32_e32 v13, vcc_lo, s33, v13, vcc_lo
	global_load_b64 v[12:13], v[12:13], off
.LBB186_505:                            ;   in Loop: Header=BB186_503 Depth=1
	s_or_b32 exec_lo, exec_lo, s0
	s_mov_b32 s22, 0
	s_mov_b32 s0, exec_lo
	v_cmpx_gt_u64_e64 s[36:37], v[14:15]
	s_cbranch_execz .LBB186_507
; %bb.506:                              ;   in Loop: Header=BB186_503 Depth=1
	s_waitcnt vmcnt(0)
	v_cmp_o_f64_e32 vcc_lo, v[4:5], v[4:5]
	v_ashrrev_i32_e32 v6, 31, v5
	s_delay_alu instid0(VALU_DEP_1) | instskip(SKIP_1) | instid1(VALU_DEP_2)
	v_or_b32_e32 v18, 0x80000000, v6
	v_xor_b32_e32 v6, v6, v4
	v_xor_b32_e32 v18, v18, v5
	s_delay_alu instid0(VALU_DEP_1) | instskip(NEXT) | instid1(VALU_DEP_3)
	v_cndmask_b32_e32 v19, -1, v18, vcc_lo
	v_cndmask_b32_e32 v18, -1, v6, vcc_lo
	s_delay_alu instid0(VALU_DEP_1) | instskip(SKIP_3) | instid1(VALU_DEP_1)
	v_cmp_gt_u64_e32 vcc_lo, v[18:19], v[2:3]
	v_cndmask_b32_e64 v6, 0, 1, vcc_lo
	v_cmp_lt_u64_e32 vcc_lo, v[18:19], v[2:3]
	v_cndmask_b32_e64 v18, 0, 1, vcc_lo
	v_cndmask_b32_e64 v6, v18, v6, s3
	s_delay_alu instid0(VALU_DEP_1) | instskip(NEXT) | instid1(VALU_DEP_1)
	v_and_b32_e32 v6, 1, v6
	v_cmp_eq_u32_e32 vcc_lo, 1, v6
	s_and_b32 s22, vcc_lo, exec_lo
.LBB186_507:                            ;   in Loop: Header=BB186_503 Depth=1
	s_or_b32 exec_lo, exec_lo, s0
	v_cndmask_b32_e64 v6, 0, 1, s22
	s_delay_alu instid0(VALU_DEP_1) | instskip(SKIP_2) | instid1(SALU_CYCLE_1)
	v_cmp_ne_u32_e32 vcc_lo, 0, v6
	s_cmp_lg_u32 vcc_lo, 0
	s_cselect_b32 s0, -1, 0
	s_and_b32 s0, s2, s0
	s_delay_alu instid0(SALU_CYCLE_1)
	s_and_saveexec_b32 s23, s0
	s_cbranch_execz .LBB186_511
; %bb.508:                              ;   in Loop: Header=BB186_503 Depth=1
	s_mov_b32 s26, exec_lo
	s_bcnt1_i32_b32 s24, vcc_lo
	v_mbcnt_lo_u32_b32 v18, s26, 0
	s_mov_b32 s25, exec_lo
                                        ; implicit-def: $vgpr10_vgpr11
	s_delay_alu instid0(VALU_DEP_1)
	v_cmpx_eq_u32_e32 0, v18
	s_cbranch_execz .LBB186_510
; %bb.509:                              ;   in Loop: Header=BB186_503 Depth=1
	s_bcnt1_i32_b32 s0, s26
	s_delay_alu instid0(SALU_CYCLE_1) | instskip(NEXT) | instid1(SALU_CYCLE_1)
	s_mul_i32 s0, s24, s0
	v_mov_b32_e32 v6, s0
	s_waitcnt lgkmcnt(0)
	ds_add_rtn_u64 v[10:11], v7, v[6:7] offset:5136
.LBB186_510:                            ;   in Loop: Header=BB186_503 Depth=1
	s_or_b32 exec_lo, exec_lo, s25
	s_waitcnt lgkmcnt(0)
	v_readfirstlane_b32 s27, v11
	v_readfirstlane_b32 s26, v10
	s_delay_alu instid0(VALU_DEP_1)
	v_mad_u64_u32 v[10:11], null, s24, v18, s[26:27]
.LBB186_511:                            ;   in Loop: Header=BB186_503 Depth=1
	s_or_b32 exec_lo, exec_lo, s23
	s_waitcnt lgkmcnt(0)
	ds_bpermute_b32 v10, v7, v10
	ds_bpermute_b32 v11, v7, v11
	s_mov_b32 s0, -1
	s_mov_b32 s25, -1
                                        ; implicit-def: $sgpr24
	s_and_saveexec_b32 s23, s22
	s_cbranch_execz .LBB186_515
; %bb.512:                              ;   in Loop: Header=BB186_503 Depth=1
	v_and_b32_e32 v6, vcc_lo, v34
	s_mov_b32 s22, 0
	s_mov_b32 s24, exec_lo
	s_delay_alu instid0(VALU_DEP_1) | instskip(SKIP_1) | instid1(VALU_DEP_1)
	v_bcnt_u32_b32 v6, v6, 0
	s_waitcnt lgkmcnt(0)
	v_add_co_u32 v18, vcc_lo, v10, v6
	v_add_co_ci_u32_e32 v19, vcc_lo, 0, v11, vcc_lo
	s_delay_alu instid0(VALU_DEP_1)
	v_cmpx_gt_u64_e64 s[38:39], v[18:19]
	s_cbranch_execz .LBB186_514
; %bb.513:                              ;   in Loop: Header=BB186_503 Depth=1
	v_mul_lo_u32 v6, v19, s8
	v_mul_lo_u32 v24, v18, s9
	v_mad_u64_u32 v[20:21], null, v18, s8, 0
	v_mul_lo_u32 v19, v19, s10
	v_mul_lo_u32 v25, v18, s11
	v_mad_u64_u32 v[22:23], null, v18, s10, 0
	s_mov_b32 s22, exec_lo
	s_delay_alu instid0(VALU_DEP_4) | instskip(NEXT) | instid1(VALU_DEP_2)
	v_add3_u32 v21, v21, v24, v6
	v_add3_u32 v23, v23, v25, v19
	s_delay_alu instid0(VALU_DEP_2) | instskip(NEXT) | instid1(VALU_DEP_2)
	v_lshlrev_b64 v[18:19], 3, v[20:21]
	v_lshlrev_b64 v[20:21], 3, v[22:23]
	s_delay_alu instid0(VALU_DEP_2) | instskip(NEXT) | instid1(VALU_DEP_3)
	v_add_co_u32 v18, vcc_lo, s1, v18
	v_add_co_ci_u32_e32 v19, vcc_lo, s5, v19, vcc_lo
	s_delay_alu instid0(VALU_DEP_3) | instskip(NEXT) | instid1(VALU_DEP_4)
	v_add_co_u32 v20, vcc_lo, s16, v20
	v_add_co_ci_u32_e32 v21, vcc_lo, s17, v21, vcc_lo
	s_waitcnt vmcnt(0)
	global_store_b64 v[18:19], v[4:5], off
	global_store_b64 v[20:21], v[14:15], off
.LBB186_514:                            ;   in Loop: Header=BB186_503 Depth=1
	s_or_b32 exec_lo, exec_lo, s24
	s_mov_b32 s24, -1
	s_or_not1_b32 s25, s22, exec_lo
.LBB186_515:                            ;   in Loop: Header=BB186_503 Depth=1
	s_or_b32 exec_lo, exec_lo, s23
	s_and_saveexec_b32 s22, s25
	s_cbranch_execz .LBB186_502
; %bb.516:                              ;   in Loop: Header=BB186_503 Depth=1
	v_cmp_le_u64_e32 vcc_lo, s[6:7], v[8:9]
	s_and_not1_b32 s24, s24, exec_lo
	s_or_not1_b32 s0, vcc_lo, exec_lo
	s_branch .LBB186_502
.LBB186_517:
	s_or_b32 exec_lo, exec_lo, s18
	s_delay_alu instid0(SALU_CYCLE_1)
	s_mov_b32 s18, exec_lo
	s_or_not1_b32 s21, s21, exec_lo
.LBB186_518:
	s_or_b32 exec_lo, exec_lo, s20
	s_and_saveexec_b32 s3, s21
	s_cbranch_execz .LBB186_543
; %bb.519:
	v_mov_b32_e32 v8, 0
	v_mov_b32_e32 v9, 0
	s_waitcnt vmcnt(0) lgkmcnt(0)
	s_waitcnt_vscnt null, 0x0
	s_barrier
	buffer_gl0_inv
	s_and_saveexec_b32 s0, s4
	s_cbranch_execz .LBB186_521
; %bb.520:
	global_load_b64 v[8:9], v[16:17], off
.LBB186_521:
	s_or_b32 exec_lo, exec_lo, s0
	v_mov_b32_e32 v5, 0
	s_mov_b32 s19, 0
                                        ; implicit-def: $sgpr4
                                        ; implicit-def: $sgpr20
                                        ; implicit-def: $sgpr21
                                        ; implicit-def: $vgpr6_vgpr7
	s_branch .LBB186_524
.LBB186_522:                            ;   in Loop: Header=BB186_524 Depth=1
	s_or_b32 exec_lo, exec_lo, s24
	v_dual_mov_b32 v0, v10 :: v_dual_mov_b32 v1, v11
	v_dual_mov_b32 v8, v14 :: v_dual_mov_b32 v9, v15
	s_and_not1_b32 s21, s21, exec_lo
	s_and_b32 s23, s26, exec_lo
	s_and_not1_b32 s20, s20, exec_lo
	s_and_b32 s0, s0, exec_lo
	s_or_b32 s21, s21, s23
	s_or_b32 s20, s20, s0
.LBB186_523:                            ;   in Loop: Header=BB186_524 Depth=1
	s_or_b32 exec_lo, exec_lo, s22
	s_xor_b32 s0, s21, -1
	s_and_b32 s22, exec_lo, s20
	s_delay_alu instid0(SALU_CYCLE_1) | instskip(SKIP_2) | instid1(SALU_CYCLE_1)
	s_or_b32 s19, s22, s19
	s_and_not1_b32 s4, s4, exec_lo
	s_and_b32 s0, s0, exec_lo
	s_or_b32 s4, s4, s0
	s_and_not1_b32 exec_lo, exec_lo, s19
	s_cbranch_execz .LBB186_541
.LBB186_524:                            ; =>This Inner Loop Header: Depth=1
	s_or_b32 s21, s21, exec_lo
	s_or_b32 s20, s20, exec_lo
	s_mov_b32 s22, exec_lo
	v_cmpx_gt_u64_e64 s[6:7], v[0:1]
	s_cbranch_execz .LBB186_523
; %bb.525:                              ;   in Loop: Header=BB186_524 Depth=1
	v_add_co_u32 v10, vcc_lo, v0, s35
	v_mov_b32_e32 v12, 0
	v_add_co_ci_u32_e32 v11, vcc_lo, 0, v1, vcc_lo
	v_mov_b32_e32 v13, 0
	s_mov_b32 s0, exec_lo
	s_delay_alu instid0(VALU_DEP_2)
	v_cmpx_gt_u64_e64 s[36:37], v[10:11]
	s_cbranch_execz .LBB186_527
; %bb.526:                              ;   in Loop: Header=BB186_524 Depth=1
	v_mul_lo_u32 v4, v11, s30
	v_mul_lo_u32 v14, v10, s31
	v_mad_u64_u32 v[12:13], null, v10, s30, 0
	s_delay_alu instid0(VALU_DEP_1) | instskip(NEXT) | instid1(VALU_DEP_1)
	v_add3_u32 v13, v13, v14, v4
	v_lshlrev_b64 v[12:13], 3, v[12:13]
	s_delay_alu instid0(VALU_DEP_1) | instskip(NEXT) | instid1(VALU_DEP_2)
	v_add_co_u32 v12, vcc_lo, s29, v12
	v_add_co_ci_u32_e32 v13, vcc_lo, s33, v13, vcc_lo
	global_load_b64 v[12:13], v[12:13], off
.LBB186_527:                            ;   in Loop: Header=BB186_524 Depth=1
	s_or_b32 exec_lo, exec_lo, s0
	s_mov_b32 s24, 0
	s_mov_b32 s0, exec_lo
	v_cmpx_gt_u64_e64 s[36:37], v[0:1]
	s_cbranch_execz .LBB186_529
; %bb.528:                              ;   in Loop: Header=BB186_524 Depth=1
	s_waitcnt vmcnt(0)
	v_cmp_o_f64_e32 vcc_lo, v[8:9], v[8:9]
	v_ashrrev_i32_e32 v4, 31, v9
	s_delay_alu instid0(VALU_DEP_1) | instskip(SKIP_1) | instid1(VALU_DEP_2)
	v_or_b32_e32 v14, 0x80000000, v4
	v_xor_b32_e32 v4, v4, v8
	v_xor_b32_e32 v14, v14, v9
	s_delay_alu instid0(VALU_DEP_1) | instskip(NEXT) | instid1(VALU_DEP_1)
	v_dual_cndmask_b32 v15, -1, v14 :: v_dual_cndmask_b32 v14, -1, v4
	v_cmp_eq_u64_e32 vcc_lo, v[14:15], v[2:3]
	s_and_b32 s24, vcc_lo, exec_lo
.LBB186_529:                            ;   in Loop: Header=BB186_524 Depth=1
	s_or_b32 exec_lo, exec_lo, s0
	v_cndmask_b32_e64 v4, 0, 1, s24
	s_delay_alu instid0(VALU_DEP_1) | instskip(SKIP_2) | instid1(SALU_CYCLE_1)
	v_cmp_ne_u32_e32 vcc_lo, 0, v4
	s_cmp_lg_u32 vcc_lo, 0
	s_cselect_b32 s0, -1, 0
	s_and_b32 s0, s2, s0
	s_delay_alu instid0(SALU_CYCLE_1)
	s_and_saveexec_b32 s23, s0
	s_cbranch_execz .LBB186_533
; %bb.530:                              ;   in Loop: Header=BB186_524 Depth=1
	s_mov_b32 s27, exec_lo
	s_bcnt1_i32_b32 s25, vcc_lo
	v_mbcnt_lo_u32_b32 v14, s27, 0
	s_mov_b32 s26, exec_lo
                                        ; implicit-def: $vgpr6_vgpr7
	s_delay_alu instid0(VALU_DEP_1)
	v_cmpx_eq_u32_e32 0, v14
	s_cbranch_execz .LBB186_532
; %bb.531:                              ;   in Loop: Header=BB186_524 Depth=1
	s_bcnt1_i32_b32 s0, s27
	s_delay_alu instid0(SALU_CYCLE_1) | instskip(NEXT) | instid1(SALU_CYCLE_1)
	s_mul_i32 s0, s25, s0
	v_mov_b32_e32 v4, s0
	ds_add_rtn_u64 v[6:7], v5, v[4:5] offset:5136
.LBB186_532:                            ;   in Loop: Header=BB186_524 Depth=1
	s_or_b32 exec_lo, exec_lo, s26
	s_waitcnt lgkmcnt(0)
	v_readfirstlane_b32 s27, v7
	v_readfirstlane_b32 s26, v6
	s_delay_alu instid0(VALU_DEP_1)
	v_mad_u64_u32 v[6:7], null, s25, v14, s[26:27]
.LBB186_533:                            ;   in Loop: Header=BB186_524 Depth=1
	s_or_b32 exec_lo, exec_lo, s23
	ds_bpermute_b32 v6, v5, v6
	ds_bpermute_b32 v7, v5, v7
	s_cmp_eq_u32 vcc_lo, 0
	s_mov_b32 s25, -1
	s_cselect_b32 s23, -1, 0
	s_mov_b32 s26, -1
	s_waitcnt lgkmcnt(0)
	v_cmp_gt_u64_e64 s0, s[38:39], v[6:7]
	s_delay_alu instid0(VALU_DEP_1)
	s_or_b32 s23, s23, s0
	s_mov_b32 s0, -1
	s_waitcnt vmcnt(0)
	v_cndmask_b32_e64 v15, v9, v13, s23
	v_cndmask_b32_e64 v14, v8, v12, s23
	s_and_b32 s27, s24, s23
	s_delay_alu instid0(SALU_CYCLE_1)
	s_and_saveexec_b32 s24, s27
	s_cbranch_execz .LBB186_539
; %bb.534:                              ;   in Loop: Header=BB186_524 Depth=1
	v_and_b32_e32 v4, vcc_lo, v34
	v_sub_co_u32 v14, vcc_lo, s38, v6
	v_sub_co_ci_u32_e32 v15, vcc_lo, s39, v7, vcc_lo
	s_delay_alu instid0(VALU_DEP_3) | instskip(SKIP_2) | instid1(VALU_DEP_1)
	v_bcnt_u32_b32 v4, v4, 0
	s_mov_b32 s27, -1
	s_mov_b32 s26, exec_lo
	v_cmp_le_u64_e64 s25, v[14:15], v[4:5]
	v_cmpx_gt_u64_e64 v[14:15], v[4:5]
	s_cbranch_execz .LBB186_538
; %bb.535:                              ;   in Loop: Header=BB186_524 Depth=1
	v_add_co_u32 v14, vcc_lo, v6, v4
	v_add_co_ci_u32_e32 v15, vcc_lo, 0, v7, vcc_lo
	s_delay_alu instid0(VALU_DEP_4) | instskip(SKIP_1) | instid1(VALU_DEP_1)
	s_mov_b32 s28, s25
	s_mov_b32 s27, exec_lo
	v_cmpx_gt_u64_e64 s[38:39], v[14:15]
	s_cbranch_execz .LBB186_537
; %bb.536:                              ;   in Loop: Header=BB186_524 Depth=1
	v_mul_lo_u32 v4, v15, s8
	v_mul_lo_u32 v20, v14, s9
	v_mad_u64_u32 v[16:17], null, v14, s8, 0
	v_mul_lo_u32 v15, v15, s10
	v_mul_lo_u32 v21, v14, s11
	v_mad_u64_u32 v[18:19], null, v14, s10, 0
	s_or_b32 s28, s25, exec_lo
	s_delay_alu instid0(VALU_DEP_4) | instskip(NEXT) | instid1(VALU_DEP_2)
	v_add3_u32 v17, v17, v20, v4
	v_add3_u32 v19, v19, v21, v15
	s_delay_alu instid0(VALU_DEP_2) | instskip(NEXT) | instid1(VALU_DEP_2)
	v_lshlrev_b64 v[14:15], 3, v[16:17]
	v_lshlrev_b64 v[16:17], 3, v[18:19]
	s_delay_alu instid0(VALU_DEP_2) | instskip(NEXT) | instid1(VALU_DEP_3)
	v_add_co_u32 v14, vcc_lo, s1, v14
	v_add_co_ci_u32_e32 v15, vcc_lo, s5, v15, vcc_lo
	s_delay_alu instid0(VALU_DEP_3) | instskip(NEXT) | instid1(VALU_DEP_4)
	v_add_co_u32 v16, vcc_lo, s16, v16
	v_add_co_ci_u32_e32 v17, vcc_lo, s17, v17, vcc_lo
	global_store_b64 v[14:15], v[8:9], off
	global_store_b64 v[16:17], v[0:1], off
.LBB186_537:                            ;   in Loop: Header=BB186_524 Depth=1
	s_or_b32 exec_lo, exec_lo, s27
	s_delay_alu instid0(SALU_CYCLE_1)
	s_and_not1_b32 s25, s25, exec_lo
	s_and_b32 s28, s28, exec_lo
	s_xor_b32 s27, exec_lo, -1
	s_or_b32 s25, s25, s28
.LBB186_538:                            ;   in Loop: Header=BB186_524 Depth=1
	s_or_b32 exec_lo, exec_lo, s26
	v_dual_mov_b32 v15, v13 :: v_dual_mov_b32 v14, v12
	s_or_not1_b32 s26, s27, exec_lo
	s_or_b32 s23, s23, exec_lo
	s_or_not1_b32 s25, s25, exec_lo
.LBB186_539:                            ;   in Loop: Header=BB186_524 Depth=1
	s_or_b32 exec_lo, exec_lo, s24
	s_and_saveexec_b32 s24, s25
	s_cbranch_execz .LBB186_522
; %bb.540:                              ;   in Loop: Header=BB186_524 Depth=1
	s_xor_b32 s0, s23, -1
	s_or_b32 s26, s26, exec_lo
	s_or_not1_b32 s0, s0, exec_lo
	s_branch .LBB186_522
.LBB186_541:
	s_or_b32 exec_lo, exec_lo, s19
	s_mov_b32 s0, 0
	s_and_saveexec_b32 s1, s4
	s_delay_alu instid0(SALU_CYCLE_1)
	s_xor_b32 s1, exec_lo, s1
	s_cbranch_execnz .LBB186_573
.LBB186_542:
	s_or_b32 exec_lo, exec_lo, s1
	s_delay_alu instid0(SALU_CYCLE_1)
	s_and_b32 s19, s0, exec_lo
	s_and_not1_b32 s18, s18, exec_lo
.LBB186_543:
	s_or_b32 exec_lo, exec_lo, s3
	s_and_saveexec_b32 s0, s18
	s_delay_alu instid0(SALU_CYCLE_1)
	s_xor_b32 s0, exec_lo, s0
	s_cbranch_execnz .LBB186_569
.LBB186_544:
	s_or_b32 exec_lo, exec_lo, s0
	s_waitcnt lgkmcnt(0)
	s_and_b32 s8, s19, exec_lo
.LBB186_545:
	s_and_not1_saveexec_b32 s0, s15
	s_cbranch_execnz .LBB186_565
.LBB186_546:
	s_or_b32 exec_lo, exec_lo, s0
	s_delay_alu instid0(SALU_CYCLE_1)
	s_and_b32 s8, s8, exec_lo
.LBB186_547:
	s_and_not1_saveexec_b32 s0, s14
	s_cbranch_execnz .LBB186_561
.LBB186_548:
	s_or_b32 exec_lo, exec_lo, s0
	s_delay_alu instid0(SALU_CYCLE_1)
	s_and_b32 s8, s8, exec_lo
.LBB186_549:
	s_and_not1_saveexec_b32 s0, s13
	s_cbranch_execnz .LBB186_557
.LBB186_550:
	s_or_b32 exec_lo, exec_lo, s0
	s_delay_alu instid0(SALU_CYCLE_1)
	s_and_b32 s8, s8, exec_lo
.LBB186_551:
	s_and_not1_saveexec_b32 s0, s12
	s_cbranch_execnz .LBB186_555
; %bb.552:
	s_or_b32 exec_lo, exec_lo, s0
	s_and_saveexec_b32 s0, s8
.LBB186_553:
	; divergent unreachable
.LBB186_554:
	s_nop 0
	s_sendmsg sendmsg(MSG_DEALLOC_VGPRS)
	s_endpgm
.LBB186_555:
	s_cbranch_execnz .LBB186_559
; %bb.556:
	s_or_b32 s8, s8, exec_lo
	s_or_b32 exec_lo, exec_lo, s0
	s_and_saveexec_b32 s0, s8
	s_cbranch_execnz .LBB186_553
	s_branch .LBB186_554
.LBB186_557:
	s_cbranch_execnz .LBB186_563
; %bb.558:
	s_or_b32 s8, s8, exec_lo
	s_branch .LBB186_550
.LBB186_559:
	s_trap 2
	s_sendmsg_rtn_b32 s0, sendmsg(MSG_RTN_GET_DOORBELL)
	s_mov_b32 ttmp2, m0
	s_waitcnt lgkmcnt(0)
	s_and_b32 s0, s0, 0x3ff
	s_delay_alu instid0(SALU_CYCLE_1) | instskip(NEXT) | instid1(SALU_CYCLE_1)
	s_bitset1_b32 s0, 10
	s_mov_b32 m0, s0
	s_sendmsg sendmsg(MSG_INTERRUPT)
	s_mov_b32 m0, ttmp2
.LBB186_560:                            ; =>This Inner Loop Header: Depth=1
	s_sethalt 5
	s_branch .LBB186_560
.LBB186_561:
	s_cbranch_execnz .LBB186_567
; %bb.562:
	s_or_b32 s8, s8, exec_lo
	s_branch .LBB186_548
.LBB186_563:
	s_trap 2
	s_sendmsg_rtn_b32 s0, sendmsg(MSG_RTN_GET_DOORBELL)
	s_mov_b32 ttmp2, m0
	s_waitcnt lgkmcnt(0)
	s_and_b32 s0, s0, 0x3ff
	s_delay_alu instid0(SALU_CYCLE_1) | instskip(NEXT) | instid1(SALU_CYCLE_1)
	s_bitset1_b32 s0, 10
	s_mov_b32 m0, s0
	s_sendmsg sendmsg(MSG_INTERRUPT)
	s_mov_b32 m0, ttmp2
.LBB186_564:                            ; =>This Inner Loop Header: Depth=1
	s_sethalt 5
	s_branch .LBB186_564
.LBB186_565:
	s_cbranch_execnz .LBB186_571
; %bb.566:
	s_or_b32 s8, s8, exec_lo
	s_branch .LBB186_546
.LBB186_567:
	s_trap 2
	s_sendmsg_rtn_b32 s0, sendmsg(MSG_RTN_GET_DOORBELL)
	s_mov_b32 ttmp2, m0
	s_waitcnt lgkmcnt(0)
	s_and_b32 s0, s0, 0x3ff
	s_delay_alu instid0(SALU_CYCLE_1) | instskip(NEXT) | instid1(SALU_CYCLE_1)
	s_bitset1_b32 s0, 10
	s_mov_b32 m0, s0
	s_sendmsg sendmsg(MSG_INTERRUPT)
	s_mov_b32 m0, ttmp2
.LBB186_568:                            ; =>This Inner Loop Header: Depth=1
	s_sethalt 5
	s_branch .LBB186_568
.LBB186_569:
	s_cbranch_execnz .LBB186_575
; %bb.570:
	s_or_b32 s19, s19, exec_lo
	s_branch .LBB186_544
.LBB186_571:
	s_trap 2
	s_sendmsg_rtn_b32 s0, sendmsg(MSG_RTN_GET_DOORBELL)
	s_mov_b32 ttmp2, m0
	s_waitcnt lgkmcnt(0)
	s_and_b32 s0, s0, 0x3ff
	s_delay_alu instid0(SALU_CYCLE_1) | instskip(NEXT) | instid1(SALU_CYCLE_1)
	s_bitset1_b32 s0, 10
	s_mov_b32 m0, s0
	s_sendmsg sendmsg(MSG_INTERRUPT)
	s_mov_b32 m0, ttmp2
.LBB186_572:                            ; =>This Inner Loop Header: Depth=1
	s_sethalt 5
	s_branch .LBB186_572
.LBB186_573:
	s_cbranch_execnz .LBB186_577
; %bb.574:
	s_mov_b32 s0, exec_lo
	s_branch .LBB186_542
.LBB186_575:
	s_trap 2
	s_sendmsg_rtn_b32 s0, sendmsg(MSG_RTN_GET_DOORBELL)
	s_mov_b32 ttmp2, m0
	s_waitcnt lgkmcnt(0)
	s_and_b32 s0, s0, 0x3ff
	s_delay_alu instid0(SALU_CYCLE_1) | instskip(NEXT) | instid1(SALU_CYCLE_1)
	s_bitset1_b32 s0, 10
	s_mov_b32 m0, s0
	s_sendmsg sendmsg(MSG_INTERRUPT)
	s_mov_b32 m0, ttmp2
.LBB186_576:                            ; =>This Inner Loop Header: Depth=1
	s_sethalt 5
	s_branch .LBB186_576
.LBB186_577:
	s_trap 2
	s_sendmsg_rtn_b32 s0, sendmsg(MSG_RTN_GET_DOORBELL)
	s_mov_b32 ttmp2, m0
	s_waitcnt lgkmcnt(0)
	s_and_b32 s0, s0, 0x3ff
	s_delay_alu instid0(SALU_CYCLE_1) | instskip(NEXT) | instid1(SALU_CYCLE_1)
	s_bitset1_b32 s0, 10
	s_mov_b32 m0, s0
	s_sendmsg sendmsg(MSG_INTERRUPT)
	s_mov_b32 m0, ttmp2
.LBB186_578:                            ; =>This Inner Loop Header: Depth=1
	s_sethalt 5
	s_branch .LBB186_578
	.section	.rodata,"a",@progbits
	.p2align	6, 0x0
	.amdhsa_kernel _ZN2at6native6sbtopk10gatherTopKIdmLi3ELb0EEEvNS_4cuda6detail10TensorInfoIKT_T0_EES8_S8_bS8_S8_NS5_IS6_S8_EES8_NS5_IlS8_EES8_PS6_
		.amdhsa_group_segment_fixed_size 5152
		.amdhsa_private_segment_fixed_size 0
		.amdhsa_kernarg_size 1568
		.amdhsa_user_sgpr_count 13
		.amdhsa_user_sgpr_dispatch_ptr 0
		.amdhsa_user_sgpr_queue_ptr 0
		.amdhsa_user_sgpr_kernarg_segment_ptr 1
		.amdhsa_user_sgpr_dispatch_id 0
		.amdhsa_user_sgpr_private_segment_size 0
		.amdhsa_wavefront_size32 1
		.amdhsa_uses_dynamic_stack 0
		.amdhsa_enable_private_segment 0
		.amdhsa_system_sgpr_workgroup_id_x 1
		.amdhsa_system_sgpr_workgroup_id_y 1
		.amdhsa_system_sgpr_workgroup_id_z 1
		.amdhsa_system_sgpr_workgroup_info 0
		.amdhsa_system_vgpr_workitem_id 0
		.amdhsa_next_free_vgpr 42
		.amdhsa_next_free_sgpr 105
		.amdhsa_reserve_vcc 1
		.amdhsa_float_round_mode_32 0
		.amdhsa_float_round_mode_16_64 0
		.amdhsa_float_denorm_mode_32 3
		.amdhsa_float_denorm_mode_16_64 3
		.amdhsa_dx10_clamp 1
		.amdhsa_ieee_mode 1
		.amdhsa_fp16_overflow 0
		.amdhsa_workgroup_processor_mode 1
		.amdhsa_memory_ordered 1
		.amdhsa_forward_progress 0
		.amdhsa_shared_vgpr_count 0
		.amdhsa_exception_fp_ieee_invalid_op 0
		.amdhsa_exception_fp_denorm_src 0
		.amdhsa_exception_fp_ieee_div_zero 0
		.amdhsa_exception_fp_ieee_overflow 0
		.amdhsa_exception_fp_ieee_underflow 0
		.amdhsa_exception_fp_ieee_inexact 0
		.amdhsa_exception_int_div_zero 0
	.end_amdhsa_kernel
	.section	.text._ZN2at6native6sbtopk10gatherTopKIdmLi3ELb0EEEvNS_4cuda6detail10TensorInfoIKT_T0_EES8_S8_bS8_S8_NS5_IS6_S8_EES8_NS5_IlS8_EES8_PS6_,"axG",@progbits,_ZN2at6native6sbtopk10gatherTopKIdmLi3ELb0EEEvNS_4cuda6detail10TensorInfoIKT_T0_EES8_S8_bS8_S8_NS5_IS6_S8_EES8_NS5_IlS8_EES8_PS6_,comdat
.Lfunc_end186:
	.size	_ZN2at6native6sbtopk10gatherTopKIdmLi3ELb0EEEvNS_4cuda6detail10TensorInfoIKT_T0_EES8_S8_bS8_S8_NS5_IS6_S8_EES8_NS5_IlS8_EES8_PS6_, .Lfunc_end186-_ZN2at6native6sbtopk10gatherTopKIdmLi3ELb0EEEvNS_4cuda6detail10TensorInfoIKT_T0_EES8_S8_bS8_S8_NS5_IS6_S8_EES8_NS5_IlS8_EES8_PS6_
                                        ; -- End function
	.section	.AMDGPU.csdata,"",@progbits
; Kernel info:
; codeLenInByte = 31556
; NumSgprs: 107
; NumVgprs: 42
; ScratchSize: 0
; MemoryBound: 0
; FloatMode: 240
; IeeeMode: 1
; LDSByteSize: 5152 bytes/workgroup (compile time only)
; SGPRBlocks: 13
; VGPRBlocks: 5
; NumSGPRsForWavesPerEU: 107
; NumVGPRsForWavesPerEU: 42
; Occupancy: 16
; WaveLimiterHint : 1
; COMPUTE_PGM_RSRC2:SCRATCH_EN: 0
; COMPUTE_PGM_RSRC2:USER_SGPR: 13
; COMPUTE_PGM_RSRC2:TRAP_HANDLER: 0
; COMPUTE_PGM_RSRC2:TGID_X_EN: 1
; COMPUTE_PGM_RSRC2:TGID_Y_EN: 1
; COMPUTE_PGM_RSRC2:TGID_Z_EN: 1
; COMPUTE_PGM_RSRC2:TIDIG_COMP_CNT: 0
	.section	.text._ZN2at6native6mbtopk23computeBlockDigitCountsIdmmLin1EEEvNS_4cuda6detail10TensorInfoIKT_T0_EEjPjjS8_iijT1_PSB_Ps,"axG",@progbits,_ZN2at6native6mbtopk23computeBlockDigitCountsIdmmLin1EEEvNS_4cuda6detail10TensorInfoIKT_T0_EEjPjjS8_iijT1_PSB_Ps,comdat
	.protected	_ZN2at6native6mbtopk23computeBlockDigitCountsIdmmLin1EEEvNS_4cuda6detail10TensorInfoIKT_T0_EEjPjjS8_iijT1_PSB_Ps ; -- Begin function _ZN2at6native6mbtopk23computeBlockDigitCountsIdmmLin1EEEvNS_4cuda6detail10TensorInfoIKT_T0_EEjPjjS8_iijT1_PSB_Ps
	.globl	_ZN2at6native6mbtopk23computeBlockDigitCountsIdmmLin1EEEvNS_4cuda6detail10TensorInfoIKT_T0_EEjPjjS8_iijT1_PSB_Ps
	.p2align	8
	.type	_ZN2at6native6mbtopk23computeBlockDigitCountsIdmmLin1EEEvNS_4cuda6detail10TensorInfoIKT_T0_EEjPjjS8_iijT1_PSB_Ps,@function
_ZN2at6native6mbtopk23computeBlockDigitCountsIdmmLin1EEEvNS_4cuda6detail10TensorInfoIKT_T0_EEjPjjS8_iijT1_PSB_Ps: ; @_ZN2at6native6mbtopk23computeBlockDigitCountsIdmmLin1EEEvNS_4cuda6detail10TensorInfoIKT_T0_EEjPjjS8_iijT1_PSB_Ps
; %bb.0:
	s_clause 0x2
	s_load_b128 s[8:11], s[0:1], 0x1c0
	s_load_b32 s5, s[0:1], 0x1b0
	s_load_b64 s[2:3], s[0:1], 0x1e8
	s_waitcnt lgkmcnt(0)
	v_cvt_f32_u32_e32 v1, s10
	s_sub_i32 s6, 0, s10
	s_mul_i32 s3, s3, s15
	s_mov_b32 s15, 0
	s_add_i32 s3, s3, s14
	v_rcp_iflag_f32_e32 v1, v1
	s_mul_i32 s26, s3, s2
	s_delay_alu instid0(SALU_CYCLE_1) | instskip(SKIP_2) | instid1(VALU_DEP_1)
	s_add_i32 s26, s26, s13
	s_waitcnt_depctr 0xfff
	v_mul_f32_e32 v1, 0x4f7ffffe, v1
	v_cvt_u32_f32_e32 v1, v1
	s_delay_alu instid0(VALU_DEP_1) | instskip(NEXT) | instid1(VALU_DEP_1)
	v_readfirstlane_b32 s4, v1
	s_mul_i32 s6, s6, s4
	s_delay_alu instid0(SALU_CYCLE_1) | instskip(NEXT) | instid1(SALU_CYCLE_1)
	s_mul_hi_u32 s2, s4, s6
	s_add_i32 s4, s4, s2
	s_delay_alu instid0(SALU_CYCLE_1) | instskip(NEXT) | instid1(SALU_CYCLE_1)
	s_mul_hi_u32 s2, s26, s4
	s_mul_i32 s3, s2, s10
	s_add_i32 s4, s2, 1
	s_sub_i32 s3, s26, s3
	s_delay_alu instid0(SALU_CYCLE_1)
	s_sub_i32 s6, s3, s10
	s_cmp_ge_u32 s3, s10
	s_cselect_b32 s2, s4, s2
	s_cselect_b32 s3, s6, s3
	s_add_i32 s4, s2, 1
	s_cmp_ge_u32 s3, s10
	s_cselect_b32 s14, s4, s2
	s_delay_alu instid0(SALU_CYCLE_1)
	s_cmp_ge_u32 s14, s5
	s_cbranch_scc1 .LBB187_32
; %bb.1:
	s_clause 0x1
	s_load_b128 s[4:7], s[0:1], 0x1d0
	s_load_b32 s11, s[0:1], 0x198
	s_lshl_b64 s[2:3], s[14:15], 3
	s_mov_b64 s[20:21], s[14:15]
	s_mov_b64 s[12:13], 0
	s_waitcnt lgkmcnt(0)
	s_add_u32 s6, s6, s2
	s_addc_u32 s7, s7, s3
	s_load_b64 s[2:3], s[0:1], 0x1e0
	s_load_b64 s[6:7], s[6:7], 0x0
	s_cmp_lt_i32 s11, 2
	s_cbranch_scc1 .LBB187_9
; %bb.2:
	s_mov_b32 s16, 0
	s_add_i32 s12, s11, -1
	s_mov_b32 s13, s16
	s_add_i32 s11, s11, 1
	s_lshl_b64 s[12:13], s[12:13], 3
	s_delay_alu instid0(SALU_CYCLE_1)
	s_add_u32 s12, s12, s0
	s_addc_u32 s13, s13, s1
	s_add_u32 s18, s12, 8
	s_addc_u32 s19, s13, 0
	s_mov_b64 s[12:13], 0
.LBB187_3:                              ; =>This Inner Loop Header: Depth=1
	s_load_b64 s[22:23], s[18:19], 0x0
	s_mov_b32 s15, -1
	s_waitcnt lgkmcnt(0)
	s_or_b64 s[24:25], s[20:21], s[22:23]
	s_delay_alu instid0(SALU_CYCLE_1) | instskip(NEXT) | instid1(SALU_CYCLE_1)
	s_mov_b32 s17, s25
                                        ; implicit-def: $sgpr24_sgpr25
	s_cmp_lg_u64 s[16:17], 0
	s_cbranch_scc0 .LBB187_5
; %bb.4:                                ;   in Loop: Header=BB187_3 Depth=1
	v_cvt_f32_u32_e32 v1, s22
	v_cvt_f32_u32_e32 v2, s23
	s_sub_u32 s24, 0, s22
	s_subb_u32 s25, 0, s23
	s_waitcnt_depctr 0xfff
	v_fmac_f32_e32 v1, 0x4f800000, v2
	s_delay_alu instid0(VALU_DEP_1) | instskip(SKIP_2) | instid1(VALU_DEP_1)
	v_rcp_f32_e32 v1, v1
	s_waitcnt_depctr 0xfff
	v_mul_f32_e32 v1, 0x5f7ffffc, v1
	v_mul_f32_e32 v2, 0x2f800000, v1
	s_delay_alu instid0(VALU_DEP_1) | instskip(NEXT) | instid1(VALU_DEP_1)
	v_trunc_f32_e32 v2, v2
	v_fmac_f32_e32 v1, 0xcf800000, v2
	v_cvt_u32_f32_e32 v2, v2
	s_delay_alu instid0(VALU_DEP_2) | instskip(NEXT) | instid1(VALU_DEP_2)
	v_cvt_u32_f32_e32 v1, v1
	v_readfirstlane_b32 s15, v2
	s_delay_alu instid0(VALU_DEP_2) | instskip(NEXT) | instid1(VALU_DEP_2)
	v_readfirstlane_b32 s17, v1
	s_mul_i32 s27, s24, s15
	s_delay_alu instid0(VALU_DEP_1)
	s_mul_hi_u32 s29, s24, s17
	s_mul_i32 s28, s25, s17
	s_add_i32 s27, s29, s27
	s_mul_i32 s30, s24, s17
	s_add_i32 s27, s27, s28
	s_mul_hi_u32 s29, s17, s30
	s_mul_hi_u32 s31, s15, s30
	s_mul_i32 s28, s15, s30
	s_mul_hi_u32 s30, s17, s27
	s_mul_i32 s17, s17, s27
	s_mul_hi_u32 s33, s15, s27
	s_add_u32 s17, s29, s17
	s_addc_u32 s29, 0, s30
	s_add_u32 s17, s17, s28
	s_mul_i32 s27, s15, s27
	s_addc_u32 s17, s29, s31
	s_addc_u32 s28, s33, 0
	s_add_u32 s17, s17, s27
	s_addc_u32 s27, 0, s28
	v_add_co_u32 v1, s17, v1, s17
	s_delay_alu instid0(VALU_DEP_1) | instskip(SKIP_1) | instid1(VALU_DEP_1)
	s_cmp_lg_u32 s17, 0
	s_addc_u32 s15, s15, s27
	v_readfirstlane_b32 s17, v1
	s_mul_i32 s27, s24, s15
	s_delay_alu instid0(VALU_DEP_1)
	s_mul_hi_u32 s28, s24, s17
	s_mul_i32 s25, s25, s17
	s_add_i32 s27, s28, s27
	s_mul_i32 s24, s24, s17
	s_add_i32 s27, s27, s25
	s_mul_hi_u32 s28, s15, s24
	s_mul_i32 s29, s15, s24
	s_mul_hi_u32 s24, s17, s24
	s_mul_hi_u32 s30, s17, s27
	s_mul_i32 s17, s17, s27
	s_mul_hi_u32 s25, s15, s27
	s_add_u32 s17, s24, s17
	s_addc_u32 s24, 0, s30
	s_add_u32 s17, s17, s29
	s_mul_i32 s27, s15, s27
	s_addc_u32 s17, s24, s28
	s_addc_u32 s24, s25, 0
	s_add_u32 s17, s17, s27
	s_addc_u32 s24, 0, s24
	v_add_co_u32 v1, s17, v1, s17
	s_delay_alu instid0(VALU_DEP_1) | instskip(SKIP_1) | instid1(VALU_DEP_1)
	s_cmp_lg_u32 s17, 0
	s_addc_u32 s15, s15, s24
	v_readfirstlane_b32 s17, v1
	s_mul_i32 s25, s20, s15
	s_mul_hi_u32 s24, s20, s15
	s_mul_hi_u32 s27, s21, s15
	s_mul_i32 s15, s21, s15
	s_mul_hi_u32 s28, s20, s17
	s_mul_hi_u32 s29, s21, s17
	s_mul_i32 s17, s21, s17
	s_add_u32 s25, s28, s25
	s_addc_u32 s24, 0, s24
	s_add_u32 s17, s25, s17
	s_addc_u32 s17, s24, s29
	s_addc_u32 s24, s27, 0
	s_add_u32 s17, s17, s15
	s_addc_u32 s24, 0, s24
	s_mul_hi_u32 s15, s22, s17
	s_mul_i32 s27, s22, s24
	s_mul_i32 s28, s22, s17
	s_add_i32 s15, s15, s27
	v_sub_co_u32 v1, s27, s20, s28
	s_mul_i32 s25, s23, s17
	s_delay_alu instid0(SALU_CYCLE_1) | instskip(NEXT) | instid1(VALU_DEP_1)
	s_add_i32 s15, s15, s25
	v_sub_co_u32 v2, s28, v1, s22
	s_sub_i32 s25, s21, s15
	s_cmp_lg_u32 s27, 0
	s_subb_u32 s25, s25, s23
	s_cmp_lg_u32 s28, 0
	v_readfirstlane_b32 s28, v2
	s_subb_u32 s25, s25, 0
	s_delay_alu instid0(SALU_CYCLE_1) | instskip(SKIP_1) | instid1(VALU_DEP_1)
	s_cmp_ge_u32 s25, s23
	s_cselect_b32 s29, -1, 0
	s_cmp_ge_u32 s28, s22
	s_cselect_b32 s28, -1, 0
	s_cmp_eq_u32 s25, s23
	s_cselect_b32 s25, s28, s29
	s_add_u32 s28, s17, 1
	s_addc_u32 s29, s24, 0
	s_add_u32 s30, s17, 2
	s_addc_u32 s31, s24, 0
	s_cmp_lg_u32 s25, 0
	s_cselect_b32 s28, s30, s28
	s_cselect_b32 s25, s31, s29
	s_cmp_lg_u32 s27, 0
	v_readfirstlane_b32 s27, v1
	s_subb_u32 s15, s21, s15
	s_delay_alu instid0(SALU_CYCLE_1) | instskip(SKIP_1) | instid1(VALU_DEP_1)
	s_cmp_ge_u32 s15, s23
	s_cselect_b32 s29, -1, 0
	s_cmp_ge_u32 s27, s22
	s_cselect_b32 s27, -1, 0
	s_cmp_eq_u32 s15, s23
	s_cselect_b32 s15, s27, s29
	s_delay_alu instid0(SALU_CYCLE_1)
	s_cmp_lg_u32 s15, 0
	s_mov_b32 s15, 0
	s_cselect_b32 s25, s25, s24
	s_cselect_b32 s24, s28, s17
.LBB187_5:                              ;   in Loop: Header=BB187_3 Depth=1
	s_and_not1_b32 vcc_lo, exec_lo, s15
	s_cbranch_vccnz .LBB187_7
; %bb.6:                                ;   in Loop: Header=BB187_3 Depth=1
	v_cvt_f32_u32_e32 v1, s22
	s_sub_i32 s17, 0, s22
	s_waitcnt_depctr 0xfff
	v_rcp_iflag_f32_e32 v1, v1
	s_waitcnt_depctr 0xfff
	v_mul_f32_e32 v1, 0x4f7ffffe, v1
	s_delay_alu instid0(VALU_DEP_1) | instskip(NEXT) | instid1(VALU_DEP_1)
	v_cvt_u32_f32_e32 v1, v1
	v_readfirstlane_b32 s15, v1
	s_delay_alu instid0(VALU_DEP_1) | instskip(NEXT) | instid1(SALU_CYCLE_1)
	s_mul_i32 s17, s17, s15
	s_mul_hi_u32 s17, s15, s17
	s_delay_alu instid0(SALU_CYCLE_1) | instskip(NEXT) | instid1(SALU_CYCLE_1)
	s_add_i32 s15, s15, s17
	s_mul_hi_u32 s15, s20, s15
	s_delay_alu instid0(SALU_CYCLE_1) | instskip(SKIP_2) | instid1(SALU_CYCLE_1)
	s_mul_i32 s17, s15, s22
	s_add_i32 s24, s15, 1
	s_sub_i32 s17, s20, s17
	s_sub_i32 s25, s17, s22
	s_cmp_ge_u32 s17, s22
	s_cselect_b32 s15, s24, s15
	s_cselect_b32 s17, s25, s17
	s_add_i32 s24, s15, 1
	s_cmp_ge_u32 s17, s22
	s_mov_b32 s25, s16
	s_cselect_b32 s24, s24, s15
.LBB187_7:                              ;   in Loop: Header=BB187_3 Depth=1
	s_load_b64 s[28:29], s[18:19], 0xc8
	s_mul_i32 s15, s24, s23
	s_mul_hi_u32 s17, s24, s22
	s_mul_i32 s23, s25, s22
	s_add_i32 s15, s17, s15
	s_mul_i32 s17, s24, s22
	s_add_i32 s15, s15, s23
	s_sub_u32 s17, s20, s17
	s_subb_u32 s15, s21, s15
	s_waitcnt lgkmcnt(0)
	s_mul_i32 s15, s28, s15
	s_mul_hi_u32 s20, s28, s17
	s_mul_i32 s21, s29, s17
	s_add_i32 s15, s20, s15
	s_mul_i32 s17, s28, s17
	s_add_i32 s15, s15, s21
	s_add_u32 s12, s17, s12
	s_addc_u32 s13, s15, s13
	s_add_i32 s11, s11, -1
	s_add_u32 s18, s18, -8
	s_addc_u32 s19, s19, -1
	s_cmp_gt_u32 s11, 2
	s_cbranch_scc0 .LBB187_10
; %bb.8:                                ;   in Loop: Header=BB187_3 Depth=1
	s_mov_b64 s[20:21], s[24:25]
	s_branch .LBB187_3
.LBB187_9:
	s_mov_b64 s[24:25], s[20:21]
.LBB187_10:
	v_cmp_gt_u32_e32 vcc_lo, 0x100, v0
	v_lshlrev_b32_e32 v3, 2, v0
	s_and_saveexec_b32 s11, vcc_lo
	s_cbranch_execz .LBB187_12
; %bb.11:
	v_mov_b32_e32 v1, 0
	ds_store_b32 v3, v1
.LBB187_12:
	s_or_b32 exec_lo, exec_lo, s11
	s_load_b32 s15, s[0:1], 0x1a0
	s_mul_i32 s11, s14, s10
	s_waitcnt lgkmcnt(0)
	s_sub_i32 s11, s26, s11
	s_barrier
	s_mul_i32 s14, s9, s11
	s_add_i32 s11, s11, 1
	s_lshl_b32 s16, s14, 8
	buffer_gl0_inv
	s_sub_i32 s14, s15, s16
	s_delay_alu instid0(SALU_CYCLE_1) | instskip(SKIP_3) | instid1(VALU_DEP_1)
	s_add_u32 s14, s14, 0xff
	s_addc_u32 s17, 0, 0
	s_cmp_lt_u32 s11, s10
	v_alignbit_b32 v1, s17, s14, 8
	v_readfirstlane_b32 s14, v1
	s_delay_alu instid0(VALU_DEP_1)
	s_cselect_b32 s9, s9, s14
	s_mov_b32 s14, 0
	s_cmp_lt_i32 s9, 1
	s_cbranch_scc1 .LBB187_28
; %bb.13:
	s_clause 0x2
	s_load_b64 s[18:19], s[0:1], 0xd0
	s_load_b64 s[10:11], s[0:1], 0x1b8
	;; [unrolled: 1-line block ×3, first 2 shown]
	v_add_nc_u32_e32 v4, s16, v0
	s_waitcnt lgkmcnt(0)
	s_mul_i32 s17, s18, s25
	s_mul_hi_u32 s20, s18, s24
	s_mul_i32 s19, s19, s24
	s_add_i32 s17, s20, s17
	s_mul_i32 s18, s18, s24
	s_add_i32 s19, s17, s19
	s_delay_alu instid0(SALU_CYCLE_1) | instskip(NEXT) | instid1(SALU_CYCLE_1)
	s_lshl_b64 s[18:19], s[18:19], 3
	s_add_u32 s17, s0, s18
	s_addc_u32 s18, s1, s19
	s_lshl_b64 s[0:1], s[12:13], 3
	s_delay_alu instid0(SALU_CYCLE_1)
	s_add_u32 s12, s17, s0
	s_addc_u32 s13, s18, s1
	s_and_b32 s1, s8, 0xff
	s_cmp_eq_u32 s9, 1
	s_cbranch_scc1 .LBB187_23
; %bb.14:
	v_dual_mov_b32 v5, 1 :: v_dual_mov_b32 v6, v4
	s_and_b32 s8, s9, 0x7ffffffe
	s_branch .LBB187_16
.LBB187_15:                             ;   in Loop: Header=BB187_16 Depth=1
	s_or_b32 exec_lo, exec_lo, s16
	v_add_nc_u32_e32 v6, 0x200, v6
	s_add_i32 s14, s14, 2
	s_delay_alu instid0(SALU_CYCLE_1)
	s_cmp_eq_u32 s8, s14
	s_cbranch_scc1 .LBB187_22
.LBB187_16:                             ; =>This Inner Loop Header: Depth=1
	s_mov_b32 s16, exec_lo
	s_delay_alu instid0(VALU_DEP_1)
	v_cmpx_gt_u32_e64 s15, v6
	s_cbranch_execz .LBB187_19
; %bb.17:                               ;   in Loop: Header=BB187_16 Depth=1
	v_mad_u64_u32 v[1:2], null, v6, s10, 0
	s_delay_alu instid0(VALU_DEP_1) | instskip(NEXT) | instid1(VALU_DEP_1)
	v_mad_u64_u32 v[7:8], null, v6, s11, v[2:3]
	v_mov_b32_e32 v2, v7
	s_delay_alu instid0(VALU_DEP_1) | instskip(NEXT) | instid1(VALU_DEP_1)
	v_lshlrev_b64 v[1:2], 3, v[1:2]
	v_add_co_u32 v1, s0, s12, v1
	s_delay_alu instid0(VALU_DEP_1) | instskip(SKIP_4) | instid1(VALU_DEP_1)
	v_add_co_ci_u32_e64 v2, s0, s13, v2, s0
	global_load_b64 v[1:2], v[1:2], off
	s_waitcnt vmcnt(0)
	v_cmp_o_f64_e64 s0, v[1:2], v[1:2]
	v_ashrrev_i32_e32 v7, 31, v2
	v_or_b32_e32 v8, 0x80000000, v7
	v_xor_b32_e32 v1, v7, v1
	s_delay_alu instid0(VALU_DEP_2) | instskip(NEXT) | instid1(VALU_DEP_1)
	v_xor_b32_e32 v8, v8, v2
	v_cndmask_b32_e64 v2, -1, v8, s0
	s_delay_alu instid0(VALU_DEP_3) | instskip(NEXT) | instid1(VALU_DEP_2)
	v_cndmask_b32_e64 v1, -1, v1, s0
	v_xor_b32_e32 v7, s7, v2
	s_delay_alu instid0(VALU_DEP_2) | instskip(NEXT) | instid1(VALU_DEP_2)
	v_xor_b32_e32 v9, s6, v1
	v_and_b32_e32 v8, s5, v7
	s_delay_alu instid0(VALU_DEP_2) | instskip(NEXT) | instid1(VALU_DEP_1)
	v_and_b32_e32 v7, s4, v9
	v_cmp_eq_u64_e64 s0, 0, v[7:8]
	s_delay_alu instid0(VALU_DEP_1)
	s_and_b32 exec_lo, exec_lo, s0
	s_cbranch_execz .LBB187_19
; %bb.18:                               ;   in Loop: Header=BB187_16 Depth=1
	v_lshrrev_b64 v[1:2], s1, v[1:2]
	s_delay_alu instid0(VALU_DEP_1) | instskip(NEXT) | instid1(VALU_DEP_1)
	v_and_b32_e32 v1, 0xff, v1
	v_lshlrev_b32_e32 v1, 2, v1
	ds_add_u32 v1, v5
.LBB187_19:                             ;   in Loop: Header=BB187_16 Depth=1
	s_or_b32 exec_lo, exec_lo, s16
	v_add_nc_u32_e32 v1, 0x100, v6
	s_mov_b32 s16, exec_lo
	s_delay_alu instid0(VALU_DEP_1)
	v_cmpx_gt_u32_e64 s15, v1
	s_cbranch_execz .LBB187_15
; %bb.20:                               ;   in Loop: Header=BB187_16 Depth=1
	v_mad_u64_u32 v[7:8], null, v1, s10, 0
	s_delay_alu instid0(VALU_DEP_1) | instskip(NEXT) | instid1(VALU_DEP_1)
	v_mov_b32_e32 v2, v8
	v_mad_u64_u32 v[8:9], null, v1, s11, v[2:3]
	s_delay_alu instid0(VALU_DEP_1) | instskip(NEXT) | instid1(VALU_DEP_1)
	v_lshlrev_b64 v[1:2], 3, v[7:8]
	v_add_co_u32 v1, s0, s12, v1
	s_delay_alu instid0(VALU_DEP_1) | instskip(SKIP_4) | instid1(VALU_DEP_1)
	v_add_co_ci_u32_e64 v2, s0, s13, v2, s0
	global_load_b64 v[1:2], v[1:2], off
	s_waitcnt vmcnt(0)
	v_cmp_o_f64_e64 s0, v[1:2], v[1:2]
	v_ashrrev_i32_e32 v7, 31, v2
	v_or_b32_e32 v8, 0x80000000, v7
	v_xor_b32_e32 v1, v7, v1
	s_delay_alu instid0(VALU_DEP_2) | instskip(NEXT) | instid1(VALU_DEP_1)
	v_xor_b32_e32 v8, v8, v2
	v_cndmask_b32_e64 v2, -1, v8, s0
	s_delay_alu instid0(VALU_DEP_3) | instskip(NEXT) | instid1(VALU_DEP_2)
	v_cndmask_b32_e64 v1, -1, v1, s0
	v_xor_b32_e32 v7, s7, v2
	s_delay_alu instid0(VALU_DEP_2) | instskip(NEXT) | instid1(VALU_DEP_2)
	v_xor_b32_e32 v9, s6, v1
	v_and_b32_e32 v8, s5, v7
	s_delay_alu instid0(VALU_DEP_2) | instskip(NEXT) | instid1(VALU_DEP_1)
	v_and_b32_e32 v7, s4, v9
	v_cmp_eq_u64_e64 s0, 0, v[7:8]
	s_delay_alu instid0(VALU_DEP_1)
	s_and_b32 exec_lo, exec_lo, s0
	s_cbranch_execz .LBB187_15
; %bb.21:                               ;   in Loop: Header=BB187_16 Depth=1
	v_lshrrev_b64 v[1:2], s1, v[1:2]
	s_delay_alu instid0(VALU_DEP_1) | instskip(NEXT) | instid1(VALU_DEP_1)
	v_and_b32_e32 v1, 0xff, v1
	v_lshlrev_b32_e32 v1, 2, v1
	ds_add_u32 v1, v5
	s_branch .LBB187_15
.LBB187_22:
	s_lshl_b32 s14, s8, 8
.LBB187_23:
	s_bitcmp0_b32 s9, 0
	s_cbranch_scc1 .LBB187_28
; %bb.24:
	v_add_nc_u32_e32 v1, s14, v4
	s_mov_b32 s8, exec_lo
	s_delay_alu instid0(VALU_DEP_1)
	v_cmpx_gt_u32_e64 s15, v1
	s_cbranch_execz .LBB187_27
; %bb.25:
	v_mad_u64_u32 v[4:5], null, v1, s10, 0
	s_delay_alu instid0(VALU_DEP_1) | instskip(NEXT) | instid1(VALU_DEP_1)
	v_mov_b32_e32 v2, v5
	v_mad_u64_u32 v[5:6], null, v1, s11, v[2:3]
	s_delay_alu instid0(VALU_DEP_1) | instskip(NEXT) | instid1(VALU_DEP_1)
	v_lshlrev_b64 v[1:2], 3, v[4:5]
	v_add_co_u32 v1, s0, s12, v1
	s_delay_alu instid0(VALU_DEP_1) | instskip(SKIP_4) | instid1(VALU_DEP_1)
	v_add_co_ci_u32_e64 v2, s0, s13, v2, s0
	global_load_b64 v[1:2], v[1:2], off
	s_waitcnt vmcnt(0)
	v_cmp_o_f64_e64 s0, v[1:2], v[1:2]
	v_ashrrev_i32_e32 v4, 31, v2
	v_or_b32_e32 v5, 0x80000000, v4
	v_xor_b32_e32 v1, v4, v1
	s_delay_alu instid0(VALU_DEP_2) | instskip(NEXT) | instid1(VALU_DEP_1)
	v_xor_b32_e32 v5, v5, v2
	v_cndmask_b32_e64 v2, -1, v5, s0
	s_delay_alu instid0(VALU_DEP_3) | instskip(NEXT) | instid1(VALU_DEP_2)
	v_cndmask_b32_e64 v1, -1, v1, s0
	v_xor_b32_e32 v4, s7, v2
	s_delay_alu instid0(VALU_DEP_2) | instskip(NEXT) | instid1(VALU_DEP_2)
	v_xor_b32_e32 v6, s6, v1
	v_and_b32_e32 v5, s5, v4
	s_delay_alu instid0(VALU_DEP_2) | instskip(NEXT) | instid1(VALU_DEP_1)
	v_and_b32_e32 v4, s4, v6
	v_cmp_eq_u64_e64 s0, 0, v[4:5]
	s_delay_alu instid0(VALU_DEP_1)
	s_and_b32 exec_lo, exec_lo, s0
	s_cbranch_execz .LBB187_27
; %bb.26:
	v_lshrrev_b64 v[1:2], s1, v[1:2]
	s_delay_alu instid0(VALU_DEP_1) | instskip(NEXT) | instid1(VALU_DEP_1)
	v_dual_mov_b32 v2, 1 :: v_dual_and_b32 v1, 0xff, v1
	v_lshlrev_b32_e32 v1, 2, v1
	ds_add_u32 v1, v2
.LBB187_27:
	s_or_b32 exec_lo, exec_lo, s8
.LBB187_28:
	v_mov_b32_e32 v1, 0
	s_waitcnt lgkmcnt(0)
	s_barrier
	buffer_gl0_inv
	s_and_saveexec_b32 s0, vcc_lo
	s_cbranch_execz .LBB187_30
; %bb.29:
	ds_load_b32 v1, v3
.LBB187_30:
	s_or_b32 exec_lo, exec_lo, s0
	s_and_saveexec_b32 s0, vcc_lo
	s_cbranch_execz .LBB187_32
; %bb.31:
	v_lshl_or_b32 v2, s26, 8, v0
	v_mov_b32_e32 v3, 0
	s_delay_alu instid0(VALU_DEP_1) | instskip(NEXT) | instid1(VALU_DEP_1)
	v_lshlrev_b64 v[2:3], 1, v[2:3]
	v_add_co_u32 v2, vcc_lo, s2, v2
	s_delay_alu instid0(VALU_DEP_2)
	v_add_co_ci_u32_e32 v3, vcc_lo, s3, v3, vcc_lo
	s_waitcnt lgkmcnt(0)
	global_store_b16 v[2:3], v1, off
.LBB187_32:
	s_nop 0
	s_sendmsg sendmsg(MSG_DEALLOC_VGPRS)
	s_endpgm
	.section	.rodata,"a",@progbits
	.p2align	6, 0x0
	.amdhsa_kernel _ZN2at6native6mbtopk23computeBlockDigitCountsIdmmLin1EEEvNS_4cuda6detail10TensorInfoIKT_T0_EEjPjjS8_iijT1_PSB_Ps
		.amdhsa_group_segment_fixed_size 1024
		.amdhsa_private_segment_fixed_size 0
		.amdhsa_kernarg_size 744
		.amdhsa_user_sgpr_count 13
		.amdhsa_user_sgpr_dispatch_ptr 0
		.amdhsa_user_sgpr_queue_ptr 0
		.amdhsa_user_sgpr_kernarg_segment_ptr 1
		.amdhsa_user_sgpr_dispatch_id 0
		.amdhsa_user_sgpr_private_segment_size 0
		.amdhsa_wavefront_size32 1
		.amdhsa_uses_dynamic_stack 0
		.amdhsa_enable_private_segment 0
		.amdhsa_system_sgpr_workgroup_id_x 1
		.amdhsa_system_sgpr_workgroup_id_y 1
		.amdhsa_system_sgpr_workgroup_id_z 1
		.amdhsa_system_sgpr_workgroup_info 0
		.amdhsa_system_vgpr_workitem_id 0
		.amdhsa_next_free_vgpr 10
		.amdhsa_next_free_sgpr 34
		.amdhsa_reserve_vcc 1
		.amdhsa_float_round_mode_32 0
		.amdhsa_float_round_mode_16_64 0
		.amdhsa_float_denorm_mode_32 3
		.amdhsa_float_denorm_mode_16_64 3
		.amdhsa_dx10_clamp 1
		.amdhsa_ieee_mode 1
		.amdhsa_fp16_overflow 0
		.amdhsa_workgroup_processor_mode 1
		.amdhsa_memory_ordered 1
		.amdhsa_forward_progress 0
		.amdhsa_shared_vgpr_count 0
		.amdhsa_exception_fp_ieee_invalid_op 0
		.amdhsa_exception_fp_denorm_src 0
		.amdhsa_exception_fp_ieee_div_zero 0
		.amdhsa_exception_fp_ieee_overflow 0
		.amdhsa_exception_fp_ieee_underflow 0
		.amdhsa_exception_fp_ieee_inexact 0
		.amdhsa_exception_int_div_zero 0
	.end_amdhsa_kernel
	.section	.text._ZN2at6native6mbtopk23computeBlockDigitCountsIdmmLin1EEEvNS_4cuda6detail10TensorInfoIKT_T0_EEjPjjS8_iijT1_PSB_Ps,"axG",@progbits,_ZN2at6native6mbtopk23computeBlockDigitCountsIdmmLin1EEEvNS_4cuda6detail10TensorInfoIKT_T0_EEjPjjS8_iijT1_PSB_Ps,comdat
.Lfunc_end187:
	.size	_ZN2at6native6mbtopk23computeBlockDigitCountsIdmmLin1EEEvNS_4cuda6detail10TensorInfoIKT_T0_EEjPjjS8_iijT1_PSB_Ps, .Lfunc_end187-_ZN2at6native6mbtopk23computeBlockDigitCountsIdmmLin1EEEvNS_4cuda6detail10TensorInfoIKT_T0_EEjPjjS8_iijT1_PSB_Ps
                                        ; -- End function
	.section	.AMDGPU.csdata,"",@progbits
; Kernel info:
; codeLenInByte = 2192
; NumSgprs: 36
; NumVgprs: 10
; ScratchSize: 0
; MemoryBound: 0
; FloatMode: 240
; IeeeMode: 1
; LDSByteSize: 1024 bytes/workgroup (compile time only)
; SGPRBlocks: 4
; VGPRBlocks: 1
; NumSGPRsForWavesPerEU: 36
; NumVGPRsForWavesPerEU: 10
; Occupancy: 16
; WaveLimiterHint : 0
; COMPUTE_PGM_RSRC2:SCRATCH_EN: 0
; COMPUTE_PGM_RSRC2:USER_SGPR: 13
; COMPUTE_PGM_RSRC2:TRAP_HANDLER: 0
; COMPUTE_PGM_RSRC2:TGID_X_EN: 1
; COMPUTE_PGM_RSRC2:TGID_Y_EN: 1
; COMPUTE_PGM_RSRC2:TGID_Z_EN: 1
; COMPUTE_PGM_RSRC2:TIDIG_COMP_CNT: 0
	.section	.text._ZN2at6native6mbtopk10gatherTopKIdmLin1EEEvNS_4cuda6detail10TensorInfoIKT_T0_EES8_S8_bjS8_NS5_IS6_S8_EES8_NS5_IlS8_EES8_jjPS6_PjSD_j,"axG",@progbits,_ZN2at6native6mbtopk10gatherTopKIdmLin1EEEvNS_4cuda6detail10TensorInfoIKT_T0_EES8_S8_bjS8_NS5_IS6_S8_EES8_NS5_IlS8_EES8_jjPS6_PjSD_j,comdat
	.protected	_ZN2at6native6mbtopk10gatherTopKIdmLin1EEEvNS_4cuda6detail10TensorInfoIKT_T0_EES8_S8_bjS8_NS5_IS6_S8_EES8_NS5_IlS8_EES8_jjPS6_PjSD_j ; -- Begin function _ZN2at6native6mbtopk10gatherTopKIdmLin1EEEvNS_4cuda6detail10TensorInfoIKT_T0_EES8_S8_bjS8_NS5_IS6_S8_EES8_NS5_IlS8_EES8_jjPS6_PjSD_j
	.globl	_ZN2at6native6mbtopk10gatherTopKIdmLin1EEEvNS_4cuda6detail10TensorInfoIKT_T0_EES8_S8_bjS8_NS5_IS6_S8_EES8_NS5_IlS8_EES8_jjPS6_PjSD_j
	.p2align	8
	.type	_ZN2at6native6mbtopk10gatherTopKIdmLin1EEEvNS_4cuda6detail10TensorInfoIKT_T0_EES8_S8_bjS8_NS5_IS6_S8_EES8_NS5_IlS8_EES8_jjPS6_PjSD_j,@function
_ZN2at6native6mbtopk10gatherTopKIdmLin1EEEvNS_4cuda6detail10TensorInfoIKT_T0_EES8_S8_bjS8_NS5_IS6_S8_EES8_NS5_IlS8_EES8_jjPS6_PjSD_j: ; @_ZN2at6native6mbtopk10gatherTopKIdmLin1EEEvNS_4cuda6detail10TensorInfoIKT_T0_EES8_S8_bjS8_NS5_IS6_S8_EES8_NS5_IlS8_EES8_jjPS6_PjSD_j
; %bb.0:
	s_clause 0x1
	s_load_b64 s[2:3], s[0:1], 0x538
	s_load_b32 s4, s[0:1], 0x530
	s_waitcnt lgkmcnt(0)
	s_mul_i32 s3, s3, s15
	s_delay_alu instid0(SALU_CYCLE_1) | instskip(NEXT) | instid1(SALU_CYCLE_1)
	s_add_i32 s3, s3, s14
	s_mul_i32 s3, s3, s2
	s_delay_alu instid0(SALU_CYCLE_1) | instskip(NEXT) | instid1(SALU_CYCLE_1)
	s_add_i32 s3, s3, s13
	s_cmp_ge_u32 s3, s4
	s_cbranch_scc1 .LBB188_67
; %bb.1:
	s_load_b64 s[16:17], s[0:1], 0x510
	s_waitcnt lgkmcnt(0)
	v_cvt_f32_u32_e32 v1, s17
	s_sub_i32 s4, 0, s17
	s_lshl_b32 s33, s16, 8
	s_delay_alu instid0(VALU_DEP_1) | instskip(SKIP_2) | instid1(VALU_DEP_1)
	v_rcp_iflag_f32_e32 v1, v1
	s_waitcnt_depctr 0xfff
	v_mul_f32_e32 v1, 0x4f7ffffe, v1
	v_cvt_u32_f32_e32 v1, v1
	s_delay_alu instid0(VALU_DEP_1) | instskip(NEXT) | instid1(VALU_DEP_1)
	v_readfirstlane_b32 s2, v1
	s_mul_i32 s4, s4, s2
	s_delay_alu instid0(SALU_CYCLE_1) | instskip(NEXT) | instid1(SALU_CYCLE_1)
	s_mul_hi_u32 s4, s2, s4
	s_add_i32 s2, s2, s4
	s_load_b128 s[4:7], s[0:1], 0x1a0
	s_mul_hi_u32 s2, s3, s2
	s_delay_alu instid0(SALU_CYCLE_1) | instskip(SKIP_2) | instid1(SALU_CYCLE_1)
	s_mul_i32 s8, s2, s17
	s_add_i32 s9, s2, 1
	s_sub_i32 s8, s3, s8
	s_sub_i32 s10, s8, s17
	s_cmp_ge_u32 s8, s17
	s_cselect_b32 s2, s9, s2
	s_cselect_b32 s8, s10, s8
	s_add_i32 s9, s2, 1
	s_cmp_ge_u32 s8, s17
	s_cselect_b32 s2, s9, s2
	s_delay_alu instid0(SALU_CYCLE_1) | instskip(NEXT) | instid1(SALU_CYCLE_1)
	s_mul_i32 s20, s2, s17
	s_sub_i32 s52, s3, s20
	s_delay_alu instid0(SALU_CYCLE_1) | instskip(NEXT) | instid1(SALU_CYCLE_1)
	s_add_i32 s3, s52, 1
	s_cmp_lt_u32 s3, s17
	s_mov_b32 s3, 0
	s_cbranch_scc1 .LBB188_3
; %bb.2:
	s_mul_i32 s8, s52, s33
	s_waitcnt lgkmcnt(0)
	s_sub_u32 s8, s4, s8
	s_subb_u32 s9, s5, 0
	s_add_u32 s8, s8, 0xff
	s_addc_u32 s9, s9, 0
	s_delay_alu instid0(SALU_CYCLE_1) | instskip(NEXT) | instid1(SALU_CYCLE_1)
	s_ashr_i32 s10, s9, 31
	s_lshr_b32 s10, s10, 24
	s_delay_alu instid0(SALU_CYCLE_1) | instskip(SKIP_1) | instid1(SALU_CYCLE_1)
	s_add_u32 s8, s8, s10
	s_addc_u32 s9, s9, 0
	v_alignbit_b32 v1, s9, s8, 8
	s_delay_alu instid0(VALU_DEP_1)
	v_readfirstlane_b32 s16, v1
.LBB188_3:
	s_load_b32 s9, s[0:1], 0x198
	s_mov_b64 s[18:19], 0
	s_mov_b64 s[22:23], s[2:3]
	s_waitcnt lgkmcnt(0)
	s_cmp_lt_i32 s9, 2
	s_cbranch_scc1 .LBB188_11
; %bb.4:
	s_mov_b32 s8, 0
	s_add_i32 s10, s9, -1
	s_mov_b32 s11, s8
	s_add_i32 s21, s9, 1
	s_lshl_b64 s[10:11], s[10:11], 3
	s_mov_b64 s[12:13], s[2:3]
	s_add_u32 s9, s10, s0
	s_addc_u32 s11, s11, s1
	s_add_u32 s10, s9, 8
	s_addc_u32 s11, s11, 0
.LBB188_5:                              ; =>This Inner Loop Header: Depth=1
	s_load_b64 s[14:15], s[10:11], 0x0
	s_waitcnt lgkmcnt(0)
	s_or_b64 s[22:23], s[12:13], s[14:15]
	s_delay_alu instid0(SALU_CYCLE_1) | instskip(NEXT) | instid1(SALU_CYCLE_1)
	s_mov_b32 s9, s23
                                        ; implicit-def: $sgpr22_sgpr23
	s_cmp_lg_u64 s[8:9], 0
	s_mov_b32 s9, -1
	s_cbranch_scc0 .LBB188_7
; %bb.6:                                ;   in Loop: Header=BB188_5 Depth=1
	v_cvt_f32_u32_e32 v1, s14
	v_cvt_f32_u32_e32 v2, s15
	s_sub_u32 s23, 0, s14
	s_subb_u32 s24, 0, s15
	s_waitcnt_depctr 0xfff
	v_fmac_f32_e32 v1, 0x4f800000, v2
	s_delay_alu instid0(VALU_DEP_1) | instskip(SKIP_2) | instid1(VALU_DEP_1)
	v_rcp_f32_e32 v1, v1
	s_waitcnt_depctr 0xfff
	v_mul_f32_e32 v1, 0x5f7ffffc, v1
	v_mul_f32_e32 v2, 0x2f800000, v1
	s_delay_alu instid0(VALU_DEP_1) | instskip(NEXT) | instid1(VALU_DEP_1)
	v_trunc_f32_e32 v2, v2
	v_fmac_f32_e32 v1, 0xcf800000, v2
	v_cvt_u32_f32_e32 v2, v2
	s_delay_alu instid0(VALU_DEP_2) | instskip(NEXT) | instid1(VALU_DEP_2)
	v_cvt_u32_f32_e32 v1, v1
	v_readfirstlane_b32 s9, v2
	s_delay_alu instid0(VALU_DEP_2) | instskip(NEXT) | instid1(VALU_DEP_2)
	v_readfirstlane_b32 s22, v1
	s_mul_i32 s25, s23, s9
	s_delay_alu instid0(VALU_DEP_1)
	s_mul_hi_u32 s27, s23, s22
	s_mul_i32 s26, s24, s22
	s_add_i32 s25, s27, s25
	s_mul_i32 s28, s23, s22
	s_add_i32 s25, s25, s26
	s_mul_hi_u32 s27, s22, s28
	s_mul_hi_u32 s29, s9, s28
	s_mul_i32 s26, s9, s28
	s_mul_hi_u32 s28, s22, s25
	s_mul_i32 s22, s22, s25
	s_mul_hi_u32 s30, s9, s25
	s_add_u32 s22, s27, s22
	s_addc_u32 s27, 0, s28
	s_add_u32 s22, s22, s26
	s_mul_i32 s25, s9, s25
	s_addc_u32 s22, s27, s29
	s_addc_u32 s26, s30, 0
	s_add_u32 s22, s22, s25
	s_addc_u32 s25, 0, s26
	v_add_co_u32 v1, s22, v1, s22
	s_delay_alu instid0(VALU_DEP_1) | instskip(SKIP_1) | instid1(VALU_DEP_1)
	s_cmp_lg_u32 s22, 0
	s_addc_u32 s9, s9, s25
	v_readfirstlane_b32 s22, v1
	s_mul_i32 s25, s23, s9
	s_delay_alu instid0(VALU_DEP_1)
	s_mul_hi_u32 s26, s23, s22
	s_mul_i32 s24, s24, s22
	s_add_i32 s25, s26, s25
	s_mul_i32 s23, s23, s22
	s_add_i32 s25, s25, s24
	s_mul_hi_u32 s26, s9, s23
	s_mul_i32 s27, s9, s23
	s_mul_hi_u32 s23, s22, s23
	s_mul_hi_u32 s28, s22, s25
	s_mul_i32 s22, s22, s25
	s_mul_hi_u32 s24, s9, s25
	s_add_u32 s22, s23, s22
	s_addc_u32 s23, 0, s28
	s_add_u32 s22, s22, s27
	s_mul_i32 s25, s9, s25
	s_addc_u32 s22, s23, s26
	s_addc_u32 s23, s24, 0
	s_add_u32 s22, s22, s25
	s_addc_u32 s23, 0, s23
	v_add_co_u32 v1, s22, v1, s22
	s_delay_alu instid0(VALU_DEP_1) | instskip(SKIP_1) | instid1(VALU_DEP_1)
	s_cmp_lg_u32 s22, 0
	s_addc_u32 s9, s9, s23
	v_readfirstlane_b32 s22, v1
	s_mul_i32 s24, s12, s9
	s_mul_hi_u32 s23, s12, s9
	s_mul_hi_u32 s25, s13, s9
	s_mul_i32 s9, s13, s9
	s_mul_hi_u32 s26, s12, s22
	s_mul_hi_u32 s27, s13, s22
	s_mul_i32 s22, s13, s22
	s_add_u32 s24, s26, s24
	s_addc_u32 s23, 0, s23
	s_add_u32 s22, s24, s22
	s_addc_u32 s22, s23, s27
	s_addc_u32 s23, s25, 0
	s_add_u32 s22, s22, s9
	s_addc_u32 s23, 0, s23
	s_mul_hi_u32 s9, s14, s22
	s_mul_i32 s25, s14, s23
	s_mul_i32 s26, s14, s22
	s_add_i32 s9, s9, s25
	v_sub_co_u32 v1, s25, s12, s26
	s_mul_i32 s24, s15, s22
	s_delay_alu instid0(SALU_CYCLE_1) | instskip(NEXT) | instid1(VALU_DEP_1)
	s_add_i32 s9, s9, s24
	v_sub_co_u32 v2, s26, v1, s14
	s_sub_i32 s24, s13, s9
	s_cmp_lg_u32 s25, 0
	s_subb_u32 s24, s24, s15
	s_cmp_lg_u32 s26, 0
	v_readfirstlane_b32 s26, v2
	s_subb_u32 s24, s24, 0
	s_delay_alu instid0(SALU_CYCLE_1) | instskip(SKIP_1) | instid1(VALU_DEP_1)
	s_cmp_ge_u32 s24, s15
	s_cselect_b32 s27, -1, 0
	s_cmp_ge_u32 s26, s14
	s_cselect_b32 s26, -1, 0
	s_cmp_eq_u32 s24, s15
	s_cselect_b32 s24, s26, s27
	s_add_u32 s26, s22, 1
	s_addc_u32 s27, s23, 0
	s_add_u32 s28, s22, 2
	s_addc_u32 s29, s23, 0
	s_cmp_lg_u32 s24, 0
	s_cselect_b32 s24, s28, s26
	s_cselect_b32 s26, s29, s27
	s_cmp_lg_u32 s25, 0
	v_readfirstlane_b32 s25, v1
	s_subb_u32 s9, s13, s9
	s_delay_alu instid0(SALU_CYCLE_1) | instskip(SKIP_1) | instid1(VALU_DEP_1)
	s_cmp_ge_u32 s9, s15
	s_cselect_b32 s27, -1, 0
	s_cmp_ge_u32 s25, s14
	s_cselect_b32 s25, -1, 0
	s_cmp_eq_u32 s9, s15
	s_cselect_b32 s9, s25, s27
	s_delay_alu instid0(SALU_CYCLE_1)
	s_cmp_lg_u32 s9, 0
	s_mov_b32 s9, 0
	s_cselect_b32 s23, s26, s23
	s_cselect_b32 s22, s24, s22
.LBB188_7:                              ;   in Loop: Header=BB188_5 Depth=1
	s_and_not1_b32 vcc_lo, exec_lo, s9
	s_cbranch_vccnz .LBB188_9
; %bb.8:                                ;   in Loop: Header=BB188_5 Depth=1
	v_cvt_f32_u32_e32 v1, s14
	s_sub_i32 s22, 0, s14
	s_waitcnt_depctr 0xfff
	v_rcp_iflag_f32_e32 v1, v1
	s_waitcnt_depctr 0xfff
	v_mul_f32_e32 v1, 0x4f7ffffe, v1
	s_delay_alu instid0(VALU_DEP_1) | instskip(NEXT) | instid1(VALU_DEP_1)
	v_cvt_u32_f32_e32 v1, v1
	v_readfirstlane_b32 s9, v1
	s_delay_alu instid0(VALU_DEP_1) | instskip(NEXT) | instid1(SALU_CYCLE_1)
	s_mul_i32 s22, s22, s9
	s_mul_hi_u32 s22, s9, s22
	s_delay_alu instid0(SALU_CYCLE_1) | instskip(NEXT) | instid1(SALU_CYCLE_1)
	s_add_i32 s9, s9, s22
	s_mul_hi_u32 s9, s12, s9
	s_delay_alu instid0(SALU_CYCLE_1) | instskip(SKIP_2) | instid1(SALU_CYCLE_1)
	s_mul_i32 s22, s9, s14
	s_add_i32 s23, s9, 1
	s_sub_i32 s22, s12, s22
	s_sub_i32 s24, s22, s14
	s_cmp_ge_u32 s22, s14
	s_cselect_b32 s9, s23, s9
	s_cselect_b32 s22, s24, s22
	s_add_i32 s23, s9, 1
	s_cmp_ge_u32 s22, s14
	s_cselect_b32 s22, s23, s9
	s_mov_b32 s23, s8
.LBB188_9:                              ;   in Loop: Header=BB188_5 Depth=1
	s_load_b64 s[24:25], s[10:11], 0xc8
	s_mul_i32 s9, s22, s15
	s_mul_hi_u32 s15, s22, s14
	s_mul_i32 s26, s23, s14
	s_add_i32 s9, s15, s9
	s_mul_i32 s14, s22, s14
	s_add_i32 s9, s9, s26
	s_sub_u32 s12, s12, s14
	s_subb_u32 s9, s13, s9
	s_waitcnt lgkmcnt(0)
	s_mul_i32 s9, s24, s9
	s_mul_hi_u32 s13, s24, s12
	s_mul_i32 s14, s25, s12
	s_add_i32 s9, s13, s9
	s_mul_i32 s12, s24, s12
	s_add_i32 s9, s9, s14
	s_add_u32 s18, s12, s18
	s_addc_u32 s19, s9, s19
	s_add_i32 s21, s21, -1
	s_add_u32 s10, s10, -8
	s_addc_u32 s11, s11, -1
	s_cmp_gt_u32 s21, 2
	s_cbranch_scc0 .LBB188_11
; %bb.10:                               ;   in Loop: Header=BB188_5 Depth=1
	s_mov_b64 s[12:13], s[22:23]
	s_branch .LBB188_5
.LBB188_11:
	s_clause 0x1
	s_load_b32 s11, s[0:1], 0x358
	s_load_b64 s[24:25], s[0:1], 0xd0
	s_add_u32 s8, s0, 0x1c0
	s_addc_u32 s9, s1, 0
	s_mov_b64 s[26:27], 0
	s_mov_b64 s[28:29], s[2:3]
	s_waitcnt lgkmcnt(0)
	s_cmp_lt_i32 s11, 2
	s_cbranch_scc1 .LBB188_19
; %bb.12:
	s_mov_b32 s10, 0
	s_add_i32 s12, s11, -1
	s_mov_b32 s13, s10
	s_add_i32 s21, s11, 1
	s_lshl_b64 s[12:13], s[12:13], 3
	s_mov_b64 s[14:15], s[2:3]
	s_add_u32 s11, s12, s8
	s_addc_u32 s13, s13, s9
	s_add_u32 s12, s11, 8
	s_addc_u32 s13, s13, 0
.LBB188_13:                             ; =>This Inner Loop Header: Depth=1
	s_load_b64 s[30:31], s[12:13], 0x0
	s_waitcnt lgkmcnt(0)
	s_or_b64 s[28:29], s[14:15], s[30:31]
	s_delay_alu instid0(SALU_CYCLE_1) | instskip(NEXT) | instid1(SALU_CYCLE_1)
	s_mov_b32 s11, s29
                                        ; implicit-def: $sgpr28_sgpr29
	s_cmp_lg_u64 s[10:11], 0
	s_mov_b32 s11, -1
	s_cbranch_scc0 .LBB188_15
; %bb.14:                               ;   in Loop: Header=BB188_13 Depth=1
	v_cvt_f32_u32_e32 v1, s30
	v_cvt_f32_u32_e32 v2, s31
	s_sub_u32 s29, 0, s30
	s_subb_u32 s34, 0, s31
	s_waitcnt_depctr 0xfff
	v_fmac_f32_e32 v1, 0x4f800000, v2
	s_delay_alu instid0(VALU_DEP_1) | instskip(SKIP_2) | instid1(VALU_DEP_1)
	v_rcp_f32_e32 v1, v1
	s_waitcnt_depctr 0xfff
	v_mul_f32_e32 v1, 0x5f7ffffc, v1
	v_mul_f32_e32 v2, 0x2f800000, v1
	s_delay_alu instid0(VALU_DEP_1) | instskip(NEXT) | instid1(VALU_DEP_1)
	v_trunc_f32_e32 v2, v2
	v_fmac_f32_e32 v1, 0xcf800000, v2
	v_cvt_u32_f32_e32 v2, v2
	s_delay_alu instid0(VALU_DEP_2) | instskip(NEXT) | instid1(VALU_DEP_2)
	v_cvt_u32_f32_e32 v1, v1
	v_readfirstlane_b32 s11, v2
	s_delay_alu instid0(VALU_DEP_2) | instskip(NEXT) | instid1(VALU_DEP_2)
	v_readfirstlane_b32 s28, v1
	s_mul_i32 s35, s29, s11
	s_delay_alu instid0(VALU_DEP_1)
	s_mul_hi_u32 s37, s29, s28
	s_mul_i32 s36, s34, s28
	s_add_i32 s35, s37, s35
	s_mul_i32 s38, s29, s28
	s_add_i32 s35, s35, s36
	s_mul_hi_u32 s37, s28, s38
	s_mul_hi_u32 s39, s11, s38
	s_mul_i32 s36, s11, s38
	s_mul_hi_u32 s38, s28, s35
	s_mul_i32 s28, s28, s35
	s_mul_hi_u32 s40, s11, s35
	s_add_u32 s28, s37, s28
	s_addc_u32 s37, 0, s38
	s_add_u32 s28, s28, s36
	s_mul_i32 s35, s11, s35
	s_addc_u32 s28, s37, s39
	s_addc_u32 s36, s40, 0
	s_add_u32 s28, s28, s35
	s_addc_u32 s35, 0, s36
	v_add_co_u32 v1, s28, v1, s28
	s_delay_alu instid0(VALU_DEP_1) | instskip(SKIP_1) | instid1(VALU_DEP_1)
	s_cmp_lg_u32 s28, 0
	s_addc_u32 s11, s11, s35
	v_readfirstlane_b32 s28, v1
	s_mul_i32 s35, s29, s11
	s_delay_alu instid0(VALU_DEP_1)
	s_mul_hi_u32 s36, s29, s28
	s_mul_i32 s34, s34, s28
	s_add_i32 s35, s36, s35
	s_mul_i32 s29, s29, s28
	s_add_i32 s35, s35, s34
	s_mul_hi_u32 s36, s11, s29
	s_mul_i32 s37, s11, s29
	s_mul_hi_u32 s29, s28, s29
	s_mul_hi_u32 s38, s28, s35
	s_mul_i32 s28, s28, s35
	s_mul_hi_u32 s34, s11, s35
	s_add_u32 s28, s29, s28
	s_addc_u32 s29, 0, s38
	s_add_u32 s28, s28, s37
	s_mul_i32 s35, s11, s35
	s_addc_u32 s28, s29, s36
	s_addc_u32 s29, s34, 0
	s_add_u32 s28, s28, s35
	s_addc_u32 s29, 0, s29
	v_add_co_u32 v1, s28, v1, s28
	s_delay_alu instid0(VALU_DEP_1) | instskip(SKIP_1) | instid1(VALU_DEP_1)
	s_cmp_lg_u32 s28, 0
	s_addc_u32 s11, s11, s29
	v_readfirstlane_b32 s28, v1
	s_mul_i32 s34, s14, s11
	s_mul_hi_u32 s29, s14, s11
	s_mul_hi_u32 s35, s15, s11
	s_mul_i32 s11, s15, s11
	s_mul_hi_u32 s36, s14, s28
	s_mul_hi_u32 s37, s15, s28
	s_mul_i32 s28, s15, s28
	s_add_u32 s34, s36, s34
	s_addc_u32 s29, 0, s29
	s_add_u32 s28, s34, s28
	s_addc_u32 s28, s29, s37
	s_addc_u32 s29, s35, 0
	s_add_u32 s28, s28, s11
	s_addc_u32 s29, 0, s29
	s_mul_hi_u32 s11, s30, s28
	s_mul_i32 s35, s30, s29
	s_mul_i32 s36, s30, s28
	s_add_i32 s11, s11, s35
	v_sub_co_u32 v1, s35, s14, s36
	s_mul_i32 s34, s31, s28
	s_delay_alu instid0(SALU_CYCLE_1) | instskip(NEXT) | instid1(VALU_DEP_1)
	s_add_i32 s11, s11, s34
	v_sub_co_u32 v2, s36, v1, s30
	s_sub_i32 s34, s15, s11
	s_cmp_lg_u32 s35, 0
	s_subb_u32 s34, s34, s31
	s_cmp_lg_u32 s36, 0
	v_readfirstlane_b32 s36, v2
	s_subb_u32 s34, s34, 0
	s_delay_alu instid0(SALU_CYCLE_1) | instskip(SKIP_1) | instid1(VALU_DEP_1)
	s_cmp_ge_u32 s34, s31
	s_cselect_b32 s37, -1, 0
	s_cmp_ge_u32 s36, s30
	s_cselect_b32 s36, -1, 0
	s_cmp_eq_u32 s34, s31
	s_cselect_b32 s34, s36, s37
	s_add_u32 s36, s28, 1
	s_addc_u32 s37, s29, 0
	s_add_u32 s38, s28, 2
	s_addc_u32 s39, s29, 0
	s_cmp_lg_u32 s34, 0
	s_cselect_b32 s34, s38, s36
	s_cselect_b32 s36, s39, s37
	s_cmp_lg_u32 s35, 0
	v_readfirstlane_b32 s35, v1
	s_subb_u32 s11, s15, s11
	s_delay_alu instid0(SALU_CYCLE_1) | instskip(SKIP_1) | instid1(VALU_DEP_1)
	s_cmp_ge_u32 s11, s31
	s_cselect_b32 s37, -1, 0
	s_cmp_ge_u32 s35, s30
	s_cselect_b32 s35, -1, 0
	s_cmp_eq_u32 s11, s31
	s_cselect_b32 s11, s35, s37
	s_delay_alu instid0(SALU_CYCLE_1)
	s_cmp_lg_u32 s11, 0
	s_mov_b32 s11, 0
	s_cselect_b32 s29, s36, s29
	s_cselect_b32 s28, s34, s28
.LBB188_15:                             ;   in Loop: Header=BB188_13 Depth=1
	s_and_not1_b32 vcc_lo, exec_lo, s11
	s_cbranch_vccnz .LBB188_17
; %bb.16:                               ;   in Loop: Header=BB188_13 Depth=1
	v_cvt_f32_u32_e32 v1, s30
	s_sub_i32 s28, 0, s30
	s_waitcnt_depctr 0xfff
	v_rcp_iflag_f32_e32 v1, v1
	s_waitcnt_depctr 0xfff
	v_mul_f32_e32 v1, 0x4f7ffffe, v1
	s_delay_alu instid0(VALU_DEP_1) | instskip(NEXT) | instid1(VALU_DEP_1)
	v_cvt_u32_f32_e32 v1, v1
	v_readfirstlane_b32 s11, v1
	s_delay_alu instid0(VALU_DEP_1) | instskip(NEXT) | instid1(SALU_CYCLE_1)
	s_mul_i32 s28, s28, s11
	s_mul_hi_u32 s28, s11, s28
	s_delay_alu instid0(SALU_CYCLE_1) | instskip(NEXT) | instid1(SALU_CYCLE_1)
	s_add_i32 s11, s11, s28
	s_mul_hi_u32 s11, s14, s11
	s_delay_alu instid0(SALU_CYCLE_1) | instskip(SKIP_2) | instid1(SALU_CYCLE_1)
	s_mul_i32 s28, s11, s30
	s_add_i32 s29, s11, 1
	s_sub_i32 s28, s14, s28
	s_sub_i32 s34, s28, s30
	s_cmp_ge_u32 s28, s30
	s_cselect_b32 s11, s29, s11
	s_cselect_b32 s28, s34, s28
	s_add_i32 s29, s11, 1
	s_cmp_ge_u32 s28, s30
	s_cselect_b32 s28, s29, s11
	s_mov_b32 s29, s10
.LBB188_17:                             ;   in Loop: Header=BB188_13 Depth=1
	s_load_b64 s[34:35], s[12:13], 0xc8
	s_mul_i32 s11, s28, s31
	s_mul_hi_u32 s31, s28, s30
	s_mul_i32 s36, s29, s30
	s_add_i32 s11, s31, s11
	s_mul_i32 s30, s28, s30
	s_add_i32 s11, s11, s36
	s_sub_u32 s14, s14, s30
	s_subb_u32 s11, s15, s11
	s_waitcnt lgkmcnt(0)
	s_mul_i32 s11, s34, s11
	s_mul_hi_u32 s15, s34, s14
	s_mul_i32 s30, s35, s14
	s_add_i32 s11, s15, s11
	s_mul_i32 s14, s34, s14
	s_add_i32 s11, s11, s30
	s_add_u32 s26, s14, s26
	s_addc_u32 s27, s11, s27
	s_add_i32 s21, s21, -1
	s_add_u32 s12, s12, -8
	s_addc_u32 s13, s13, -1
	s_cmp_gt_u32 s21, 2
	s_cbranch_scc0 .LBB188_19
; %bb.18:                               ;   in Loop: Header=BB188_13 Depth=1
	s_mov_b64 s[14:15], s[28:29]
	s_branch .LBB188_13
.LBB188_19:
	s_clause 0x1
	s_load_b32 s11, s[0:1], 0x500
	s_load_b64 s[34:35], s[8:9], 0xd0
	s_add_u32 s9, s0, 0x368
	s_addc_u32 s10, s1, 0
	s_mov_b64 s[30:31], 0
	s_waitcnt lgkmcnt(0)
	s_cmp_lt_i32 s11, 2
	s_cbranch_scc1 .LBB188_27
; %bb.20:
	s_mov_b32 s8, 0
	s_add_i32 s12, s11, -1
	s_mov_b32 s13, s8
	s_add_i32 s21, s11, 1
	s_lshl_b64 s[12:13], s[12:13], 3
	s_delay_alu instid0(SALU_CYCLE_1)
	s_add_u32 s9, s12, s9
	s_addc_u32 s11, s13, s10
	s_add_u32 s10, s9, 8
	s_addc_u32 s11, s11, 0
	s_mov_b64 s[12:13], s[2:3]
.LBB188_21:                             ; =>This Inner Loop Header: Depth=1
	s_load_b64 s[14:15], s[10:11], 0x0
	s_waitcnt lgkmcnt(0)
	s_or_b64 s[36:37], s[12:13], s[14:15]
	s_delay_alu instid0(SALU_CYCLE_1) | instskip(NEXT) | instid1(SALU_CYCLE_1)
	s_mov_b32 s9, s37
                                        ; implicit-def: $sgpr36_sgpr37
	s_cmp_lg_u64 s[8:9], 0
	s_mov_b32 s9, -1
	s_cbranch_scc0 .LBB188_23
; %bb.22:                               ;   in Loop: Header=BB188_21 Depth=1
	v_cvt_f32_u32_e32 v1, s14
	v_cvt_f32_u32_e32 v2, s15
	s_sub_u32 s37, 0, s14
	s_subb_u32 s38, 0, s15
	s_waitcnt_depctr 0xfff
	v_fmac_f32_e32 v1, 0x4f800000, v2
	s_delay_alu instid0(VALU_DEP_1) | instskip(SKIP_2) | instid1(VALU_DEP_1)
	v_rcp_f32_e32 v1, v1
	s_waitcnt_depctr 0xfff
	v_mul_f32_e32 v1, 0x5f7ffffc, v1
	v_mul_f32_e32 v2, 0x2f800000, v1
	s_delay_alu instid0(VALU_DEP_1) | instskip(NEXT) | instid1(VALU_DEP_1)
	v_trunc_f32_e32 v2, v2
	v_fmac_f32_e32 v1, 0xcf800000, v2
	v_cvt_u32_f32_e32 v2, v2
	s_delay_alu instid0(VALU_DEP_2) | instskip(NEXT) | instid1(VALU_DEP_2)
	v_cvt_u32_f32_e32 v1, v1
	v_readfirstlane_b32 s9, v2
	s_delay_alu instid0(VALU_DEP_2) | instskip(NEXT) | instid1(VALU_DEP_2)
	v_readfirstlane_b32 s36, v1
	s_mul_i32 s39, s37, s9
	s_delay_alu instid0(VALU_DEP_1)
	s_mul_hi_u32 s41, s37, s36
	s_mul_i32 s40, s38, s36
	s_add_i32 s39, s41, s39
	s_mul_i32 s42, s37, s36
	s_add_i32 s39, s39, s40
	s_mul_hi_u32 s41, s36, s42
	s_mul_hi_u32 s43, s9, s42
	s_mul_i32 s40, s9, s42
	s_mul_hi_u32 s42, s36, s39
	s_mul_i32 s36, s36, s39
	s_mul_hi_u32 s44, s9, s39
	s_add_u32 s36, s41, s36
	s_addc_u32 s41, 0, s42
	s_add_u32 s36, s36, s40
	s_mul_i32 s39, s9, s39
	s_addc_u32 s36, s41, s43
	s_addc_u32 s40, s44, 0
	s_add_u32 s36, s36, s39
	s_addc_u32 s39, 0, s40
	v_add_co_u32 v1, s36, v1, s36
	s_delay_alu instid0(VALU_DEP_1) | instskip(SKIP_1) | instid1(VALU_DEP_1)
	s_cmp_lg_u32 s36, 0
	s_addc_u32 s9, s9, s39
	v_readfirstlane_b32 s36, v1
	s_mul_i32 s39, s37, s9
	s_delay_alu instid0(VALU_DEP_1)
	s_mul_hi_u32 s40, s37, s36
	s_mul_i32 s38, s38, s36
	s_add_i32 s39, s40, s39
	s_mul_i32 s37, s37, s36
	s_add_i32 s39, s39, s38
	s_mul_hi_u32 s40, s9, s37
	s_mul_i32 s41, s9, s37
	s_mul_hi_u32 s37, s36, s37
	s_mul_hi_u32 s42, s36, s39
	s_mul_i32 s36, s36, s39
	s_mul_hi_u32 s38, s9, s39
	s_add_u32 s36, s37, s36
	s_addc_u32 s37, 0, s42
	s_add_u32 s36, s36, s41
	s_mul_i32 s39, s9, s39
	s_addc_u32 s36, s37, s40
	s_addc_u32 s37, s38, 0
	s_add_u32 s36, s36, s39
	s_addc_u32 s37, 0, s37
	v_add_co_u32 v1, s36, v1, s36
	s_delay_alu instid0(VALU_DEP_1) | instskip(SKIP_1) | instid1(VALU_DEP_1)
	s_cmp_lg_u32 s36, 0
	s_addc_u32 s9, s9, s37
	v_readfirstlane_b32 s36, v1
	s_mul_i32 s38, s12, s9
	s_mul_hi_u32 s37, s12, s9
	s_mul_hi_u32 s39, s13, s9
	s_mul_i32 s9, s13, s9
	s_mul_hi_u32 s40, s12, s36
	s_mul_hi_u32 s41, s13, s36
	s_mul_i32 s36, s13, s36
	s_add_u32 s38, s40, s38
	s_addc_u32 s37, 0, s37
	s_add_u32 s36, s38, s36
	s_addc_u32 s36, s37, s41
	s_addc_u32 s37, s39, 0
	s_add_u32 s36, s36, s9
	s_addc_u32 s37, 0, s37
	s_mul_hi_u32 s9, s14, s36
	s_mul_i32 s39, s14, s37
	s_mul_i32 s40, s14, s36
	s_add_i32 s9, s9, s39
	v_sub_co_u32 v1, s39, s12, s40
	s_mul_i32 s38, s15, s36
	s_delay_alu instid0(SALU_CYCLE_1) | instskip(NEXT) | instid1(VALU_DEP_1)
	s_add_i32 s9, s9, s38
	v_sub_co_u32 v2, s40, v1, s14
	s_sub_i32 s38, s13, s9
	s_cmp_lg_u32 s39, 0
	s_subb_u32 s38, s38, s15
	s_cmp_lg_u32 s40, 0
	v_readfirstlane_b32 s40, v2
	s_subb_u32 s38, s38, 0
	s_delay_alu instid0(SALU_CYCLE_1) | instskip(SKIP_1) | instid1(VALU_DEP_1)
	s_cmp_ge_u32 s38, s15
	s_cselect_b32 s41, -1, 0
	s_cmp_ge_u32 s40, s14
	s_cselect_b32 s40, -1, 0
	s_cmp_eq_u32 s38, s15
	s_cselect_b32 s38, s40, s41
	s_add_u32 s40, s36, 1
	s_addc_u32 s41, s37, 0
	s_add_u32 s42, s36, 2
	s_addc_u32 s43, s37, 0
	s_cmp_lg_u32 s38, 0
	s_cselect_b32 s38, s42, s40
	s_cselect_b32 s40, s43, s41
	s_cmp_lg_u32 s39, 0
	v_readfirstlane_b32 s39, v1
	s_subb_u32 s9, s13, s9
	s_delay_alu instid0(SALU_CYCLE_1) | instskip(SKIP_1) | instid1(VALU_DEP_1)
	s_cmp_ge_u32 s9, s15
	s_cselect_b32 s41, -1, 0
	s_cmp_ge_u32 s39, s14
	s_cselect_b32 s39, -1, 0
	s_cmp_eq_u32 s9, s15
	s_cselect_b32 s9, s39, s41
	s_delay_alu instid0(SALU_CYCLE_1)
	s_cmp_lg_u32 s9, 0
	s_mov_b32 s9, 0
	s_cselect_b32 s37, s40, s37
	s_cselect_b32 s36, s38, s36
.LBB188_23:                             ;   in Loop: Header=BB188_21 Depth=1
	s_and_not1_b32 vcc_lo, exec_lo, s9
	s_cbranch_vccnz .LBB188_25
; %bb.24:                               ;   in Loop: Header=BB188_21 Depth=1
	v_cvt_f32_u32_e32 v1, s14
	s_sub_i32 s36, 0, s14
	s_waitcnt_depctr 0xfff
	v_rcp_iflag_f32_e32 v1, v1
	s_waitcnt_depctr 0xfff
	v_mul_f32_e32 v1, 0x4f7ffffe, v1
	s_delay_alu instid0(VALU_DEP_1) | instskip(NEXT) | instid1(VALU_DEP_1)
	v_cvt_u32_f32_e32 v1, v1
	v_readfirstlane_b32 s9, v1
	s_delay_alu instid0(VALU_DEP_1) | instskip(NEXT) | instid1(SALU_CYCLE_1)
	s_mul_i32 s36, s36, s9
	s_mul_hi_u32 s36, s9, s36
	s_delay_alu instid0(SALU_CYCLE_1) | instskip(NEXT) | instid1(SALU_CYCLE_1)
	s_add_i32 s9, s9, s36
	s_mul_hi_u32 s9, s12, s9
	s_delay_alu instid0(SALU_CYCLE_1) | instskip(SKIP_2) | instid1(SALU_CYCLE_1)
	s_mul_i32 s36, s9, s14
	s_add_i32 s37, s9, 1
	s_sub_i32 s36, s12, s36
	s_sub_i32 s38, s36, s14
	s_cmp_ge_u32 s36, s14
	s_cselect_b32 s9, s37, s9
	s_cselect_b32 s36, s38, s36
	s_add_i32 s37, s9, 1
	s_cmp_ge_u32 s36, s14
	s_cselect_b32 s36, s37, s9
	s_mov_b32 s37, s8
.LBB188_25:                             ;   in Loop: Header=BB188_21 Depth=1
	s_load_b64 s[38:39], s[10:11], 0xc8
	s_mul_i32 s9, s36, s15
	s_mul_hi_u32 s15, s36, s14
	s_mul_i32 s40, s37, s14
	s_add_i32 s9, s15, s9
	s_mul_i32 s14, s36, s14
	s_add_i32 s9, s9, s40
	s_sub_u32 s12, s12, s14
	s_subb_u32 s9, s13, s9
	s_waitcnt lgkmcnt(0)
	s_mul_i32 s9, s38, s9
	s_mul_hi_u32 s13, s38, s12
	s_mul_i32 s14, s39, s12
	s_add_i32 s9, s13, s9
	s_mul_i32 s12, s38, s12
	s_add_i32 s9, s9, s14
	s_add_u32 s30, s12, s30
	s_addc_u32 s31, s9, s31
	s_add_i32 s21, s21, -1
	s_add_u32 s10, s10, -8
	s_addc_u32 s11, s11, -1
	s_cmp_gt_u32 s21, 2
	s_cbranch_scc0 .LBB188_28
; %bb.26:                               ;   in Loop: Header=BB188_21 Depth=1
	s_mov_b64 s[12:13], s[36:37]
	s_branch .LBB188_21
.LBB188_27:
	s_mov_b64 s[36:37], s[2:3]
.LBB188_28:
	s_load_b128 s[8:11], s[0:1], 0x518
	s_lshl_b64 s[2:3], s[2:3], 3
	s_clause 0x1
	s_load_b64 s[44:45], s[0:1], 0x0
	s_load_b64 s[42:43], s[0:1], 0x1c0
	s_mov_b32 s21, 0
	s_waitcnt lgkmcnt(0)
	s_add_u32 s2, s8, s2
	s_addc_u32 s3, s9, s3
	s_clause 0x1
	s_load_b64 s[40:41], s[0:1], 0x438
	s_load_b64 s[38:39], s[0:1], 0x368
	;; [unrolled: 1-line block ×3, first 2 shown]
	v_cmp_ne_u32_e64 s2, 0, v0
	v_cmp_eq_u32_e64 s3, 0, v0
	s_delay_alu instid0(VALU_DEP_1)
	s_and_saveexec_b32 s53, s3
	s_cbranch_execz .LBB188_44
; %bb.29:
	s_load_b64 s[46:47], s[0:1], 0x528
	s_lshl_b64 s[48:49], s[20:21], 2
	s_mov_b32 s20, 0
	s_add_u32 s12, s10, s48
	s_addc_u32 s13, s11, s49
	s_mov_b32 s54, 0
	s_waitcnt lgkmcnt(0)
	s_add_u32 s14, s46, s48
	s_addc_u32 s15, s47, s49
	s_cmp_lt_u32 s17, 4
	s_cbranch_scc1 .LBB188_41
; %bb.30:
	s_mov_b32 s55, 0
.LBB188_31:                             ; =>This Inner Loop Header: Depth=1
	s_add_u32 s12, s10, s48
	s_addc_u32 s13, s11, s49
	s_add_u32 s50, s46, s48
	s_load_b128 s[12:15], s[12:13], 0x0
	s_addc_u32 s51, s47, s49
	s_cmp_ge_u32 s55, s52
	s_cbranch_scc0 .LBB188_38
; %bb.32:                               ;   in Loop: Header=BB188_31 Depth=1
	s_add_i32 s56, s55, 1
	s_delay_alu instid0(SALU_CYCLE_1)
	s_cmp_ge_u32 s56, s52
	s_cbranch_scc0 .LBB188_39
.LBB188_33:                             ;   in Loop: Header=BB188_31 Depth=1
	s_add_i32 s56, s56, 1
	s_delay_alu instid0(SALU_CYCLE_1)
	s_cmp_ge_u32 s56, s52
	s_cbranch_scc0 .LBB188_40
.LBB188_34:                             ;   in Loop: Header=BB188_31 Depth=1
	s_add_i32 s56, s56, 1
	s_delay_alu instid0(SALU_CYCLE_1)
	s_cmp_ge_u32 s56, s52
	s_cbranch_scc1 .LBB188_36
.LBB188_35:                             ;   in Loop: Header=BB188_31 Depth=1
	s_load_b32 s50, s[50:51], 0xc
	s_waitcnt lgkmcnt(0)
	s_add_i32 s21, s21, s15
	s_add_i32 s20, s50, s20
.LBB188_36:                             ;   in Loop: Header=BB188_31 Depth=1
	s_waitcnt lgkmcnt(0)
	s_add_i32 s12, s12, s54
	s_delay_alu instid0(SALU_CYCLE_1) | instskip(NEXT) | instid1(SALU_CYCLE_1)
	s_add_i32 s12, s12, s13
	s_add_i32 s12, s12, s14
	s_delay_alu instid0(SALU_CYCLE_1)
	s_add_i32 s54, s12, s15
	s_add_u32 s10, s10, 16
	s_addc_u32 s11, s11, 0
	s_add_u32 s46, s46, 16
	s_addc_u32 s47, s47, 0
	s_add_i32 s51, s56, 4
	s_add_u32 s14, s46, s48
	s_addc_u32 s15, s47, s49
	s_add_u32 s12, s10, s48
	s_addc_u32 s13, s11, s49
	s_add_i32 s50, s56, 1
	s_cmp_ge_u32 s51, s17
	s_cbranch_scc1 .LBB188_42
; %bb.37:                               ;   in Loop: Header=BB188_31 Depth=1
	s_mov_b32 s55, s50
	s_branch .LBB188_31
.LBB188_38:                             ;   in Loop: Header=BB188_31 Depth=1
	s_load_b32 s56, s[50:51], 0x0
	s_waitcnt lgkmcnt(0)
	s_add_i32 s21, s12, s21
	s_add_i32 s20, s56, s20
	;; [unrolled: 1-line block ×3, first 2 shown]
	s_delay_alu instid0(SALU_CYCLE_1)
	s_cmp_ge_u32 s56, s52
	s_cbranch_scc1 .LBB188_33
.LBB188_39:                             ;   in Loop: Header=BB188_31 Depth=1
	s_load_b32 s57, s[50:51], 0x4
	s_waitcnt lgkmcnt(0)
	s_add_i32 s21, s21, s13
	s_add_i32 s20, s57, s20
	s_add_i32 s56, s56, 1
	s_delay_alu instid0(SALU_CYCLE_1)
	s_cmp_ge_u32 s56, s52
	s_cbranch_scc1 .LBB188_34
.LBB188_40:                             ;   in Loop: Header=BB188_31 Depth=1
	s_load_b32 s57, s[50:51], 0x8
	s_waitcnt lgkmcnt(0)
	s_add_i32 s21, s21, s14
	s_add_i32 s20, s57, s20
	;; [unrolled: 1-line block ×3, first 2 shown]
	s_delay_alu instid0(SALU_CYCLE_1)
	s_cmp_ge_u32 s56, s52
	s_cbranch_scc0 .LBB188_35
	s_branch .LBB188_36
.LBB188_41:
	s_mov_b32 s10, 0
	s_delay_alu instid0(SALU_CYCLE_1)
	s_cmp_ge_u32 s10, s17
	s_cbranch_scc0 .LBB188_65
	s_branch .LBB188_43
.LBB188_42:
	s_add_i32 s10, s55, 4
	s_delay_alu instid0(SALU_CYCLE_1)
	s_cmp_ge_u32 s10, s17
	s_cbranch_scc0 .LBB188_65
.LBB188_43:
	v_dual_mov_b32 v1, s20 :: v_dual_mov_b32 v2, s54
	v_dual_mov_b32 v3, s21 :: v_dual_mov_b32 v4, 0
	ds_store_b96 v4, v[1:3] offset:1056
.LBB188_44:
	s_or_b32 exec_lo, exec_lo, s53
	s_cmp_eq_u32 s16, 0
	s_waitcnt lgkmcnt(0)
	s_barrier
	buffer_gl0_inv
	s_cbranch_scc1 .LBB188_67
; %bb.45:
	s_mul_i32 s10, s34, s29
	s_mul_hi_u32 s11, s34, s28
	s_mul_hi_u32 s12, s24, s22
	s_add_i32 s10, s11, s10
	s_mul_i32 s11, s24, s23
	v_cmp_o_f64_e64 s23, s[8:9], s[8:9]
	s_mul_i32 s13, s35, s28
	s_add_i32 s12, s12, s11
	s_mul_i32 s14, s25, s22
	s_add_i32 s11, s10, s13
	s_add_i32 s13, s12, s14
	s_mul_i32 s10, s40, s37
	s_mul_hi_u32 s14, s40, s36
	s_mul_i32 s12, s24, s22
	s_add_i32 s10, s14, s10
	s_mul_i32 s14, s41, s36
	s_lshl_b64 s[12:13], s[12:13], 3
	s_add_i32 s15, s10, s14
	s_add_u32 s14, s44, s12
	v_dual_mov_b32 v5, 0 :: v_dual_add_nc_u32 v4, -1, v0
	s_addc_u32 s20, s45, s13
	s_lshl_b64 s[12:13], s[18:19], 3
	s_mul_i32 s10, s34, s28
	s_add_u32 s17, s14, s12
	s_addc_u32 s18, s20, s13
	s_lshl_b64 s[10:11], s[10:11], 3
	ds_load_b96 v[1:3], v5 offset:1056
	s_add_u32 s12, s42, s10
	s_addc_u32 s13, s43, s11
	s_lshl_b64 s[10:11], s[26:27], 3
	s_mul_i32 s14, s40, s36
	s_add_u32 s19, s12, s10
	s_addc_u32 s20, s13, s11
	s_lshl_b64 s[10:11], s[14:15], 3
	v_lshlrev_b32_e32 v8, 3, v0
	s_add_u32 s12, s38, s10
	s_addc_u32 s13, s39, s11
	s_lshl_b64 s[10:11], s[30:31], 3
	v_lshrrev_b32_e32 v9, 2, v0
	s_add_u32 s21, s12, s10
	s_addc_u32 s22, s13, s11
	s_ashr_i32 s10, s9, 31
	v_lshrrev_b32_e32 v12, 5, v4
	s_or_b32 s11, s10, 0x80000000
	v_mbcnt_lo_u32_b32 v10, -1, 0
	s_xor_b64 s[8:9], s[10:11], s[8:9]
	s_and_b32 s10, s23, exec_lo
	s_clause 0x3
	s_load_b32 s23, s[0:1], 0x1b0
	s_load_b64 s[10:11], s[0:1], 0x1b8
	s_load_b64 s[12:13], s[0:1], 0x360
	;; [unrolled: 1-line block ×3, first 2 shown]
	s_waitcnt lgkmcnt(0)
	v_add_nc_u32_e32 v1, v1, v2
	v_lshrrev_b32_e32 v2, 5, v0
	v_cmp_gt_u32_e64 s0, 32, v0
	v_add_lshl_u32 v12, v12, v4, 2
	v_and_b32_e32 v13, 15, v10
	v_mad_u64_u32 v[6:7], null, s52, s33, v[0:1]
	v_add_lshl_u32 v11, v2, v0, 2
	v_add_lshl_u32 v0, v9, v8, 2
	v_bfe_i32 v14, v10, 4, 1
	v_add_nc_u32_e32 v15, -1, v10
	s_cselect_b32 s9, s9, -1
	s_cselect_b32 s8, s8, -1
	v_mov_b32_e32 v4, v6
                                        ; implicit-def: $vgpr6_vgpr7
	s_bitcmp1_b32 s23, 0
	s_cselect_b32 s1, -1, 0
	s_branch .LBB188_48
.LBB188_46:                             ;   in Loop: Header=BB188_48 Depth=1
	s_or_b32 exec_lo, exec_lo, s23
	v_add_nc_u32_e32 v1, v2, v1
.LBB188_47:                             ;   in Loop: Header=BB188_48 Depth=1
	v_add_nc_u32_e32 v3, v16, v3
	v_add_nc_u32_e32 v4, 0x100, v4
	s_add_i32 s16, s16, -1
	s_delay_alu instid0(SALU_CYCLE_1)
	s_cmp_lg_u32 s16, 0
	s_cbranch_scc0 .LBB188_67
.LBB188_48:                             ; =>This Inner Loop Header: Depth=1
	v_mov_b32_e32 v2, v5
	v_mov_b32_e32 v8, v5
	s_mov_b32 s23, exec_lo
	v_cmpx_gt_u64_e64 s[4:5], v[4:5]
	s_cbranch_execz .LBB188_50
; %bb.49:                               ;   in Loop: Header=BB188_48 Depth=1
	v_mad_u64_u32 v[6:7], null, v4, s10, 0
	s_delay_alu instid0(VALU_DEP_1) | instskip(NEXT) | instid1(VALU_DEP_1)
	v_mov_b32_e32 v2, v7
	v_mad_u64_u32 v[7:8], null, v4, s11, v[2:3]
	s_delay_alu instid0(VALU_DEP_1) | instskip(NEXT) | instid1(VALU_DEP_1)
	v_lshlrev_b64 v[6:7], 3, v[6:7]
	v_add_co_u32 v6, vcc_lo, s17, v6
	s_delay_alu instid0(VALU_DEP_2) | instskip(SKIP_4) | instid1(VALU_DEP_1)
	v_add_co_ci_u32_e32 v7, vcc_lo, s18, v7, vcc_lo
	global_load_b64 v[6:7], v[6:7], off
	s_waitcnt vmcnt(0)
	v_cmp_o_f64_e32 vcc_lo, v[6:7], v[6:7]
	v_ashrrev_i32_e32 v2, 31, v7
	v_or_b32_e32 v8, 0x80000000, v2
	v_xor_b32_e32 v2, v2, v6
	s_delay_alu instid0(VALU_DEP_2) | instskip(NEXT) | instid1(VALU_DEP_1)
	v_xor_b32_e32 v8, v8, v7
	v_dual_cndmask_b32 v9, -1, v8 :: v_dual_cndmask_b32 v8, -1, v2
	s_delay_alu instid0(VALU_DEP_1) | instskip(SKIP_4) | instid1(VALU_DEP_2)
	v_cmp_lt_u64_e32 vcc_lo, s[8:9], v[8:9]
	v_cndmask_b32_e64 v2, 0, 1, vcc_lo
	v_cmp_gt_u64_e32 vcc_lo, s[8:9], v[8:9]
	v_cndmask_b32_e64 v16, 0, 1, vcc_lo
	v_cmp_eq_u64_e32 vcc_lo, s[8:9], v[8:9]
	v_cndmask_b32_e64 v2, v16, v2, s1
	v_cndmask_b32_e64 v8, 0, 1, vcc_lo
	s_delay_alu instid0(VALU_DEP_2)
	v_and_b32_e32 v2, 1, v2
.LBB188_50:                             ;   in Loop: Header=BB188_48 Depth=1
	s_or_b32 exec_lo, exec_lo, s23
	ds_store_b32 v11, v2
	s_waitcnt lgkmcnt(0)
	s_waitcnt_vscnt null, 0x0
	s_barrier
	buffer_gl0_inv
	s_and_saveexec_b32 s23, s0
	s_cbranch_execz .LBB188_52
; %bb.51:                               ;   in Loop: Header=BB188_48 Depth=1
	ds_load_2addr_b32 v[16:17], v0 offset1:1
	ds_load_2addr_b32 v[18:19], v0 offset0:2 offset1:3
	ds_load_2addr_b32 v[20:21], v0 offset0:4 offset1:5
	;; [unrolled: 1-line block ×3, first 2 shown]
	v_cmp_ne_u32_e32 vcc_lo, 0, v13
	; wave barrier
	s_waitcnt lgkmcnt(3)
	v_add_nc_u32_e32 v9, v17, v16
	s_waitcnt lgkmcnt(2)
	s_delay_alu instid0(VALU_DEP_1) | instskip(SKIP_1) | instid1(VALU_DEP_1)
	v_add3_u32 v9, v9, v18, v19
	s_waitcnt lgkmcnt(1)
	v_add3_u32 v9, v9, v20, v21
	s_waitcnt lgkmcnt(0)
	s_delay_alu instid0(VALU_DEP_1) | instskip(NEXT) | instid1(VALU_DEP_1)
	v_add3_u32 v9, v9, v22, v23
	v_mov_b32_dpp v17, v9 row_shr:1 row_mask:0xf bank_mask:0xf
	s_delay_alu instid0(VALU_DEP_1) | instskip(SKIP_1) | instid1(VALU_DEP_2)
	v_cndmask_b32_e32 v17, 0, v17, vcc_lo
	v_cmp_lt_u32_e32 vcc_lo, 1, v13
	v_add_nc_u32_e32 v9, v17, v9
	s_delay_alu instid0(VALU_DEP_1) | instskip(NEXT) | instid1(VALU_DEP_1)
	v_mov_b32_dpp v17, v9 row_shr:2 row_mask:0xf bank_mask:0xf
	v_cndmask_b32_e32 v17, 0, v17, vcc_lo
	v_cmp_lt_u32_e32 vcc_lo, 3, v13
	s_delay_alu instid0(VALU_DEP_2) | instskip(NEXT) | instid1(VALU_DEP_1)
	v_add_nc_u32_e32 v9, v9, v17
	v_mov_b32_dpp v17, v9 row_shr:4 row_mask:0xf bank_mask:0xf
	s_delay_alu instid0(VALU_DEP_1) | instskip(SKIP_1) | instid1(VALU_DEP_2)
	v_cndmask_b32_e32 v17, 0, v17, vcc_lo
	v_cmp_lt_u32_e32 vcc_lo, 7, v13
	v_add_nc_u32_e32 v9, v9, v17
	s_delay_alu instid0(VALU_DEP_1) | instskip(NEXT) | instid1(VALU_DEP_1)
	v_mov_b32_dpp v17, v9 row_shr:8 row_mask:0xf bank_mask:0xf
	v_cndmask_b32_e32 v17, 0, v17, vcc_lo
	v_cmp_gt_i32_e32 vcc_lo, 0, v15
	s_delay_alu instid0(VALU_DEP_2) | instskip(SKIP_4) | instid1(VALU_DEP_1)
	v_dual_cndmask_b32 v18, v15, v10 :: v_dual_add_nc_u32 v9, v9, v17
	ds_swizzle_b32 v17, v9 offset:swizzle(BROADCAST,32,15)
	v_lshlrev_b32_e32 v18, 2, v18
	s_waitcnt lgkmcnt(0)
	v_and_b32_e32 v17, v14, v17
	v_add_nc_u32_e32 v9, v9, v17
	ds_bpermute_b32 v9, v18, v9
	s_waitcnt lgkmcnt(0)
	v_add_nc_u32_e32 v9, v9, v16
	s_delay_alu instid0(VALU_DEP_1)
	v_cndmask_b32_e64 v9, v9, v2, s3
	ds_store_b32 v0, v9
	; wave barrier
	ds_load_2addr_b32 v[16:17], v0 offset0:1 offset1:2
	ds_load_2addr_b32 v[18:19], v0 offset0:3 offset1:4
	;; [unrolled: 1-line block ×3, first 2 shown]
	ds_load_b32 v22, v0 offset:28
	s_waitcnt lgkmcnt(3)
	v_add_nc_u32_e32 v9, v16, v9
	s_delay_alu instid0(VALU_DEP_1) | instskip(SKIP_1) | instid1(VALU_DEP_1)
	v_add_nc_u32_e32 v16, v17, v9
	s_waitcnt lgkmcnt(2)
	v_add_nc_u32_e32 v17, v18, v16
	s_delay_alu instid0(VALU_DEP_1) | instskip(SKIP_1) | instid1(VALU_DEP_1)
	v_add_nc_u32_e32 v18, v19, v17
	;; [unrolled: 4-line block ×3, first 2 shown]
	s_waitcnt lgkmcnt(0)
	v_add_nc_u32_e32 v21, v22, v20
	ds_store_2addr_b32 v0, v9, v16 offset0:1 offset1:2
	ds_store_2addr_b32 v0, v17, v18 offset0:3 offset1:4
	;; [unrolled: 1-line block ×3, first 2 shown]
	ds_store_b32 v0, v21 offset:28
.LBB188_52:                             ;   in Loop: Header=BB188_48 Depth=1
	s_or_b32 exec_lo, exec_lo, s23
	v_mov_b32_e32 v9, 0
	s_waitcnt lgkmcnt(0)
	s_barrier
	buffer_gl0_inv
	s_and_saveexec_b32 s23, s2
	s_cbranch_execz .LBB188_54
; %bb.53:                               ;   in Loop: Header=BB188_48 Depth=1
	ds_load_b32 v9, v12
.LBB188_54:                             ;   in Loop: Header=BB188_48 Depth=1
	s_or_b32 exec_lo, exec_lo, s23
	ds_load_b32 v16, v5 offset:1048
	s_mov_b32 s23, exec_lo
	s_waitcnt lgkmcnt(0)
	s_barrier
	buffer_gl0_inv
	v_cmpx_ne_u32_e32 0, v2
	s_cbranch_execz .LBB188_56
; %bb.55:                               ;   in Loop: Header=BB188_48 Depth=1
	v_add_nc_u32_e32 v23, v9, v3
	s_delay_alu instid0(VALU_DEP_1) | instskip(NEXT) | instid1(VALU_DEP_1)
	v_mad_u64_u32 v[17:18], null, v23, s12, 0
	v_mov_b32_e32 v2, v18
	v_mad_u64_u32 v[19:20], null, v23, s14, 0
	s_delay_alu instid0(VALU_DEP_1) | instskip(NEXT) | instid1(VALU_DEP_3)
	v_mov_b32_e32 v9, v20
	v_mad_u64_u32 v[20:21], null, v23, s13, v[2:3]
	s_delay_alu instid0(VALU_DEP_2) | instskip(NEXT) | instid1(VALU_DEP_2)
	v_mad_u64_u32 v[21:22], null, v23, s15, v[9:10]
	v_mov_b32_e32 v18, v20
	s_delay_alu instid0(VALU_DEP_2) | instskip(NEXT) | instid1(VALU_DEP_2)
	v_mov_b32_e32 v20, v21
	v_lshlrev_b64 v[17:18], 3, v[17:18]
	s_delay_alu instid0(VALU_DEP_2) | instskip(NEXT) | instid1(VALU_DEP_2)
	v_lshlrev_b64 v[19:20], 3, v[19:20]
	v_add_co_u32 v17, vcc_lo, s19, v17
	s_delay_alu instid0(VALU_DEP_3) | instskip(NEXT) | instid1(VALU_DEP_3)
	v_add_co_ci_u32_e32 v18, vcc_lo, s20, v18, vcc_lo
	v_add_co_u32 v19, vcc_lo, s21, v19
	s_delay_alu instid0(VALU_DEP_4)
	v_add_co_ci_u32_e32 v20, vcc_lo, s22, v20, vcc_lo
	global_store_b64 v[17:18], v[6:7], off
	global_store_b64 v[19:20], v[4:5], off
.LBB188_56:                             ;   in Loop: Header=BB188_48 Depth=1
	s_or_b32 exec_lo, exec_lo, s23
	v_mov_b32_e32 v2, v5
	s_delay_alu instid0(VALU_DEP_1)
	v_cmp_le_u64_e32 vcc_lo, s[6:7], v[1:2]
	s_cbranch_vccnz .LBB188_47
; %bb.57:                               ;   in Loop: Header=BB188_48 Depth=1
	ds_store_b32 v11, v8
	s_waitcnt lgkmcnt(0)
	s_waitcnt_vscnt null, 0x0
	s_barrier
	buffer_gl0_inv
	s_and_saveexec_b32 s23, s0
	s_cbranch_execz .LBB188_59
; %bb.58:                               ;   in Loop: Header=BB188_48 Depth=1
	ds_load_2addr_b32 v[17:18], v0 offset1:1
	ds_load_2addr_b32 v[19:20], v0 offset0:2 offset1:3
	ds_load_2addr_b32 v[21:22], v0 offset0:4 offset1:5
	;; [unrolled: 1-line block ×3, first 2 shown]
	v_cmp_ne_u32_e32 vcc_lo, 0, v13
	; wave barrier
	s_waitcnt lgkmcnt(3)
	v_add_nc_u32_e32 v2, v18, v17
	s_waitcnt lgkmcnt(2)
	s_delay_alu instid0(VALU_DEP_1) | instskip(SKIP_1) | instid1(VALU_DEP_1)
	v_add3_u32 v2, v2, v19, v20
	s_waitcnt lgkmcnt(1)
	v_add3_u32 v2, v2, v21, v22
	s_waitcnt lgkmcnt(0)
	s_delay_alu instid0(VALU_DEP_1) | instskip(NEXT) | instid1(VALU_DEP_1)
	v_add3_u32 v2, v2, v23, v24
	v_mov_b32_dpp v9, v2 row_shr:1 row_mask:0xf bank_mask:0xf
	s_delay_alu instid0(VALU_DEP_1) | instskip(SKIP_1) | instid1(VALU_DEP_2)
	v_cndmask_b32_e32 v9, 0, v9, vcc_lo
	v_cmp_lt_u32_e32 vcc_lo, 1, v13
	v_add_nc_u32_e32 v2, v9, v2
	s_delay_alu instid0(VALU_DEP_1) | instskip(NEXT) | instid1(VALU_DEP_1)
	v_mov_b32_dpp v9, v2 row_shr:2 row_mask:0xf bank_mask:0xf
	v_cndmask_b32_e32 v9, 0, v9, vcc_lo
	v_cmp_lt_u32_e32 vcc_lo, 3, v13
	s_delay_alu instid0(VALU_DEP_2) | instskip(NEXT) | instid1(VALU_DEP_1)
	v_add_nc_u32_e32 v2, v2, v9
	v_mov_b32_dpp v9, v2 row_shr:4 row_mask:0xf bank_mask:0xf
	s_delay_alu instid0(VALU_DEP_1) | instskip(SKIP_1) | instid1(VALU_DEP_2)
	v_cndmask_b32_e32 v9, 0, v9, vcc_lo
	v_cmp_lt_u32_e32 vcc_lo, 7, v13
	v_add_nc_u32_e32 v2, v2, v9
	s_delay_alu instid0(VALU_DEP_1) | instskip(NEXT) | instid1(VALU_DEP_1)
	v_mov_b32_dpp v9, v2 row_shr:8 row_mask:0xf bank_mask:0xf
	v_cndmask_b32_e32 v9, 0, v9, vcc_lo
	v_cmp_gt_i32_e32 vcc_lo, 0, v15
	s_delay_alu instid0(VALU_DEP_2)
	v_add_nc_u32_e32 v2, v2, v9
	v_cndmask_b32_e32 v18, v15, v10, vcc_lo
	ds_swizzle_b32 v9, v2 offset:swizzle(BROADCAST,32,15)
	v_lshlrev_b32_e32 v18, 2, v18
	s_waitcnt lgkmcnt(0)
	v_and_b32_e32 v9, v14, v9
	s_delay_alu instid0(VALU_DEP_1) | instskip(SKIP_3) | instid1(VALU_DEP_1)
	v_add_nc_u32_e32 v2, v2, v9
	ds_bpermute_b32 v2, v18, v2
	s_waitcnt lgkmcnt(0)
	v_add_nc_u32_e32 v2, v2, v17
	v_cndmask_b32_e64 v2, v2, v8, s3
	ds_store_b32 v0, v2
	; wave barrier
	ds_load_2addr_b32 v[17:18], v0 offset0:1 offset1:2
	ds_load_2addr_b32 v[19:20], v0 offset0:3 offset1:4
	;; [unrolled: 1-line block ×3, first 2 shown]
	ds_load_b32 v9, v0 offset:28
	s_waitcnt lgkmcnt(3)
	v_add_nc_u32_e32 v2, v17, v2
	s_delay_alu instid0(VALU_DEP_1) | instskip(SKIP_1) | instid1(VALU_DEP_1)
	v_add_nc_u32_e32 v17, v18, v2
	s_waitcnt lgkmcnt(2)
	v_add_nc_u32_e32 v18, v19, v17
	s_delay_alu instid0(VALU_DEP_1) | instskip(SKIP_1) | instid1(VALU_DEP_1)
	v_add_nc_u32_e32 v19, v20, v18
	;; [unrolled: 4-line block ×3, first 2 shown]
	s_waitcnt lgkmcnt(0)
	v_add_nc_u32_e32 v9, v9, v21
	ds_store_2addr_b32 v0, v2, v17 offset0:1 offset1:2
	ds_store_2addr_b32 v0, v18, v19 offset0:3 offset1:4
	;; [unrolled: 1-line block ×3, first 2 shown]
	ds_store_b32 v0, v9 offset:28
.LBB188_59:                             ;   in Loop: Header=BB188_48 Depth=1
	s_or_b32 exec_lo, exec_lo, s23
	v_mov_b32_e32 v9, 0
	s_waitcnt lgkmcnt(0)
	s_barrier
	buffer_gl0_inv
	s_and_saveexec_b32 s23, s2
	s_cbranch_execz .LBB188_61
; %bb.60:                               ;   in Loop: Header=BB188_48 Depth=1
	ds_load_b32 v9, v12
.LBB188_61:                             ;   in Loop: Header=BB188_48 Depth=1
	s_or_b32 exec_lo, exec_lo, s23
	ds_load_b32 v2, v5 offset:1048
	s_mov_b32 s23, exec_lo
	s_waitcnt lgkmcnt(0)
	s_barrier
	buffer_gl0_inv
	v_cmpx_ne_u32_e32 0, v8
	s_cbranch_execz .LBB188_46
; %bb.62:                               ;   in Loop: Header=BB188_48 Depth=1
	v_add_nc_u32_e32 v8, v9, v1
	v_mov_b32_e32 v9, v5
	s_delay_alu instid0(VALU_DEP_1)
	v_cmp_gt_u64_e32 vcc_lo, s[6:7], v[8:9]
	s_and_b32 exec_lo, exec_lo, vcc_lo
	s_cbranch_execz .LBB188_46
; %bb.63:                               ;   in Loop: Header=BB188_48 Depth=1
	v_mad_u64_u32 v[17:18], null, v8, s12, 0
	v_mad_u64_u32 v[19:20], null, v8, s14, 0
	s_delay_alu instid0(VALU_DEP_1) | instskip(NEXT) | instid1(VALU_DEP_1)
	v_dual_mov_b32 v9, v18 :: v_dual_mov_b32 v18, v20
	v_mad_u64_u32 v[20:21], null, v8, s13, v[9:10]
	s_delay_alu instid0(VALU_DEP_2) | instskip(NEXT) | instid1(VALU_DEP_2)
	v_mad_u64_u32 v[21:22], null, v8, s15, v[18:19]
	v_mov_b32_e32 v18, v20
	s_delay_alu instid0(VALU_DEP_2) | instskip(NEXT) | instid1(VALU_DEP_2)
	v_mov_b32_e32 v20, v21
	v_lshlrev_b64 v[8:9], 3, v[17:18]
	s_delay_alu instid0(VALU_DEP_2) | instskip(NEXT) | instid1(VALU_DEP_2)
	v_lshlrev_b64 v[17:18], 3, v[19:20]
	v_add_co_u32 v8, vcc_lo, s19, v8
	s_delay_alu instid0(VALU_DEP_3) | instskip(NEXT) | instid1(VALU_DEP_3)
	v_add_co_ci_u32_e32 v9, vcc_lo, s20, v9, vcc_lo
	v_add_co_u32 v17, vcc_lo, s21, v17
	s_delay_alu instid0(VALU_DEP_4)
	v_add_co_ci_u32_e32 v18, vcc_lo, s22, v18, vcc_lo
	global_store_b64 v[8:9], v[6:7], off
	global_store_b64 v[17:18], v[4:5], off
	s_branch .LBB188_46
	.p2align	6
.LBB188_64:                             ;   in Loop: Header=BB188_65 Depth=1
	s_add_u32 s12, s12, 4
	s_addc_u32 s13, s13, 0
	s_waitcnt lgkmcnt(0)
	s_add_i32 s54, s11, s54
	s_add_u32 s14, s14, 4
	s_addc_u32 s15, s15, 0
	s_add_i32 s10, s10, 1
	s_delay_alu instid0(SALU_CYCLE_1)
	s_cmp_lt_u32 s10, s17
	s_cbranch_scc0 .LBB188_43
.LBB188_65:                             ; =>This Inner Loop Header: Depth=1
	s_load_b32 s11, s[12:13], 0x0
	s_cmp_ge_u32 s10, s52
	s_cbranch_scc1 .LBB188_64
; %bb.66:                               ;   in Loop: Header=BB188_65 Depth=1
	s_load_b32 s46, s[14:15], 0x0
	s_waitcnt lgkmcnt(0)
	s_add_i32 s21, s11, s21
	s_add_i32 s20, s46, s20
	s_branch .LBB188_64
.LBB188_67:
	s_nop 0
	s_sendmsg sendmsg(MSG_DEALLOC_VGPRS)
	s_endpgm
	.section	.rodata,"a",@progbits
	.p2align	6, 0x0
	.amdhsa_kernel _ZN2at6native6mbtopk10gatherTopKIdmLin1EEEvNS_4cuda6detail10TensorInfoIKT_T0_EES8_S8_bjS8_NS5_IS6_S8_EES8_NS5_IlS8_EES8_jjPS6_PjSD_j
		.amdhsa_group_segment_fixed_size 1068
		.amdhsa_private_segment_fixed_size 0
		.amdhsa_kernarg_size 1592
		.amdhsa_user_sgpr_count 13
		.amdhsa_user_sgpr_dispatch_ptr 0
		.amdhsa_user_sgpr_queue_ptr 0
		.amdhsa_user_sgpr_kernarg_segment_ptr 1
		.amdhsa_user_sgpr_dispatch_id 0
		.amdhsa_user_sgpr_private_segment_size 0
		.amdhsa_wavefront_size32 1
		.amdhsa_uses_dynamic_stack 0
		.amdhsa_enable_private_segment 0
		.amdhsa_system_sgpr_workgroup_id_x 1
		.amdhsa_system_sgpr_workgroup_id_y 1
		.amdhsa_system_sgpr_workgroup_id_z 1
		.amdhsa_system_sgpr_workgroup_info 0
		.amdhsa_system_vgpr_workitem_id 0
		.amdhsa_next_free_vgpr 25
		.amdhsa_next_free_sgpr 58
		.amdhsa_reserve_vcc 1
		.amdhsa_float_round_mode_32 0
		.amdhsa_float_round_mode_16_64 0
		.amdhsa_float_denorm_mode_32 3
		.amdhsa_float_denorm_mode_16_64 3
		.amdhsa_dx10_clamp 1
		.amdhsa_ieee_mode 1
		.amdhsa_fp16_overflow 0
		.amdhsa_workgroup_processor_mode 1
		.amdhsa_memory_ordered 1
		.amdhsa_forward_progress 0
		.amdhsa_shared_vgpr_count 0
		.amdhsa_exception_fp_ieee_invalid_op 0
		.amdhsa_exception_fp_denorm_src 0
		.amdhsa_exception_fp_ieee_div_zero 0
		.amdhsa_exception_fp_ieee_overflow 0
		.amdhsa_exception_fp_ieee_underflow 0
		.amdhsa_exception_fp_ieee_inexact 0
		.amdhsa_exception_int_div_zero 0
	.end_amdhsa_kernel
	.section	.text._ZN2at6native6mbtopk10gatherTopKIdmLin1EEEvNS_4cuda6detail10TensorInfoIKT_T0_EES8_S8_bjS8_NS5_IS6_S8_EES8_NS5_IlS8_EES8_jjPS6_PjSD_j,"axG",@progbits,_ZN2at6native6mbtopk10gatherTopKIdmLin1EEEvNS_4cuda6detail10TensorInfoIKT_T0_EES8_S8_bjS8_NS5_IS6_S8_EES8_NS5_IlS8_EES8_jjPS6_PjSD_j,comdat
.Lfunc_end188:
	.size	_ZN2at6native6mbtopk10gatherTopKIdmLin1EEEvNS_4cuda6detail10TensorInfoIKT_T0_EES8_S8_bjS8_NS5_IS6_S8_EES8_NS5_IlS8_EES8_jjPS6_PjSD_j, .Lfunc_end188-_ZN2at6native6mbtopk10gatherTopKIdmLin1EEEvNS_4cuda6detail10TensorInfoIKT_T0_EES8_S8_bjS8_NS5_IS6_S8_EES8_NS5_IlS8_EES8_jjPS6_PjSD_j
                                        ; -- End function
	.section	.AMDGPU.csdata,"",@progbits
; Kernel info:
; codeLenInByte = 5460
; NumSgprs: 60
; NumVgprs: 25
; ScratchSize: 0
; MemoryBound: 0
; FloatMode: 240
; IeeeMode: 1
; LDSByteSize: 1068 bytes/workgroup (compile time only)
; SGPRBlocks: 7
; VGPRBlocks: 3
; NumSGPRsForWavesPerEU: 60
; NumVGPRsForWavesPerEU: 25
; Occupancy: 16
; WaveLimiterHint : 1
; COMPUTE_PGM_RSRC2:SCRATCH_EN: 0
; COMPUTE_PGM_RSRC2:USER_SGPR: 13
; COMPUTE_PGM_RSRC2:TRAP_HANDLER: 0
; COMPUTE_PGM_RSRC2:TGID_X_EN: 1
; COMPUTE_PGM_RSRC2:TGID_Y_EN: 1
; COMPUTE_PGM_RSRC2:TGID_Z_EN: 1
; COMPUTE_PGM_RSRC2:TIDIG_COMP_CNT: 0
	.section	.text._ZN2at6native6sbtopk10gatherTopKIdmLin1ELb0EEEvNS_4cuda6detail10TensorInfoIKT_T0_EES8_S8_bS8_S8_NS5_IS6_S8_EES8_NS5_IlS8_EES8_PS6_,"axG",@progbits,_ZN2at6native6sbtopk10gatherTopKIdmLin1ELb0EEEvNS_4cuda6detail10TensorInfoIKT_T0_EES8_S8_bS8_S8_NS5_IS6_S8_EES8_NS5_IlS8_EES8_PS6_,comdat
	.protected	_ZN2at6native6sbtopk10gatherTopKIdmLin1ELb0EEEvNS_4cuda6detail10TensorInfoIKT_T0_EES8_S8_bS8_S8_NS5_IS6_S8_EES8_NS5_IlS8_EES8_PS6_ ; -- Begin function _ZN2at6native6sbtopk10gatherTopKIdmLin1ELb0EEEvNS_4cuda6detail10TensorInfoIKT_T0_EES8_S8_bS8_S8_NS5_IS6_S8_EES8_NS5_IlS8_EES8_PS6_
	.globl	_ZN2at6native6sbtopk10gatherTopKIdmLin1ELb0EEEvNS_4cuda6detail10TensorInfoIKT_T0_EES8_S8_bS8_S8_NS5_IS6_S8_EES8_NS5_IlS8_EES8_PS6_
	.p2align	8
	.type	_ZN2at6native6sbtopk10gatherTopKIdmLin1ELb0EEEvNS_4cuda6detail10TensorInfoIKT_T0_EES8_S8_bS8_S8_NS5_IS6_S8_EES8_NS5_IlS8_EES8_PS6_,@function
_ZN2at6native6sbtopk10gatherTopKIdmLin1ELb0EEEvNS_4cuda6detail10TensorInfoIKT_T0_EES8_S8_bS8_S8_NS5_IS6_S8_EES8_NS5_IlS8_EES8_PS6_: ; @_ZN2at6native6sbtopk10gatherTopKIdmLin1ELb0EEEvNS_4cuda6detail10TensorInfoIKT_T0_EES8_S8_bS8_S8_NS5_IS6_S8_EES8_NS5_IlS8_EES8_PS6_
; %bb.0:
	s_clause 0x1
	s_load_b64 s[10:11], s[0:1], 0x520
	s_load_b128 s[28:31], s[0:1], 0x1b8
	s_add_u32 s8, s0, 0x520
	s_addc_u32 s9, s1, 0
	s_mov_b32 s5, 0
	s_waitcnt lgkmcnt(0)
	s_mul_i32 s2, s11, s15
	s_delay_alu instid0(SALU_CYCLE_1) | instskip(NEXT) | instid1(SALU_CYCLE_1)
	s_add_i32 s2, s2, s14
	s_mul_i32 s2, s2, s10
	s_delay_alu instid0(SALU_CYCLE_1) | instskip(NEXT) | instid1(SALU_CYCLE_1)
	s_add_i32 s4, s2, s13
	v_cmp_ge_u64_e64 s2, s[4:5], s[28:29]
	s_delay_alu instid0(VALU_DEP_1)
	s_and_b32 vcc_lo, exec_lo, s2
	s_cbranch_vccnz .LBB189_567
; %bb.1:
	s_load_b32 s11, s[0:1], 0x198
	s_mov_b64 s[2:3], 0
	s_mov_b64 s[6:7], s[4:5]
	s_waitcnt lgkmcnt(0)
	s_cmp_lt_i32 s11, 2
	s_cbranch_scc1 .LBB189_9
; %bb.2:
	s_mov_b32 s14, 0
	s_add_i32 s2, s11, -1
	s_mov_b32 s3, s14
	s_add_i32 s11, s11, 1
	s_lshl_b64 s[6:7], s[2:3], 3
	s_mov_b64 s[2:3], 0
	s_add_u32 s6, s6, s0
	s_addc_u32 s7, s7, s1
	s_add_u32 s16, s6, 8
	s_addc_u32 s17, s7, 0
	s_mov_b64 s[18:19], s[4:5]
.LBB189_3:                              ; =>This Inner Loop Header: Depth=1
	s_load_b64 s[20:21], s[16:17], 0x0
	s_mov_b32 s12, -1
	s_waitcnt lgkmcnt(0)
	s_or_b64 s[6:7], s[18:19], s[20:21]
	s_delay_alu instid0(SALU_CYCLE_1) | instskip(NEXT) | instid1(SALU_CYCLE_1)
	s_mov_b32 s15, s7
                                        ; implicit-def: $sgpr6_sgpr7
	s_cmp_lg_u64 s[14:15], 0
	s_cbranch_scc0 .LBB189_5
; %bb.4:                                ;   in Loop: Header=BB189_3 Depth=1
	v_cvt_f32_u32_e32 v1, s20
	v_cvt_f32_u32_e32 v2, s21
	s_sub_u32 s12, 0, s20
	s_subb_u32 s15, 0, s21
	s_waitcnt_depctr 0xfff
	v_fmac_f32_e32 v1, 0x4f800000, v2
	s_delay_alu instid0(VALU_DEP_1) | instskip(SKIP_2) | instid1(VALU_DEP_1)
	v_rcp_f32_e32 v1, v1
	s_waitcnt_depctr 0xfff
	v_mul_f32_e32 v1, 0x5f7ffffc, v1
	v_mul_f32_e32 v2, 0x2f800000, v1
	s_delay_alu instid0(VALU_DEP_1) | instskip(NEXT) | instid1(VALU_DEP_1)
	v_trunc_f32_e32 v2, v2
	v_fmac_f32_e32 v1, 0xcf800000, v2
	v_cvt_u32_f32_e32 v2, v2
	s_delay_alu instid0(VALU_DEP_2) | instskip(NEXT) | instid1(VALU_DEP_2)
	v_cvt_u32_f32_e32 v1, v1
	v_readfirstlane_b32 s6, v2
	s_delay_alu instid0(VALU_DEP_2) | instskip(NEXT) | instid1(VALU_DEP_2)
	v_readfirstlane_b32 s7, v1
	s_mul_i32 s22, s12, s6
	s_delay_alu instid0(VALU_DEP_1)
	s_mul_hi_u32 s24, s12, s7
	s_mul_i32 s23, s15, s7
	s_add_i32 s22, s24, s22
	s_mul_i32 s25, s12, s7
	s_add_i32 s22, s22, s23
	s_mul_hi_u32 s24, s7, s25
	s_mul_hi_u32 s26, s6, s25
	s_mul_i32 s23, s6, s25
	s_mul_hi_u32 s25, s7, s22
	s_mul_i32 s7, s7, s22
	s_mul_hi_u32 s27, s6, s22
	s_add_u32 s7, s24, s7
	s_addc_u32 s24, 0, s25
	s_add_u32 s7, s7, s23
	s_mul_i32 s22, s6, s22
	s_addc_u32 s7, s24, s26
	s_addc_u32 s23, s27, 0
	s_add_u32 s7, s7, s22
	s_addc_u32 s22, 0, s23
	v_add_co_u32 v1, s7, v1, s7
	s_delay_alu instid0(VALU_DEP_1) | instskip(SKIP_1) | instid1(VALU_DEP_1)
	s_cmp_lg_u32 s7, 0
	s_addc_u32 s6, s6, s22
	v_readfirstlane_b32 s7, v1
	s_mul_i32 s22, s12, s6
	s_delay_alu instid0(VALU_DEP_1)
	s_mul_hi_u32 s23, s12, s7
	s_mul_i32 s15, s15, s7
	s_add_i32 s22, s23, s22
	s_mul_i32 s12, s12, s7
	s_add_i32 s22, s22, s15
	s_mul_hi_u32 s23, s6, s12
	s_mul_i32 s24, s6, s12
	s_mul_hi_u32 s12, s7, s12
	s_mul_hi_u32 s25, s7, s22
	s_mul_i32 s7, s7, s22
	s_mul_hi_u32 s15, s6, s22
	s_add_u32 s7, s12, s7
	s_addc_u32 s12, 0, s25
	s_add_u32 s7, s7, s24
	s_mul_i32 s22, s6, s22
	s_addc_u32 s7, s12, s23
	s_addc_u32 s12, s15, 0
	s_add_u32 s7, s7, s22
	s_addc_u32 s12, 0, s12
	v_add_co_u32 v1, s7, v1, s7
	s_delay_alu instid0(VALU_DEP_1) | instskip(SKIP_1) | instid1(VALU_DEP_1)
	s_cmp_lg_u32 s7, 0
	s_addc_u32 s6, s6, s12
	v_readfirstlane_b32 s7, v1
	s_mul_i32 s15, s18, s6
	s_mul_hi_u32 s12, s18, s6
	s_mul_hi_u32 s22, s19, s6
	s_mul_i32 s6, s19, s6
	s_mul_hi_u32 s23, s18, s7
	s_mul_hi_u32 s24, s19, s7
	s_mul_i32 s7, s19, s7
	s_add_u32 s15, s23, s15
	s_addc_u32 s12, 0, s12
	s_add_u32 s7, s15, s7
	s_addc_u32 s7, s12, s24
	s_addc_u32 s12, s22, 0
	s_add_u32 s6, s7, s6
	s_addc_u32 s7, 0, s12
	s_mul_hi_u32 s12, s20, s6
	s_mul_i32 s22, s20, s7
	s_mul_i32 s23, s20, s6
	s_add_i32 s12, s12, s22
	v_sub_co_u32 v1, s22, s18, s23
	s_mul_i32 s15, s21, s6
	s_delay_alu instid0(SALU_CYCLE_1) | instskip(NEXT) | instid1(VALU_DEP_1)
	s_add_i32 s12, s12, s15
	v_sub_co_u32 v2, s23, v1, s20
	s_sub_i32 s15, s19, s12
	s_cmp_lg_u32 s22, 0
	s_subb_u32 s15, s15, s21
	s_cmp_lg_u32 s23, 0
	v_readfirstlane_b32 s23, v2
	s_subb_u32 s15, s15, 0
	s_delay_alu instid0(SALU_CYCLE_1) | instskip(SKIP_1) | instid1(VALU_DEP_1)
	s_cmp_ge_u32 s15, s21
	s_cselect_b32 s24, -1, 0
	s_cmp_ge_u32 s23, s20
	s_cselect_b32 s23, -1, 0
	s_cmp_eq_u32 s15, s21
	s_cselect_b32 s15, s23, s24
	s_add_u32 s23, s6, 1
	s_addc_u32 s24, s7, 0
	s_add_u32 s25, s6, 2
	s_addc_u32 s26, s7, 0
	s_cmp_lg_u32 s15, 0
	s_cselect_b32 s15, s25, s23
	s_cselect_b32 s23, s26, s24
	s_cmp_lg_u32 s22, 0
	v_readfirstlane_b32 s22, v1
	s_subb_u32 s12, s19, s12
	s_delay_alu instid0(SALU_CYCLE_1) | instskip(SKIP_1) | instid1(VALU_DEP_1)
	s_cmp_ge_u32 s12, s21
	s_cselect_b32 s24, -1, 0
	s_cmp_ge_u32 s22, s20
	s_cselect_b32 s22, -1, 0
	s_cmp_eq_u32 s12, s21
	s_cselect_b32 s12, s22, s24
	s_delay_alu instid0(SALU_CYCLE_1)
	s_cmp_lg_u32 s12, 0
	s_mov_b32 s12, 0
	s_cselect_b32 s7, s23, s7
	s_cselect_b32 s6, s15, s6
.LBB189_5:                              ;   in Loop: Header=BB189_3 Depth=1
	s_and_not1_b32 vcc_lo, exec_lo, s12
	s_cbranch_vccnz .LBB189_7
; %bb.6:                                ;   in Loop: Header=BB189_3 Depth=1
	v_cvt_f32_u32_e32 v1, s20
	s_sub_i32 s7, 0, s20
	s_waitcnt_depctr 0xfff
	v_rcp_iflag_f32_e32 v1, v1
	s_waitcnt_depctr 0xfff
	v_mul_f32_e32 v1, 0x4f7ffffe, v1
	s_delay_alu instid0(VALU_DEP_1) | instskip(NEXT) | instid1(VALU_DEP_1)
	v_cvt_u32_f32_e32 v1, v1
	v_readfirstlane_b32 s6, v1
	s_delay_alu instid0(VALU_DEP_1) | instskip(NEXT) | instid1(SALU_CYCLE_1)
	s_mul_i32 s7, s7, s6
	s_mul_hi_u32 s7, s6, s7
	s_delay_alu instid0(SALU_CYCLE_1) | instskip(NEXT) | instid1(SALU_CYCLE_1)
	s_add_i32 s6, s6, s7
	s_mul_hi_u32 s6, s18, s6
	s_delay_alu instid0(SALU_CYCLE_1) | instskip(SKIP_2) | instid1(SALU_CYCLE_1)
	s_mul_i32 s7, s6, s20
	s_add_i32 s12, s6, 1
	s_sub_i32 s7, s18, s7
	s_sub_i32 s15, s7, s20
	s_cmp_ge_u32 s7, s20
	s_cselect_b32 s6, s12, s6
	s_cselect_b32 s7, s15, s7
	s_add_i32 s12, s6, 1
	s_cmp_ge_u32 s7, s20
	s_mov_b32 s7, s14
	s_cselect_b32 s6, s12, s6
.LBB189_7:                              ;   in Loop: Header=BB189_3 Depth=1
	s_load_b64 s[22:23], s[16:17], 0xc8
	s_mul_i32 s12, s6, s21
	s_mul_hi_u32 s15, s6, s20
	s_mul_i32 s21, s7, s20
	s_add_i32 s12, s15, s12
	s_mul_i32 s15, s6, s20
	s_add_i32 s12, s12, s21
	s_sub_u32 s15, s18, s15
	s_subb_u32 s12, s19, s12
	s_waitcnt lgkmcnt(0)
	s_mul_i32 s12, s22, s12
	s_mul_hi_u32 s18, s22, s15
	s_mul_i32 s19, s23, s15
	s_add_i32 s12, s18, s12
	s_mul_i32 s15, s22, s15
	s_add_i32 s12, s12, s19
	s_add_u32 s2, s15, s2
	s_addc_u32 s3, s12, s3
	s_add_i32 s11, s11, -1
	s_add_u32 s16, s16, -8
	s_addc_u32 s17, s17, -1
	s_cmp_gt_u32 s11, 2
	s_cbranch_scc0 .LBB189_9
; %bb.8:                                ;   in Loop: Header=BB189_3 Depth=1
	s_mov_b64 s[18:19], s[6:7]
	s_branch .LBB189_3
.LBB189_9:
	s_clause 0x1
	s_load_b32 s11, s[0:1], 0x360
	s_load_b64 s[14:15], s[0:1], 0xd0
	s_add_u32 s16, s0, 0x1c8
	s_addc_u32 s17, s1, 0
	s_mov_b64 s[28:29], 0
	s_mov_b64 s[40:41], s[4:5]
	s_waitcnt lgkmcnt(0)
	s_cmp_lt_i32 s11, 2
	s_cbranch_scc1 .LBB189_17
; %bb.10:
	s_mov_b32 s18, 0
	s_add_i32 s20, s11, -1
	s_mov_b32 s21, s18
	s_add_i32 s11, s11, 1
	s_lshl_b64 s[20:21], s[20:21], 3
	s_mov_b64 s[22:23], s[4:5]
	s_add_u32 s12, s20, s16
	s_addc_u32 s19, s21, s17
	s_add_u32 s20, s12, 8
	s_addc_u32 s21, s19, 0
.LBB189_11:                             ; =>This Inner Loop Header: Depth=1
	s_load_b64 s[24:25], s[20:21], 0x0
	s_mov_b32 s12, -1
                                        ; implicit-def: $sgpr40_sgpr41
	s_waitcnt lgkmcnt(0)
	s_or_b64 s[26:27], s[22:23], s[24:25]
	s_delay_alu instid0(SALU_CYCLE_1) | instskip(NEXT) | instid1(SALU_CYCLE_1)
	s_mov_b32 s19, s27
	s_cmp_lg_u64 s[18:19], 0
	s_cbranch_scc0 .LBB189_13
; %bb.12:                               ;   in Loop: Header=BB189_11 Depth=1
	v_cvt_f32_u32_e32 v1, s24
	v_cvt_f32_u32_e32 v2, s25
	s_sub_u32 s26, 0, s24
	s_subb_u32 s27, 0, s25
	s_waitcnt_depctr 0xfff
	v_fmac_f32_e32 v1, 0x4f800000, v2
	s_delay_alu instid0(VALU_DEP_1) | instskip(SKIP_2) | instid1(VALU_DEP_1)
	v_rcp_f32_e32 v1, v1
	s_waitcnt_depctr 0xfff
	v_mul_f32_e32 v1, 0x5f7ffffc, v1
	v_mul_f32_e32 v2, 0x2f800000, v1
	s_delay_alu instid0(VALU_DEP_1) | instskip(NEXT) | instid1(VALU_DEP_1)
	v_trunc_f32_e32 v2, v2
	v_fmac_f32_e32 v1, 0xcf800000, v2
	v_cvt_u32_f32_e32 v2, v2
	s_delay_alu instid0(VALU_DEP_2) | instskip(NEXT) | instid1(VALU_DEP_2)
	v_cvt_u32_f32_e32 v1, v1
	v_readfirstlane_b32 s12, v2
	s_delay_alu instid0(VALU_DEP_2) | instskip(NEXT) | instid1(VALU_DEP_2)
	v_readfirstlane_b32 s19, v1
	s_mul_i32 s33, s26, s12
	s_delay_alu instid0(VALU_DEP_1)
	s_mul_hi_u32 s35, s26, s19
	s_mul_i32 s34, s27, s19
	s_add_i32 s33, s35, s33
	s_mul_i32 s36, s26, s19
	s_add_i32 s33, s33, s34
	s_mul_hi_u32 s35, s19, s36
	s_mul_hi_u32 s37, s12, s36
	s_mul_i32 s34, s12, s36
	s_mul_hi_u32 s36, s19, s33
	s_mul_i32 s19, s19, s33
	s_mul_hi_u32 s38, s12, s33
	s_add_u32 s19, s35, s19
	s_addc_u32 s35, 0, s36
	s_add_u32 s19, s19, s34
	s_mul_i32 s33, s12, s33
	s_addc_u32 s19, s35, s37
	s_addc_u32 s34, s38, 0
	s_add_u32 s19, s19, s33
	s_addc_u32 s33, 0, s34
	v_add_co_u32 v1, s19, v1, s19
	s_delay_alu instid0(VALU_DEP_1) | instskip(SKIP_1) | instid1(VALU_DEP_1)
	s_cmp_lg_u32 s19, 0
	s_addc_u32 s12, s12, s33
	v_readfirstlane_b32 s19, v1
	s_mul_i32 s33, s26, s12
	s_delay_alu instid0(VALU_DEP_1)
	s_mul_hi_u32 s34, s26, s19
	s_mul_i32 s27, s27, s19
	s_add_i32 s33, s34, s33
	s_mul_i32 s26, s26, s19
	s_add_i32 s33, s33, s27
	s_mul_hi_u32 s34, s12, s26
	s_mul_i32 s35, s12, s26
	s_mul_hi_u32 s26, s19, s26
	s_mul_hi_u32 s36, s19, s33
	s_mul_i32 s19, s19, s33
	s_mul_hi_u32 s27, s12, s33
	s_add_u32 s19, s26, s19
	s_addc_u32 s26, 0, s36
	s_add_u32 s19, s19, s35
	s_mul_i32 s33, s12, s33
	s_addc_u32 s19, s26, s34
	s_addc_u32 s26, s27, 0
	s_add_u32 s19, s19, s33
	s_addc_u32 s26, 0, s26
	v_add_co_u32 v1, s19, v1, s19
	s_delay_alu instid0(VALU_DEP_1) | instskip(SKIP_1) | instid1(VALU_DEP_1)
	s_cmp_lg_u32 s19, 0
	s_addc_u32 s12, s12, s26
	v_readfirstlane_b32 s19, v1
	s_mul_i32 s27, s22, s12
	s_mul_hi_u32 s26, s22, s12
	s_mul_hi_u32 s33, s23, s12
	s_mul_i32 s12, s23, s12
	s_mul_hi_u32 s34, s22, s19
	s_mul_hi_u32 s35, s23, s19
	s_mul_i32 s19, s23, s19
	s_add_u32 s27, s34, s27
	s_addc_u32 s26, 0, s26
	s_add_u32 s19, s27, s19
	s_addc_u32 s19, s26, s35
	s_addc_u32 s26, s33, 0
	s_add_u32 s19, s19, s12
	s_addc_u32 s26, 0, s26
	s_mul_hi_u32 s12, s24, s19
	s_mul_i32 s33, s24, s26
	s_mul_i32 s34, s24, s19
	s_add_i32 s12, s12, s33
	v_sub_co_u32 v1, s33, s22, s34
	s_mul_i32 s27, s25, s19
	s_delay_alu instid0(SALU_CYCLE_1) | instskip(NEXT) | instid1(VALU_DEP_1)
	s_add_i32 s12, s12, s27
	v_sub_co_u32 v2, s34, v1, s24
	s_sub_i32 s27, s23, s12
	s_cmp_lg_u32 s33, 0
	s_subb_u32 s27, s27, s25
	s_cmp_lg_u32 s34, 0
	v_readfirstlane_b32 s34, v2
	s_subb_u32 s27, s27, 0
	s_delay_alu instid0(SALU_CYCLE_1) | instskip(SKIP_1) | instid1(VALU_DEP_1)
	s_cmp_ge_u32 s27, s25
	s_cselect_b32 s35, -1, 0
	s_cmp_ge_u32 s34, s24
	s_cselect_b32 s34, -1, 0
	s_cmp_eq_u32 s27, s25
	s_cselect_b32 s27, s34, s35
	s_add_u32 s34, s19, 1
	s_addc_u32 s35, s26, 0
	s_add_u32 s36, s19, 2
	s_addc_u32 s37, s26, 0
	s_cmp_lg_u32 s27, 0
	s_cselect_b32 s27, s36, s34
	s_cselect_b32 s34, s37, s35
	s_cmp_lg_u32 s33, 0
	v_readfirstlane_b32 s33, v1
	s_subb_u32 s12, s23, s12
	s_delay_alu instid0(SALU_CYCLE_1) | instskip(SKIP_1) | instid1(VALU_DEP_1)
	s_cmp_ge_u32 s12, s25
	s_cselect_b32 s35, -1, 0
	s_cmp_ge_u32 s33, s24
	s_cselect_b32 s33, -1, 0
	s_cmp_eq_u32 s12, s25
	s_cselect_b32 s12, s33, s35
	s_delay_alu instid0(SALU_CYCLE_1)
	s_cmp_lg_u32 s12, 0
	s_mov_b32 s12, 0
	s_cselect_b32 s41, s34, s26
	s_cselect_b32 s40, s27, s19
.LBB189_13:                             ;   in Loop: Header=BB189_11 Depth=1
	s_and_not1_b32 vcc_lo, exec_lo, s12
	s_cbranch_vccnz .LBB189_15
; %bb.14:                               ;   in Loop: Header=BB189_11 Depth=1
	v_cvt_f32_u32_e32 v1, s24
	s_sub_i32 s19, 0, s24
	s_mov_b32 s41, s18
	s_waitcnt_depctr 0xfff
	v_rcp_iflag_f32_e32 v1, v1
	s_waitcnt_depctr 0xfff
	v_mul_f32_e32 v1, 0x4f7ffffe, v1
	s_delay_alu instid0(VALU_DEP_1) | instskip(NEXT) | instid1(VALU_DEP_1)
	v_cvt_u32_f32_e32 v1, v1
	v_readfirstlane_b32 s12, v1
	s_delay_alu instid0(VALU_DEP_1) | instskip(NEXT) | instid1(SALU_CYCLE_1)
	s_mul_i32 s19, s19, s12
	s_mul_hi_u32 s19, s12, s19
	s_delay_alu instid0(SALU_CYCLE_1) | instskip(NEXT) | instid1(SALU_CYCLE_1)
	s_add_i32 s12, s12, s19
	s_mul_hi_u32 s12, s22, s12
	s_delay_alu instid0(SALU_CYCLE_1) | instskip(SKIP_2) | instid1(SALU_CYCLE_1)
	s_mul_i32 s19, s12, s24
	s_add_i32 s26, s12, 1
	s_sub_i32 s19, s22, s19
	s_sub_i32 s27, s19, s24
	s_cmp_ge_u32 s19, s24
	s_cselect_b32 s12, s26, s12
	s_cselect_b32 s19, s27, s19
	s_add_i32 s26, s12, 1
	s_cmp_ge_u32 s19, s24
	s_cselect_b32 s40, s26, s12
.LBB189_15:                             ;   in Loop: Header=BB189_11 Depth=1
	s_load_b64 s[26:27], s[20:21], 0xc8
	s_mul_i32 s12, s40, s25
	s_mul_hi_u32 s19, s40, s24
	s_mul_i32 s25, s41, s24
	s_add_i32 s12, s19, s12
	s_mul_i32 s19, s40, s24
	s_add_i32 s12, s12, s25
	s_sub_u32 s19, s22, s19
	s_subb_u32 s12, s23, s12
	s_waitcnt lgkmcnt(0)
	s_mul_i32 s12, s26, s12
	s_mul_hi_u32 s22, s26, s19
	s_mul_i32 s23, s27, s19
	s_add_i32 s12, s22, s12
	s_mul_i32 s19, s26, s19
	s_add_i32 s12, s12, s23
	s_add_u32 s28, s19, s28
	s_addc_u32 s29, s12, s29
	s_add_i32 s11, s11, -1
	s_add_u32 s20, s20, -8
	s_addc_u32 s21, s21, -1
	s_cmp_gt_u32 s11, 2
	s_cbranch_scc0 .LBB189_17
; %bb.16:                               ;   in Loop: Header=BB189_11 Depth=1
	s_mov_b64 s[22:23], s[40:41]
	s_branch .LBB189_11
.LBB189_17:
	s_clause 0x1
	s_load_b32 s11, s[0:1], 0x508
	s_load_b64 s[16:17], s[16:17], 0xd0
                                        ; implicit-def: $vgpr57 : SGPR spill to VGPR lane
	s_add_u32 s12, s0, 0x370
	s_mov_b64 s[44:45], 0
	s_waitcnt lgkmcnt(0)
	v_writelane_b32 v57, s16, 0
	v_writelane_b32 v57, s17, 1
	s_addc_u32 s17, s1, 0
	s_cmp_lt_i32 s11, 2
	s_cbranch_scc1 .LBB189_25
; %bb.18:
	s_mov_b32 s16, 0
	s_add_i32 s18, s11, -1
	s_mov_b32 s19, s16
	s_add_i32 s11, s11, 1
	s_lshl_b64 s[18:19], s[18:19], 3
	s_delay_alu instid0(SALU_CYCLE_1)
	s_add_u32 s12, s18, s12
	s_addc_u32 s17, s19, s17
	s_add_u32 s18, s12, 8
	s_addc_u32 s19, s17, 0
.LBB189_19:                             ; =>This Inner Loop Header: Depth=1
	s_load_b64 s[20:21], s[18:19], 0x0
	s_mov_b32 s12, -1
                                        ; implicit-def: $sgpr52_sgpr53
	s_waitcnt lgkmcnt(0)
	s_or_b64 s[22:23], s[4:5], s[20:21]
	s_delay_alu instid0(SALU_CYCLE_1) | instskip(NEXT) | instid1(SALU_CYCLE_1)
	s_mov_b32 s17, s23
	s_cmp_lg_u64 s[16:17], 0
	s_cbranch_scc0 .LBB189_21
; %bb.20:                               ;   in Loop: Header=BB189_19 Depth=1
	v_cvt_f32_u32_e32 v1, s20
	v_cvt_f32_u32_e32 v2, s21
	s_sub_u32 s22, 0, s20
	s_subb_u32 s23, 0, s21
	s_waitcnt_depctr 0xfff
	v_fmac_f32_e32 v1, 0x4f800000, v2
	s_delay_alu instid0(VALU_DEP_1) | instskip(SKIP_2) | instid1(VALU_DEP_1)
	v_rcp_f32_e32 v1, v1
	s_waitcnt_depctr 0xfff
	v_mul_f32_e32 v1, 0x5f7ffffc, v1
	v_mul_f32_e32 v2, 0x2f800000, v1
	s_delay_alu instid0(VALU_DEP_1) | instskip(NEXT) | instid1(VALU_DEP_1)
	v_trunc_f32_e32 v2, v2
	v_fmac_f32_e32 v1, 0xcf800000, v2
	v_cvt_u32_f32_e32 v2, v2
	s_delay_alu instid0(VALU_DEP_2) | instskip(NEXT) | instid1(VALU_DEP_2)
	v_cvt_u32_f32_e32 v1, v1
	v_readfirstlane_b32 s12, v2
	s_delay_alu instid0(VALU_DEP_2) | instskip(NEXT) | instid1(VALU_DEP_2)
	v_readfirstlane_b32 s17, v1
	s_mul_i32 s24, s22, s12
	s_delay_alu instid0(VALU_DEP_1)
	s_mul_hi_u32 s26, s22, s17
	s_mul_i32 s25, s23, s17
	s_add_i32 s24, s26, s24
	s_mul_i32 s27, s22, s17
	s_add_i32 s24, s24, s25
	s_mul_hi_u32 s26, s17, s27
	s_mul_hi_u32 s33, s12, s27
	s_mul_i32 s25, s12, s27
	s_mul_hi_u32 s27, s17, s24
	s_mul_i32 s17, s17, s24
	s_mul_hi_u32 s34, s12, s24
	s_add_u32 s17, s26, s17
	s_addc_u32 s26, 0, s27
	s_add_u32 s17, s17, s25
	s_mul_i32 s24, s12, s24
	s_addc_u32 s17, s26, s33
	s_addc_u32 s25, s34, 0
	s_add_u32 s17, s17, s24
	s_addc_u32 s24, 0, s25
	v_add_co_u32 v1, s17, v1, s17
	s_delay_alu instid0(VALU_DEP_1) | instskip(SKIP_1) | instid1(VALU_DEP_1)
	s_cmp_lg_u32 s17, 0
	s_addc_u32 s12, s12, s24
	v_readfirstlane_b32 s17, v1
	s_mul_i32 s24, s22, s12
	s_delay_alu instid0(VALU_DEP_1)
	s_mul_hi_u32 s25, s22, s17
	s_mul_i32 s23, s23, s17
	s_add_i32 s24, s25, s24
	s_mul_i32 s22, s22, s17
	s_add_i32 s24, s24, s23
	s_mul_hi_u32 s25, s12, s22
	s_mul_i32 s26, s12, s22
	s_mul_hi_u32 s22, s17, s22
	s_mul_hi_u32 s27, s17, s24
	s_mul_i32 s17, s17, s24
	s_mul_hi_u32 s23, s12, s24
	s_add_u32 s17, s22, s17
	s_addc_u32 s22, 0, s27
	s_add_u32 s17, s17, s26
	s_mul_i32 s24, s12, s24
	s_addc_u32 s17, s22, s25
	s_addc_u32 s22, s23, 0
	s_add_u32 s17, s17, s24
	s_addc_u32 s22, 0, s22
	v_add_co_u32 v1, s17, v1, s17
	s_delay_alu instid0(VALU_DEP_1) | instskip(SKIP_1) | instid1(VALU_DEP_1)
	s_cmp_lg_u32 s17, 0
	s_addc_u32 s12, s12, s22
	v_readfirstlane_b32 s17, v1
	s_mul_i32 s23, s4, s12
	s_mul_hi_u32 s22, s4, s12
	s_mul_hi_u32 s24, s5, s12
	s_mul_i32 s12, s5, s12
	s_mul_hi_u32 s25, s4, s17
	s_mul_hi_u32 s26, s5, s17
	s_mul_i32 s17, s5, s17
	s_add_u32 s23, s25, s23
	s_addc_u32 s22, 0, s22
	s_add_u32 s17, s23, s17
	s_addc_u32 s17, s22, s26
	s_addc_u32 s22, s24, 0
	s_add_u32 s17, s17, s12
	s_addc_u32 s22, 0, s22
	s_mul_hi_u32 s12, s20, s17
	s_mul_i32 s24, s20, s22
	s_mul_i32 s25, s20, s17
	s_add_i32 s12, s12, s24
	v_sub_co_u32 v1, s24, s4, s25
	s_mul_i32 s23, s21, s17
	s_delay_alu instid0(SALU_CYCLE_1) | instskip(NEXT) | instid1(VALU_DEP_1)
	s_add_i32 s12, s12, s23
	v_sub_co_u32 v2, s25, v1, s20
	s_sub_i32 s23, s5, s12
	s_cmp_lg_u32 s24, 0
	s_subb_u32 s23, s23, s21
	s_cmp_lg_u32 s25, 0
	v_readfirstlane_b32 s25, v2
	s_subb_u32 s23, s23, 0
	s_delay_alu instid0(SALU_CYCLE_1) | instskip(SKIP_1) | instid1(VALU_DEP_1)
	s_cmp_ge_u32 s23, s21
	s_cselect_b32 s26, -1, 0
	s_cmp_ge_u32 s25, s20
	s_cselect_b32 s25, -1, 0
	s_cmp_eq_u32 s23, s21
	s_cselect_b32 s23, s25, s26
	s_add_u32 s25, s17, 1
	s_addc_u32 s26, s22, 0
	s_add_u32 s27, s17, 2
	s_addc_u32 s33, s22, 0
	s_cmp_lg_u32 s23, 0
	s_cselect_b32 s23, s27, s25
	s_cselect_b32 s25, s33, s26
	s_cmp_lg_u32 s24, 0
	v_readfirstlane_b32 s24, v1
	s_subb_u32 s12, s5, s12
	s_delay_alu instid0(SALU_CYCLE_1) | instskip(SKIP_1) | instid1(VALU_DEP_1)
	s_cmp_ge_u32 s12, s21
	s_cselect_b32 s26, -1, 0
	s_cmp_ge_u32 s24, s20
	s_cselect_b32 s24, -1, 0
	s_cmp_eq_u32 s12, s21
	s_cselect_b32 s12, s24, s26
	s_delay_alu instid0(SALU_CYCLE_1)
	s_cmp_lg_u32 s12, 0
	s_mov_b32 s12, 0
	s_cselect_b32 s53, s25, s22
	s_cselect_b32 s52, s23, s17
.LBB189_21:                             ;   in Loop: Header=BB189_19 Depth=1
	s_and_not1_b32 vcc_lo, exec_lo, s12
	s_cbranch_vccnz .LBB189_23
; %bb.22:                               ;   in Loop: Header=BB189_19 Depth=1
	v_cvt_f32_u32_e32 v1, s20
	s_sub_i32 s17, 0, s20
	s_mov_b32 s53, s16
	s_waitcnt_depctr 0xfff
	v_rcp_iflag_f32_e32 v1, v1
	s_waitcnt_depctr 0xfff
	v_mul_f32_e32 v1, 0x4f7ffffe, v1
	s_delay_alu instid0(VALU_DEP_1) | instskip(NEXT) | instid1(VALU_DEP_1)
	v_cvt_u32_f32_e32 v1, v1
	v_readfirstlane_b32 s12, v1
	s_delay_alu instid0(VALU_DEP_1) | instskip(NEXT) | instid1(SALU_CYCLE_1)
	s_mul_i32 s17, s17, s12
	s_mul_hi_u32 s17, s12, s17
	s_delay_alu instid0(SALU_CYCLE_1) | instskip(NEXT) | instid1(SALU_CYCLE_1)
	s_add_i32 s12, s12, s17
	s_mul_hi_u32 s12, s4, s12
	s_delay_alu instid0(SALU_CYCLE_1) | instskip(SKIP_2) | instid1(SALU_CYCLE_1)
	s_mul_i32 s17, s12, s20
	s_add_i32 s22, s12, 1
	s_sub_i32 s17, s4, s17
	s_sub_i32 s23, s17, s20
	s_cmp_ge_u32 s17, s20
	s_cselect_b32 s12, s22, s12
	s_cselect_b32 s17, s23, s17
	s_add_i32 s22, s12, 1
	s_cmp_ge_u32 s17, s20
	s_cselect_b32 s52, s22, s12
.LBB189_23:                             ;   in Loop: Header=BB189_19 Depth=1
	s_load_b64 s[22:23], s[18:19], 0xc8
	s_mul_i32 s12, s52, s21
	s_mul_hi_u32 s17, s52, s20
	s_mul_i32 s21, s53, s20
	s_add_i32 s12, s17, s12
	s_mul_i32 s17, s52, s20
	s_add_i32 s12, s12, s21
	s_sub_u32 s4, s4, s17
	s_subb_u32 s5, s5, s12
	s_waitcnt lgkmcnt(0)
	s_mul_i32 s5, s22, s5
	s_mul_hi_u32 s12, s22, s4
	s_mul_i32 s17, s23, s4
	s_add_i32 s5, s12, s5
	s_mul_i32 s4, s22, s4
	s_add_i32 s5, s5, s17
	s_add_u32 s44, s4, s44
	s_addc_u32 s45, s5, s45
	s_add_i32 s11, s11, -1
	s_add_u32 s18, s18, -8
	s_addc_u32 s19, s19, -1
	s_cmp_gt_u32 s11, 2
	s_cbranch_scc0 .LBB189_26
; %bb.24:                               ;   in Loop: Header=BB189_19 Depth=1
	s_mov_b64 s[4:5], s[52:53]
	s_branch .LBB189_19
.LBB189_25:
	s_mov_b64 s[52:53], s[4:5]
.LBB189_26:
	s_clause 0x2
	s_load_b128 s[36:39], s[0:1], 0x1a0
	s_load_b64 s[64:65], s[0:1], 0x0
	s_load_b64 s[4:5], s[0:1], 0x1c8
	s_mov_b32 s61, 0
	s_waitcnt lgkmcnt(0)
	v_writelane_b32 v57, s4, 2
	v_writelane_b32 v57, s5, 3
	s_load_b64 s[4:5], s[0:1], 0x370
	s_waitcnt lgkmcnt(0)
	v_writelane_b32 v57, s4, 4
	v_writelane_b32 v57, s5, 5
	v_cmp_eq_u32_e64 s5, 0, v0
	s_delay_alu instid0(VALU_DEP_1)
	s_and_saveexec_b32 s4, s5
	s_cbranch_execz .LBB189_28
; %bb.27:
	v_dual_mov_b32 v1, 0 :: v_dual_mov_b32 v4, s37
	s_delay_alu instid0(VALU_DEP_1)
	v_dual_mov_b32 v3, s36 :: v_dual_mov_b32 v2, v1
	ds_store_b32 v1, v1 offset:5144
	ds_store_b128 v1, v[1:4] offset:5120
.LBB189_28:
	s_or_b32 exec_lo, exec_lo, s4
	s_mul_i32 s7, s14, s7
	s_mul_hi_u32 s11, s14, s6
	s_load_b32 s4, s[0:1], 0x1b0
	s_mul_i32 s12, s15, s6
	s_add_i32 s7, s11, s7
	s_mul_i32 s6, s14, s6
	s_add_i32 s7, s7, s12
	s_waitcnt lgkmcnt(0)
	s_lshl_b64 s[16:17], s[6:7], 3
	s_barrier
	buffer_gl0_inv
	s_load_b32 s7, s[8:9], 0xc
	v_lshlrev_b32_e32 v53, 5, v0
	s_lshl_b64 s[48:49], s[2:3], 3
	s_add_u32 s14, s64, s16
	s_addc_u32 s15, s65, s17
	v_mbcnt_lo_u32_b32 v49, -1, 0
	v_or_b32_e32 v13, 8, v53
	s_add_u32 s80, s14, s48
	s_addc_u32 s81, s15, s49
	v_cmp_gt_u32_e32 vcc_lo, 32, v0
	v_mad_u64_u32 v[2:3], null, v0, s30, 0
	v_mad_u64_u32 v[26:27], null, s30, v13, s[14:15]
	s_bitcmp1_b32 s4, 0
	v_cmp_gt_i32_e64 s4, 4, v49
	s_cselect_b32 s88, -1, 0
	v_lshrrev_b32_e32 v6, 3, v0
	s_xor_b32 s82, s88, -1
	s_delay_alu instid0(VALU_DEP_3) | instskip(SKIP_1) | instid1(VALU_DEP_3)
	v_dual_mov_b32 v19, 0 :: v_dual_mov_b32 v8, v27
	v_or_b32_e32 v11, 24, v53
	v_and_b32_e32 v50, 0x7c, v6
	v_or_b32_e32 v12, 16, v53
	s_waitcnt lgkmcnt(0)
	s_and_b32 s33, s7, 0xffff
	s_and_b32 s83, vcc_lo, s4
	s_bfe_u32 s11, s7, 0xb0005
	s_add_u32 s85, s33, -1
	s_addc_u32 s86, 0, -1
	v_mad_u64_u32 v[22:23], null, s30, v11, s[14:15]
	v_mad_u64_u32 v[24:25], null, s30, v12, s[14:15]
	s_add_u32 s87, s85, s36
	s_addc_u32 s27, s86, s37
	v_lshlrev_b64 v[6:7], v49, -1
	s_cmp_lt_u32 s13, s10
	v_dual_mov_b32 v1, v3 :: v_dual_lshlrev_b32 v20, 2, v0
	s_cselect_b32 s10, 12, 18
	v_lshlrev_b32_e32 v51, 3, v0
	s_add_u32 s62, s8, s10
	s_addc_u32 s63, s9, 0
	s_add_i32 s8, s11, -1
	v_not_b32_e32 v48, v6
	v_dual_mov_b32 v6, v23 :: v_dual_mov_b32 v7, v25
	v_mov_b32_e32 v36, s38
	v_mad_u64_u32 v[3:4], null, v0, s31, v[1:2]
	s_bfe_u32 s3, s33, 0x30005
	s_cmp_gt_u32 s8, 6
	v_mad_u64_u32 v[9:10], null, s31, v11, v[6:7]
	s_cselect_b32 s89, -1, 0
	s_and_b32 s90, s11, 0x7f8
	s_cmp_lg_u32 s3, 0
	v_writelane_b32 v57, s3, 6
	v_cmp_gt_u16_e64 s91, s7, 31
	s_cselect_b32 s92, -1, 0
	s_add_u32 s7, s16, s48
	s_addc_u32 s8, s17, s49
	v_lshlrev_b64 v[4:5], 3, v[2:3]
	s_add_u32 s10, s64, s7
	s_addc_u32 s11, s65, s8
	v_writelane_b32 v57, s10, 7
	v_lshlrev_b64 v[2:3], 5, v[2:3]
	v_mad_u64_u32 v[10:11], null, s31, v12, v[7:8]
	v_mad_u64_u32 v[6:7], null, s31, v13, v[8:9]
	v_add_co_u32 v16, vcc_lo, s80, v4
	v_writelane_b32 v57, s11, 8
	s_lshl_b64 s[66:67], s[30:31], 3
	s_lshl_b64 s[68:69], s[30:31], 5
	s_lshl_b32 s93, s33, 3
	v_dual_mov_b32 v1, v19 :: v_dual_add_nc_u32 v52, 0xc00, v51
	v_add_co_ci_u32_e32 v17, vcc_lo, s81, v5, vcc_lo
	v_dual_mov_b32 v21, v19 :: v_dual_mov_b32 v34, 0
	s_add_u32 s7, s64, s48
	v_add_co_u32 v28, vcc_lo, s14, v2
	s_addc_u32 s8, s65, s49
	v_mov_b32_e32 v35, 0
	s_add_u32 s7, s7, s16
	v_add_co_ci_u32_e32 v29, vcc_lo, s15, v3, vcc_lo
	v_mov_b32_e32 v23, v9
	v_dual_mov_b32 v27, v6 :: v_dual_mov_b32 v6, 0
	v_writelane_b32 v57, s16, 9
	s_addc_u32 s11, s8, s17
	v_add_co_u32 v30, vcc_lo, s7, v4
	v_cmp_lt_u64_e64 s84, 0x180, s[36:37]
	v_cmp_gt_u64_e64 s4, s[36:37], v[0:1]
	s_mul_i32 s9, s31, s33
	s_mul_hi_u32 s10, s30, s33
	v_dual_mov_b32 v7, 0 :: v_dual_mov_b32 v32, v34
	v_cmp_eq_u32_e64 s2, 0, v49
	v_cmp_gt_u32_e64 s6, 2, v0
	v_mov_b32_e32 v25, v10
	v_lshl_or_b32 v54, v49, 3, 0xc00
	v_add_co_ci_u32_e32 v31, vcc_lo, s11, v5, vcc_lo
	v_mov_b32_e32 v37, s39
	v_mov_b32_e32 v3, 0x3ff00000
	;; [unrolled: 1-line block ×3, first 2 shown]
	s_add_i32 s9, s10, s9
	s_mul_i32 s8, s30, s33
	s_mov_b32 s100, 62
	s_lshl_b64 s[34:35], s[8:9], 3
	s_mov_b32 s94, 0
	s_mov_b32 s96, 0
	v_writelane_b32 v57, s17, 10
                                        ; implicit-def: $sgpr95
                                        ; implicit-def: $sgpr99
                                        ; implicit-def: $sgpr98
                                        ; implicit-def: $sgpr101
                                        ; implicit-def: $sgpr97
                                        ; implicit-def: $sgpr102
                                        ; implicit-def: $sgpr104
                                        ; implicit-def: $sgpr103
                                        ; implicit-def: $vcc_hi
                                        ; implicit-def: $sgpr54
	s_branch .LBB189_31
.LBB189_29:                             ;   in Loop: Header=BB189_31 Depth=1
	s_or_b32 exec_lo, exec_lo, s10
	v_dual_mov_b32 v33, v15 :: v_dual_mov_b32 v32, v14
	v_dual_mov_b32 v35, v13 :: v_dual_mov_b32 v34, v12
	;; [unrolled: 1-line block ×4, first 2 shown]
	s_and_not1_b32 s3, s54, exec_lo
	s_and_b32 s9, s9, exec_lo
	s_and_not1_b32 vcc_hi, vcc_hi, exec_lo
	s_or_b32 s54, s3, s9
	s_and_not1_b32 s103, s103, exec_lo
	s_and_not1_b32 s104, s104, exec_lo
	;; [unrolled: 1-line block ×3, first 2 shown]
	s_or_not1_b32 s8, s8, exec_lo
.LBB189_30:                             ;   in Loop: Header=BB189_31 Depth=1
	s_or_b32 exec_lo, exec_lo, s7
	s_delay_alu instid0(SALU_CYCLE_1) | instskip(NEXT) | instid1(SALU_CYCLE_1)
	s_and_b32 s7, exec_lo, s8
	s_or_b32 s94, s7, s94
	s_and_not1_b32 s7, s97, exec_lo
	s_and_b32 s8, s54, exec_lo
	s_and_not1_b32 s9, s101, exec_lo
	s_or_b32 s97, s7, s8
	s_and_b32 s7, vcc_hi, exec_lo
	s_and_not1_b32 s8, s98, exec_lo
	s_and_b32 s10, s103, exec_lo
	s_or_b32 s101, s9, s7
	s_or_b32 s98, s8, s10
	s_and_not1_b32 s7, s99, exec_lo
	s_and_b32 s8, s104, exec_lo
	s_and_not1_b32 s9, s95, exec_lo
	s_and_b32 s10, s102, exec_lo
	s_or_b32 s99, s7, s8
	s_or_b32 s95, s9, s10
	s_and_not1_b32 exec_lo, exec_lo, s94
	s_cbranch_execz .LBB189_503
.LBB189_31:                             ; =>This Loop Header: Depth=1
                                        ;     Child Loop BB189_39 Depth 2
                                        ;     Child Loop BB189_57 Depth 2
	;; [unrolled: 1-line block ×24, first 2 shown]
	ds_load_b128 v[8:11], v19 offset:5120
	s_waitcnt lgkmcnt(0)
	v_readfirstlane_b32 s71, v9
	v_readfirstlane_b32 s70, v8
	s_delay_alu instid0(VALU_DEP_1)
	s_cmp_lg_u64 s[70:71], 0
	s_cbranch_scc1 .LBB189_64
; %bb.32:                               ;   in Loop: Header=BB189_31 Depth=1
	s_and_b32 vcc_lo, exec_lo, s84
	s_cbranch_vccz .LBB189_47
; %bb.33:                               ;   in Loop: Header=BB189_31 Depth=1
	v_cmp_gt_u64_e32 vcc_lo, 0x181, v[10:11]
	s_mov_b32 s9, 0
	s_mov_b32 s7, 0
	s_cbranch_vccz .LBB189_48
; %bb.34:                               ;   in Loop: Header=BB189_31 Depth=1
	v_mov_b32_e32 v4, 0
	v_mov_b32_e32 v5, 0
	s_and_saveexec_b32 s7, s4
	s_cbranch_execz .LBB189_36
; %bb.35:                               ;   in Loop: Header=BB189_31 Depth=1
	global_load_b64 v[4:5], v[16:17], off
.LBB189_36:                             ;   in Loop: Header=BB189_31 Depth=1
	s_or_b32 exec_lo, exec_lo, s7
	s_and_saveexec_b32 s10, s4
	s_cbranch_execz .LBB189_49
; %bb.37:                               ;   in Loop: Header=BB189_31 Depth=1
	global_load_u16 v11, v19, s[62:63]
	v_readlane_b32 s12, v57, 7
	v_readlane_b32 s13, v57, 8
	s_waitcnt vmcnt(0)
	v_readfirstlane_b32 s7, v11
	s_delay_alu instid0(VALU_DEP_1) | instskip(NEXT) | instid1(SALU_CYCLE_1)
	s_and_b32 s7, 0xffff, s7
	v_add_nc_u32_e32 v12, s7, v0
	s_mul_i32 s8, s67, s7
	s_mul_hi_u32 s11, s66, s7
	s_delay_alu instid0(SALU_CYCLE_1) | instskip(NEXT) | instid1(VALU_DEP_1)
	s_add_i32 s11, s11, s8
	v_mad_u64_u32 v[8:9], null, s66, v12, s[12:13]
	s_mul_i32 s12, s66, s7
	s_mov_b32 s13, 0
	s_delay_alu instid0(VALU_DEP_1) | instskip(NEXT) | instid1(VALU_DEP_1)
	v_mov_b32_e32 v2, v9
	v_mad_u64_u32 v[9:10], null, s67, v12, v[2:3]
	v_dual_mov_b32 v11, v1 :: v_dual_and_b32 v2, 0xffff, v11
	v_mov_b32_e32 v10, v0
	s_branch .LBB189_39
.LBB189_38:                             ;   in Loop: Header=BB189_39 Depth=2
	s_or_b32 exec_lo, exec_lo, s8
	v_add_co_u32 v8, vcc_lo, v8, s12
	v_add_co_ci_u32_e32 v9, vcc_lo, s11, v9, vcc_lo
	s_waitcnt vmcnt(0)
	v_dual_mov_b32 v4, v12 :: v_dual_mov_b32 v5, v13
	s_and_not1_b32 exec_lo, exec_lo, s13
	s_cbranch_execz .LBB189_49
.LBB189_39:                             ;   Parent Loop BB189_31 Depth=1
                                        ; =>  This Inner Loop Header: Depth=2
	s_delay_alu instid0(VALU_DEP_1) | instskip(NEXT) | instid1(VALU_DEP_3)
	v_add_co_u32 v10, vcc_lo, v10, v2
	v_add_co_ci_u32_e32 v11, vcc_lo, 0, v11, vcc_lo
	v_mov_b32_e32 v12, 0
	v_mov_b32_e32 v13, 0
	s_mov_b32 s8, exec_lo
	s_delay_alu instid0(VALU_DEP_3)
	v_cmp_le_u64_e32 vcc_lo, s[36:37], v[10:11]
	v_cmpx_gt_u64_e64 s[36:37], v[10:11]
	s_cbranch_execz .LBB189_41
; %bb.40:                               ;   in Loop: Header=BB189_39 Depth=2
	global_load_b64 v[12:13], v[8:9], off
.LBB189_41:                             ;   in Loop: Header=BB189_39 Depth=2
	s_or_b32 exec_lo, exec_lo, s8
	v_cmp_o_f64_e64 s7, v[4:5], v[4:5]
	s_waitcnt lgkmcnt(0)
	v_ashrrev_i32_e32 v14, 31, v5
	s_delay_alu instid0(VALU_DEP_1) | instskip(SKIP_1) | instid1(VALU_DEP_2)
	v_or_b32_e32 v15, 0x80000000, v14
	v_xor_b32_e32 v14, v14, v4
	v_xor_b32_e32 v15, v15, v5
	s_delay_alu instid0(VALU_DEP_1) | instskip(NEXT) | instid1(VALU_DEP_3)
	v_cndmask_b32_e64 v15, -1, v15, s7
	v_cndmask_b32_e64 v14, -1, v14, s7
	s_delay_alu instid0(VALU_DEP_2) | instskip(NEXT) | instid1(VALU_DEP_2)
	v_and_b32_e32 v15, v15, v33
	v_and_b32_e32 v14, v14, v32
	s_delay_alu instid0(VALU_DEP_1) | instskip(SKIP_1) | instid1(VALU_DEP_2)
	v_cmp_eq_u64_e64 s7, v[14:15], v[34:35]
	v_mov_b32_e32 v14, 0
	s_cmp_lg_u32 s7, 0
	s_cselect_b32 s8, -1, 0
	s_delay_alu instid0(SALU_CYCLE_1) | instskip(NEXT) | instid1(SALU_CYCLE_1)
	s_and_b32 s8, s2, s8
	s_and_saveexec_b32 s14, s8
	s_cbranch_execz .LBB189_45
; %bb.42:                               ;   in Loop: Header=BB189_39 Depth=2
	s_mov_b32 s17, exec_lo
	s_bcnt1_i32_b32 s15, s7
	v_mbcnt_lo_u32_b32 v14, s17, 0
	s_mov_b32 s16, exec_lo
                                        ; implicit-def: $vgpr15
	s_delay_alu instid0(VALU_DEP_1)
	v_cmpx_eq_u32_e32 0, v14
	s_cbranch_execz .LBB189_44
; %bb.43:                               ;   in Loop: Header=BB189_39 Depth=2
	s_bcnt1_i32_b32 s8, s17
	s_delay_alu instid0(SALU_CYCLE_1) | instskip(NEXT) | instid1(SALU_CYCLE_1)
	s_mul_i32 s8, s15, s8
	v_mov_b32_e32 v15, s8
	ds_add_rtn_u32 v15, v19, v15 offset:5144
.LBB189_44:                             ;   in Loop: Header=BB189_39 Depth=2
	s_or_b32 exec_lo, exec_lo, s16
	s_waitcnt lgkmcnt(0)
	v_readfirstlane_b32 s8, v15
	s_delay_alu instid0(VALU_DEP_1)
	v_mad_u32_u24 v14, s15, v14, s8
.LBB189_45:                             ;   in Loop: Header=BB189_39 Depth=2
	s_or_b32 exec_lo, exec_lo, s14
	ds_bpermute_b32 v14, v19, v14
	s_and_b32 s8, exec_lo, vcc_lo
	s_delay_alu instid0(SALU_CYCLE_1)
	s_or_b32 s13, s8, s13
	s_and_saveexec_b32 s8, s7
	s_cbranch_execz .LBB189_38
; %bb.46:                               ;   in Loop: Header=BB189_39 Depth=2
	v_and_b32_e32 v15, s7, v48
	s_delay_alu instid0(VALU_DEP_1) | instskip(NEXT) | instid1(VALU_DEP_1)
	v_bcnt_u32_b32 v15, v15, 0
	v_lshlrev_b32_e32 v15, 3, v15
	s_waitcnt lgkmcnt(0)
	s_delay_alu instid0(VALU_DEP_1)
	v_lshl_add_u32 v14, v14, 3, v15
	ds_store_b64 v14, v[4:5]
	s_branch .LBB189_38
.LBB189_47:                             ;   in Loop: Header=BB189_31 Depth=1
	s_mov_b32 s7, 0
                                        ; implicit-def: $sgpr70_sgpr71
	s_cbranch_execnz .LBB189_52
	s_branch .LBB189_62
.LBB189_48:                             ;   in Loop: Header=BB189_31 Depth=1
	s_mov_b64 s[70:71], 0
	s_and_b32 vcc_lo, exec_lo, s9
	s_cbranch_vccnz .LBB189_52
	s_branch .LBB189_62
.LBB189_49:                             ;   in Loop: Header=BB189_31 Depth=1
	s_or_b32 exec_lo, exec_lo, s10
	s_waitcnt vmcnt(0) lgkmcnt(0)
	s_barrier
	buffer_gl0_inv
	s_and_saveexec_b32 s7, s5
	s_cbranch_execz .LBB189_51
; %bb.50:                               ;   in Loop: Header=BB189_31 Depth=1
	ds_load_b32 v4, v19 offset:5144
	s_waitcnt lgkmcnt(0)
	v_ashrrev_i32_e32 v5, 31, v4
	ds_store_b64 v19, v[4:5] offset:5120
.LBB189_51:                             ;   in Loop: Header=BB189_31 Depth=1
	s_or_b32 exec_lo, exec_lo, s7
	s_waitcnt lgkmcnt(0)
	s_mov_b32 s7, -1
	s_barrier
	s_mov_b64 s[70:71], 0
	s_and_b32 vcc_lo, exec_lo, s9
	s_cbranch_vccz .LBB189_62
.LBB189_52:                             ;   in Loop: Header=BB189_31 Depth=1
	v_mov_b32_e32 v4, 0
	v_mov_b32_e32 v5, 0
	s_and_saveexec_b32 s7, s4
	s_cbranch_execz .LBB189_54
; %bb.53:                               ;   in Loop: Header=BB189_31 Depth=1
	global_load_b64 v[4:5], v[16:17], off
.LBB189_54:                             ;   in Loop: Header=BB189_31 Depth=1
	s_or_b32 exec_lo, exec_lo, s7
	s_and_saveexec_b32 s8, s4
	s_cbranch_execz .LBB189_59
; %bb.55:                               ;   in Loop: Header=BB189_31 Depth=1
	global_load_u16 v11, v19, s[62:63]
	v_readlane_b32 s10, v57, 7
	v_readlane_b32 s11, v57, 8
	s_mov_b32 s12, 0
	s_waitcnt vmcnt(0)
	v_readfirstlane_b32 s7, v11
	v_and_b32_e32 v14, 0xffff, v11
	s_delay_alu instid0(VALU_DEP_2) | instskip(NEXT) | instid1(SALU_CYCLE_1)
	s_and_b32 s7, 0xffff, s7
	v_add_nc_u32_e32 v12, s7, v0
	s_lshl_b32 s9, s7, 3
	s_delay_alu instid0(VALU_DEP_1) | instskip(SKIP_2) | instid1(SALU_CYCLE_1)
	v_mad_u64_u32 v[8:9], null, s66, v12, s[10:11]
	s_mul_i32 s10, s67, s7
	s_mul_hi_u32 s11, s66, s7
	s_add_i32 s10, s11, s10
	s_mul_i32 s11, s66, s7
	s_delay_alu instid0(VALU_DEP_1) | instskip(NEXT) | instid1(VALU_DEP_1)
	v_mov_b32_e32 v2, v9
	v_mad_u64_u32 v[9:10], null, s67, v12, v[2:3]
	v_dual_mov_b32 v11, v1 :: v_dual_mov_b32 v2, v51
	v_mov_b32_e32 v10, v0
	s_set_inst_prefetch_distance 0x1
	s_branch .LBB189_57
	.p2align	6
.LBB189_56:                             ;   in Loop: Header=BB189_57 Depth=2
	s_or_b32 exec_lo, exec_lo, s13
	s_delay_alu instid0(SALU_CYCLE_1)
	s_and_b32 s7, exec_lo, vcc_lo
	v_add_co_u32 v8, vcc_lo, v8, s11
	ds_store_b64 v2, v[4:5]
	s_waitcnt vmcnt(0)
	v_mov_b32_e32 v4, v12
	v_dual_mov_b32 v5, v13 :: v_dual_add_nc_u32 v2, s9, v2
	v_add_co_ci_u32_e32 v9, vcc_lo, s10, v9, vcc_lo
	s_or_b32 s12, s7, s12
	s_delay_alu instid0(SALU_CYCLE_1)
	s_and_not1_b32 exec_lo, exec_lo, s12
	s_cbranch_execz .LBB189_59
.LBB189_57:                             ;   Parent Loop BB189_31 Depth=1
                                        ; =>  This Inner Loop Header: Depth=2
	s_delay_alu instid0(VALU_DEP_1) | instskip(SKIP_4) | instid1(VALU_DEP_3)
	v_add_co_u32 v10, vcc_lo, v10, v14
	v_add_co_ci_u32_e32 v11, vcc_lo, 0, v11, vcc_lo
	v_mov_b32_e32 v12, 0
	v_mov_b32_e32 v13, 0
	s_mov_b32 s13, exec_lo
	v_cmp_le_u64_e32 vcc_lo, s[36:37], v[10:11]
	v_cmpx_gt_u64_e64 s[36:37], v[10:11]
	s_cbranch_execz .LBB189_56
; %bb.58:                               ;   in Loop: Header=BB189_57 Depth=2
	global_load_b64 v[12:13], v[8:9], off
	s_branch .LBB189_56
.LBB189_59:                             ;   in Loop: Header=BB189_31 Depth=1
	s_set_inst_prefetch_distance 0x2
	s_or_b32 exec_lo, exec_lo, s8
	s_waitcnt vmcnt(0) lgkmcnt(0)
	s_barrier
	buffer_gl0_inv
	s_and_saveexec_b32 s7, s5
	s_cbranch_execz .LBB189_61
; %bb.60:                               ;   in Loop: Header=BB189_31 Depth=1
	v_dual_mov_b32 v4, s36 :: v_dual_mov_b32 v5, s37
	ds_store_b64 v19, v[4:5] offset:5120
.LBB189_61:                             ;   in Loop: Header=BB189_31 Depth=1
	s_or_b32 exec_lo, exec_lo, s7
	s_mov_b32 s7, -1
	s_waitcnt lgkmcnt(0)
	s_barrier
                                        ; implicit-def: $sgpr70_sgpr71
.LBB189_62:                             ;   in Loop: Header=BB189_31 Depth=1
	s_and_b32 vcc_lo, exec_lo, s7
	s_cbranch_vccz .LBB189_64
; %bb.63:                               ;   in Loop: Header=BB189_31 Depth=1
	buffer_gl0_inv
	ds_load_b64 v[4:5], v19 offset:5120
	s_waitcnt lgkmcnt(0)
	v_readfirstlane_b32 s70, v4
.LBB189_64:                             ;   in Loop: Header=BB189_31 Depth=1
	s_delay_alu instid0(VALU_DEP_1)
	s_cmp_lt_i32 s70, 1
	s_cbranch_scc0 .LBB189_79
; %bb.65:                               ;   in Loop: Header=BB189_31 Depth=1
	global_load_u16 v2, v19, s[62:63]
	s_mov_b32 s8, s61
	s_mov_b32 s9, s37
	s_waitcnt vmcnt(0)
	v_readfirstlane_b32 s7, v2
	s_delay_alu instid0(VALU_DEP_1) | instskip(NEXT) | instid1(SALU_CYCLE_1)
	s_and_b32 s26, s7, 0xffff
	s_lshl_b32 s46, s26, 2
	s_cmp_lg_u64 s[8:9], 0
	s_cbranch_scc0 .LBB189_99
; %bb.66:                               ;   in Loop: Header=BB189_31 Depth=1
	v_cvt_f32_u32_e32 v2, s46
	s_sub_u32 s9, 0, s46
	s_subb_u32 s10, 0, 0
	s_delay_alu instid0(VALU_DEP_1) | instskip(NEXT) | instid1(VALU_DEP_1)
	v_fmac_f32_e64 v2, 0, 0x4f800000
	v_rcp_f32_e32 v2, v2
	s_waitcnt_depctr 0xfff
	v_mul_f32_e32 v2, 0x5f7ffffc, v2
	s_delay_alu instid0(VALU_DEP_1) | instskip(NEXT) | instid1(VALU_DEP_1)
	v_mul_f32_e32 v4, 0x2f800000, v2
	v_trunc_f32_e32 v4, v4
	s_delay_alu instid0(VALU_DEP_1) | instskip(SKIP_1) | instid1(VALU_DEP_2)
	v_fmac_f32_e32 v2, 0xcf800000, v4
	v_cvt_u32_f32_e32 v4, v4
	v_cvt_u32_f32_e32 v2, v2
	s_delay_alu instid0(VALU_DEP_2) | instskip(NEXT) | instid1(VALU_DEP_2)
	v_readfirstlane_b32 s7, v4
	v_readfirstlane_b32 s8, v2
	s_delay_alu instid0(VALU_DEP_2) | instskip(NEXT) | instid1(VALU_DEP_1)
	s_mul_i32 s11, s9, s7
	s_mul_hi_u32 s13, s9, s8
	s_mul_i32 s12, s10, s8
	s_add_i32 s11, s13, s11
	s_mul_i32 s14, s9, s8
	s_add_i32 s11, s11, s12
	s_mul_hi_u32 s13, s8, s14
	s_mul_hi_u32 s15, s7, s14
	s_mul_i32 s12, s7, s14
	s_mul_hi_u32 s14, s8, s11
	s_mul_i32 s8, s8, s11
	s_mul_hi_u32 s16, s7, s11
	s_add_u32 s8, s13, s8
	s_addc_u32 s13, 0, s14
	s_add_u32 s8, s8, s12
	s_mul_i32 s11, s7, s11
	s_addc_u32 s8, s13, s15
	s_addc_u32 s12, s16, 0
	s_add_u32 s8, s8, s11
	s_addc_u32 s11, 0, s12
	v_add_co_u32 v2, s8, v2, s8
	s_delay_alu instid0(VALU_DEP_1) | instskip(SKIP_1) | instid1(VALU_DEP_1)
	s_cmp_lg_u32 s8, 0
	s_addc_u32 s7, s7, s11
	v_readfirstlane_b32 s8, v2
	s_mul_i32 s11, s9, s7
	s_delay_alu instid0(VALU_DEP_1)
	s_mul_hi_u32 s12, s9, s8
	s_mul_i32 s10, s10, s8
	s_add_i32 s11, s12, s11
	s_mul_i32 s9, s9, s8
	s_add_i32 s11, s11, s10
	s_mul_hi_u32 s12, s7, s9
	s_mul_i32 s13, s7, s9
	s_mul_hi_u32 s9, s8, s9
	s_mul_hi_u32 s14, s8, s11
	s_mul_i32 s8, s8, s11
	s_mul_hi_u32 s10, s7, s11
	s_add_u32 s8, s9, s8
	s_addc_u32 s9, 0, s14
	s_add_u32 s8, s8, s13
	s_mul_i32 s11, s7, s11
	s_addc_u32 s8, s9, s12
	s_addc_u32 s9, s10, 0
	s_add_u32 s8, s8, s11
	s_addc_u32 s9, 0, s9
	v_add_co_u32 v2, s8, v2, s8
	s_delay_alu instid0(VALU_DEP_1) | instskip(SKIP_1) | instid1(VALU_DEP_1)
	s_cmp_lg_u32 s8, 0
	s_addc_u32 s7, s7, s9
	v_readfirstlane_b32 s8, v2
	s_mul_i32 s10, s36, s7
	s_mul_hi_u32 s9, s36, s7
	s_mul_hi_u32 s11, s37, s7
	s_mul_i32 s7, s37, s7
	s_mul_hi_u32 s12, s36, s8
	s_mul_hi_u32 s13, s37, s8
	s_mul_i32 s8, s37, s8
	s_add_u32 s10, s12, s10
	s_addc_u32 s9, 0, s9
	s_add_u32 s8, s10, s8
	s_addc_u32 s8, s9, s13
	s_addc_u32 s9, s11, 0
	s_add_u32 s7, s8, s7
	s_addc_u32 s8, 0, s9
	s_mul_hi_u32 s9, s46, s7
	s_mul_i32 s7, s46, s7
	s_mul_i32 s8, s46, s8
	v_sub_co_u32 v2, s7, s36, s7
	s_add_i32 s9, s9, s8
	s_cmp_lg_u32 s7, 0
	s_delay_alu instid0(VALU_DEP_1) | instskip(SKIP_2) | instid1(VALU_DEP_1)
	v_sub_co_u32 v4, s7, v2, s46
	s_subb_u32 s8, s37, s9
	s_cmp_lg_u32 s7, 0
	v_cmp_le_u32_e32 vcc_lo, s46, v4
	v_sub_co_u32 v5, s7, v4, s46
	s_subb_u32 s9, s8, 0
	s_cmp_lg_u32 s7, 0
	v_cndmask_b32_e64 v8, 0, -1, vcc_lo
	s_subb_u32 s7, s9, 0
	s_cmp_eq_u32 s9, 0
	v_mov_b32_e32 v10, s7
	s_cselect_b32 vcc_lo, -1, 0
	s_cmp_eq_u32 s8, 0
	v_cndmask_b32_e32 v8, -1, v8, vcc_lo
	v_cmp_le_u32_e32 vcc_lo, s46, v2
	s_cselect_b32 s7, -1, 0
	v_cndmask_b32_e64 v9, 0, -1, vcc_lo
	s_delay_alu instid0(VALU_DEP_3) | instskip(NEXT) | instid1(VALU_DEP_2)
	v_cmp_ne_u32_e32 vcc_lo, 0, v8
	v_cndmask_b32_e64 v8, -1, v9, s7
	v_cndmask_b32_e32 v9, s9, v10, vcc_lo
	v_cndmask_b32_e32 v4, v4, v5, vcc_lo
	s_delay_alu instid0(VALU_DEP_3) | instskip(NEXT) | instid1(VALU_DEP_3)
	v_cmp_ne_u32_e32 vcc_lo, 0, v8
	v_cndmask_b32_e32 v5, s8, v9, vcc_lo
	s_delay_alu instid0(VALU_DEP_3)
	v_cndmask_b32_e32 v4, v2, v4, vcc_lo
	s_cbranch_execnz .LBB189_68
.LBB189_67:                             ;   in Loop: Header=BB189_31 Depth=1
	v_cvt_f32_u32_e32 v2, s46
	s_sub_i32 s7, 0, s46
	s_delay_alu instid0(VALU_DEP_1) | instskip(SKIP_2) | instid1(VALU_DEP_1)
	v_rcp_iflag_f32_e32 v2, v2
	s_waitcnt_depctr 0xfff
	v_mul_f32_e32 v2, 0x4f7ffffe, v2
	v_cvt_u32_f32_e32 v2, v2
	s_delay_alu instid0(VALU_DEP_1) | instskip(NEXT) | instid1(VALU_DEP_1)
	v_mul_lo_u32 v4, s7, v2
	v_mul_hi_u32 v4, v2, v4
	s_delay_alu instid0(VALU_DEP_1) | instskip(NEXT) | instid1(VALU_DEP_1)
	v_add_nc_u32_e32 v2, v2, v4
	v_mul_hi_u32 v2, s36, v2
	s_delay_alu instid0(VALU_DEP_1) | instskip(NEXT) | instid1(VALU_DEP_1)
	v_mul_lo_u32 v2, v2, s46
	v_sub_nc_u32_e32 v2, s36, v2
	s_delay_alu instid0(VALU_DEP_1) | instskip(SKIP_1) | instid1(VALU_DEP_2)
	v_subrev_nc_u32_e32 v4, s46, v2
	v_cmp_le_u32_e32 vcc_lo, s46, v2
	v_cndmask_b32_e32 v2, v2, v4, vcc_lo
	s_delay_alu instid0(VALU_DEP_1) | instskip(SKIP_1) | instid1(VALU_DEP_2)
	v_subrev_nc_u32_e32 v4, s46, v2
	v_cmp_le_u32_e32 vcc_lo, s46, v2
	v_cndmask_b32_e32 v18, v2, v4, vcc_lo
	s_delay_alu instid0(VALU_DEP_1)
	v_dual_mov_b32 v4, v18 :: v_dual_mov_b32 v5, v19
.LBB189_68:                             ;   in Loop: Header=BB189_31 Depth=1
	v_mov_b32_e32 v8, 0
	v_mov_b32_e32 v9, 0
	s_delay_alu instid0(VALU_DEP_3) | instskip(NEXT) | instid1(VALU_DEP_4)
	v_sub_co_u32 v4, vcc_lo, s36, v4
	v_sub_co_ci_u32_e32 v5, vcc_lo, s37, v5, vcc_lo
	s_delay_alu instid0(VALU_DEP_3)
	v_dual_mov_b32 v11, v9 :: v_dual_mov_b32 v10, v8
	v_dual_mov_b32 v13, v9 :: v_dual_mov_b32 v12, v8
	;; [unrolled: 1-line block ×3, first 2 shown]
	s_mov_b64 s[24:25], 0
	s_mov_b32 s47, exec_lo
	v_cmpx_gt_u64_e64 v[4:5], v[20:21]
	s_cbranch_execz .LBB189_72
; %bb.69:                               ;   in Loop: Header=BB189_31 Depth=1
	v_dual_mov_b32 v39, v29 :: v_dual_mov_b32 v38, v28
	v_dual_mov_b32 v41, v27 :: v_dual_mov_b32 v40, v26
	;; [unrolled: 1-line block ×5, first 2 shown]
	s_mul_i32 s7, s69, s26
	s_mul_hi_u32 s8, s68, s26
	s_and_b32 s55, s100, 0xfe
	s_add_i32 s56, s8, s7
	s_mul_i32 s57, s68, s26
	s_mov_b32 s58, 0
	s_mov_b64 s[72:73], 0
	s_mov_b64 s[74:75], 0
	;; [unrolled: 1-line block ×3, first 2 shown]
.LBB189_70:                             ;   Parent Loop BB189_31 Depth=1
                                        ; =>  This Inner Loop Header: Depth=2
	v_add_co_u32 v8, vcc_lo, v38, s48
	v_add_co_ci_u32_e32 v9, vcc_lo, s49, v39, vcc_lo
	global_load_b64 v[8:9], v[8:9], off
	s_waitcnt vmcnt(0)
	v_ashrrev_i32_e32 v2, 31, v9
	v_cmp_o_f64_e32 vcc_lo, v[8:9], v[8:9]
	s_delay_alu instid0(VALU_DEP_2) | instskip(SKIP_2) | instid1(VALU_DEP_3)
	v_or_b32_e32 v10, 0x80000000, v2
	v_xor_b32_e32 v2, v2, v8
	v_add_co_u32 v8, s7, v40, s48
	v_xor_b32_e32 v10, v10, v9
	v_add_co_ci_u32_e64 v9, s7, s49, v41, s7
	global_load_b64 v[8:9], v[8:9], off
	s_waitcnt vmcnt(0)
	v_ashrrev_i32_e32 v11, 31, v9
	v_cmp_o_f64_e64 s7, v[8:9], v[8:9]
	s_delay_alu instid0(VALU_DEP_2) | instskip(SKIP_2) | instid1(VALU_DEP_3)
	v_or_b32_e32 v12, 0x80000000, v11
	v_xor_b32_e32 v13, v11, v8
	v_add_co_u32 v8, s8, v42, s48
	v_xor_b32_e32 v12, v12, v9
	v_add_co_ci_u32_e64 v9, s8, s49, v43, s8
	global_load_b64 v[8:9], v[8:9], off
	s_waitcnt vmcnt(0)
	v_ashrrev_i32_e32 v11, 31, v9
	v_cmp_o_f64_e64 s8, v[8:9], v[8:9]
	;; [unrolled: 10-line block ×3, first 2 shown]
	s_delay_alu instid0(VALU_DEP_2) | instskip(SKIP_2) | instid1(VALU_DEP_3)
	v_or_b32_e32 v18, 0x80000000, v11
	v_xor_b32_e32 v55, v11, v8
	v_cndmask_b32_e32 v8, -1, v2, vcc_lo
	v_xor_b32_e32 v18, v18, v9
	s_delay_alu instid0(VALU_DEP_2) | instskip(NEXT) | instid1(VALU_DEP_1)
	v_dual_cndmask_b32 v9, -1, v10 :: v_dual_and_b32 v10, v8, v32
	v_and_b32_e32 v11, v9, v33
	v_lshrrev_b64 v[8:9], s55, v[8:9]
	s_delay_alu instid0(VALU_DEP_2) | instskip(SKIP_2) | instid1(VALU_DEP_2)
	v_cmp_eq_u64_e32 vcc_lo, v[10:11], v[34:35]
	v_cndmask_b32_e64 v11, -1, v12, s7
	v_cndmask_b32_e64 v10, -1, v13, s7
	v_and_b32_e32 v13, v11, v33
	s_delay_alu instid0(VALU_DEP_2) | instskip(NEXT) | instid1(VALU_DEP_1)
	v_and_b32_e32 v12, v10, v32
	v_cmp_eq_u64_e64 s7, v[12:13], v[34:35]
	v_cndmask_b32_e64 v13, -1, v14, s8
	v_cndmask_b32_e64 v12, -1, v15, s8
	s_delay_alu instid0(VALU_DEP_2) | instskip(NEXT) | instid1(VALU_DEP_2)
	v_and_b32_e32 v15, v13, v33
	v_and_b32_e32 v14, v12, v32
	s_delay_alu instid0(VALU_DEP_1)
	v_cmp_eq_u64_e64 s8, v[14:15], v[34:35]
	v_cndmask_b32_e64 v15, -1, v18, s9
	v_and_b32_e32 v18, 3, v8
	v_lshrrev_b64 v[8:9], s55, v[10:11]
	v_mov_b32_e32 v9, v19
	v_cndmask_b32_e64 v14, -1, v55, s9
	v_and_b32_e32 v56, v15, v33
	s_delay_alu instid0(VALU_DEP_4) | instskip(NEXT) | instid1(VALU_DEP_3)
	v_and_b32_e32 v8, 3, v8
	v_and_b32_e32 v55, v14, v32
	s_delay_alu instid0(VALU_DEP_2)
	v_cmp_eq_u64_e64 s10, 0, v[8:9]
	v_cmp_eq_u64_e64 s11, 1, v[8:9]
	;; [unrolled: 1-line block ×4, first 2 shown]
	v_lshrrev_b64 v[8:9], s55, v[12:13]
	v_mov_b32_e32 v9, v19
	s_and_b32 s10, s7, s10
	v_cmp_eq_u64_e64 s9, v[55:56], v[34:35]
	s_delay_alu instid0(VALU_DEP_3) | instskip(NEXT) | instid1(VALU_DEP_1)
	v_and_b32_e32 v8, 3, v8
	v_cmp_eq_u64_e64 s14, 0, v[8:9]
	v_cmp_eq_u64_e64 s15, 1, v[8:9]
	;; [unrolled: 1-line block ×4, first 2 shown]
	v_lshrrev_b64 v[8:9], s55, v[14:15]
	v_mov_b32_e32 v9, v19
	v_cmp_eq_u64_e64 s22, 0, v[18:19]
	s_and_b32 s14, s8, s14
	v_cmp_eq_u64_e64 s23, 1, v[18:19]
	s_delay_alu instid0(VALU_DEP_4) | instskip(NEXT) | instid1(VALU_DEP_3)
	v_and_b32_e32 v8, 3, v8
	s_and_b32 s22, vcc_lo, s22
	s_delay_alu instid0(SALU_CYCLE_1) | instskip(NEXT) | instid1(VALU_DEP_2)
	v_cndmask_b32_e64 v2, 0, 1, s22
	v_cmp_eq_u64_e64 s18, 0, v[8:9]
	v_cmp_eq_u64_e64 s19, 1, v[8:9]
	;; [unrolled: 1-line block ×4, first 2 shown]
	v_cmp_ne_u32_e64 s22, 0, v2
	v_cndmask_b32_e64 v2, 0, 1, s10
	s_and_b32 s18, s9, s18
	s_delay_alu instid0(VALU_DEP_2) | instskip(NEXT) | instid1(VALU_DEP_1)
	s_bcnt1_i32_b32 s22, s22
	v_cmp_ne_u32_e64 s10, 0, v2
	v_cndmask_b32_e64 v2, 0, 1, s14
	s_delay_alu instid0(VALU_DEP_2) | instskip(NEXT) | instid1(VALU_DEP_1)
	s_bcnt1_i32_b32 s10, s10
	v_cmp_ne_u32_e64 s14, 0, v2
	v_cndmask_b32_e64 v2, 0, 1, s18
	s_add_i32 s10, s10, s22
	s_delay_alu instid0(VALU_DEP_2) | instskip(NEXT) | instid1(VALU_DEP_1)
	s_bcnt1_i32_b32 s14, s14
	v_cmp_ne_u32_e64 s18, 0, v2
	s_add_i32 s10, s10, s14
	s_delay_alu instid0(VALU_DEP_1) | instskip(NEXT) | instid1(SALU_CYCLE_1)
	s_bcnt1_i32_b32 s18, s18
	s_add_i32 s10, s10, s18
	v_cmp_eq_u64_e64 s18, 2, v[18:19]
	s_add_u32 s76, s76, s10
	s_addc_u32 s77, s77, 0
	s_and_b32 s10, vcc_lo, s23
	s_and_b32 s11, s7, s11
	v_cndmask_b32_e64 v2, 0, 1, s10
	s_and_b32 s14, s8, s15
	s_and_b32 s15, s9, s19
	v_dual_mov_b32 v8, s76 :: v_dual_mov_b32 v9, s77
	s_delay_alu instid0(VALU_DEP_2) | instskip(SKIP_1) | instid1(VALU_DEP_2)
	v_cmp_ne_u32_e64 s10, 0, v2
	v_cndmask_b32_e64 v2, 0, 1, s11
	s_bcnt1_i32_b32 s10, s10
	s_delay_alu instid0(VALU_DEP_1) | instskip(SKIP_1) | instid1(VALU_DEP_2)
	v_cmp_ne_u32_e64 s11, 0, v2
	v_cndmask_b32_e64 v2, 0, 1, s14
	s_bcnt1_i32_b32 s11, s11
	s_delay_alu instid0(VALU_DEP_1) | instskip(SKIP_2) | instid1(VALU_DEP_2)
	v_cmp_ne_u32_e64 s14, 0, v2
	v_cndmask_b32_e64 v2, 0, 1, s15
	s_add_i32 s10, s11, s10
	s_bcnt1_i32_b32 s14, s14
	s_delay_alu instid0(VALU_DEP_1) | instskip(SKIP_1) | instid1(VALU_DEP_1)
	v_cmp_ne_u32_e64 s15, 0, v2
	s_add_i32 s10, s10, s14
	s_bcnt1_i32_b32 s15, s15
	s_delay_alu instid0(SALU_CYCLE_1)
	s_add_i32 s10, s10, s15
	v_cmp_eq_u64_e64 s15, 3, v[18:19]
	s_add_u32 s74, s74, s10
	s_addc_u32 s75, s75, 0
	s_and_b32 s10, vcc_lo, s18
	s_and_b32 s11, s7, s12
	v_cndmask_b32_e64 v2, 0, 1, s10
	s_and_b32 s12, s8, s16
	s_and_b32 s14, s9, s20
	v_dual_mov_b32 v10, s74 :: v_dual_mov_b32 v11, s75
	s_delay_alu instid0(VALU_DEP_2) | instskip(SKIP_1) | instid1(VALU_DEP_2)
	v_cmp_ne_u32_e64 s10, 0, v2
	v_cndmask_b32_e64 v2, 0, 1, s11
	s_bcnt1_i32_b32 s10, s10
	s_delay_alu instid0(VALU_DEP_1) | instskip(SKIP_1) | instid1(VALU_DEP_2)
	v_cmp_ne_u32_e64 s11, 0, v2
	v_cndmask_b32_e64 v2, 0, 1, s12
	s_bcnt1_i32_b32 s11, s11
	s_delay_alu instid0(VALU_DEP_1) | instskip(SKIP_3) | instid1(VALU_DEP_3)
	v_cmp_ne_u32_e64 s12, 0, v2
	v_cndmask_b32_e64 v2, 0, 1, s14
	s_add_i32 s10, s11, s10
	v_add_co_u32 v44, s11, v44, s57
	s_bcnt1_i32_b32 s12, s12
	s_delay_alu instid0(VALU_DEP_2) | instskip(SKIP_2) | instid1(VALU_DEP_2)
	v_cmp_ne_u32_e64 s14, 0, v2
	s_add_i32 s10, s10, s12
	v_add_co_u32 v42, s12, v42, s57
	s_bcnt1_i32_b32 s14, s14
	s_delay_alu instid0(SALU_CYCLE_1)
	s_add_i32 s10, s10, s14
	v_add_co_u32 v38, s14, v38, s57
	s_add_u32 s72, s72, s10
	s_addc_u32 s73, s73, 0
	s_and_b32 s10, vcc_lo, s15
	s_and_b32 s7, s7, s13
	v_cndmask_b32_e64 v2, 0, 1, s10
	s_and_b32 s8, s8, s17
	s_and_b32 s9, s9, s21
	v_add_co_u32 v46, s10, v46, s46
	s_delay_alu instid0(VALU_DEP_2) | instskip(SKIP_3) | instid1(VALU_DEP_3)
	v_cmp_ne_u32_e32 vcc_lo, 0, v2
	v_cndmask_b32_e64 v2, 0, 1, s7
	v_add_co_ci_u32_e64 v47, s10, 0, v47, s10
	v_add_co_ci_u32_e64 v45, s10, s56, v45, s11
	v_cmp_ne_u32_e64 s7, 0, v2
	v_cndmask_b32_e64 v2, 0, 1, s8
	s_bcnt1_i32_b32 s11, vcc_lo
	v_add_co_u32 v40, s13, v40, s57
	s_delay_alu instid0(VALU_DEP_3) | instskip(NEXT) | instid1(VALU_DEP_2)
	s_bcnt1_i32_b32 s7, s7
	v_cmp_ne_u32_e64 s8, 0, v2
	v_cndmask_b32_e64 v2, 0, 1, s9
	s_add_i32 s7, s7, s11
	v_add_co_ci_u32_e64 v43, s10, s56, v43, s12
	s_delay_alu instid0(VALU_DEP_3) | instskip(NEXT) | instid1(VALU_DEP_2)
	s_bcnt1_i32_b32 s8, s8
	v_cmp_ne_u32_e64 s9, 0, v2
	s_add_i32 s7, s7, s8
	v_add_co_ci_u32_e64 v41, s10, s56, v41, s13
	v_add_co_ci_u32_e64 v39, s10, s56, v39, s14
	s_delay_alu instid0(VALU_DEP_3)
	s_bcnt1_i32_b32 s9, s9
	v_cmp_ge_u64_e64 s10, v[46:47], v[4:5]
	s_add_i32 s7, s7, s9
	v_mov_b32_e32 v12, s72
	s_add_u32 s24, s24, s7
	s_addc_u32 s25, s25, 0
	s_delay_alu instid0(SALU_CYCLE_1) | instskip(SKIP_2) | instid1(SALU_CYCLE_1)
	v_dual_mov_b32 v14, s24 :: v_dual_mov_b32 v15, s25
	v_mov_b32_e32 v13, s73
	s_or_b32 s58, s10, s58
	s_and_not1_b32 exec_lo, exec_lo, s58
	s_cbranch_execnz .LBB189_70
; %bb.71:                               ;   in Loop: Header=BB189_31 Depth=1
	s_or_b32 exec_lo, exec_lo, s58
.LBB189_72:                             ;   in Loop: Header=BB189_31 Depth=1
	s_delay_alu instid0(SALU_CYCLE_1) | instskip(SKIP_4) | instid1(VALU_DEP_3)
	s_or_b32 exec_lo, exec_lo, s47
	v_add_co_u32 v4, vcc_lo, v4, v0
	v_add_co_ci_u32_e32 v5, vcc_lo, 0, v5, vcc_lo
	v_mov_b32_e32 v40, 0
	v_mov_b32_e32 v41, 0
	v_cmp_gt_u64_e32 vcc_lo, s[36:37], v[4:5]
	s_and_saveexec_b32 s8, vcc_lo
	s_cbranch_execz .LBB189_74
; %bb.73:                               ;   in Loop: Header=BB189_31 Depth=1
	v_mul_lo_u32 v2, v5, s30
	v_mul_lo_u32 v18, v4, s31
	v_mad_u64_u32 v[38:39], null, v4, s30, 0
	s_delay_alu instid0(VALU_DEP_1) | instskip(NEXT) | instid1(VALU_DEP_1)
	v_add3_u32 v39, v39, v18, v2
	v_lshlrev_b64 v[38:39], 3, v[38:39]
	s_delay_alu instid0(VALU_DEP_1) | instskip(NEXT) | instid1(VALU_DEP_1)
	v_add_co_u32 v38, s7, s80, v38
	v_add_co_ci_u32_e64 v39, s7, s81, v39, s7
	global_load_b64 v[40:41], v[38:39], off
.LBB189_74:                             ;   in Loop: Header=BB189_31 Depth=1
	s_or_b32 exec_lo, exec_lo, s8
	s_and_saveexec_b32 s11, vcc_lo
	s_cbranch_execz .LBB189_81
; %bb.75:                               ;   in Loop: Header=BB189_31 Depth=1
	s_and_b32 s12, s100, 0xfe
	s_mov_b32 s13, 0
	s_branch .LBB189_77
.LBB189_76:                             ;   in Loop: Header=BB189_77 Depth=2
	s_or_b32 exec_lo, exec_lo, s8
	s_waitcnt vmcnt(0)
	v_cmp_o_f64_e64 s7, v[40:41], v[40:41]
	v_ashrrev_i32_e32 v2, 31, v41
	s_and_b32 s9, exec_lo, vcc_lo
	s_delay_alu instid0(SALU_CYCLE_1) | instskip(NEXT) | instid1(VALU_DEP_1)
	s_or_b32 s13, s9, s13
	v_or_b32_e32 v18, 0x80000000, v2
	v_xor_b32_e32 v2, v2, v40
	s_delay_alu instid0(VALU_DEP_2) | instskip(NEXT) | instid1(VALU_DEP_1)
	v_xor_b32_e32 v18, v18, v41
	v_cndmask_b32_e64 v41, -1, v18, s7
	s_delay_alu instid0(VALU_DEP_3) | instskip(NEXT) | instid1(VALU_DEP_1)
	v_cndmask_b32_e64 v40, -1, v2, s7
	v_lshrrev_b64 v[42:43], s12, v[40:41]
	v_and_b32_e32 v41, v41, v33
	v_and_b32_e32 v40, v40, v32
	s_delay_alu instid0(VALU_DEP_3) | instskip(NEXT) | instid1(VALU_DEP_2)
	v_and_b32_e32 v18, 3, v42
	v_cmp_eq_u64_e64 s7, v[40:41], v[34:35]
	s_delay_alu instid0(VALU_DEP_2) | instskip(SKIP_3) | instid1(VALU_DEP_4)
	v_cmp_eq_u64_e64 s8, 0, v[18:19]
	v_cmp_eq_u64_e32 vcc_lo, 1, v[18:19]
	v_cmp_eq_u64_e64 s9, 2, v[18:19]
	v_cmp_eq_u64_e64 s10, 3, v[18:19]
	s_and_b32 s8, s7, s8
	s_delay_alu instid0(SALU_CYCLE_1) | instskip(SKIP_1) | instid1(SALU_CYCLE_1)
	v_cndmask_b32_e64 v2, 0, 1, s8
	s_and_b32 s8, s7, vcc_lo
	v_cndmask_b32_e64 v18, 0, 1, s8
	s_and_b32 s8, s7, s9
	s_delay_alu instid0(VALU_DEP_2) | instskip(SKIP_2) | instid1(SALU_CYCLE_1)
	v_cmp_ne_u32_e32 vcc_lo, 0, v2
	v_cndmask_b32_e64 v40, 0, 1, s8
	s_and_b32 s7, s7, s10
	v_cndmask_b32_e64 v41, 0, 1, s7
	v_cmp_ne_u32_e64 s7, 0, v18
	s_bcnt1_i32_b32 s10, vcc_lo
	v_cmp_ne_u32_e64 s8, 0, v40
	v_add_co_u32 v8, vcc_lo, v8, s10
	s_delay_alu instid0(VALU_DEP_3)
	s_bcnt1_i32_b32 s7, s7
	v_cmp_ne_u32_e64 s9, 0, v41
	v_mov_b32_e32 v41, v39
	v_add_co_ci_u32_e32 v9, vcc_lo, 0, v9, vcc_lo
	v_add_co_u32 v10, vcc_lo, v10, s7
	s_bcnt1_i32_b32 s8, s8
	v_add_co_ci_u32_e32 v11, vcc_lo, 0, v11, vcc_lo
	v_add_co_u32 v12, vcc_lo, v12, s8
	s_bcnt1_i32_b32 s9, s9
	v_add_co_ci_u32_e32 v13, vcc_lo, 0, v13, vcc_lo
	v_add_co_u32 v14, vcc_lo, v14, s9
	v_add_co_ci_u32_e32 v15, vcc_lo, 0, v15, vcc_lo
	v_mov_b32_e32 v40, v38
	s_and_not1_b32 exec_lo, exec_lo, s13
	s_cbranch_execz .LBB189_80
.LBB189_77:                             ;   Parent Loop BB189_31 Depth=1
                                        ; =>  This Inner Loop Header: Depth=2
	v_add_co_u32 v4, vcc_lo, v4, s26
	v_add_co_ci_u32_e32 v5, vcc_lo, 0, v5, vcc_lo
	v_mov_b32_e32 v38, 0
	v_mov_b32_e32 v39, 0
	s_mov_b32 s8, exec_lo
	s_delay_alu instid0(VALU_DEP_3)
	v_cmp_le_u64_e32 vcc_lo, s[36:37], v[4:5]
	v_cmpx_gt_u64_e64 s[36:37], v[4:5]
	s_cbranch_execz .LBB189_76
; %bb.78:                               ;   in Loop: Header=BB189_77 Depth=2
	v_mul_lo_u32 v2, v5, s30
	v_mul_lo_u32 v18, v4, s31
	v_mad_u64_u32 v[38:39], null, v4, s30, 0
	s_delay_alu instid0(VALU_DEP_1) | instskip(NEXT) | instid1(VALU_DEP_1)
	v_add3_u32 v39, v39, v18, v2
	v_lshlrev_b64 v[38:39], 3, v[38:39]
	s_delay_alu instid0(VALU_DEP_1) | instskip(NEXT) | instid1(VALU_DEP_1)
	v_add_co_u32 v38, s7, s80, v38
	v_add_co_ci_u32_e64 v39, s7, s81, v39, s7
	global_load_b64 v[38:39], v[38:39], off
	s_branch .LBB189_76
.LBB189_79:                             ;   in Loop: Header=BB189_31 Depth=1
                                        ; implicit-def: $vgpr14_vgpr15
                                        ; implicit-def: $vgpr10_vgpr11
	s_cbranch_execnz .LBB189_82
	s_branch .LBB189_91
.LBB189_80:                             ;   in Loop: Header=BB189_31 Depth=1
	s_or_b32 exec_lo, exec_lo, s13
.LBB189_81:                             ;   in Loop: Header=BB189_31 Depth=1
	s_delay_alu instid0(SALU_CYCLE_1)
	s_or_b32 exec_lo, exec_lo, s11
	s_branch .LBB189_91
.LBB189_82:                             ;   in Loop: Header=BB189_31 Depth=1
	global_load_u16 v2, v19, s[62:63]
	v_mov_b32_e32 v8, 0
	s_mov_b64 s[72:73], 0
	s_mov_b32 s47, exec_lo
	v_mov_b32_e32 v9, 0
	s_delay_alu instid0(VALU_DEP_1)
	v_mov_b32_e32 v15, v9
	v_dual_mov_b32 v11, v9 :: v_dual_mov_b32 v10, v8
	v_dual_mov_b32 v13, v9 :: v_dual_mov_b32 v12, v8
	v_mov_b32_e32 v14, v8
	s_waitcnt vmcnt(0)
	v_readfirstlane_b32 s7, v2
	v_and_b32_e32 v2, 0xffff, v2
	s_delay_alu instid0(VALU_DEP_2) | instskip(NEXT) | instid1(SALU_CYCLE_1)
	s_and_b32 s7, 0xffff, s7
	s_lshl_b32 s46, s7, 2
	s_delay_alu instid0(SALU_CYCLE_1) | instskip(SKIP_1) | instid1(VALU_DEP_1)
	v_cvt_f32_u32_e32 v4, s46
	s_sub_i32 s8, 0, s46
	v_rcp_iflag_f32_e32 v4, v4
	s_waitcnt_depctr 0xfff
	v_mul_f32_e32 v4, 0x4f7ffffe, v4
	s_delay_alu instid0(VALU_DEP_1) | instskip(NEXT) | instid1(VALU_DEP_1)
	v_cvt_u32_f32_e32 v4, v4
	v_readfirstlane_b32 s7, v4
	s_delay_alu instid0(VALU_DEP_1) | instskip(NEXT) | instid1(SALU_CYCLE_1)
	s_mul_i32 s8, s8, s7
	s_mul_hi_u32 s8, s7, s8
	s_delay_alu instid0(SALU_CYCLE_1) | instskip(NEXT) | instid1(SALU_CYCLE_1)
	s_add_i32 s7, s7, s8
	s_mul_hi_u32 s7, s70, s7
	s_delay_alu instid0(SALU_CYCLE_1) | instskip(NEXT) | instid1(SALU_CYCLE_1)
	s_mul_i32 s7, s7, s46
	s_sub_i32 s7, s70, s7
	s_delay_alu instid0(SALU_CYCLE_1) | instskip(SKIP_2) | instid1(SALU_CYCLE_1)
	s_sub_i32 s8, s7, s46
	s_cmp_ge_u32 s7, s46
	s_cselect_b32 s7, s8, s7
	s_sub_i32 s8, s7, s46
	s_cmp_ge_u32 s7, s46
	s_cselect_b32 s7, s8, s7
	s_delay_alu instid0(SALU_CYCLE_1) | instskip(NEXT) | instid1(SALU_CYCLE_1)
	s_sub_i32 s60, s70, s7
	v_cmpx_gt_u32_e64 s60, v20
	s_cbranch_execz .LBB189_86
; %bb.83:                               ;   in Loop: Header=BB189_31 Depth=1
	v_dual_mov_b32 v39, v53 :: v_dual_lshlrev_b32 v38, 5, v2
	v_dual_mov_b32 v4, v20 :: v_dual_mov_b32 v5, v21
	s_and_b32 s55, s100, 0xfe
	s_mov_b32 s56, 0
	s_mov_b64 s[74:75], 0
	s_mov_b64 s[76:77], 0
	;; [unrolled: 1-line block ×3, first 2 shown]
.LBB189_84:                             ;   Parent Loop BB189_31 Depth=1
                                        ; =>  This Inner Loop Header: Depth=2
	ds_load_b128 v[8:11], v39
	v_add_co_u32 v4, s18, v4, s46
	s_delay_alu instid0(VALU_DEP_1) | instskip(NEXT) | instid1(VALU_DEP_1)
	v_add_co_ci_u32_e64 v5, s18, 0, v5, s18
	v_cmp_le_u64_e64 s18, s[60:61], v[4:5]
	s_waitcnt lgkmcnt(0)
	v_ashrrev_i32_e32 v12, 31, v9
	v_cmp_o_f64_e64 s7, v[8:9], v[8:9]
	v_cmp_o_f64_e32 vcc_lo, v[10:11], v[10:11]
	s_delay_alu instid0(VALU_DEP_3) | instskip(SKIP_2) | instid1(VALU_DEP_3)
	v_or_b32_e32 v13, 0x80000000, v12
	v_xor_b32_e32 v12, v12, v8
	v_ashrrev_i32_e32 v8, 31, v11
	v_xor_b32_e32 v13, v13, v9
	s_delay_alu instid0(VALU_DEP_2) | instskip(SKIP_1) | instid1(VALU_DEP_2)
	v_or_b32_e32 v14, 0x80000000, v8
	v_xor_b32_e32 v15, v8, v10
	v_xor_b32_e32 v14, v14, v11
	ds_load_b128 v[8:11], v39 offset:16
	s_waitcnt lgkmcnt(0)
	v_cmp_o_f64_e64 s8, v[8:9], v[8:9]
	v_ashrrev_i32_e32 v18, 31, v9
	v_cmp_o_f64_e64 s9, v[10:11], v[10:11]
	s_delay_alu instid0(VALU_DEP_2) | instskip(SKIP_2) | instid1(VALU_DEP_3)
	v_or_b32_e32 v40, 0x80000000, v18
	v_xor_b32_e32 v18, v18, v8
	v_ashrrev_i32_e32 v8, 31, v11
	v_xor_b32_e32 v40, v40, v9
	v_cndmask_b32_e64 v9, -1, v13, s7
	s_delay_alu instid0(VALU_DEP_3) | instskip(SKIP_2) | instid1(VALU_DEP_3)
	v_or_b32_e32 v41, 0x80000000, v8
	v_xor_b32_e32 v42, v8, v10
	v_cndmask_b32_e64 v8, -1, v12, s7
	v_xor_b32_e32 v41, v41, v11
	v_and_b32_e32 v11, v9, v33
	s_delay_alu instid0(VALU_DEP_3) | instskip(SKIP_1) | instid1(VALU_DEP_2)
	v_and_b32_e32 v10, v8, v32
	v_lshrrev_b64 v[8:9], s55, v[8:9]
	v_cmp_eq_u64_e64 s7, v[10:11], v[34:35]
	v_dual_cndmask_b32 v11, -1, v14 :: v_dual_cndmask_b32 v10, -1, v15
	s_delay_alu instid0(VALU_DEP_1) | instskip(NEXT) | instid1(VALU_DEP_2)
	v_and_b32_e32 v13, v11, v33
	v_and_b32_e32 v12, v10, v32
	s_delay_alu instid0(VALU_DEP_1) | instskip(SKIP_4) | instid1(VALU_DEP_4)
	v_cmp_eq_u64_e32 vcc_lo, v[12:13], v[34:35]
	v_cndmask_b32_e64 v12, -1, v18, s8
	v_and_b32_e32 v18, 3, v8
	v_lshrrev_b64 v[8:9], s55, v[10:11]
	v_cndmask_b32_e64 v13, -1, v40, s8
	v_dual_mov_b32 v9, v19 :: v_dual_and_b32 v14, v12, v32
	s_delay_alu instid0(VALU_DEP_4)
	v_cmp_eq_u64_e64 s19, 0, v[18:19]
	v_cmp_eq_u64_e64 s21, 1, v[18:19]
	v_and_b32_e32 v8, 3, v8
	v_and_b32_e32 v15, v13, v33
	v_cmp_eq_u64_e64 s23, 2, v[18:19]
	v_cmp_eq_u64_e64 s25, 3, v[18:19]
	s_and_b32 s19, s7, s19
	v_cmp_eq_u64_e64 s10, 0, v[8:9]
	v_cmp_eq_u64_e64 s11, 1, v[8:9]
	v_cmp_eq_u64_e64 s12, 2, v[8:9]
	v_cmp_eq_u64_e64 s13, 3, v[8:9]
	v_lshrrev_b64 v[8:9], s55, v[12:13]
	v_mov_b32_e32 v9, v19
	v_cmp_eq_u64_e64 s8, v[14:15], v[34:35]
	v_cndmask_b32_e64 v15, -1, v41, s9
	v_cndmask_b32_e64 v14, -1, v42, s9
	s_and_b32 s10, vcc_lo, s10
	v_and_b32_e32 v8, 3, v8
	s_delay_alu instid0(VALU_DEP_3) | instskip(NEXT) | instid1(VALU_DEP_3)
	v_and_b32_e32 v41, v15, v33
	v_and_b32_e32 v40, v14, v32
	s_delay_alu instid0(VALU_DEP_3)
	v_cmp_eq_u64_e64 s14, 0, v[8:9]
	v_cmp_eq_u64_e64 s15, 1, v[8:9]
	;; [unrolled: 1-line block ×4, first 2 shown]
	v_lshrrev_b64 v[8:9], s55, v[14:15]
	v_mov_b32_e32 v9, v19
	v_cmp_eq_u64_e64 s9, v[40:41], v[34:35]
	s_and_b32 s14, s8, s14
	s_delay_alu instid0(SALU_CYCLE_1) | instskip(NEXT) | instid1(VALU_DEP_4)
	v_cndmask_b32_e64 v10, 0, 1, s14
	v_and_b32_e32 v8, 3, v8
	s_delay_alu instid0(VALU_DEP_1)
	v_cmp_eq_u64_e64 s20, 0, v[8:9]
	v_cmp_eq_u64_e64 s22, 1, v[8:9]
	;; [unrolled: 1-line block ×4, first 2 shown]
	v_cndmask_b32_e64 v8, 0, 1, s19
	v_cndmask_b32_e64 v9, 0, 1, s10
	s_and_b32 s20, s9, s20
	v_cmp_ne_u32_e64 s19, 0, v10
	s_delay_alu instid0(VALU_DEP_3) | instskip(SKIP_2) | instid1(VALU_DEP_4)
	v_cmp_ne_u32_e64 s10, 0, v8
	v_cndmask_b32_e64 v8, 0, 1, s20
	v_cmp_ne_u32_e64 s14, 0, v9
	s_bcnt1_i32_b32 s19, s19
	s_delay_alu instid0(VALU_DEP_3) | instskip(NEXT) | instid1(VALU_DEP_2)
	s_bcnt1_i32_b32 s10, s10
	v_cmp_ne_u32_e64 s20, 0, v8
	s_delay_alu instid0(VALU_DEP_2) | instskip(NEXT) | instid1(SALU_CYCLE_1)
	s_bcnt1_i32_b32 s14, s14
	s_add_i32 s10, s14, s10
	s_delay_alu instid0(VALU_DEP_1) | instskip(SKIP_1) | instid1(SALU_CYCLE_1)
	s_bcnt1_i32_b32 s20, s20
	s_add_i32 s10, s10, s19
	s_add_i32 s10, s10, s20
	s_delay_alu instid0(SALU_CYCLE_1)
	s_add_u32 s78, s78, s10
	s_addc_u32 s79, s79, 0
	s_and_b32 s10, s7, s21
	s_and_b32 s11, vcc_lo, s11
	v_cndmask_b32_e64 v8, 0, 1, s10
	s_and_b32 s14, s8, s15
	v_cndmask_b32_e64 v9, 0, 1, s11
	s_and_b32 s15, s9, s22
	v_cndmask_b32_e64 v10, 0, 1, s14
	v_cmp_ne_u32_e64 s10, 0, v8
	v_cndmask_b32_e64 v8, 0, 1, s15
	v_cmp_ne_u32_e64 s11, 0, v9
	s_delay_alu instid0(VALU_DEP_4) | instskip(NEXT) | instid1(VALU_DEP_4)
	v_cmp_ne_u32_e64 s14, 0, v10
	s_bcnt1_i32_b32 s10, s10
	s_delay_alu instid0(VALU_DEP_3) | instskip(NEXT) | instid1(VALU_DEP_3)
	v_cmp_ne_u32_e64 s15, 0, v8
	s_bcnt1_i32_b32 s11, s11
	s_delay_alu instid0(VALU_DEP_2) | instskip(SKIP_1) | instid1(VALU_DEP_1)
	s_bcnt1_i32_b32 s14, s14
	s_add_i32 s10, s11, s10
	s_bcnt1_i32_b32 s15, s15
	s_add_i32 s10, s10, s14
	s_delay_alu instid0(SALU_CYCLE_1) | instskip(NEXT) | instid1(SALU_CYCLE_1)
	s_add_i32 s10, s10, s15
	s_add_u32 s76, s76, s10
	s_addc_u32 s77, s77, 0
	s_and_b32 s10, s7, s23
	s_and_b32 s11, vcc_lo, s12
	v_cndmask_b32_e64 v8, 0, 1, s10
	s_and_b32 s12, s8, s16
	v_cndmask_b32_e64 v9, 0, 1, s11
	s_and_b32 s14, s9, s24
	v_cndmask_b32_e64 v10, 0, 1, s12
	v_cmp_ne_u32_e64 s10, 0, v8
	v_cndmask_b32_e64 v8, 0, 1, s14
	v_cmp_ne_u32_e64 s11, 0, v9
	s_delay_alu instid0(VALU_DEP_4) | instskip(NEXT) | instid1(VALU_DEP_4)
	v_cmp_ne_u32_e64 s12, 0, v10
	s_bcnt1_i32_b32 s10, s10
	s_delay_alu instid0(VALU_DEP_3) | instskip(NEXT) | instid1(VALU_DEP_3)
	v_cmp_ne_u32_e64 s14, 0, v8
	s_bcnt1_i32_b32 s11, s11
	s_delay_alu instid0(VALU_DEP_2) | instskip(SKIP_1) | instid1(VALU_DEP_1)
	s_bcnt1_i32_b32 s12, s12
	s_add_i32 s10, s11, s10
	s_bcnt1_i32_b32 s14, s14
	s_add_i32 s10, s10, s12
	s_delay_alu instid0(SALU_CYCLE_1) | instskip(NEXT) | instid1(SALU_CYCLE_1)
	s_add_i32 s10, s10, s14
	s_add_u32 s74, s74, s10
	s_addc_u32 s75, s75, 0
	s_and_b32 s7, s7, s25
	s_and_b32 s10, vcc_lo, s13
	v_cndmask_b32_e64 v8, 0, 1, s7
	s_and_b32 s8, s8, s17
	v_cndmask_b32_e64 v9, 0, 1, s10
	s_and_b32 s9, s9, s26
	v_cndmask_b32_e64 v10, 0, 1, s8
	v_cmp_ne_u32_e32 vcc_lo, 0, v8
	v_cndmask_b32_e64 v8, 0, 1, s9
	v_cmp_ne_u32_e64 s7, 0, v9
	v_mov_b32_e32 v12, s74
	v_cmp_ne_u32_e64 s8, 0, v10
	s_bcnt1_i32_b32 s10, vcc_lo
	v_cmp_ne_u32_e64 s9, 0, v8
	s_bcnt1_i32_b32 s7, s7
	v_mov_b32_e32 v8, s78
	s_bcnt1_i32_b32 s8, s8
	s_add_i32 s7, s7, s10
	s_bcnt1_i32_b32 s9, s9
	s_add_i32 s7, s7, s8
	v_mov_b32_e32 v10, s76
	s_add_i32 s7, s7, s9
	v_mov_b32_e32 v9, s79
	s_add_u32 s72, s72, s7
	s_addc_u32 s73, s73, 0
	v_dual_mov_b32 v14, s72 :: v_dual_add_nc_u32 v39, v39, v38
	v_mov_b32_e32 v11, s77
	v_mov_b32_e32 v13, s75
	;; [unrolled: 1-line block ×3, first 2 shown]
	s_or_b32 s56, s18, s56
	s_delay_alu instid0(SALU_CYCLE_1)
	s_and_not1_b32 exec_lo, exec_lo, s56
	s_cbranch_execnz .LBB189_84
; %bb.85:                               ;   in Loop: Header=BB189_31 Depth=1
	s_or_b32 exec_lo, exec_lo, s56
.LBB189_86:                             ;   in Loop: Header=BB189_31 Depth=1
	s_delay_alu instid0(SALU_CYCLE_1) | instskip(SKIP_2) | instid1(VALU_DEP_1)
	s_or_b32 exec_lo, exec_lo, s47
	v_add_nc_u32_e32 v18, s60, v0
	s_mov_b32 s14, exec_lo
	v_cmpx_gt_u32_e64 s70, v18
	s_cbranch_execz .LBB189_90
; %bb.87:                               ;   in Loop: Header=BB189_31 Depth=1
	v_dual_mov_b32 v4, v18 :: v_dual_lshlrev_b32 v39, 3, v2
	v_dual_mov_b32 v5, v19 :: v_dual_lshlrev_b32 v38, 3, v18
	s_mov_b32 s13, 0
	s_and_b32 s12, s70, 0x7fffffff
	s_and_b32 s16, s100, 0xfe
	s_mov_b32 s15, s13
.LBB189_88:                             ;   Parent Loop BB189_31 Depth=1
                                        ; =>  This Inner Loop Header: Depth=2
	ds_load_b64 v[40:41], v38
	v_add_co_u32 v4, s7, v4, v2
	s_delay_alu instid0(VALU_DEP_1) | instskip(NEXT) | instid1(VALU_DEP_1)
	v_add_co_ci_u32_e64 v5, s7, 0, v5, s7
	v_cmp_le_u64_e64 s7, s[12:13], v[4:5]
	s_waitcnt lgkmcnt(0)
	v_cmp_o_f64_e32 vcc_lo, v[40:41], v[40:41]
	v_ashrrev_i32_e32 v18, 31, v41
	s_delay_alu instid0(VALU_DEP_1) | instskip(SKIP_1) | instid1(VALU_DEP_2)
	v_or_b32_e32 v42, 0x80000000, v18
	v_xor_b32_e32 v18, v18, v40
	v_xor_b32_e32 v42, v42, v41
	s_delay_alu instid0(VALU_DEP_1) | instskip(NEXT) | instid1(VALU_DEP_1)
	v_dual_cndmask_b32 v41, -1, v42 :: v_dual_add_nc_u32 v38, v38, v39
	v_dual_cndmask_b32 v40, -1, v18 :: v_dual_and_b32 v43, v41, v33
	s_delay_alu instid0(VALU_DEP_1) | instskip(SKIP_1) | instid1(VALU_DEP_2)
	v_and_b32_e32 v42, v40, v32
	v_lshrrev_b64 v[40:41], s16, v[40:41]
	v_cmp_eq_u64_e32 vcc_lo, v[42:43], v[34:35]
	s_delay_alu instid0(VALU_DEP_2) | instskip(NEXT) | instid1(VALU_DEP_1)
	v_and_b32_e32 v18, 3, v40
	v_cmp_eq_u64_e64 s8, 0, v[18:19]
	v_cmp_eq_u64_e64 s9, 1, v[18:19]
	;; [unrolled: 1-line block ×4, first 2 shown]
	s_delay_alu instid0(VALU_DEP_4) | instskip(NEXT) | instid1(SALU_CYCLE_1)
	s_and_b32 s8, vcc_lo, s8
	v_cndmask_b32_e64 v18, 0, 1, s8
	s_delay_alu instid0(VALU_DEP_4) | instskip(NEXT) | instid1(SALU_CYCLE_1)
	s_and_b32 s8, vcc_lo, s9
	v_cndmask_b32_e64 v40, 0, 1, s8
	s_and_b32 s8, vcc_lo, s10
	s_delay_alu instid0(SALU_CYCLE_1)
	v_cndmask_b32_e64 v41, 0, 1, s8
	s_and_b32 s8, vcc_lo, s11
	v_cmp_ne_u32_e32 vcc_lo, 0, v18
	v_cndmask_b32_e64 v42, 0, 1, s8
	v_cmp_ne_u32_e64 s8, 0, v40
	v_cmp_ne_u32_e64 s9, 0, v41
	s_bcnt1_i32_b32 s11, vcc_lo
	s_delay_alu instid0(VALU_DEP_3)
	v_cmp_ne_u32_e64 s10, 0, v42
	v_add_co_u32 v8, vcc_lo, v8, s11
	s_bcnt1_i32_b32 s8, s8
	v_add_co_ci_u32_e32 v9, vcc_lo, 0, v9, vcc_lo
	v_add_co_u32 v10, vcc_lo, v10, s8
	s_bcnt1_i32_b32 s9, s9
	v_add_co_ci_u32_e32 v11, vcc_lo, 0, v11, vcc_lo
	;; [unrolled: 3-line block ×3, first 2 shown]
	v_add_co_u32 v14, vcc_lo, v14, s10
	v_add_co_ci_u32_e32 v15, vcc_lo, 0, v15, vcc_lo
	s_or_b32 s15, s7, s15
	s_delay_alu instid0(SALU_CYCLE_1)
	s_and_not1_b32 exec_lo, exec_lo, s15
	s_cbranch_execnz .LBB189_88
; %bb.89:                               ;   in Loop: Header=BB189_31 Depth=1
	s_or_b32 exec_lo, exec_lo, s15
.LBB189_90:                             ;   in Loop: Header=BB189_31 Depth=1
	s_delay_alu instid0(SALU_CYCLE_1)
	s_or_b32 exec_lo, exec_lo, s14
.LBB189_91:                             ;   in Loop: Header=BB189_31 Depth=1
	s_lshl_b32 s7, s96, 7
	s_and_saveexec_b32 s8, s2
	s_cbranch_execz .LBB189_93
; %bb.92:                               ;   in Loop: Header=BB189_31 Depth=1
	v_or_b32_e32 v2, s7, v50
	s_delay_alu instid0(VALU_DEP_1)
	v_lshlrev_b32_e32 v2, 3, v2
	ds_store_b128 v2, v[8:11] offset:3072
	ds_store_b128 v2, v[12:15] offset:3088
.LBB189_93:                             ;   in Loop: Header=BB189_31 Depth=1
	s_or_b32 exec_lo, exec_lo, s8
	s_waitcnt vmcnt(0) lgkmcnt(0)
	s_barrier
	buffer_gl0_inv
	s_and_saveexec_b32 s8, s83
	s_cbranch_execz .LBB189_104
; %bb.94:                               ;   in Loop: Header=BB189_31 Depth=1
	v_mov_b32_e32 v4, 0
	v_mov_b32_e32 v5, 0
	s_and_not1_b32 vcc_lo, exec_lo, s91
	s_cbranch_vccnz .LBB189_103
; %bb.95:                               ;   in Loop: Header=BB189_31 Depth=1
	v_mov_b32_e32 v4, 0
	v_mov_b32_e32 v5, 0
	s_and_not1_b32 vcc_lo, exec_lo, s89
	s_cbranch_vccnz .LBB189_100
; %bb.96:                               ;   in Loop: Header=BB189_31 Depth=1
	v_lshl_add_u32 v2, s96, 10, v54
	s_mov_b32 s9, 0
	s_set_inst_prefetch_distance 0x1
	.p2align	6
.LBB189_97:                             ;   Parent Loop BB189_31 Depth=1
                                        ; =>  This Inner Loop Header: Depth=2
	ds_load_2addr_b64 v[8:11], v2 offset1:4
	ds_load_2addr_b64 v[12:15], v2 offset0:8 offset1:12
	ds_load_2addr_b64 v[38:41], v2 offset0:16 offset1:20
	s_add_i32 s9, s9, 8
	s_delay_alu instid0(SALU_CYCLE_1) | instskip(SKIP_3) | instid1(VALU_DEP_2)
	s_cmp_eq_u32 s90, s9
	s_waitcnt lgkmcnt(2)
	v_add_co_u32 v4, vcc_lo, v8, v4
	v_add_co_ci_u32_e32 v5, vcc_lo, v9, v5, vcc_lo
	v_add_co_u32 v4, vcc_lo, v10, v4
	s_delay_alu instid0(VALU_DEP_2)
	v_add_co_ci_u32_e32 v5, vcc_lo, v11, v5, vcc_lo
	ds_load_2addr_b64 v[8:11], v2 offset0:24 offset1:28
	s_waitcnt lgkmcnt(2)
	v_add_co_u32 v4, vcc_lo, v12, v4
	v_add_co_ci_u32_e32 v5, vcc_lo, v13, v5, vcc_lo
	v_add_nc_u32_e32 v2, 0x100, v2
	s_delay_alu instid0(VALU_DEP_3) | instskip(NEXT) | instid1(VALU_DEP_3)
	v_add_co_u32 v4, vcc_lo, v14, v4
	v_add_co_ci_u32_e32 v5, vcc_lo, v15, v5, vcc_lo
	s_waitcnt lgkmcnt(1)
	s_delay_alu instid0(VALU_DEP_2) | instskip(NEXT) | instid1(VALU_DEP_2)
	v_add_co_u32 v4, vcc_lo, v38, v4
	v_add_co_ci_u32_e32 v5, vcc_lo, v39, v5, vcc_lo
	s_delay_alu instid0(VALU_DEP_2) | instskip(NEXT) | instid1(VALU_DEP_2)
	v_add_co_u32 v4, vcc_lo, v40, v4
	v_add_co_ci_u32_e32 v5, vcc_lo, v41, v5, vcc_lo
	s_waitcnt lgkmcnt(0)
	s_delay_alu instid0(VALU_DEP_2) | instskip(NEXT) | instid1(VALU_DEP_2)
	v_add_co_u32 v4, vcc_lo, v8, v4
	v_add_co_ci_u32_e32 v5, vcc_lo, v9, v5, vcc_lo
	s_delay_alu instid0(VALU_DEP_2) | instskip(NEXT) | instid1(VALU_DEP_2)
	v_add_co_u32 v4, vcc_lo, v10, v4
	v_add_co_ci_u32_e32 v5, vcc_lo, v11, v5, vcc_lo
	s_cbranch_scc0 .LBB189_97
; %bb.98:                               ;   in Loop: Header=BB189_31 Depth=1
	s_set_inst_prefetch_distance 0x2
	s_mov_b32 s9, s90
	s_and_not1_b32 vcc_lo, exec_lo, s92
	s_cbranch_vccz .LBB189_101
	s_branch .LBB189_103
.LBB189_99:                             ;   in Loop: Header=BB189_31 Depth=1
                                        ; implicit-def: $vgpr4_vgpr5
	s_branch .LBB189_67
.LBB189_100:                            ;   in Loop: Header=BB189_31 Depth=1
	s_mov_b32 s9, 0
	s_and_not1_b32 vcc_lo, exec_lo, s92
	s_cbranch_vccnz .LBB189_103
.LBB189_101:                            ;   in Loop: Header=BB189_31 Depth=1
	s_lshl_b32 s10, s96, 10
	s_lshl_b32 s9, s9, 5
	s_delay_alu instid0(SALU_CYCLE_1)
	v_add3_u32 v2, s10, s9, v54
	v_readlane_b32 s9, v57, 6
.LBB189_102:                            ;   Parent Loop BB189_31 Depth=1
                                        ; =>  This Inner Loop Header: Depth=2
	ds_load_b64 v[8:9], v2
	v_add_nc_u32_e32 v2, 32, v2
	s_add_i32 s9, s9, -1
	s_delay_alu instid0(SALU_CYCLE_1)
	s_cmp_lg_u32 s9, 0
	s_waitcnt lgkmcnt(0)
	v_add_co_u32 v4, vcc_lo, v8, v4
	v_add_co_ci_u32_e32 v5, vcc_lo, v9, v5, vcc_lo
	s_cbranch_scc1 .LBB189_102
.LBB189_103:                            ;   in Loop: Header=BB189_31 Depth=1
	v_add_lshl_u32 v2, s7, v49, 3
	ds_store_b64 v2, v[4:5] offset:3072
.LBB189_104:                            ;   in Loop: Header=BB189_31 Depth=1
	s_or_b32 exec_lo, exec_lo, s8
	s_lshl_b32 s7, s7, 3
	s_waitcnt lgkmcnt(0)
	v_mov_b32_e32 v2, s7
	s_barrier
	buffer_gl0_inv
	s_and_b32 s24, s100, 0xfe
	v_cmp_eq_u64_e64 s7, 1, v[36:37]
	ds_load_b128 v[8:11], v2 offset:3072
	ds_load_b128 v[12:15], v2 offset:3088
	s_lshl_b64 s[12:13], 3, s24
	s_mov_b32 s60, 0
	s_and_not1_b32 vcc_lo, exec_lo, s82
	s_not_b64 s[14:15], s[12:13]
	s_waitcnt lgkmcnt(1)
	v_readfirstlane_b32 s11, v9
	v_readfirstlane_b32 s10, v8
	;; [unrolled: 1-line block ×4, first 2 shown]
	s_waitcnt lgkmcnt(0)
	v_readfirstlane_b32 s19, v13
	v_readfirstlane_b32 s18, v12
	;; [unrolled: 1-line block ×4, first 2 shown]
	s_cbranch_vccnz .LBB189_120
; %bb.105:                              ;   in Loop: Header=BB189_31 Depth=1
	s_cmp_eq_u64 s[10:11], 1
	v_dual_mov_b32 v12, v34 :: v_dual_mov_b32 v13, v35
	v_dual_mov_b32 v14, v32 :: v_dual_mov_b32 v15, v33
	;; [unrolled: 1-line block ×3, first 2 shown]
	s_cselect_b32 s8, -1, 0
                                        ; implicit-def: $sgpr25
                                        ; implicit-def: $sgpr71
                                        ; implicit-def: $sgpr70
	s_delay_alu instid0(SALU_CYCLE_1)
	s_and_b32 s46, s8, s7
	s_mov_b32 s8, -1
	s_and_saveexec_b32 s47, s46
	s_cbranch_execz .LBB189_139
; %bb.106:                              ;   in Loop: Header=BB189_31 Depth=1
	ds_load_b64 v[4:5], v19 offset:5120
	s_waitcnt lgkmcnt(0)
	s_barrier
	buffer_gl0_inv
	v_readfirstlane_b32 s22, v4
	v_readfirstlane_b32 s23, v5
	s_and_saveexec_b32 s8, s6
	s_cbranch_execz .LBB189_108
; %bb.107:                              ;   in Loop: Header=BB189_31 Depth=1
	v_mov_b32_e32 v18, v19
	ds_store_b64 v52, v[18:19]
.LBB189_108:                            ;   in Loop: Header=BB189_31 Depth=1
	s_or_b32 exec_lo, exec_lo, s8
	v_and_b32_e32 v13, s15, v35
	v_and_b32_e32 v12, s14, v34
	v_or_b32_e32 v15, s13, v33
	v_or_b32_e32 v14, s12, v32
	s_cmp_eq_u64 s[22:23], 0
	s_waitcnt lgkmcnt(0)
	s_barrier
	buffer_gl0_inv
	s_cbranch_scc1 .LBB189_122
; %bb.109:                              ;   in Loop: Header=BB189_31 Depth=1
	s_add_u32 s25, s85, s22
	s_addc_u32 s9, s86, s23
	s_mov_b32 s8, s61
	s_delay_alu instid0(SALU_CYCLE_1)
	s_cmp_lg_u64 s[8:9], 0
	s_cbranch_scc0 .LBB189_166
; %bb.110:                              ;   in Loop: Header=BB189_31 Depth=1
	v_cvt_f32_u32_e32 v2, s33
	s_sub_u32 s26, 0, s33
	s_subb_u32 s42, 0, 0
	s_delay_alu instid0(VALU_DEP_1) | instskip(NEXT) | instid1(VALU_DEP_1)
	v_fmac_f32_e64 v2, 0, 0x4f800000
	v_rcp_f32_e32 v2, v2
	s_waitcnt_depctr 0xfff
	v_mul_f32_e32 v2, 0x5f7ffffc, v2
	s_delay_alu instid0(VALU_DEP_1) | instskip(NEXT) | instid1(VALU_DEP_1)
	v_mul_f32_e32 v4, 0x2f800000, v2
	v_trunc_f32_e32 v4, v4
	s_delay_alu instid0(VALU_DEP_1) | instskip(SKIP_1) | instid1(VALU_DEP_2)
	v_fmac_f32_e32 v2, 0xcf800000, v4
	v_cvt_u32_f32_e32 v4, v4
	v_cvt_u32_f32_e32 v2, v2
	s_delay_alu instid0(VALU_DEP_2) | instskip(NEXT) | instid1(VALU_DEP_2)
	v_readfirstlane_b32 s3, v4
	v_readfirstlane_b32 s8, v2
	s_delay_alu instid0(VALU_DEP_2) | instskip(NEXT) | instid1(VALU_DEP_1)
	s_mul_i32 s43, s26, s3
	s_mul_hi_u32 s51, s26, s8
	s_mul_i32 s50, s42, s8
	s_add_i32 s43, s51, s43
	s_mul_i32 s55, s26, s8
	s_add_i32 s43, s43, s50
	s_mul_hi_u32 s51, s8, s55
	s_mul_hi_u32 s56, s3, s55
	s_mul_i32 s50, s3, s55
	s_mul_hi_u32 s55, s8, s43
	s_mul_i32 s8, s8, s43
	s_mul_hi_u32 s57, s3, s43
	s_add_u32 s8, s51, s8
	s_addc_u32 s51, 0, s55
	s_add_u32 s8, s8, s50
	s_mul_i32 s43, s3, s43
	s_addc_u32 s8, s51, s56
	s_addc_u32 s50, s57, 0
	s_add_u32 s8, s8, s43
	s_addc_u32 s43, 0, s50
	v_add_co_u32 v2, s8, v2, s8
	s_delay_alu instid0(VALU_DEP_1) | instskip(SKIP_1) | instid1(VALU_DEP_1)
	s_cmp_lg_u32 s8, 0
	s_addc_u32 s3, s3, s43
	v_readfirstlane_b32 s8, v2
	s_mul_i32 s43, s26, s3
	s_delay_alu instid0(VALU_DEP_1)
	s_mul_hi_u32 s50, s26, s8
	s_mul_i32 s42, s42, s8
	s_add_i32 s43, s50, s43
	s_mul_i32 s26, s26, s8
	s_add_i32 s43, s43, s42
	s_mul_hi_u32 s50, s3, s26
	s_mul_i32 s51, s3, s26
	s_mul_hi_u32 s26, s8, s26
	s_mul_hi_u32 s55, s8, s43
	s_mul_i32 s8, s8, s43
	s_mul_hi_u32 s42, s3, s43
	s_add_u32 s8, s26, s8
	s_addc_u32 s26, 0, s55
	s_add_u32 s8, s8, s51
	s_mul_i32 s43, s3, s43
	s_addc_u32 s8, s26, s50
	s_addc_u32 s26, s42, 0
	s_add_u32 s8, s8, s43
	s_addc_u32 s26, 0, s26
	v_add_co_u32 v2, s8, v2, s8
	s_delay_alu instid0(VALU_DEP_1) | instskip(SKIP_1) | instid1(VALU_DEP_1)
	s_cmp_lg_u32 s8, 0
	s_addc_u32 s3, s3, s26
	v_readfirstlane_b32 s8, v2
	s_mul_i32 s42, s25, s3
	s_mul_hi_u32 s26, s25, s3
	s_mul_hi_u32 s43, s9, s3
	s_mul_i32 s3, s9, s3
	s_mul_hi_u32 s50, s25, s8
	s_mul_hi_u32 s51, s9, s8
	s_mul_i32 s8, s9, s8
	s_add_u32 s42, s50, s42
	s_addc_u32 s26, 0, s26
	s_add_u32 s8, s42, s8
	s_addc_u32 s8, s26, s51
	s_addc_u32 s26, s43, 0
	s_add_u32 s3, s8, s3
	s_addc_u32 s8, 0, s26
	s_mul_hi_u32 s26, s33, s3
	s_mul_i32 s3, s33, s3
	s_mul_i32 s8, s33, s8
	v_sub_co_u32 v2, s3, s25, s3
	s_add_i32 s26, s26, s8
	s_cmp_lg_u32 s3, 0
	s_delay_alu instid0(VALU_DEP_1) | instskip(SKIP_2) | instid1(VALU_DEP_1)
	v_sub_co_u32 v4, s3, v2, s33
	s_subb_u32 s26, s9, s26
	s_cmp_lg_u32 s3, 0
	v_cmp_le_u32_e32 vcc_lo, s33, v4
	v_sub_co_u32 v5, s3, v4, s33
	s_subb_u32 s42, s26, 0
	s_cmp_lg_u32 s3, 0
	v_cndmask_b32_e64 v8, 0, -1, vcc_lo
	s_subb_u32 s3, s42, 0
	s_cmp_eq_u32 s42, 0
	v_mov_b32_e32 v10, s3
	s_cselect_b32 vcc_lo, -1, 0
	s_cmp_eq_u32 s26, 0
	v_cndmask_b32_e32 v8, -1, v8, vcc_lo
	v_cmp_le_u32_e32 vcc_lo, s33, v2
	s_cselect_b32 s8, -1, 0
	v_cndmask_b32_e64 v9, 0, -1, vcc_lo
	s_delay_alu instid0(VALU_DEP_3) | instskip(NEXT) | instid1(VALU_DEP_2)
	v_cmp_ne_u32_e32 vcc_lo, 0, v8
	v_cndmask_b32_e64 v8, -1, v9, s8
	v_cndmask_b32_e32 v9, s42, v10, vcc_lo
	v_cndmask_b32_e32 v4, v4, v5, vcc_lo
	s_delay_alu instid0(VALU_DEP_3) | instskip(NEXT) | instid1(VALU_DEP_3)
	v_cmp_ne_u32_e32 vcc_lo, 0, v8
	v_cndmask_b32_e32 v5, s26, v9, vcc_lo
	s_delay_alu instid0(VALU_DEP_3)
	v_cndmask_b32_e32 v4, v2, v4, vcc_lo
	s_cbranch_execnz .LBB189_112
.LBB189_111:                            ;   in Loop: Header=BB189_31 Depth=1
	v_cvt_f32_u32_e32 v2, s33
	s_sub_i32 s3, 0, s33
	s_delay_alu instid0(VALU_DEP_1) | instskip(SKIP_2) | instid1(VALU_DEP_1)
	v_rcp_iflag_f32_e32 v2, v2
	s_waitcnt_depctr 0xfff
	v_mul_f32_e32 v2, 0x4f7ffffe, v2
	v_cvt_u32_f32_e32 v2, v2
	s_delay_alu instid0(VALU_DEP_1) | instskip(NEXT) | instid1(VALU_DEP_1)
	v_mul_lo_u32 v4, s3, v2
	v_mul_hi_u32 v4, v2, v4
	s_delay_alu instid0(VALU_DEP_1) | instskip(NEXT) | instid1(VALU_DEP_1)
	v_add_nc_u32_e32 v2, v2, v4
	v_mul_hi_u32 v2, s25, v2
	s_delay_alu instid0(VALU_DEP_1) | instskip(NEXT) | instid1(VALU_DEP_1)
	v_mul_lo_u32 v2, v2, s33
	v_sub_nc_u32_e32 v2, s25, v2
	s_delay_alu instid0(VALU_DEP_1) | instskip(SKIP_1) | instid1(VALU_DEP_2)
	v_subrev_nc_u32_e32 v4, s33, v2
	v_cmp_le_u32_e32 vcc_lo, s33, v2
	v_cndmask_b32_e32 v2, v2, v4, vcc_lo
	s_delay_alu instid0(VALU_DEP_1) | instskip(SKIP_1) | instid1(VALU_DEP_2)
	v_subrev_nc_u32_e32 v4, s33, v2
	v_cmp_le_u32_e32 vcc_lo, s33, v2
	v_cndmask_b32_e32 v18, v2, v4, vcc_lo
	s_delay_alu instid0(VALU_DEP_1)
	v_dual_mov_b32 v4, v18 :: v_dual_mov_b32 v5, v19
.LBB189_112:                            ;   in Loop: Header=BB189_31 Depth=1
	s_delay_alu instid0(VALU_DEP_1) | instskip(NEXT) | instid1(VALU_DEP_2)
	v_sub_co_u32 v38, vcc_lo, s25, v4
	v_sub_co_ci_u32_e32 v39, vcc_lo, s9, v5, vcc_lo
	s_mov_b32 s8, 0
	s_mov_b32 s9, exec_lo
                                        ; implicit-def: $vgpr10_vgpr11
	s_delay_alu instid0(VALU_DEP_1)
	v_cmpx_gt_u64_e64 v[38:39], v[0:1]
	s_cbranch_execz .LBB189_124
; %bb.113:                              ;   in Loop: Header=BB189_31 Depth=1
	v_dual_mov_b32 v18, v51 :: v_dual_mov_b32 v41, v1
	v_mov_b32_e32 v40, v0
	s_mov_b32 s26, 0
                                        ; implicit-def: $sgpr25
	s_set_inst_prefetch_distance 0x1
	s_branch .LBB189_115
	.p2align	6
.LBB189_114:                            ;   in Loop: Header=BB189_115 Depth=2
	s_or_b32 exec_lo, exec_lo, s8
	s_waitcnt lgkmcnt(0)
	s_barrier
	buffer_gl0_inv
	ds_load_b128 v[8:11], v19 offset:3072
	v_add_co_u32 v40, s8, v40, s33
	s_delay_alu instid0(VALU_DEP_1) | instskip(SKIP_3) | instid1(VALU_DEP_2)
	v_add_co_ci_u32_e64 v41, s8, 0, v41, s8
	v_add_nc_u32_e32 v18, s93, v18
	s_waitcnt lgkmcnt(0)
	s_barrier
	v_cmp_ge_u64_e64 s8, v[40:41], v[38:39]
	buffer_gl0_inv
	v_cmp_neq_f64_e32 vcc_lo, 0, v[8:9]
	s_or_b32 s3, s8, vcc_lo
	s_delay_alu instid0(SALU_CYCLE_1) | instskip(NEXT) | instid1(SALU_CYCLE_1)
	s_and_b32 s3, exec_lo, s3
	s_or_b32 s26, s3, s26
	s_and_not1_b32 s3, s25, exec_lo
	s_and_b32 s8, vcc_lo, exec_lo
	s_delay_alu instid0(SALU_CYCLE_1)
	s_or_b32 s25, s3, s8
	s_and_not1_b32 exec_lo, exec_lo, s26
	s_cbranch_execz .LBB189_123
.LBB189_115:                            ;   Parent Loop BB189_31 Depth=1
                                        ; =>  This Inner Loop Header: Depth=2
	s_delay_alu instid0(VALU_DEP_1)
	v_cmp_gt_u64_e32 vcc_lo, s[22:23], v[40:41]
	v_mov_b32_e32 v4, 0
	v_mov_b32_e32 v5, 0
	s_and_saveexec_b32 s8, vcc_lo
	s_cbranch_execz .LBB189_117
; %bb.116:                              ;   in Loop: Header=BB189_115 Depth=2
	ds_load_b64 v[4:5], v18
.LBB189_117:                            ;   in Loop: Header=BB189_115 Depth=2
	s_or_b32 exec_lo, exec_lo, s8
	s_and_saveexec_b32 s8, vcc_lo
	s_cbranch_execz .LBB189_114
; %bb.118:                              ;   in Loop: Header=BB189_115 Depth=2
	s_waitcnt lgkmcnt(0)
	v_cmp_o_f64_e32 vcc_lo, v[4:5], v[4:5]
	v_ashrrev_i32_e32 v2, 31, v5
	s_delay_alu instid0(VALU_DEP_1) | instskip(SKIP_1) | instid1(VALU_DEP_2)
	v_or_b32_e32 v8, 0x80000000, v2
	v_xor_b32_e32 v2, v2, v4
	v_xor_b32_e32 v8, v8, v5
	s_delay_alu instid0(VALU_DEP_1) | instskip(NEXT) | instid1(VALU_DEP_1)
	v_cndmask_b32_e32 v8, -1, v8, vcc_lo
	v_dual_cndmask_b32 v2, -1, v2 :: v_dual_and_b32 v9, v8, v15
	s_delay_alu instid0(VALU_DEP_1) | instskip(NEXT) | instid1(VALU_DEP_1)
	v_and_b32_e32 v8, v2, v14
	v_cmp_eq_u64_e32 vcc_lo, v[8:9], v[12:13]
	s_and_b32 exec_lo, exec_lo, vcc_lo
	s_cbranch_execz .LBB189_114
; %bb.119:                              ;   in Loop: Header=BB189_115 Depth=2
	v_mov_b32_e32 v2, v19
	ds_store_b128 v19, v[2:5] offset:3072
	s_branch .LBB189_114
.LBB189_120:                            ;   in Loop: Header=BB189_31 Depth=1
	s_mov_b32 s55, 0
                                        ; implicit-def: $sgpr70
                                        ; implicit-def: $sgpr71
                                        ; implicit-def: $sgpr25
                                        ; implicit-def: $vgpr2
                                        ; implicit-def: $vgpr38_vgpr39
                                        ; implicit-def: $vgpr12_vgpr13
                                        ; implicit-def: $vgpr14_vgpr15
                                        ; implicit-def: $vgpr10_vgpr11
	s_cbranch_execnz .LBB189_303
.LBB189_121:                            ;   in Loop: Header=BB189_31 Depth=1
	s_mov_b32 s22, s25
	s_mov_b32 s23, s25
	s_and_saveexec_b32 s7, s60
	s_cbranch_execnz .LBB189_499
	s_branch .LBB189_500
.LBB189_122:                            ;   in Loop: Header=BB189_31 Depth=1
	s_mov_b32 s25, -1
	s_mov_b32 s8, 0
                                        ; implicit-def: $sgpr70
                                        ; implicit-def: $vgpr10_vgpr11
	s_mov_b32 s71, s25
	s_cbranch_execnz .LBB189_125
	s_branch .LBB189_138
.LBB189_123:                            ;   in Loop: Header=BB189_31 Depth=1
	s_set_inst_prefetch_distance 0x2
	s_or_b32 exec_lo, exec_lo, s26
	s_delay_alu instid0(SALU_CYCLE_1)
	s_and_b32 s8, s25, exec_lo
.LBB189_124:                            ;   in Loop: Header=BB189_31 Depth=1
	s_or_b32 exec_lo, exec_lo, s9
	s_mov_b32 s70, -1
	s_mov_b32 s25, 0
	s_delay_alu instid0(SALU_CYCLE_1)
	s_mov_b32 s71, s25
	s_branch .LBB189_138
.LBB189_125:                            ;   in Loop: Header=BB189_31 Depth=1
	s_mov_b32 s26, s61
	s_delay_alu instid0(SALU_CYCLE_1)
	s_cmp_lg_u64 s[26:27], 0
	s_cbranch_scc0 .LBB189_167
; %bb.126:                              ;   in Loop: Header=BB189_31 Depth=1
	v_cvt_f32_u32_e32 v2, s33
	s_sub_u32 s9, 0, s33
	s_subb_u32 s22, 0, 0
	s_delay_alu instid0(VALU_DEP_1) | instskip(NEXT) | instid1(VALU_DEP_1)
	v_fmac_f32_e64 v2, 0, 0x4f800000
	v_rcp_f32_e32 v2, v2
	s_waitcnt_depctr 0xfff
	v_mul_f32_e32 v2, 0x5f7ffffc, v2
	s_delay_alu instid0(VALU_DEP_1) | instskip(NEXT) | instid1(VALU_DEP_1)
	v_mul_f32_e32 v4, 0x2f800000, v2
	v_trunc_f32_e32 v4, v4
	s_delay_alu instid0(VALU_DEP_1) | instskip(SKIP_1) | instid1(VALU_DEP_2)
	v_fmac_f32_e32 v2, 0xcf800000, v4
	v_cvt_u32_f32_e32 v4, v4
	v_cvt_u32_f32_e32 v2, v2
	s_delay_alu instid0(VALU_DEP_2) | instskip(NEXT) | instid1(VALU_DEP_2)
	v_readfirstlane_b32 s3, v4
	v_readfirstlane_b32 s8, v2
	s_delay_alu instid0(VALU_DEP_2) | instskip(NEXT) | instid1(VALU_DEP_1)
	s_mul_i32 s23, s9, s3
	s_mul_hi_u32 s26, s9, s8
	s_mul_i32 s25, s22, s8
	s_add_i32 s23, s26, s23
	s_mul_i32 s42, s9, s8
	s_add_i32 s23, s23, s25
	s_mul_hi_u32 s26, s8, s42
	s_mul_hi_u32 s43, s3, s42
	s_mul_i32 s25, s3, s42
	s_mul_hi_u32 s42, s8, s23
	s_mul_i32 s8, s8, s23
	s_mul_hi_u32 s50, s3, s23
	s_add_u32 s8, s26, s8
	s_addc_u32 s26, 0, s42
	s_add_u32 s8, s8, s25
	s_mul_i32 s23, s3, s23
	s_addc_u32 s8, s26, s43
	s_addc_u32 s25, s50, 0
	s_add_u32 s8, s8, s23
	s_addc_u32 s23, 0, s25
	v_add_co_u32 v2, s8, v2, s8
	s_delay_alu instid0(VALU_DEP_1) | instskip(SKIP_1) | instid1(VALU_DEP_1)
	s_cmp_lg_u32 s8, 0
	s_addc_u32 s3, s3, s23
	v_readfirstlane_b32 s8, v2
	s_mul_i32 s23, s9, s3
	s_delay_alu instid0(VALU_DEP_1)
	s_mul_hi_u32 s25, s9, s8
	s_mul_i32 s22, s22, s8
	s_add_i32 s23, s25, s23
	s_mul_i32 s9, s9, s8
	s_add_i32 s23, s23, s22
	s_mul_hi_u32 s25, s3, s9
	s_mul_i32 s26, s3, s9
	s_mul_hi_u32 s9, s8, s9
	s_mul_hi_u32 s42, s8, s23
	s_mul_i32 s8, s8, s23
	s_mul_hi_u32 s22, s3, s23
	s_add_u32 s8, s9, s8
	s_addc_u32 s9, 0, s42
	s_add_u32 s8, s8, s26
	s_mul_i32 s23, s3, s23
	s_addc_u32 s8, s9, s25
	s_addc_u32 s9, s22, 0
	s_add_u32 s8, s8, s23
	s_addc_u32 s9, 0, s9
	v_add_co_u32 v2, s8, v2, s8
	s_delay_alu instid0(VALU_DEP_1) | instskip(SKIP_1) | instid1(VALU_DEP_1)
	s_cmp_lg_u32 s8, 0
	s_addc_u32 s3, s3, s9
	v_readfirstlane_b32 s8, v2
	s_mul_i32 s22, s87, s3
	s_mul_hi_u32 s9, s87, s3
	s_mul_hi_u32 s23, s27, s3
	s_mul_i32 s3, s27, s3
	s_mul_hi_u32 s25, s87, s8
	s_mul_hi_u32 s26, s27, s8
	s_mul_i32 s8, s27, s8
	s_add_u32 s22, s25, s22
	s_addc_u32 s9, 0, s9
	s_add_u32 s8, s22, s8
	s_addc_u32 s8, s9, s26
	s_addc_u32 s9, s23, 0
	s_add_u32 s3, s8, s3
	s_addc_u32 s8, 0, s9
	s_mul_hi_u32 s9, s33, s3
	s_mul_i32 s3, s33, s3
	s_mul_i32 s8, s33, s8
	v_sub_co_u32 v2, s3, s87, s3
	s_add_i32 s9, s9, s8
	s_cmp_lg_u32 s3, 0
	s_delay_alu instid0(VALU_DEP_1) | instskip(SKIP_2) | instid1(VALU_DEP_1)
	v_sub_co_u32 v4, s3, v2, s33
	s_subb_u32 s9, s27, s9
	s_cmp_lg_u32 s3, 0
	v_cmp_le_u32_e32 vcc_lo, s33, v4
	v_sub_co_u32 v5, s3, v4, s33
	s_subb_u32 s22, s9, 0
	s_cmp_lg_u32 s3, 0
	v_cndmask_b32_e64 v8, 0, -1, vcc_lo
	s_subb_u32 s3, s22, 0
	s_cmp_eq_u32 s22, 0
	v_mov_b32_e32 v10, s3
	s_cselect_b32 vcc_lo, -1, 0
	s_cmp_eq_u32 s9, 0
	v_cndmask_b32_e32 v8, -1, v8, vcc_lo
	v_cmp_le_u32_e32 vcc_lo, s33, v2
	s_cselect_b32 s8, -1, 0
	v_cndmask_b32_e64 v9, 0, -1, vcc_lo
	s_delay_alu instid0(VALU_DEP_3) | instskip(NEXT) | instid1(VALU_DEP_2)
	v_cmp_ne_u32_e32 vcc_lo, 0, v8
	v_cndmask_b32_e64 v8, -1, v9, s8
	v_cndmask_b32_e32 v9, s22, v10, vcc_lo
	v_cndmask_b32_e32 v4, v4, v5, vcc_lo
	s_delay_alu instid0(VALU_DEP_3) | instskip(NEXT) | instid1(VALU_DEP_3)
	v_cmp_ne_u32_e32 vcc_lo, 0, v8
	v_cndmask_b32_e32 v5, s9, v9, vcc_lo
	s_delay_alu instid0(VALU_DEP_3)
	v_cndmask_b32_e32 v4, v2, v4, vcc_lo
	s_cbranch_execnz .LBB189_128
.LBB189_127:                            ;   in Loop: Header=BB189_31 Depth=1
	v_cvt_f32_u32_e32 v2, s33
	s_sub_i32 s3, 0, s33
	s_delay_alu instid0(VALU_DEP_1) | instskip(SKIP_2) | instid1(VALU_DEP_1)
	v_rcp_iflag_f32_e32 v2, v2
	s_waitcnt_depctr 0xfff
	v_mul_f32_e32 v2, 0x4f7ffffe, v2
	v_cvt_u32_f32_e32 v2, v2
	s_delay_alu instid0(VALU_DEP_1) | instskip(NEXT) | instid1(VALU_DEP_1)
	v_mul_lo_u32 v4, s3, v2
	v_mul_hi_u32 v4, v2, v4
	s_delay_alu instid0(VALU_DEP_1) | instskip(NEXT) | instid1(VALU_DEP_1)
	v_add_nc_u32_e32 v2, v2, v4
	v_mul_hi_u32 v2, s87, v2
	s_delay_alu instid0(VALU_DEP_1) | instskip(NEXT) | instid1(VALU_DEP_1)
	v_mul_lo_u32 v2, v2, s33
	v_sub_nc_u32_e32 v2, s87, v2
	s_delay_alu instid0(VALU_DEP_1) | instskip(SKIP_1) | instid1(VALU_DEP_2)
	v_subrev_nc_u32_e32 v4, s33, v2
	v_cmp_le_u32_e32 vcc_lo, s33, v2
	v_cndmask_b32_e32 v2, v2, v4, vcc_lo
	s_delay_alu instid0(VALU_DEP_1) | instskip(SKIP_1) | instid1(VALU_DEP_2)
	v_subrev_nc_u32_e32 v4, s33, v2
	v_cmp_le_u32_e32 vcc_lo, s33, v2
	v_cndmask_b32_e32 v18, v2, v4, vcc_lo
	s_delay_alu instid0(VALU_DEP_1)
	v_dual_mov_b32 v4, v18 :: v_dual_mov_b32 v5, v19
.LBB189_128:                            ;   in Loop: Header=BB189_31 Depth=1
	s_delay_alu instid0(VALU_DEP_1) | instskip(NEXT) | instid1(VALU_DEP_2)
	v_sub_co_u32 v38, vcc_lo, s87, v4
	v_sub_co_ci_u32_e32 v39, vcc_lo, s27, v5, vcc_lo
	s_mov_b32 s8, 0
	s_mov_b32 s9, exec_lo
                                        ; implicit-def: $vgpr10_vgpr11
	s_delay_alu instid0(VALU_DEP_1)
	v_cmpx_gt_u64_e64 v[38:39], v[0:1]
	s_cbranch_execz .LBB189_137
; %bb.129:                              ;   in Loop: Header=BB189_31 Depth=1
	v_dual_mov_b32 v41, v31 :: v_dual_mov_b32 v40, v30
	v_dual_mov_b32 v43, v1 :: v_dual_mov_b32 v42, v0
	s_mov_b32 s23, 0
                                        ; implicit-def: $sgpr22
	s_branch .LBB189_131
.LBB189_130:                            ;   in Loop: Header=BB189_131 Depth=2
	s_or_b32 exec_lo, exec_lo, s8
	s_waitcnt vmcnt(0) lgkmcnt(0)
	s_barrier
	buffer_gl0_inv
	ds_load_b128 v[8:11], v19 offset:3072
	v_add_co_u32 v42, s8, v42, s33
	s_delay_alu instid0(VALU_DEP_1)
	v_add_co_ci_u32_e64 v43, s8, 0, v43, s8
	s_waitcnt lgkmcnt(0)
	s_barrier
	buffer_gl0_inv
	v_cmp_ge_u64_e64 s8, v[42:43], v[38:39]
	v_cmp_neq_f64_e32 vcc_lo, 0, v[8:9]
	s_delay_alu instid0(VALU_DEP_2)
	s_or_b32 s3, s8, vcc_lo
	v_add_co_u32 v40, s8, v40, s34
	s_and_b32 s3, exec_lo, s3
	v_add_co_ci_u32_e64 v41, s8, s35, v41, s8
	s_or_b32 s23, s3, s23
	s_and_not1_b32 s3, s22, exec_lo
	s_and_b32 s8, vcc_lo, exec_lo
	s_delay_alu instid0(SALU_CYCLE_1)
	s_or_b32 s22, s3, s8
	s_and_not1_b32 exec_lo, exec_lo, s23
	s_cbranch_execz .LBB189_136
.LBB189_131:                            ;   Parent Loop BB189_31 Depth=1
                                        ; =>  This Inner Loop Header: Depth=2
	s_delay_alu instid0(VALU_DEP_1)
	v_cmp_gt_u64_e32 vcc_lo, s[36:37], v[42:43]
	v_mov_b32_e32 v4, 0
	v_mov_b32_e32 v5, 0
	s_and_saveexec_b32 s8, vcc_lo
	s_cbranch_execz .LBB189_133
; %bb.132:                              ;   in Loop: Header=BB189_131 Depth=2
	global_load_b64 v[4:5], v[40:41], off
.LBB189_133:                            ;   in Loop: Header=BB189_131 Depth=2
	s_or_b32 exec_lo, exec_lo, s8
	s_and_saveexec_b32 s8, vcc_lo
	s_cbranch_execz .LBB189_130
; %bb.134:                              ;   in Loop: Header=BB189_131 Depth=2
	s_waitcnt vmcnt(0)
	v_cmp_o_f64_e32 vcc_lo, v[4:5], v[4:5]
	v_ashrrev_i32_e32 v2, 31, v5
	s_delay_alu instid0(VALU_DEP_1) | instskip(SKIP_1) | instid1(VALU_DEP_2)
	v_or_b32_e32 v8, 0x80000000, v2
	v_xor_b32_e32 v2, v2, v4
	v_xor_b32_e32 v8, v8, v5
	s_delay_alu instid0(VALU_DEP_1) | instskip(NEXT) | instid1(VALU_DEP_1)
	v_cndmask_b32_e32 v8, -1, v8, vcc_lo
	v_dual_cndmask_b32 v2, -1, v2 :: v_dual_and_b32 v9, v8, v15
	s_delay_alu instid0(VALU_DEP_1) | instskip(NEXT) | instid1(VALU_DEP_1)
	v_and_b32_e32 v8, v2, v14
	v_cmp_eq_u64_e32 vcc_lo, v[8:9], v[12:13]
	s_and_b32 exec_lo, exec_lo, vcc_lo
	s_cbranch_execz .LBB189_130
; %bb.135:                              ;   in Loop: Header=BB189_131 Depth=2
	v_mov_b32_e32 v2, v19
	ds_store_b128 v19, v[2:5] offset:3072
	s_branch .LBB189_130
.LBB189_136:                            ;   in Loop: Header=BB189_31 Depth=1
	s_or_b32 exec_lo, exec_lo, s23
	s_delay_alu instid0(SALU_CYCLE_1)
	s_and_b32 s8, s22, exec_lo
.LBB189_137:                            ;   in Loop: Header=BB189_31 Depth=1
	s_or_b32 exec_lo, exec_lo, s9
	s_mov_b32 s71, -1
	s_mov_b32 s25, 0
	s_mov_b32 s70, 0
.LBB189_138:                            ;   in Loop: Header=BB189_31 Depth=1
	s_or_not1_b32 s8, s8, exec_lo
.LBB189_139:                            ;   in Loop: Header=BB189_31 Depth=1
	s_or_b32 exec_lo, exec_lo, s47
	s_mov_b32 s72, 0
	s_mov_b32 s60, 0
	;; [unrolled: 1-line block ×3, first 2 shown]
                                        ; implicit-def: $vgpr2
                                        ; implicit-def: $vgpr38_vgpr39
	s_and_saveexec_b32 s73, s8
	s_cbranch_execz .LBB189_302
; %bb.140:                              ;   in Loop: Header=BB189_31 Depth=1
	v_mov_b32_e32 v38, 1
	v_dual_mov_b32 v39, 0 :: v_dual_mov_b32 v2, 1
	s_xor_b32 s3, s46, -1
	s_mov_b32 s26, 0
	s_and_saveexec_b32 s8, s3
	s_cbranch_execz .LBB189_150
; %bb.141:                              ;   in Loop: Header=BB189_31 Depth=1
                                        ; implicit-def: $sgpr23
                                        ; implicit-def: $sgpr9
	s_mov_b32 s3, exec_lo
	v_cmpx_ge_u64_e64 s[10:11], v[36:37]
	s_xor_b32 s22, exec_lo, s3
	s_cbranch_execz .LBB189_147
; %bb.142:                              ;   in Loop: Header=BB189_31 Depth=1
	ds_load_b64 v[4:5], v19 offset:5120
	s_waitcnt lgkmcnt(0)
	v_cmp_ne_u64_e32 vcc_lo, 0, v[4:5]
	s_cbranch_vccnz .LBB189_146
; %bb.143:                              ;   in Loop: Header=BB189_31 Depth=1
	s_and_saveexec_b32 s9, s5
	s_cbranch_execz .LBB189_145
; %bb.144:                              ;   in Loop: Header=BB189_31 Depth=1
	v_dual_mov_b32 v4, s10 :: v_dual_mov_b32 v5, s11
	ds_store_b64 v19, v[4:5] offset:5128
.LBB189_145:                            ;   in Loop: Header=BB189_31 Depth=1
	s_or_b32 exec_lo, exec_lo, s9
	s_waitcnt lgkmcnt(0)
	s_barrier
	buffer_gl0_inv
.LBB189_146:                            ;   in Loop: Header=BB189_31 Depth=1
	v_and_b32_e32 v13, s15, v13
	v_and_b32_e32 v12, s14, v12
	v_or_b32_e32 v15, s13, v15
	v_or_b32_e32 v14, s12, v14
	s_mov_b32 s9, 0
	s_mov_b32 s23, 8
.LBB189_147:                            ;   in Loop: Header=BB189_31 Depth=1
	s_or_saveexec_b32 s22, s22
	v_dual_mov_b32 v2, s23 :: v_dual_mov_b32 v39, v37
	v_mov_b32_e32 v38, v36
	s_xor_b32 exec_lo, exec_lo, s22
; %bb.148:                              ;   in Loop: Header=BB189_31 Depth=1
	v_sub_co_u32 v38, vcc_lo, v36, s10
	v_subrev_co_ci_u32_e32 v39, vcc_lo, s11, v37, vcc_lo
	v_mov_b32_e32 v2, 0
	s_or_b32 s9, s9, exec_lo
; %bb.149:                              ;   in Loop: Header=BB189_31 Depth=1
	s_or_b32 exec_lo, exec_lo, s22
	s_delay_alu instid0(SALU_CYCLE_1)
	s_and_b32 s26, s9, exec_lo
.LBB189_150:                            ;   in Loop: Header=BB189_31 Depth=1
	s_or_b32 exec_lo, exec_lo, s8
	s_mov_b32 s46, -1
                                        ; implicit-def: $sgpr9
                                        ; implicit-def: $sgpr22
                                        ; implicit-def: $sgpr23
	s_and_saveexec_b32 s3, s26
	s_delay_alu instid0(SALU_CYCLE_1)
	s_xor_b32 s55, exec_lo, s3
	s_cbranch_execz .LBB189_299
; %bb.151:                              ;   in Loop: Header=BB189_31 Depth=1
	v_cmp_eq_u64_e32 vcc_lo, 1, v[38:39]
	s_cmp_eq_u64 s[16:17], 1
                                        ; implicit-def: $sgpr60
                                        ; implicit-def: $sgpr75
                                        ; implicit-def: $sgpr74
	s_cselect_b32 s8, -1, 0
	s_delay_alu instid0(SALU_CYCLE_1)
	s_and_b32 s46, s8, vcc_lo
	s_mov_b32 s8, -1
	s_and_saveexec_b32 s47, s46
	s_cbranch_execz .LBB189_185
; %bb.152:                              ;   in Loop: Header=BB189_31 Depth=1
	ds_load_b64 v[4:5], v19 offset:5120
	s_waitcnt lgkmcnt(0)
	s_barrier
	buffer_gl0_inv
	v_readfirstlane_b32 s22, v4
	v_readfirstlane_b32 s23, v5
	s_and_saveexec_b32 s8, s6
	s_cbranch_execz .LBB189_154
; %bb.153:                              ;   in Loop: Header=BB189_31 Depth=1
	v_mov_b32_e32 v18, v19
	ds_store_b64 v52, v[18:19]
.LBB189_154:                            ;   in Loop: Header=BB189_31 Depth=1
	s_or_b32 exec_lo, exec_lo, s8
	v_and_b32_e32 v2, s15, v13
	v_and_b32_e32 v4, s14, v12
	s_lshl_b64 s[8:9], 1, s24
	v_or_b32_e32 v15, s13, v15
	v_or_b32_e32 v14, s12, v14
	;; [unrolled: 1-line block ×4, first 2 shown]
	s_cmp_eq_u64 s[22:23], 0
	s_waitcnt lgkmcnt(0)
	s_barrier
	buffer_gl0_inv
	s_cbranch_scc1 .LBB189_168
; %bb.155:                              ;   in Loop: Header=BB189_31 Depth=1
	s_add_u32 s26, s85, s22
	s_addc_u32 s9, s86, s23
	s_mov_b32 s8, s61
	s_delay_alu instid0(SALU_CYCLE_1)
	s_cmp_lg_u64 s[8:9], 0
	s_cbranch_scc0 .LBB189_212
; %bb.156:                              ;   in Loop: Header=BB189_31 Depth=1
	v_cvt_f32_u32_e32 v2, s33
	s_sub_u32 s57, 0, s33
	s_subb_u32 s58, 0, 0
	s_delay_alu instid0(VALU_DEP_1) | instskip(NEXT) | instid1(VALU_DEP_1)
	v_fmac_f32_e64 v2, 0, 0x4f800000
	v_rcp_f32_e32 v2, v2
	s_waitcnt_depctr 0xfff
	v_mul_f32_e32 v2, 0x5f7ffffc, v2
	s_delay_alu instid0(VALU_DEP_1) | instskip(NEXT) | instid1(VALU_DEP_1)
	v_mul_f32_e32 v4, 0x2f800000, v2
	v_trunc_f32_e32 v4, v4
	s_delay_alu instid0(VALU_DEP_1) | instskip(SKIP_1) | instid1(VALU_DEP_2)
	v_fmac_f32_e32 v2, 0xcf800000, v4
	v_cvt_u32_f32_e32 v4, v4
	v_cvt_u32_f32_e32 v2, v2
	s_delay_alu instid0(VALU_DEP_2) | instskip(NEXT) | instid1(VALU_DEP_2)
	v_readfirstlane_b32 s8, v4
	v_readfirstlane_b32 s56, v2
	s_delay_alu instid0(VALU_DEP_2) | instskip(NEXT) | instid1(VALU_DEP_1)
	s_mul_i32 s59, s57, s8
	s_mul_hi_u32 s74, s57, s56
	s_mul_i32 s60, s58, s56
	s_add_i32 s59, s74, s59
	s_mul_i32 s75, s57, s56
	s_add_i32 s59, s59, s60
	s_mul_hi_u32 s74, s56, s75
	s_mul_hi_u32 s76, s8, s75
	s_mul_i32 s60, s8, s75
	s_mul_hi_u32 s75, s56, s59
	s_mul_i32 s56, s56, s59
	s_mul_hi_u32 s77, s8, s59
	s_add_u32 s56, s74, s56
	s_addc_u32 s74, 0, s75
	s_add_u32 s56, s56, s60
	s_mul_i32 s59, s8, s59
	s_addc_u32 s56, s74, s76
	s_addc_u32 s60, s77, 0
	s_add_u32 s56, s56, s59
	s_addc_u32 s59, 0, s60
	v_add_co_u32 v2, s56, v2, s56
	s_delay_alu instid0(VALU_DEP_1) | instskip(SKIP_1) | instid1(VALU_DEP_1)
	s_cmp_lg_u32 s56, 0
	s_addc_u32 s8, s8, s59
	v_readfirstlane_b32 s56, v2
	s_mul_i32 s59, s57, s8
	s_delay_alu instid0(VALU_DEP_1)
	s_mul_hi_u32 s60, s57, s56
	s_mul_i32 s58, s58, s56
	s_add_i32 s59, s60, s59
	s_mul_i32 s57, s57, s56
	s_add_i32 s59, s59, s58
	s_mul_hi_u32 s60, s8, s57
	s_mul_i32 s74, s8, s57
	s_mul_hi_u32 s57, s56, s57
	s_mul_hi_u32 s75, s56, s59
	s_mul_i32 s56, s56, s59
	s_mul_hi_u32 s58, s8, s59
	s_add_u32 s56, s57, s56
	s_addc_u32 s57, 0, s75
	s_add_u32 s56, s56, s74
	s_mul_i32 s59, s8, s59
	s_addc_u32 s56, s57, s60
	s_addc_u32 s57, s58, 0
	s_add_u32 s56, s56, s59
	s_addc_u32 s57, 0, s57
	v_add_co_u32 v2, s56, v2, s56
	s_delay_alu instid0(VALU_DEP_1) | instskip(SKIP_1) | instid1(VALU_DEP_1)
	s_cmp_lg_u32 s56, 0
	s_addc_u32 s8, s8, s57
	v_readfirstlane_b32 s56, v2
	s_mul_i32 s58, s26, s8
	s_mul_hi_u32 s57, s26, s8
	s_mul_hi_u32 s59, s9, s8
	s_mul_i32 s8, s9, s8
	s_mul_hi_u32 s60, s26, s56
	s_mul_hi_u32 s74, s9, s56
	s_mul_i32 s56, s9, s56
	s_add_u32 s58, s60, s58
	s_addc_u32 s57, 0, s57
	s_add_u32 s56, s58, s56
	s_addc_u32 s56, s57, s74
	s_addc_u32 s57, s59, 0
	s_add_u32 s8, s56, s8
	s_addc_u32 s56, 0, s57
	s_mul_hi_u32 s57, s33, s8
	s_mul_i32 s8, s33, s8
	s_mul_i32 s56, s33, s56
	v_sub_co_u32 v2, s8, s26, s8
	s_add_i32 s57, s57, s56
	s_cmp_lg_u32 s8, 0
	s_delay_alu instid0(VALU_DEP_1) | instskip(SKIP_3) | instid1(VALU_DEP_2)
	v_sub_co_u32 v4, s8, v2, s33
	s_subb_u32 s56, s9, s57
	s_cmp_lg_u32 s8, 0
	v_cmp_le_u32_e32 vcc_lo, s33, v2
	v_cmp_le_u32_e64 s8, s33, v4
	v_sub_co_u32 v5, s57, v4, s33
	s_subb_u32 s58, s56, 0
	s_cmp_lg_u32 s57, 0
	s_delay_alu instid0(VALU_DEP_2)
	v_cndmask_b32_e64 v8, 0, -1, s8
	s_subb_u32 s57, s58, 0
	s_cmp_eq_u32 s58, 0
	v_cndmask_b32_e64 v9, 0, -1, vcc_lo
	s_cselect_b32 vcc_lo, -1, 0
	s_cmp_eq_u32 s56, 0
	v_cndmask_b32_e32 v8, -1, v8, vcc_lo
	s_cselect_b32 vcc_lo, -1, 0
	v_dual_mov_b32 v10, s57 :: v_dual_cndmask_b32 v9, -1, v9
	s_delay_alu instid0(VALU_DEP_2) | instskip(NEXT) | instid1(VALU_DEP_2)
	v_cmp_ne_u32_e32 vcc_lo, 0, v8
	v_cmp_ne_u32_e64 s8, 0, v9
	s_delay_alu instid0(VALU_DEP_3) | instskip(SKIP_1) | instid1(VALU_DEP_2)
	v_cndmask_b32_e32 v8, s58, v10, vcc_lo
	v_cndmask_b32_e32 v4, v4, v5, vcc_lo
	v_cndmask_b32_e64 v5, s56, v8, s8
	s_delay_alu instid0(VALU_DEP_2)
	v_cndmask_b32_e64 v4, v2, v4, s8
	s_cbranch_execnz .LBB189_158
.LBB189_157:                            ;   in Loop: Header=BB189_31 Depth=1
	v_cvt_f32_u32_e32 v2, s33
	s_sub_i32 s8, 0, s33
	s_delay_alu instid0(VALU_DEP_1) | instskip(SKIP_2) | instid1(VALU_DEP_1)
	v_rcp_iflag_f32_e32 v2, v2
	s_waitcnt_depctr 0xfff
	v_mul_f32_e32 v2, 0x4f7ffffe, v2
	v_cvt_u32_f32_e32 v2, v2
	s_delay_alu instid0(VALU_DEP_1) | instskip(NEXT) | instid1(VALU_DEP_1)
	v_mul_lo_u32 v4, s8, v2
	v_mul_hi_u32 v4, v2, v4
	s_delay_alu instid0(VALU_DEP_1) | instskip(NEXT) | instid1(VALU_DEP_1)
	v_add_nc_u32_e32 v2, v2, v4
	v_mul_hi_u32 v2, s26, v2
	s_delay_alu instid0(VALU_DEP_1) | instskip(NEXT) | instid1(VALU_DEP_1)
	v_mul_lo_u32 v2, v2, s33
	v_sub_nc_u32_e32 v2, s26, v2
	s_delay_alu instid0(VALU_DEP_1) | instskip(SKIP_1) | instid1(VALU_DEP_2)
	v_subrev_nc_u32_e32 v4, s33, v2
	v_cmp_le_u32_e32 vcc_lo, s33, v2
	v_cndmask_b32_e32 v2, v2, v4, vcc_lo
	s_delay_alu instid0(VALU_DEP_1) | instskip(SKIP_1) | instid1(VALU_DEP_2)
	v_subrev_nc_u32_e32 v4, s33, v2
	v_cmp_le_u32_e32 vcc_lo, s33, v2
	v_cndmask_b32_e32 v18, v2, v4, vcc_lo
	s_delay_alu instid0(VALU_DEP_1)
	v_dual_mov_b32 v4, v18 :: v_dual_mov_b32 v5, v19
.LBB189_158:                            ;   in Loop: Header=BB189_31 Depth=1
	s_delay_alu instid0(VALU_DEP_1) | instskip(NEXT) | instid1(VALU_DEP_2)
	v_sub_co_u32 v40, vcc_lo, s26, v4
	v_sub_co_ci_u32_e32 v41, vcc_lo, s9, v5, vcc_lo
	s_mov_b32 s8, 0
	s_mov_b32 s9, exec_lo
                                        ; implicit-def: $vgpr10_vgpr11
	s_delay_alu instid0(VALU_DEP_1)
	v_cmpx_gt_u64_e64 v[40:41], v[0:1]
	s_cbranch_execz .LBB189_170
; %bb.159:                              ;   in Loop: Header=BB189_31 Depth=1
	v_dual_mov_b32 v18, v51 :: v_dual_mov_b32 v43, v1
	v_mov_b32_e32 v42, v0
	s_mov_b32 s56, 0
                                        ; implicit-def: $sgpr26
	s_set_inst_prefetch_distance 0x1
	s_branch .LBB189_161
	.p2align	6
.LBB189_160:                            ;   in Loop: Header=BB189_161 Depth=2
	s_or_b32 exec_lo, exec_lo, s8
	s_waitcnt lgkmcnt(0)
	s_barrier
	buffer_gl0_inv
	ds_load_b128 v[8:11], v19 offset:3072
	v_add_co_u32 v42, s8, v42, s33
	s_delay_alu instid0(VALU_DEP_1) | instskip(SKIP_3) | instid1(VALU_DEP_2)
	v_add_co_ci_u32_e64 v43, s8, 0, v43, s8
	v_add_nc_u32_e32 v18, s93, v18
	s_waitcnt lgkmcnt(0)
	s_barrier
	v_cmp_ge_u64_e64 s8, v[42:43], v[40:41]
	buffer_gl0_inv
	v_cmp_neq_f64_e32 vcc_lo, 0, v[8:9]
	s_or_b32 s8, s8, vcc_lo
	s_delay_alu instid0(SALU_CYCLE_1) | instskip(NEXT) | instid1(SALU_CYCLE_1)
	s_and_b32 s8, exec_lo, s8
	s_or_b32 s56, s8, s56
	s_and_not1_b32 s8, s26, exec_lo
	s_and_b32 s26, vcc_lo, exec_lo
	s_delay_alu instid0(SALU_CYCLE_1)
	s_or_b32 s26, s8, s26
	s_and_not1_b32 exec_lo, exec_lo, s56
	s_cbranch_execz .LBB189_169
.LBB189_161:                            ;   Parent Loop BB189_31 Depth=1
                                        ; =>  This Inner Loop Header: Depth=2
	s_delay_alu instid0(VALU_DEP_1)
	v_cmp_gt_u64_e32 vcc_lo, s[22:23], v[42:43]
	v_mov_b32_e32 v4, 0
	v_mov_b32_e32 v5, 0
	s_and_saveexec_b32 s8, vcc_lo
	s_cbranch_execz .LBB189_163
; %bb.162:                              ;   in Loop: Header=BB189_161 Depth=2
	ds_load_b64 v[4:5], v18
.LBB189_163:                            ;   in Loop: Header=BB189_161 Depth=2
	s_or_b32 exec_lo, exec_lo, s8
	s_and_saveexec_b32 s8, vcc_lo
	s_cbranch_execz .LBB189_160
; %bb.164:                              ;   in Loop: Header=BB189_161 Depth=2
	s_waitcnt lgkmcnt(0)
	v_cmp_o_f64_e32 vcc_lo, v[4:5], v[4:5]
	v_ashrrev_i32_e32 v2, 31, v5
	s_delay_alu instid0(VALU_DEP_1) | instskip(SKIP_1) | instid1(VALU_DEP_2)
	v_or_b32_e32 v8, 0x80000000, v2
	v_xor_b32_e32 v2, v2, v4
	v_xor_b32_e32 v8, v8, v5
	s_delay_alu instid0(VALU_DEP_1) | instskip(NEXT) | instid1(VALU_DEP_1)
	v_cndmask_b32_e32 v8, -1, v8, vcc_lo
	v_dual_cndmask_b32 v2, -1, v2 :: v_dual_and_b32 v9, v8, v15
	s_delay_alu instid0(VALU_DEP_1) | instskip(NEXT) | instid1(VALU_DEP_1)
	v_and_b32_e32 v8, v2, v14
	v_cmp_eq_u64_e32 vcc_lo, v[8:9], v[12:13]
	s_and_b32 exec_lo, exec_lo, vcc_lo
	s_cbranch_execz .LBB189_160
; %bb.165:                              ;   in Loop: Header=BB189_161 Depth=2
	v_mov_b32_e32 v2, v19
	ds_store_b128 v19, v[2:5] offset:3072
	s_branch .LBB189_160
.LBB189_166:                            ;   in Loop: Header=BB189_31 Depth=1
                                        ; implicit-def: $vgpr4_vgpr5
	s_branch .LBB189_111
.LBB189_167:                            ;   in Loop: Header=BB189_31 Depth=1
                                        ; implicit-def: $vgpr4_vgpr5
	s_branch .LBB189_127
.LBB189_168:                            ;   in Loop: Header=BB189_31 Depth=1
	s_mov_b32 s60, -1
	s_mov_b32 s8, 0
                                        ; implicit-def: $sgpr74
                                        ; implicit-def: $vgpr10_vgpr11
	s_mov_b32 s75, s60
	s_cbranch_execnz .LBB189_171
	s_branch .LBB189_184
.LBB189_169:                            ;   in Loop: Header=BB189_31 Depth=1
	s_set_inst_prefetch_distance 0x2
	s_or_b32 exec_lo, exec_lo, s56
	s_delay_alu instid0(SALU_CYCLE_1)
	s_and_b32 s8, s26, exec_lo
.LBB189_170:                            ;   in Loop: Header=BB189_31 Depth=1
	s_or_b32 exec_lo, exec_lo, s9
	s_mov_b32 s74, -1
	s_mov_b32 s60, 0
	s_delay_alu instid0(SALU_CYCLE_1)
	s_mov_b32 s75, s60
	s_branch .LBB189_184
.LBB189_171:                            ;   in Loop: Header=BB189_31 Depth=1
	s_mov_b32 s26, s61
	s_delay_alu instid0(SALU_CYCLE_1)
	s_cmp_lg_u64 s[26:27], 0
	s_cbranch_scc0 .LBB189_213
; %bb.172:                              ;   in Loop: Header=BB189_31 Depth=1
	v_cvt_f32_u32_e32 v2, s33
	s_sub_u32 s22, 0, s33
	s_subb_u32 s23, 0, 0
	s_delay_alu instid0(VALU_DEP_1) | instskip(NEXT) | instid1(VALU_DEP_1)
	v_fmac_f32_e64 v2, 0, 0x4f800000
	v_rcp_f32_e32 v2, v2
	s_waitcnt_depctr 0xfff
	v_mul_f32_e32 v2, 0x5f7ffffc, v2
	s_delay_alu instid0(VALU_DEP_1) | instskip(NEXT) | instid1(VALU_DEP_1)
	v_mul_f32_e32 v4, 0x2f800000, v2
	v_trunc_f32_e32 v4, v4
	s_delay_alu instid0(VALU_DEP_1) | instskip(SKIP_1) | instid1(VALU_DEP_2)
	v_fmac_f32_e32 v2, 0xcf800000, v4
	v_cvt_u32_f32_e32 v4, v4
	v_cvt_u32_f32_e32 v2, v2
	s_delay_alu instid0(VALU_DEP_2) | instskip(NEXT) | instid1(VALU_DEP_2)
	v_readfirstlane_b32 s8, v4
	v_readfirstlane_b32 s9, v2
	s_delay_alu instid0(VALU_DEP_2) | instskip(NEXT) | instid1(VALU_DEP_1)
	s_mul_i32 s26, s22, s8
	s_mul_hi_u32 s57, s22, s9
	s_mul_i32 s56, s23, s9
	s_add_i32 s26, s57, s26
	s_mul_i32 s58, s22, s9
	s_add_i32 s26, s26, s56
	s_mul_hi_u32 s57, s9, s58
	s_mul_hi_u32 s59, s8, s58
	s_mul_i32 s56, s8, s58
	s_mul_hi_u32 s58, s9, s26
	s_mul_i32 s9, s9, s26
	s_mul_hi_u32 s60, s8, s26
	s_add_u32 s9, s57, s9
	s_addc_u32 s57, 0, s58
	s_add_u32 s9, s9, s56
	s_mul_i32 s26, s8, s26
	s_addc_u32 s9, s57, s59
	s_addc_u32 s56, s60, 0
	s_add_u32 s9, s9, s26
	s_addc_u32 s26, 0, s56
	v_add_co_u32 v2, s9, v2, s9
	s_delay_alu instid0(VALU_DEP_1) | instskip(SKIP_1) | instid1(VALU_DEP_1)
	s_cmp_lg_u32 s9, 0
	s_addc_u32 s8, s8, s26
	v_readfirstlane_b32 s9, v2
	s_mul_i32 s26, s22, s8
	s_delay_alu instid0(VALU_DEP_1)
	s_mul_hi_u32 s56, s22, s9
	s_mul_i32 s23, s23, s9
	s_add_i32 s26, s56, s26
	s_mul_i32 s22, s22, s9
	s_add_i32 s26, s26, s23
	s_mul_hi_u32 s56, s8, s22
	s_mul_i32 s57, s8, s22
	s_mul_hi_u32 s22, s9, s22
	s_mul_hi_u32 s58, s9, s26
	s_mul_i32 s9, s9, s26
	s_mul_hi_u32 s23, s8, s26
	s_add_u32 s9, s22, s9
	s_addc_u32 s22, 0, s58
	s_add_u32 s9, s9, s57
	s_mul_i32 s26, s8, s26
	s_addc_u32 s9, s22, s56
	s_addc_u32 s22, s23, 0
	s_add_u32 s9, s9, s26
	s_addc_u32 s22, 0, s22
	v_add_co_u32 v2, s9, v2, s9
	s_delay_alu instid0(VALU_DEP_1) | instskip(SKIP_1) | instid1(VALU_DEP_1)
	s_cmp_lg_u32 s9, 0
	s_addc_u32 s8, s8, s22
	v_readfirstlane_b32 s9, v2
	s_mul_i32 s23, s87, s8
	s_mul_hi_u32 s22, s87, s8
	s_mul_hi_u32 s26, s27, s8
	s_mul_i32 s8, s27, s8
	s_mul_hi_u32 s56, s87, s9
	s_mul_hi_u32 s57, s27, s9
	s_mul_i32 s9, s27, s9
	s_add_u32 s23, s56, s23
	s_addc_u32 s22, 0, s22
	s_add_u32 s9, s23, s9
	s_addc_u32 s9, s22, s57
	s_addc_u32 s22, s26, 0
	s_add_u32 s8, s9, s8
	s_addc_u32 s9, 0, s22
	s_mul_hi_u32 s22, s33, s8
	s_mul_i32 s8, s33, s8
	s_mul_i32 s9, s33, s9
	v_sub_co_u32 v2, s8, s87, s8
	s_add_i32 s22, s22, s9
	s_cmp_lg_u32 s8, 0
	s_delay_alu instid0(VALU_DEP_1) | instskip(SKIP_3) | instid1(VALU_DEP_2)
	v_sub_co_u32 v4, s8, v2, s33
	s_subb_u32 s9, s27, s22
	s_cmp_lg_u32 s8, 0
	v_cmp_le_u32_e32 vcc_lo, s33, v2
	v_cmp_le_u32_e64 s8, s33, v4
	v_sub_co_u32 v5, s22, v4, s33
	s_subb_u32 s23, s9, 0
	s_cmp_lg_u32 s22, 0
	s_delay_alu instid0(VALU_DEP_2)
	v_cndmask_b32_e64 v8, 0, -1, s8
	s_subb_u32 s22, s23, 0
	s_cmp_eq_u32 s23, 0
	v_cndmask_b32_e64 v9, 0, -1, vcc_lo
	s_cselect_b32 vcc_lo, -1, 0
	s_cmp_eq_u32 s9, 0
	v_cndmask_b32_e32 v8, -1, v8, vcc_lo
	s_cselect_b32 vcc_lo, -1, 0
	v_dual_mov_b32 v10, s22 :: v_dual_cndmask_b32 v9, -1, v9
	s_delay_alu instid0(VALU_DEP_2) | instskip(NEXT) | instid1(VALU_DEP_2)
	v_cmp_ne_u32_e32 vcc_lo, 0, v8
	v_cmp_ne_u32_e64 s8, 0, v9
	s_delay_alu instid0(VALU_DEP_3) | instskip(SKIP_1) | instid1(VALU_DEP_2)
	v_cndmask_b32_e32 v8, s23, v10, vcc_lo
	v_cndmask_b32_e32 v4, v4, v5, vcc_lo
	v_cndmask_b32_e64 v5, s9, v8, s8
	s_delay_alu instid0(VALU_DEP_2)
	v_cndmask_b32_e64 v4, v2, v4, s8
	s_cbranch_execnz .LBB189_174
.LBB189_173:                            ;   in Loop: Header=BB189_31 Depth=1
	v_cvt_f32_u32_e32 v2, s33
	s_sub_i32 s8, 0, s33
	s_delay_alu instid0(VALU_DEP_1) | instskip(SKIP_2) | instid1(VALU_DEP_1)
	v_rcp_iflag_f32_e32 v2, v2
	s_waitcnt_depctr 0xfff
	v_mul_f32_e32 v2, 0x4f7ffffe, v2
	v_cvt_u32_f32_e32 v2, v2
	s_delay_alu instid0(VALU_DEP_1) | instskip(NEXT) | instid1(VALU_DEP_1)
	v_mul_lo_u32 v4, s8, v2
	v_mul_hi_u32 v4, v2, v4
	s_delay_alu instid0(VALU_DEP_1) | instskip(NEXT) | instid1(VALU_DEP_1)
	v_add_nc_u32_e32 v2, v2, v4
	v_mul_hi_u32 v2, s87, v2
	s_delay_alu instid0(VALU_DEP_1) | instskip(NEXT) | instid1(VALU_DEP_1)
	v_mul_lo_u32 v2, v2, s33
	v_sub_nc_u32_e32 v2, s87, v2
	s_delay_alu instid0(VALU_DEP_1) | instskip(SKIP_1) | instid1(VALU_DEP_2)
	v_subrev_nc_u32_e32 v4, s33, v2
	v_cmp_le_u32_e32 vcc_lo, s33, v2
	v_cndmask_b32_e32 v2, v2, v4, vcc_lo
	s_delay_alu instid0(VALU_DEP_1) | instskip(SKIP_1) | instid1(VALU_DEP_2)
	v_subrev_nc_u32_e32 v4, s33, v2
	v_cmp_le_u32_e32 vcc_lo, s33, v2
	v_cndmask_b32_e32 v18, v2, v4, vcc_lo
	s_delay_alu instid0(VALU_DEP_1)
	v_dual_mov_b32 v4, v18 :: v_dual_mov_b32 v5, v19
.LBB189_174:                            ;   in Loop: Header=BB189_31 Depth=1
	s_delay_alu instid0(VALU_DEP_1) | instskip(NEXT) | instid1(VALU_DEP_2)
	v_sub_co_u32 v40, vcc_lo, s87, v4
	v_sub_co_ci_u32_e32 v41, vcc_lo, s27, v5, vcc_lo
	s_mov_b32 s8, 0
	s_mov_b32 s9, exec_lo
                                        ; implicit-def: $vgpr10_vgpr11
	s_delay_alu instid0(VALU_DEP_1)
	v_cmpx_gt_u64_e64 v[40:41], v[0:1]
	s_cbranch_execz .LBB189_183
; %bb.175:                              ;   in Loop: Header=BB189_31 Depth=1
	v_dual_mov_b32 v43, v31 :: v_dual_mov_b32 v42, v30
	v_dual_mov_b32 v45, v1 :: v_dual_mov_b32 v44, v0
	s_mov_b32 s23, 0
                                        ; implicit-def: $sgpr22
	s_branch .LBB189_177
.LBB189_176:                            ;   in Loop: Header=BB189_177 Depth=2
	s_or_b32 exec_lo, exec_lo, s8
	s_waitcnt vmcnt(0) lgkmcnt(0)
	s_barrier
	buffer_gl0_inv
	ds_load_b128 v[8:11], v19 offset:3072
	v_add_co_u32 v44, s8, v44, s33
	s_delay_alu instid0(VALU_DEP_1)
	v_add_co_ci_u32_e64 v45, s8, 0, v45, s8
	s_waitcnt lgkmcnt(0)
	s_barrier
	buffer_gl0_inv
	v_cmp_ge_u64_e64 s8, v[44:45], v[40:41]
	v_cmp_neq_f64_e32 vcc_lo, 0, v[8:9]
	s_delay_alu instid0(VALU_DEP_2) | instskip(NEXT) | instid1(SALU_CYCLE_1)
	s_or_b32 s8, s8, vcc_lo
	s_and_b32 s26, exec_lo, s8
	v_add_co_u32 v42, s8, v42, s34
	s_delay_alu instid0(VALU_DEP_1) | instskip(SKIP_3) | instid1(SALU_CYCLE_1)
	v_add_co_ci_u32_e64 v43, s8, s35, v43, s8
	s_or_b32 s23, s26, s23
	s_and_not1_b32 s8, s22, exec_lo
	s_and_b32 s22, vcc_lo, exec_lo
	s_or_b32 s22, s8, s22
	s_and_not1_b32 exec_lo, exec_lo, s23
	s_cbranch_execz .LBB189_182
.LBB189_177:                            ;   Parent Loop BB189_31 Depth=1
                                        ; =>  This Inner Loop Header: Depth=2
	s_delay_alu instid0(VALU_DEP_1)
	v_cmp_gt_u64_e32 vcc_lo, s[36:37], v[44:45]
	v_mov_b32_e32 v4, 0
	v_mov_b32_e32 v5, 0
	s_and_saveexec_b32 s8, vcc_lo
	s_cbranch_execz .LBB189_179
; %bb.178:                              ;   in Loop: Header=BB189_177 Depth=2
	global_load_b64 v[4:5], v[42:43], off
.LBB189_179:                            ;   in Loop: Header=BB189_177 Depth=2
	s_or_b32 exec_lo, exec_lo, s8
	s_and_saveexec_b32 s8, vcc_lo
	s_cbranch_execz .LBB189_176
; %bb.180:                              ;   in Loop: Header=BB189_177 Depth=2
	s_waitcnt vmcnt(0)
	v_cmp_o_f64_e32 vcc_lo, v[4:5], v[4:5]
	v_ashrrev_i32_e32 v2, 31, v5
	s_delay_alu instid0(VALU_DEP_1) | instskip(SKIP_1) | instid1(VALU_DEP_2)
	v_or_b32_e32 v8, 0x80000000, v2
	v_xor_b32_e32 v2, v2, v4
	v_xor_b32_e32 v8, v8, v5
	s_delay_alu instid0(VALU_DEP_1) | instskip(NEXT) | instid1(VALU_DEP_1)
	v_cndmask_b32_e32 v8, -1, v8, vcc_lo
	v_dual_cndmask_b32 v2, -1, v2 :: v_dual_and_b32 v9, v8, v15
	s_delay_alu instid0(VALU_DEP_1) | instskip(NEXT) | instid1(VALU_DEP_1)
	v_and_b32_e32 v8, v2, v14
	v_cmp_eq_u64_e32 vcc_lo, v[8:9], v[12:13]
	s_and_b32 exec_lo, exec_lo, vcc_lo
	s_cbranch_execz .LBB189_176
; %bb.181:                              ;   in Loop: Header=BB189_177 Depth=2
	v_mov_b32_e32 v2, v19
	ds_store_b128 v19, v[2:5] offset:3072
	s_branch .LBB189_176
.LBB189_182:                            ;   in Loop: Header=BB189_31 Depth=1
	s_or_b32 exec_lo, exec_lo, s23
	s_delay_alu instid0(SALU_CYCLE_1)
	s_and_b32 s8, s22, exec_lo
.LBB189_183:                            ;   in Loop: Header=BB189_31 Depth=1
	s_or_b32 exec_lo, exec_lo, s9
	s_mov_b32 s75, -1
	s_mov_b32 s60, 0
	s_mov_b32 s74, 0
.LBB189_184:                            ;   in Loop: Header=BB189_31 Depth=1
	s_or_not1_b32 s8, s8, exec_lo
.LBB189_185:                            ;   in Loop: Header=BB189_31 Depth=1
	s_or_b32 exec_lo, exec_lo, s47
	s_mov_b32 s26, 0
                                        ; implicit-def: $vgpr2
	s_and_saveexec_b32 s76, s8
	s_cbranch_execz .LBB189_298
; %bb.186:                              ;   in Loop: Header=BB189_31 Depth=1
	v_mov_b32_e32 v40, 1
	v_dual_mov_b32 v41, 0 :: v_dual_mov_b32 v2, 1
	s_xor_b32 s9, s46, -1
	s_delay_alu instid0(SALU_CYCLE_1)
	s_and_saveexec_b32 s8, s9
	s_cbranch_execz .LBB189_196
; %bb.187:                              ;   in Loop: Header=BB189_31 Depth=1
	s_mov_b32 s22, exec_lo
                                        ; implicit-def: $sgpr23
                                        ; implicit-def: $sgpr9
	v_cmpx_ge_u64_e64 s[16:17], v[38:39]
	s_xor_b32 s22, exec_lo, s22
	s_cbranch_execz .LBB189_193
; %bb.188:                              ;   in Loop: Header=BB189_31 Depth=1
	ds_load_b64 v[4:5], v19 offset:5120
	s_waitcnt lgkmcnt(0)
	v_cmp_ne_u64_e32 vcc_lo, 0, v[4:5]
	s_cbranch_vccnz .LBB189_192
; %bb.189:                              ;   in Loop: Header=BB189_31 Depth=1
	s_and_saveexec_b32 s9, s5
	s_cbranch_execz .LBB189_191
; %bb.190:                              ;   in Loop: Header=BB189_31 Depth=1
	v_dual_mov_b32 v4, s16 :: v_dual_mov_b32 v5, s17
	ds_store_b64 v19, v[4:5] offset:5128
.LBB189_191:                            ;   in Loop: Header=BB189_31 Depth=1
	s_or_b32 exec_lo, exec_lo, s9
	s_waitcnt lgkmcnt(0)
	s_barrier
	buffer_gl0_inv
.LBB189_192:                            ;   in Loop: Header=BB189_31 Depth=1
	v_and_b32_e32 v2, s15, v13
	v_and_b32_e32 v4, s14, v12
	s_lshl_b64 s[46:47], 1, s24
	v_or_b32_e32 v15, s13, v15
	v_or_b32_e32 v14, s12, v14
	;; [unrolled: 1-line block ×4, first 2 shown]
	s_mov_b32 s9, 0
	s_mov_b32 s23, 8
.LBB189_193:                            ;   in Loop: Header=BB189_31 Depth=1
	s_or_saveexec_b32 s22, s22
	v_mov_b32_e32 v2, s23
	s_xor_b32 exec_lo, exec_lo, s22
; %bb.194:                              ;   in Loop: Header=BB189_31 Depth=1
	v_sub_co_u32 v38, vcc_lo, v38, s16
	v_subrev_co_ci_u32_e32 v39, vcc_lo, s17, v39, vcc_lo
	v_mov_b32_e32 v2, 0
	s_or_b32 s9, s9, exec_lo
; %bb.195:                              ;   in Loop: Header=BB189_31 Depth=1
	s_or_b32 exec_lo, exec_lo, s22
	s_delay_alu instid0(VALU_DEP_2)
	v_dual_mov_b32 v41, v39 :: v_dual_mov_b32 v40, v38
	s_and_b32 s26, s9, exec_lo
.LBB189_196:                            ;   in Loop: Header=BB189_31 Depth=1
	s_or_b32 exec_lo, exec_lo, s8
	s_mov_b32 s8, -1
                                        ; implicit-def: $sgpr9
                                        ; implicit-def: $sgpr22
                                        ; implicit-def: $sgpr23
	s_and_saveexec_b32 s77, s26
	s_cbranch_execz .LBB189_297
; %bb.197:                              ;   in Loop: Header=BB189_31 Depth=1
	v_cmp_eq_u64_e32 vcc_lo, 1, v[40:41]
	s_cmp_eq_u64 s[18:19], 1
                                        ; implicit-def: $sgpr78
                                        ; implicit-def: $sgpr56
                                        ; implicit-def: $sgpr79
	s_cselect_b32 s8, -1, 0
	s_delay_alu instid0(SALU_CYCLE_1)
	s_and_b32 s46, s8, vcc_lo
	s_mov_b32 s8, -1
	s_and_saveexec_b32 s47, s46
	s_cbranch_execz .LBB189_231
; %bb.198:                              ;   in Loop: Header=BB189_31 Depth=1
	ds_load_b64 v[4:5], v19 offset:5120
	s_waitcnt lgkmcnt(0)
	s_barrier
	buffer_gl0_inv
	v_readfirstlane_b32 s22, v4
	v_readfirstlane_b32 s23, v5
	s_and_saveexec_b32 s8, s6
	s_cbranch_execz .LBB189_200
; %bb.199:                              ;   in Loop: Header=BB189_31 Depth=1
	v_mov_b32_e32 v18, v19
	ds_store_b64 v52, v[18:19]
.LBB189_200:                            ;   in Loop: Header=BB189_31 Depth=1
	s_or_b32 exec_lo, exec_lo, s8
	v_and_b32_e32 v2, s15, v13
	v_and_b32_e32 v4, s14, v12
	s_lshl_b64 s[8:9], 2, s24
	v_or_b32_e32 v15, s13, v15
	v_or_b32_e32 v14, s12, v14
	;; [unrolled: 1-line block ×4, first 2 shown]
	s_cmp_eq_u64 s[22:23], 0
	s_waitcnt lgkmcnt(0)
	s_barrier
	buffer_gl0_inv
	s_cbranch_scc1 .LBB189_214
; %bb.201:                              ;   in Loop: Header=BB189_31 Depth=1
	s_add_u32 s26, s85, s22
	s_addc_u32 s9, s86, s23
	s_mov_b32 s8, s61
	s_delay_alu instid0(SALU_CYCLE_1)
	s_cmp_lg_u64 s[8:9], 0
	s_cbranch_scc0 .LBB189_249
; %bb.202:                              ;   in Loop: Header=BB189_31 Depth=1
	v_cvt_f32_u32_e32 v2, s33
	s_sub_u32 s57, 0, s33
	s_subb_u32 s58, 0, 0
	s_delay_alu instid0(VALU_DEP_1) | instskip(NEXT) | instid1(VALU_DEP_1)
	v_fmac_f32_e64 v2, 0, 0x4f800000
	v_rcp_f32_e32 v2, v2
	s_waitcnt_depctr 0xfff
	v_mul_f32_e32 v2, 0x5f7ffffc, v2
	s_delay_alu instid0(VALU_DEP_1) | instskip(NEXT) | instid1(VALU_DEP_1)
	v_mul_f32_e32 v4, 0x2f800000, v2
	v_trunc_f32_e32 v4, v4
	s_delay_alu instid0(VALU_DEP_1) | instskip(SKIP_1) | instid1(VALU_DEP_2)
	v_fmac_f32_e32 v2, 0xcf800000, v4
	v_cvt_u32_f32_e32 v4, v4
	v_cvt_u32_f32_e32 v2, v2
	s_delay_alu instid0(VALU_DEP_2) | instskip(NEXT) | instid1(VALU_DEP_2)
	v_readfirstlane_b32 s8, v4
	v_readfirstlane_b32 s56, v2
	s_delay_alu instid0(VALU_DEP_2) | instskip(NEXT) | instid1(VALU_DEP_1)
	s_mul_i32 s59, s57, s8
	s_mul_hi_u32 s79, s57, s56
	s_mul_i32 s78, s58, s56
	s_add_i32 s59, s79, s59
	s_mul_i32 vcc_lo, s57, s56
	s_add_i32 s59, s59, s78
	s_mul_hi_u32 s79, s56, vcc_lo
	s_mul_hi_u32 s3, s8, vcc_lo
	s_mul_i32 s78, s8, vcc_lo
	s_mul_hi_u32 vcc_lo, s56, s59
	s_mul_i32 s56, s56, s59
	s_mul_hi_u32 s42, s8, s59
	s_add_u32 s56, s79, s56
	s_mul_i32 s43, s8, s59
	s_addc_u32 s59, 0, vcc_lo
	s_add_u32 s56, s56, s78
	s_addc_u32 s3, s59, s3
	s_addc_u32 s42, s42, 0
	s_add_u32 s3, s3, s43
	s_addc_u32 s42, 0, s42
	v_add_co_u32 v2, s3, v2, s3
	s_delay_alu instid0(VALU_DEP_1) | instskip(SKIP_1) | instid1(VALU_DEP_1)
	s_cmp_lg_u32 s3, 0
	s_addc_u32 s8, s8, s42
	v_readfirstlane_b32 s3, v2
	s_mul_i32 s42, s57, s8
	s_delay_alu instid0(VALU_DEP_1)
	s_mul_hi_u32 s43, s57, s3
	s_mul_i32 s58, s58, s3
	s_add_i32 s42, s43, s42
	s_mul_i32 s57, s57, s3
	s_add_i32 s42, s42, s58
	s_mul_hi_u32 s43, s8, s57
	s_mul_i32 s56, s8, s57
	s_mul_hi_u32 s57, s3, s57
	s_mul_hi_u32 s59, s3, s42
	s_mul_i32 s3, s3, s42
	s_mul_hi_u32 s58, s8, s42
	s_add_u32 s3, s57, s3
	s_addc_u32 s57, 0, s59
	s_add_u32 s3, s3, s56
	s_mul_i32 s42, s8, s42
	s_addc_u32 s3, s57, s43
	s_addc_u32 s43, s58, 0
	s_add_u32 s3, s3, s42
	s_addc_u32 s42, 0, s43
	v_add_co_u32 v2, s3, v2, s3
	s_delay_alu instid0(VALU_DEP_1) | instskip(SKIP_1) | instid1(VALU_DEP_1)
	s_cmp_lg_u32 s3, 0
	s_addc_u32 s3, s8, s42
	v_readfirstlane_b32 s8, v2
	s_mul_i32 s43, s26, s3
	s_mul_hi_u32 s42, s26, s3
	s_mul_hi_u32 s56, s9, s3
	s_mul_i32 s3, s9, s3
	s_mul_hi_u32 s57, s26, s8
	s_mul_hi_u32 s58, s9, s8
	s_mul_i32 s8, s9, s8
	s_add_u32 s43, s57, s43
	s_addc_u32 s42, 0, s42
	s_add_u32 s8, s43, s8
	s_addc_u32 s8, s42, s58
	s_addc_u32 s42, s56, 0
	s_add_u32 s3, s8, s3
	s_addc_u32 s8, 0, s42
	s_mul_hi_u32 s42, s33, s3
	s_mul_i32 s3, s33, s3
	s_mul_i32 s8, s33, s8
	v_sub_co_u32 v2, s3, s26, s3
	s_add_i32 s42, s42, s8
	s_cmp_lg_u32 s3, 0
	s_delay_alu instid0(VALU_DEP_1) | instskip(SKIP_3) | instid1(VALU_DEP_2)
	v_sub_co_u32 v4, s3, v2, s33
	s_subb_u32 s42, s9, s42
	s_cmp_lg_u32 s3, 0
	v_cmp_le_u32_e32 vcc_lo, s33, v2
	v_cmp_le_u32_e64 s8, s33, v4
	v_sub_co_u32 v5, s3, v4, s33
	s_subb_u32 s43, s42, 0
	s_cmp_lg_u32 s3, 0
	s_delay_alu instid0(VALU_DEP_2)
	v_cndmask_b32_e64 v8, 0, -1, s8
	s_subb_u32 s3, s43, 0
	s_cmp_eq_u32 s43, 0
	v_cndmask_b32_e64 v9, 0, -1, vcc_lo
	s_cselect_b32 vcc_lo, -1, 0
	s_cmp_eq_u32 s42, 0
	v_cndmask_b32_e32 v8, -1, v8, vcc_lo
	s_cselect_b32 vcc_lo, -1, 0
	v_dual_mov_b32 v10, s3 :: v_dual_cndmask_b32 v9, -1, v9
	s_delay_alu instid0(VALU_DEP_2) | instskip(NEXT) | instid1(VALU_DEP_2)
	v_cmp_ne_u32_e32 vcc_lo, 0, v8
	v_cmp_ne_u32_e64 s8, 0, v9
	s_delay_alu instid0(VALU_DEP_3) | instskip(SKIP_1) | instid1(VALU_DEP_2)
	v_cndmask_b32_e32 v8, s43, v10, vcc_lo
	v_cndmask_b32_e32 v4, v4, v5, vcc_lo
	v_cndmask_b32_e64 v5, s42, v8, s8
	s_delay_alu instid0(VALU_DEP_2)
	v_cndmask_b32_e64 v4, v2, v4, s8
	s_cbranch_execnz .LBB189_204
.LBB189_203:                            ;   in Loop: Header=BB189_31 Depth=1
	v_cvt_f32_u32_e32 v2, s33
	s_sub_i32 s8, 0, s33
	s_delay_alu instid0(VALU_DEP_1) | instskip(SKIP_2) | instid1(VALU_DEP_1)
	v_rcp_iflag_f32_e32 v2, v2
	s_waitcnt_depctr 0xfff
	v_mul_f32_e32 v2, 0x4f7ffffe, v2
	v_cvt_u32_f32_e32 v2, v2
	s_delay_alu instid0(VALU_DEP_1) | instskip(NEXT) | instid1(VALU_DEP_1)
	v_mul_lo_u32 v4, s8, v2
	v_mul_hi_u32 v4, v2, v4
	s_delay_alu instid0(VALU_DEP_1) | instskip(NEXT) | instid1(VALU_DEP_1)
	v_add_nc_u32_e32 v2, v2, v4
	v_mul_hi_u32 v2, s26, v2
	s_delay_alu instid0(VALU_DEP_1) | instskip(NEXT) | instid1(VALU_DEP_1)
	v_mul_lo_u32 v2, v2, s33
	v_sub_nc_u32_e32 v2, s26, v2
	s_delay_alu instid0(VALU_DEP_1) | instskip(SKIP_1) | instid1(VALU_DEP_2)
	v_subrev_nc_u32_e32 v4, s33, v2
	v_cmp_le_u32_e32 vcc_lo, s33, v2
	v_cndmask_b32_e32 v2, v2, v4, vcc_lo
	s_delay_alu instid0(VALU_DEP_1) | instskip(SKIP_1) | instid1(VALU_DEP_2)
	v_subrev_nc_u32_e32 v4, s33, v2
	v_cmp_le_u32_e32 vcc_lo, s33, v2
	v_cndmask_b32_e32 v18, v2, v4, vcc_lo
	s_delay_alu instid0(VALU_DEP_1)
	v_dual_mov_b32 v4, v18 :: v_dual_mov_b32 v5, v19
.LBB189_204:                            ;   in Loop: Header=BB189_31 Depth=1
	s_delay_alu instid0(VALU_DEP_1) | instskip(NEXT) | instid1(VALU_DEP_2)
	v_sub_co_u32 v38, vcc_lo, s26, v4
	v_sub_co_ci_u32_e32 v39, vcc_lo, s9, v5, vcc_lo
	s_mov_b32 s8, 0
	s_mov_b32 s9, exec_lo
                                        ; implicit-def: $vgpr10_vgpr11
	s_delay_alu instid0(VALU_DEP_1)
	v_cmpx_gt_u64_e64 v[38:39], v[0:1]
	s_cbranch_execz .LBB189_216
; %bb.205:                              ;   in Loop: Header=BB189_31 Depth=1
	v_dual_mov_b32 v18, v51 :: v_dual_mov_b32 v43, v1
	v_mov_b32_e32 v42, v0
	s_mov_b32 s56, 0
                                        ; implicit-def: $sgpr26
	s_set_inst_prefetch_distance 0x1
	s_branch .LBB189_207
	.p2align	6
.LBB189_206:                            ;   in Loop: Header=BB189_207 Depth=2
	s_or_b32 exec_lo, exec_lo, s8
	s_waitcnt lgkmcnt(0)
	s_barrier
	buffer_gl0_inv
	ds_load_b128 v[8:11], v19 offset:3072
	v_add_co_u32 v42, s8, v42, s33
	s_delay_alu instid0(VALU_DEP_1) | instskip(SKIP_3) | instid1(VALU_DEP_2)
	v_add_co_ci_u32_e64 v43, s8, 0, v43, s8
	v_add_nc_u32_e32 v18, s93, v18
	s_waitcnt lgkmcnt(0)
	s_barrier
	v_cmp_ge_u64_e64 s8, v[42:43], v[38:39]
	buffer_gl0_inv
	v_cmp_neq_f64_e32 vcc_lo, 0, v[8:9]
	s_or_b32 s3, s8, vcc_lo
	s_delay_alu instid0(SALU_CYCLE_1) | instskip(NEXT) | instid1(SALU_CYCLE_1)
	s_and_b32 s3, exec_lo, s3
	s_or_b32 s56, s3, s56
	s_and_not1_b32 s3, s26, exec_lo
	s_and_b32 s8, vcc_lo, exec_lo
	s_delay_alu instid0(SALU_CYCLE_1)
	s_or_b32 s26, s3, s8
	s_and_not1_b32 exec_lo, exec_lo, s56
	s_cbranch_execz .LBB189_215
.LBB189_207:                            ;   Parent Loop BB189_31 Depth=1
                                        ; =>  This Inner Loop Header: Depth=2
	s_delay_alu instid0(VALU_DEP_1)
	v_cmp_gt_u64_e32 vcc_lo, s[22:23], v[42:43]
	v_mov_b32_e32 v4, 0
	v_mov_b32_e32 v5, 0
	s_and_saveexec_b32 s8, vcc_lo
	s_cbranch_execz .LBB189_209
; %bb.208:                              ;   in Loop: Header=BB189_207 Depth=2
	ds_load_b64 v[4:5], v18
.LBB189_209:                            ;   in Loop: Header=BB189_207 Depth=2
	s_or_b32 exec_lo, exec_lo, s8
	s_and_saveexec_b32 s8, vcc_lo
	s_cbranch_execz .LBB189_206
; %bb.210:                              ;   in Loop: Header=BB189_207 Depth=2
	s_waitcnt lgkmcnt(0)
	v_cmp_o_f64_e32 vcc_lo, v[4:5], v[4:5]
	v_ashrrev_i32_e32 v2, 31, v5
	s_delay_alu instid0(VALU_DEP_1) | instskip(SKIP_1) | instid1(VALU_DEP_2)
	v_or_b32_e32 v8, 0x80000000, v2
	v_xor_b32_e32 v2, v2, v4
	v_xor_b32_e32 v8, v8, v5
	s_delay_alu instid0(VALU_DEP_1) | instskip(NEXT) | instid1(VALU_DEP_1)
	v_cndmask_b32_e32 v8, -1, v8, vcc_lo
	v_dual_cndmask_b32 v2, -1, v2 :: v_dual_and_b32 v9, v8, v15
	s_delay_alu instid0(VALU_DEP_1) | instskip(NEXT) | instid1(VALU_DEP_1)
	v_and_b32_e32 v8, v2, v14
	v_cmp_eq_u64_e32 vcc_lo, v[8:9], v[12:13]
	s_and_b32 exec_lo, exec_lo, vcc_lo
	s_cbranch_execz .LBB189_206
; %bb.211:                              ;   in Loop: Header=BB189_207 Depth=2
	v_mov_b32_e32 v2, v19
	ds_store_b128 v19, v[2:5] offset:3072
	s_branch .LBB189_206
.LBB189_212:                            ;   in Loop: Header=BB189_31 Depth=1
                                        ; implicit-def: $vgpr4_vgpr5
	s_branch .LBB189_157
.LBB189_213:                            ;   in Loop: Header=BB189_31 Depth=1
                                        ; implicit-def: $vgpr4_vgpr5
	s_branch .LBB189_173
.LBB189_214:                            ;   in Loop: Header=BB189_31 Depth=1
	s_mov_b32 s78, -1
	s_mov_b32 s8, 0
                                        ; implicit-def: $sgpr79
                                        ; implicit-def: $vgpr10_vgpr11
	s_mov_b32 s56, s78
	s_cbranch_execnz .LBB189_217
	s_branch .LBB189_230
.LBB189_215:                            ;   in Loop: Header=BB189_31 Depth=1
	s_set_inst_prefetch_distance 0x2
	s_or_b32 exec_lo, exec_lo, s56
	s_delay_alu instid0(SALU_CYCLE_1)
	s_and_b32 s8, s26, exec_lo
.LBB189_216:                            ;   in Loop: Header=BB189_31 Depth=1
	s_or_b32 exec_lo, exec_lo, s9
	s_mov_b32 s79, -1
	s_mov_b32 s78, 0
	s_delay_alu instid0(SALU_CYCLE_1)
	s_mov_b32 s56, s78
	s_branch .LBB189_230
.LBB189_217:                            ;   in Loop: Header=BB189_31 Depth=1
	s_mov_b32 s26, s61
	s_delay_alu instid0(SALU_CYCLE_1)
	s_cmp_lg_u64 s[26:27], 0
	s_cbranch_scc0 .LBB189_250
; %bb.218:                              ;   in Loop: Header=BB189_31 Depth=1
	v_cvt_f32_u32_e32 v2, s33
	s_sub_u32 s9, 0, s33
	s_subb_u32 s22, 0, 0
	s_delay_alu instid0(VALU_DEP_1) | instskip(NEXT) | instid1(VALU_DEP_1)
	v_fmac_f32_e64 v2, 0, 0x4f800000
	v_rcp_f32_e32 v2, v2
	s_waitcnt_depctr 0xfff
	v_mul_f32_e32 v2, 0x5f7ffffc, v2
	s_delay_alu instid0(VALU_DEP_1) | instskip(NEXT) | instid1(VALU_DEP_1)
	v_mul_f32_e32 v4, 0x2f800000, v2
	v_trunc_f32_e32 v4, v4
	s_delay_alu instid0(VALU_DEP_1) | instskip(SKIP_1) | instid1(VALU_DEP_2)
	v_fmac_f32_e32 v2, 0xcf800000, v4
	v_cvt_u32_f32_e32 v4, v4
	v_cvt_u32_f32_e32 v2, v2
	s_delay_alu instid0(VALU_DEP_2) | instskip(NEXT) | instid1(VALU_DEP_2)
	v_readfirstlane_b32 s3, v4
	v_readfirstlane_b32 s8, v2
	s_delay_alu instid0(VALU_DEP_2) | instskip(NEXT) | instid1(VALU_DEP_1)
	s_mul_i32 s23, s9, s3
	s_mul_hi_u32 s42, s9, s8
	s_mul_i32 s26, s22, s8
	s_add_i32 s23, s42, s23
	s_mul_i32 s43, s9, s8
	s_add_i32 s23, s23, s26
	s_mul_hi_u32 s42, s8, s43
	s_mul_hi_u32 s56, s3, s43
	s_mul_i32 s26, s3, s43
	s_mul_hi_u32 s43, s8, s23
	s_mul_i32 s8, s8, s23
	s_mul_hi_u32 s57, s3, s23
	s_add_u32 s8, s42, s8
	s_addc_u32 s42, 0, s43
	s_add_u32 s8, s8, s26
	s_mul_i32 s23, s3, s23
	s_addc_u32 s8, s42, s56
	s_addc_u32 s26, s57, 0
	s_add_u32 s8, s8, s23
	s_addc_u32 s23, 0, s26
	v_add_co_u32 v2, s8, v2, s8
	s_delay_alu instid0(VALU_DEP_1) | instskip(SKIP_1) | instid1(VALU_DEP_1)
	s_cmp_lg_u32 s8, 0
	s_addc_u32 s3, s3, s23
	v_readfirstlane_b32 s8, v2
	s_mul_i32 s23, s9, s3
	s_delay_alu instid0(VALU_DEP_1)
	s_mul_hi_u32 s26, s9, s8
	s_mul_i32 s22, s22, s8
	s_add_i32 s23, s26, s23
	s_mul_i32 s9, s9, s8
	s_add_i32 s23, s23, s22
	s_mul_hi_u32 s26, s3, s9
	s_mul_i32 s42, s3, s9
	s_mul_hi_u32 s9, s8, s9
	s_mul_hi_u32 s43, s8, s23
	s_mul_i32 s8, s8, s23
	s_mul_hi_u32 s22, s3, s23
	s_add_u32 s8, s9, s8
	s_addc_u32 s9, 0, s43
	s_add_u32 s8, s8, s42
	s_mul_i32 s23, s3, s23
	s_addc_u32 s8, s9, s26
	s_addc_u32 s9, s22, 0
	s_add_u32 s8, s8, s23
	s_addc_u32 s9, 0, s9
	v_add_co_u32 v2, s8, v2, s8
	s_delay_alu instid0(VALU_DEP_1) | instskip(SKIP_1) | instid1(VALU_DEP_1)
	s_cmp_lg_u32 s8, 0
	s_addc_u32 s3, s3, s9
	v_readfirstlane_b32 s8, v2
	s_mul_i32 s22, s87, s3
	s_mul_hi_u32 s9, s87, s3
	s_mul_hi_u32 s23, s27, s3
	s_mul_i32 s3, s27, s3
	s_mul_hi_u32 s26, s87, s8
	s_mul_hi_u32 s42, s27, s8
	s_mul_i32 s8, s27, s8
	s_add_u32 s22, s26, s22
	s_addc_u32 s9, 0, s9
	s_add_u32 s8, s22, s8
	s_addc_u32 s8, s9, s42
	s_addc_u32 s9, s23, 0
	s_add_u32 s3, s8, s3
	s_addc_u32 s8, 0, s9
	s_mul_hi_u32 s9, s33, s3
	s_mul_i32 s3, s33, s3
	s_mul_i32 s8, s33, s8
	v_sub_co_u32 v2, s3, s87, s3
	s_add_i32 s9, s9, s8
	s_cmp_lg_u32 s3, 0
	s_delay_alu instid0(VALU_DEP_1) | instskip(SKIP_3) | instid1(VALU_DEP_2)
	v_sub_co_u32 v4, s3, v2, s33
	s_subb_u32 s9, s27, s9
	s_cmp_lg_u32 s3, 0
	v_cmp_le_u32_e32 vcc_lo, s33, v2
	v_cmp_le_u32_e64 s8, s33, v4
	v_sub_co_u32 v5, s3, v4, s33
	s_subb_u32 s22, s9, 0
	s_cmp_lg_u32 s3, 0
	s_delay_alu instid0(VALU_DEP_2)
	v_cndmask_b32_e64 v8, 0, -1, s8
	s_subb_u32 s3, s22, 0
	s_cmp_eq_u32 s22, 0
	v_cndmask_b32_e64 v9, 0, -1, vcc_lo
	s_cselect_b32 vcc_lo, -1, 0
	s_cmp_eq_u32 s9, 0
	v_cndmask_b32_e32 v8, -1, v8, vcc_lo
	s_cselect_b32 vcc_lo, -1, 0
	v_dual_mov_b32 v10, s3 :: v_dual_cndmask_b32 v9, -1, v9
	s_delay_alu instid0(VALU_DEP_2) | instskip(NEXT) | instid1(VALU_DEP_2)
	v_cmp_ne_u32_e32 vcc_lo, 0, v8
	v_cmp_ne_u32_e64 s8, 0, v9
	s_delay_alu instid0(VALU_DEP_3) | instskip(SKIP_1) | instid1(VALU_DEP_2)
	v_cndmask_b32_e32 v8, s22, v10, vcc_lo
	v_cndmask_b32_e32 v4, v4, v5, vcc_lo
	v_cndmask_b32_e64 v5, s9, v8, s8
	s_delay_alu instid0(VALU_DEP_2)
	v_cndmask_b32_e64 v4, v2, v4, s8
	s_cbranch_execnz .LBB189_220
.LBB189_219:                            ;   in Loop: Header=BB189_31 Depth=1
	v_cvt_f32_u32_e32 v2, s33
	s_sub_i32 s3, 0, s33
	s_delay_alu instid0(VALU_DEP_1) | instskip(SKIP_2) | instid1(VALU_DEP_1)
	v_rcp_iflag_f32_e32 v2, v2
	s_waitcnt_depctr 0xfff
	v_mul_f32_e32 v2, 0x4f7ffffe, v2
	v_cvt_u32_f32_e32 v2, v2
	s_delay_alu instid0(VALU_DEP_1) | instskip(NEXT) | instid1(VALU_DEP_1)
	v_mul_lo_u32 v4, s3, v2
	v_mul_hi_u32 v4, v2, v4
	s_delay_alu instid0(VALU_DEP_1) | instskip(NEXT) | instid1(VALU_DEP_1)
	v_add_nc_u32_e32 v2, v2, v4
	v_mul_hi_u32 v2, s87, v2
	s_delay_alu instid0(VALU_DEP_1) | instskip(NEXT) | instid1(VALU_DEP_1)
	v_mul_lo_u32 v2, v2, s33
	v_sub_nc_u32_e32 v2, s87, v2
	s_delay_alu instid0(VALU_DEP_1) | instskip(SKIP_1) | instid1(VALU_DEP_2)
	v_subrev_nc_u32_e32 v4, s33, v2
	v_cmp_le_u32_e32 vcc_lo, s33, v2
	v_cndmask_b32_e32 v2, v2, v4, vcc_lo
	s_delay_alu instid0(VALU_DEP_1) | instskip(SKIP_1) | instid1(VALU_DEP_2)
	v_subrev_nc_u32_e32 v4, s33, v2
	v_cmp_le_u32_e32 vcc_lo, s33, v2
	v_cndmask_b32_e32 v18, v2, v4, vcc_lo
	s_delay_alu instid0(VALU_DEP_1)
	v_dual_mov_b32 v4, v18 :: v_dual_mov_b32 v5, v19
.LBB189_220:                            ;   in Loop: Header=BB189_31 Depth=1
	s_delay_alu instid0(VALU_DEP_1) | instskip(NEXT) | instid1(VALU_DEP_2)
	v_sub_co_u32 v38, vcc_lo, s87, v4
	v_sub_co_ci_u32_e32 v39, vcc_lo, s27, v5, vcc_lo
	s_mov_b32 s8, 0
	s_mov_b32 s9, exec_lo
                                        ; implicit-def: $vgpr10_vgpr11
	s_delay_alu instid0(VALU_DEP_1)
	v_cmpx_gt_u64_e64 v[38:39], v[0:1]
	s_cbranch_execz .LBB189_229
; %bb.221:                              ;   in Loop: Header=BB189_31 Depth=1
	v_dual_mov_b32 v43, v31 :: v_dual_mov_b32 v42, v30
	v_dual_mov_b32 v45, v1 :: v_dual_mov_b32 v44, v0
	s_mov_b32 s23, 0
                                        ; implicit-def: $sgpr22
	s_branch .LBB189_223
.LBB189_222:                            ;   in Loop: Header=BB189_223 Depth=2
	s_or_b32 exec_lo, exec_lo, s8
	s_waitcnt vmcnt(0) lgkmcnt(0)
	s_barrier
	buffer_gl0_inv
	ds_load_b128 v[8:11], v19 offset:3072
	v_add_co_u32 v44, s8, v44, s33
	s_delay_alu instid0(VALU_DEP_1)
	v_add_co_ci_u32_e64 v45, s8, 0, v45, s8
	s_waitcnt lgkmcnt(0)
	s_barrier
	buffer_gl0_inv
	v_cmp_ge_u64_e64 s8, v[44:45], v[38:39]
	v_cmp_neq_f64_e32 vcc_lo, 0, v[8:9]
	s_delay_alu instid0(VALU_DEP_2)
	s_or_b32 s3, s8, vcc_lo
	v_add_co_u32 v42, s8, v42, s34
	s_and_b32 s3, exec_lo, s3
	v_add_co_ci_u32_e64 v43, s8, s35, v43, s8
	s_or_b32 s23, s3, s23
	s_and_not1_b32 s3, s22, exec_lo
	s_and_b32 s8, vcc_lo, exec_lo
	s_delay_alu instid0(SALU_CYCLE_1)
	s_or_b32 s22, s3, s8
	s_and_not1_b32 exec_lo, exec_lo, s23
	s_cbranch_execz .LBB189_228
.LBB189_223:                            ;   Parent Loop BB189_31 Depth=1
                                        ; =>  This Inner Loop Header: Depth=2
	s_delay_alu instid0(VALU_DEP_1)
	v_cmp_gt_u64_e32 vcc_lo, s[36:37], v[44:45]
	v_mov_b32_e32 v4, 0
	v_mov_b32_e32 v5, 0
	s_and_saveexec_b32 s8, vcc_lo
	s_cbranch_execz .LBB189_225
; %bb.224:                              ;   in Loop: Header=BB189_223 Depth=2
	global_load_b64 v[4:5], v[42:43], off
.LBB189_225:                            ;   in Loop: Header=BB189_223 Depth=2
	s_or_b32 exec_lo, exec_lo, s8
	s_and_saveexec_b32 s8, vcc_lo
	s_cbranch_execz .LBB189_222
; %bb.226:                              ;   in Loop: Header=BB189_223 Depth=2
	s_waitcnt vmcnt(0)
	v_cmp_o_f64_e32 vcc_lo, v[4:5], v[4:5]
	v_ashrrev_i32_e32 v2, 31, v5
	s_delay_alu instid0(VALU_DEP_1) | instskip(SKIP_1) | instid1(VALU_DEP_2)
	v_or_b32_e32 v8, 0x80000000, v2
	v_xor_b32_e32 v2, v2, v4
	v_xor_b32_e32 v8, v8, v5
	s_delay_alu instid0(VALU_DEP_1) | instskip(NEXT) | instid1(VALU_DEP_1)
	v_cndmask_b32_e32 v8, -1, v8, vcc_lo
	v_dual_cndmask_b32 v2, -1, v2 :: v_dual_and_b32 v9, v8, v15
	s_delay_alu instid0(VALU_DEP_1) | instskip(NEXT) | instid1(VALU_DEP_1)
	v_and_b32_e32 v8, v2, v14
	v_cmp_eq_u64_e32 vcc_lo, v[8:9], v[12:13]
	s_and_b32 exec_lo, exec_lo, vcc_lo
	s_cbranch_execz .LBB189_222
; %bb.227:                              ;   in Loop: Header=BB189_223 Depth=2
	v_mov_b32_e32 v2, v19
	ds_store_b128 v19, v[2:5] offset:3072
	s_branch .LBB189_222
.LBB189_228:                            ;   in Loop: Header=BB189_31 Depth=1
	s_or_b32 exec_lo, exec_lo, s23
	s_delay_alu instid0(SALU_CYCLE_1)
	s_and_b32 s8, s22, exec_lo
.LBB189_229:                            ;   in Loop: Header=BB189_31 Depth=1
	s_or_b32 exec_lo, exec_lo, s9
	s_mov_b32 s56, -1
	s_mov_b32 s78, 0
	s_mov_b32 s79, 0
.LBB189_230:                            ;   in Loop: Header=BB189_31 Depth=1
	s_or_not1_b32 s8, s8, exec_lo
.LBB189_231:                            ;   in Loop: Header=BB189_31 Depth=1
	s_or_b32 exec_lo, exec_lo, s47
	s_mov_b32 s26, 0
                                        ; implicit-def: $vgpr2
	s_and_saveexec_b32 s57, s8
	s_cbranch_execz .LBB189_296
; %bb.232:                              ;   in Loop: Header=BB189_31 Depth=1
	v_mov_b32_e32 v38, 1
	v_dual_mov_b32 v39, 0 :: v_dual_mov_b32 v2, 1
	s_xor_b32 s3, s46, -1
	s_delay_alu instid0(SALU_CYCLE_1)
	s_and_saveexec_b32 s8, s3
	s_cbranch_execz .LBB189_242
; %bb.233:                              ;   in Loop: Header=BB189_31 Depth=1
                                        ; implicit-def: $sgpr23
                                        ; implicit-def: $sgpr9
	s_mov_b32 s3, exec_lo
	v_cmpx_ge_u64_e64 s[18:19], v[40:41]
	s_xor_b32 s22, exec_lo, s3
	s_cbranch_execz .LBB189_239
; %bb.234:                              ;   in Loop: Header=BB189_31 Depth=1
	ds_load_b64 v[4:5], v19 offset:5120
	s_waitcnt lgkmcnt(0)
	v_cmp_ne_u64_e32 vcc_lo, 0, v[4:5]
	s_cbranch_vccnz .LBB189_238
; %bb.235:                              ;   in Loop: Header=BB189_31 Depth=1
	s_and_saveexec_b32 s9, s5
	s_cbranch_execz .LBB189_237
; %bb.236:                              ;   in Loop: Header=BB189_31 Depth=1
	v_dual_mov_b32 v4, s18 :: v_dual_mov_b32 v5, s19
	ds_store_b64 v19, v[4:5] offset:5128
.LBB189_237:                            ;   in Loop: Header=BB189_31 Depth=1
	s_or_b32 exec_lo, exec_lo, s9
	s_waitcnt lgkmcnt(0)
	s_barrier
	buffer_gl0_inv
.LBB189_238:                            ;   in Loop: Header=BB189_31 Depth=1
	v_and_b32_e32 v2, s15, v13
	v_and_b32_e32 v4, s14, v12
	s_lshl_b64 s[46:47], 2, s24
	v_or_b32_e32 v15, s13, v15
	v_or_b32_e32 v14, s12, v14
	;; [unrolled: 1-line block ×4, first 2 shown]
	s_mov_b32 s9, 0
	s_mov_b32 s23, 8
.LBB189_239:                            ;   in Loop: Header=BB189_31 Depth=1
	s_or_saveexec_b32 s22, s22
	v_mov_b32_e32 v2, s23
	s_xor_b32 exec_lo, exec_lo, s22
; %bb.240:                              ;   in Loop: Header=BB189_31 Depth=1
	v_sub_co_u32 v40, vcc_lo, v40, s18
	v_subrev_co_ci_u32_e32 v41, vcc_lo, s19, v41, vcc_lo
	v_mov_b32_e32 v2, 0
	s_or_b32 s9, s9, exec_lo
; %bb.241:                              ;   in Loop: Header=BB189_31 Depth=1
	s_or_b32 exec_lo, exec_lo, s22
	s_delay_alu instid0(VALU_DEP_2)
	v_dual_mov_b32 v38, v40 :: v_dual_mov_b32 v39, v41
	s_and_b32 s26, s9, exec_lo
.LBB189_242:                            ;   in Loop: Header=BB189_31 Depth=1
	s_or_b32 exec_lo, exec_lo, s8
	s_mov_b32 s23, -1
                                        ; implicit-def: $sgpr8
                                        ; implicit-def: $sgpr22
                                        ; implicit-def: $sgpr9
	s_and_saveexec_b32 s46, s26
	s_cbranch_execz .LBB189_295
; %bb.243:                              ;   in Loop: Header=BB189_31 Depth=1
	v_cmp_eq_u64_e32 vcc_lo, 1, v[38:39]
	s_cmp_eq_u64 s[20:21], 1
	s_mov_b32 s26, -1
	s_cselect_b32 s3, -1, 0
                                        ; implicit-def: $sgpr8
                                        ; implicit-def: $sgpr22
                                        ; implicit-def: $sgpr9
	s_delay_alu instid0(SALU_CYCLE_1) | instskip(NEXT) | instid1(SALU_CYCLE_1)
	s_and_b32 s47, s3, vcc_lo
	s_and_saveexec_b32 s58, s47
	s_cbranch_execz .LBB189_282
; %bb.244:                              ;   in Loop: Header=BB189_31 Depth=1
	ds_load_b64 v[4:5], v19 offset:5120
	s_waitcnt lgkmcnt(0)
	s_barrier
	buffer_gl0_inv
	v_readfirstlane_b32 s22, v4
	v_readfirstlane_b32 s23, v5
	s_and_saveexec_b32 s8, s6
	s_cbranch_execz .LBB189_246
; %bb.245:                              ;   in Loop: Header=BB189_31 Depth=1
	v_mov_b32_e32 v18, v19
	ds_store_b64 v52, v[18:19]
.LBB189_246:                            ;   in Loop: Header=BB189_31 Depth=1
	s_or_b32 exec_lo, exec_lo, s8
	v_or_b32_e32 v13, s13, v13
	v_or_b32_e32 v12, s12, v12
	;; [unrolled: 1-line block ×4, first 2 shown]
	s_cmp_eq_u64 s[22:23], 0
	s_waitcnt lgkmcnt(0)
	s_barrier
	buffer_gl0_inv
	s_cbranch_scc1 .LBB189_251
; %bb.247:                              ;   in Loop: Header=BB189_31 Depth=1
	s_add_u32 s26, s85, s22
	s_addc_u32 s9, s86, s23
	s_mov_b32 s8, s61
	v_writelane_b32 v57, s88, 11
	s_cmp_lg_u64 s[8:9], 0
	s_cbranch_scc0 .LBB189_252
; %bb.248:                              ;   in Loop: Header=BB189_31 Depth=1
	v_cvt_f32_u32_e32 v2, s33
	s_sub_u32 s42, 0, s33
	s_subb_u32 s43, 0, 0
	s_delay_alu instid0(VALU_DEP_1) | instskip(NEXT) | instid1(VALU_DEP_1)
	v_fmac_f32_e64 v2, 0, 0x4f800000
	v_rcp_f32_e32 v2, v2
	s_waitcnt_depctr 0xfff
	v_mul_f32_e32 v2, 0x5f7ffffc, v2
	s_delay_alu instid0(VALU_DEP_1) | instskip(NEXT) | instid1(VALU_DEP_1)
	v_mul_f32_e32 v4, 0x2f800000, v2
	v_trunc_f32_e32 v4, v4
	s_delay_alu instid0(VALU_DEP_1) | instskip(SKIP_1) | instid1(VALU_DEP_2)
	v_fmac_f32_e32 v2, 0xcf800000, v4
	v_cvt_u32_f32_e32 v4, v4
	v_cvt_u32_f32_e32 v2, v2
	s_delay_alu instid0(VALU_DEP_2) | instskip(NEXT) | instid1(VALU_DEP_2)
	v_readfirstlane_b32 s3, v4
	v_readfirstlane_b32 s8, v2
	s_delay_alu instid0(VALU_DEP_2) | instskip(NEXT) | instid1(VALU_DEP_1)
	s_mul_i32 s59, s42, s3
	s_mul_hi_u32 s50, s42, s8
	s_mul_i32 vcc_lo, s43, s8
	s_add_i32 s50, s50, s59
	s_mul_i32 s51, s42, s8
	s_add_i32 s50, s50, vcc_lo
	s_mul_hi_u32 s59, s8, s51
	s_mul_hi_u32 vcc_lo, s8, s50
	s_mul_i32 s8, s8, s50
	s_mul_hi_u32 s88, s3, s51
	s_mul_i32 s51, s3, s51
	s_add_u32 s8, s59, s8
	s_addc_u32 s59, 0, vcc_lo
	s_mul_hi_u32 s64, s3, s50
	s_add_u32 s8, s8, s51
	s_mul_i32 s50, s3, s50
	s_addc_u32 s8, s59, s88
	s_addc_u32 s51, s64, 0
	s_add_u32 s8, s8, s50
	s_addc_u32 s50, 0, s51
	v_add_co_u32 v2, s8, v2, s8
	s_delay_alu instid0(VALU_DEP_1) | instskip(SKIP_1) | instid1(VALU_DEP_1)
	s_cmp_lg_u32 s8, 0
	s_addc_u32 s3, s3, s50
	v_readfirstlane_b32 s8, v2
	s_mul_i32 s50, s42, s3
	s_delay_alu instid0(VALU_DEP_1)
	s_mul_hi_u32 s51, s42, s8
	s_mul_i32 s43, s43, s8
	s_add_i32 s50, s51, s50
	s_mul_i32 s42, s42, s8
	s_add_i32 s50, s50, s43
	s_mul_hi_u32 s51, s3, s42
	s_mul_i32 s59, s3, s42
	s_mul_hi_u32 s42, s8, s42
	s_mul_hi_u32 s64, s8, s50
	s_mul_i32 s8, s8, s50
	s_mul_hi_u32 s43, s3, s50
	s_add_u32 s8, s42, s8
	s_addc_u32 s42, 0, s64
	s_add_u32 s8, s8, s59
	s_mul_i32 s50, s3, s50
	s_addc_u32 s8, s42, s51
	s_addc_u32 s42, s43, 0
	s_add_u32 s8, s8, s50
	s_addc_u32 s42, 0, s42
	v_add_co_u32 v2, s8, v2, s8
	s_delay_alu instid0(VALU_DEP_1) | instskip(SKIP_1) | instid1(VALU_DEP_1)
	s_cmp_lg_u32 s8, 0
	s_addc_u32 s3, s3, s42
	v_readfirstlane_b32 s8, v2
	s_mul_i32 s43, s26, s3
	s_mul_hi_u32 s42, s26, s3
	s_mul_hi_u32 s50, s9, s3
	s_mul_i32 s3, s9, s3
	s_mul_hi_u32 s51, s26, s8
	s_mul_hi_u32 s59, s9, s8
	s_mul_i32 s8, s9, s8
	s_add_u32 s43, s51, s43
	s_addc_u32 s42, 0, s42
	s_add_u32 s8, s43, s8
	s_addc_u32 s8, s42, s59
	s_addc_u32 s42, s50, 0
	s_add_u32 s3, s8, s3
	s_addc_u32 s8, 0, s42
	s_mul_hi_u32 s42, s33, s3
	s_mul_i32 s3, s33, s3
	s_mul_i32 s8, s33, s8
	v_sub_co_u32 v2, s3, s26, s3
	s_add_i32 s42, s42, s8
	s_cmp_lg_u32 s3, 0
	s_delay_alu instid0(VALU_DEP_1) | instskip(SKIP_3) | instid1(VALU_DEP_2)
	v_sub_co_u32 v4, s3, v2, s33
	s_subb_u32 s42, s9, s42
	s_cmp_lg_u32 s3, 0
	v_cmp_le_u32_e32 vcc_lo, s33, v2
	v_cmp_le_u32_e64 s8, s33, v4
	v_sub_co_u32 v5, s3, v4, s33
	s_subb_u32 s43, s42, 0
	s_cmp_lg_u32 s3, 0
	s_delay_alu instid0(VALU_DEP_2)
	v_cndmask_b32_e64 v8, 0, -1, s8
	s_subb_u32 s3, s43, 0
	s_cmp_eq_u32 s43, 0
	v_cndmask_b32_e64 v9, 0, -1, vcc_lo
	s_cselect_b32 vcc_lo, -1, 0
	s_cmp_eq_u32 s42, 0
	v_cndmask_b32_e32 v8, -1, v8, vcc_lo
	s_cselect_b32 vcc_lo, -1, 0
	v_dual_mov_b32 v10, s3 :: v_dual_cndmask_b32 v9, -1, v9
	s_delay_alu instid0(VALU_DEP_2) | instskip(NEXT) | instid1(VALU_DEP_2)
	v_cmp_ne_u32_e32 vcc_lo, 0, v8
	v_cmp_ne_u32_e64 s8, 0, v9
	s_delay_alu instid0(VALU_DEP_3) | instskip(SKIP_1) | instid1(VALU_DEP_2)
	v_cndmask_b32_e32 v8, s43, v10, vcc_lo
	v_cndmask_b32_e32 v4, v4, v5, vcc_lo
	v_cndmask_b32_e64 v5, s42, v8, s8
	s_delay_alu instid0(VALU_DEP_2)
	v_cndmask_b32_e64 v4, v2, v4, s8
	s_mov_b32 s8, 0
	s_branch .LBB189_253
.LBB189_249:                            ;   in Loop: Header=BB189_31 Depth=1
                                        ; implicit-def: $vgpr4_vgpr5
	s_branch .LBB189_203
.LBB189_250:                            ;   in Loop: Header=BB189_31 Depth=1
                                        ; implicit-def: $vgpr4_vgpr5
	s_branch .LBB189_219
.LBB189_251:                            ;   in Loop: Header=BB189_31 Depth=1
	s_mov_b32 s8, -1
	s_mov_b32 s26, 0
                                        ; implicit-def: $sgpr9
                                        ; implicit-def: $vgpr10_vgpr11
	s_branch .LBB189_265
.LBB189_252:                            ;   in Loop: Header=BB189_31 Depth=1
	s_mov_b32 s8, -1
                                        ; implicit-def: $vgpr4_vgpr5
.LBB189_253:                            ;   in Loop: Header=BB189_31 Depth=1
	s_delay_alu instid0(SALU_CYCLE_1)
	s_and_not1_b32 vcc_lo, exec_lo, s8
	s_cbranch_vccnz .LBB189_255
; %bb.254:                              ;   in Loop: Header=BB189_31 Depth=1
	v_cvt_f32_u32_e32 v2, s33
	s_sub_i32 s3, 0, s33
	s_delay_alu instid0(VALU_DEP_1) | instskip(SKIP_2) | instid1(VALU_DEP_1)
	v_rcp_iflag_f32_e32 v2, v2
	s_waitcnt_depctr 0xfff
	v_mul_f32_e32 v2, 0x4f7ffffe, v2
	v_cvt_u32_f32_e32 v2, v2
	s_delay_alu instid0(VALU_DEP_1) | instskip(NEXT) | instid1(VALU_DEP_1)
	v_mul_lo_u32 v4, s3, v2
	v_mul_hi_u32 v4, v2, v4
	s_delay_alu instid0(VALU_DEP_1) | instskip(NEXT) | instid1(VALU_DEP_1)
	v_add_nc_u32_e32 v2, v2, v4
	v_mul_hi_u32 v2, s26, v2
	s_delay_alu instid0(VALU_DEP_1) | instskip(NEXT) | instid1(VALU_DEP_1)
	v_mul_lo_u32 v2, v2, s33
	v_sub_nc_u32_e32 v2, s26, v2
	s_delay_alu instid0(VALU_DEP_1) | instskip(SKIP_1) | instid1(VALU_DEP_2)
	v_subrev_nc_u32_e32 v4, s33, v2
	v_cmp_le_u32_e32 vcc_lo, s33, v2
	v_cndmask_b32_e32 v2, v2, v4, vcc_lo
	s_delay_alu instid0(VALU_DEP_1) | instskip(SKIP_1) | instid1(VALU_DEP_2)
	v_subrev_nc_u32_e32 v4, s33, v2
	v_cmp_le_u32_e32 vcc_lo, s33, v2
	v_cndmask_b32_e32 v18, v2, v4, vcc_lo
	s_delay_alu instid0(VALU_DEP_1)
	v_dual_mov_b32 v4, v18 :: v_dual_mov_b32 v5, v19
.LBB189_255:                            ;   in Loop: Header=BB189_31 Depth=1
	s_delay_alu instid0(VALU_DEP_1) | instskip(NEXT) | instid1(VALU_DEP_2)
	v_sub_co_u32 v40, vcc_lo, s26, v4
	v_sub_co_ci_u32_e32 v41, vcc_lo, s9, v5, vcc_lo
	s_mov_b32 s26, 0
	s_mov_b32 s9, exec_lo
                                        ; implicit-def: $vgpr10_vgpr11
	s_delay_alu instid0(VALU_DEP_1)
	v_cmpx_gt_u64_e64 v[40:41], v[0:1]
	s_load_b64 s[64:65], s[0:1], 0x0
	v_readlane_b32 s88, v57, 11
	s_cbranch_execz .LBB189_264
; %bb.256:                              ;   in Loop: Header=BB189_31 Depth=1
	v_dual_mov_b32 v18, v51 :: v_dual_mov_b32 v43, v1
	v_mov_b32_e32 v42, v0
	s_mov_b32 s59, 0
                                        ; implicit-def: $sgpr26
	s_set_inst_prefetch_distance 0x1
	s_branch .LBB189_258
	.p2align	6
.LBB189_257:                            ;   in Loop: Header=BB189_258 Depth=2
	s_or_b32 exec_lo, exec_lo, s8
	s_waitcnt lgkmcnt(0)
	s_barrier
	buffer_gl0_inv
	ds_load_b128 v[8:11], v19 offset:3072
	v_add_co_u32 v42, s8, v42, s33
	s_delay_alu instid0(VALU_DEP_1) | instskip(SKIP_3) | instid1(VALU_DEP_2)
	v_add_co_ci_u32_e64 v43, s8, 0, v43, s8
	v_add_nc_u32_e32 v18, s93, v18
	s_waitcnt lgkmcnt(0)
	s_barrier
	v_cmp_ge_u64_e64 s8, v[42:43], v[40:41]
	buffer_gl0_inv
	v_cmp_neq_f64_e32 vcc_lo, 0, v[8:9]
	s_or_b32 s3, s8, vcc_lo
	s_delay_alu instid0(SALU_CYCLE_1) | instskip(NEXT) | instid1(SALU_CYCLE_1)
	s_and_b32 s3, exec_lo, s3
	s_or_b32 s59, s3, s59
	s_and_not1_b32 s3, s26, exec_lo
	s_and_b32 s8, vcc_lo, exec_lo
	s_delay_alu instid0(SALU_CYCLE_1)
	s_or_b32 s26, s3, s8
	s_and_not1_b32 exec_lo, exec_lo, s59
	s_cbranch_execz .LBB189_263
.LBB189_258:                            ;   Parent Loop BB189_31 Depth=1
                                        ; =>  This Inner Loop Header: Depth=2
	s_delay_alu instid0(VALU_DEP_1)
	v_cmp_gt_u64_e32 vcc_lo, s[22:23], v[42:43]
	v_mov_b32_e32 v4, 0
	v_mov_b32_e32 v5, 0
	s_and_saveexec_b32 s8, vcc_lo
	s_cbranch_execz .LBB189_260
; %bb.259:                              ;   in Loop: Header=BB189_258 Depth=2
	ds_load_b64 v[4:5], v18
.LBB189_260:                            ;   in Loop: Header=BB189_258 Depth=2
	s_or_b32 exec_lo, exec_lo, s8
	s_and_saveexec_b32 s8, vcc_lo
	s_cbranch_execz .LBB189_257
; %bb.261:                              ;   in Loop: Header=BB189_258 Depth=2
	s_waitcnt lgkmcnt(0)
	v_cmp_o_f64_e32 vcc_lo, v[4:5], v[4:5]
	v_ashrrev_i32_e32 v2, 31, v5
	s_delay_alu instid0(VALU_DEP_1) | instskip(SKIP_1) | instid1(VALU_DEP_2)
	v_or_b32_e32 v8, 0x80000000, v2
	v_xor_b32_e32 v2, v2, v4
	v_xor_b32_e32 v8, v8, v5
	s_delay_alu instid0(VALU_DEP_1) | instskip(NEXT) | instid1(VALU_DEP_1)
	v_cndmask_b32_e32 v8, -1, v8, vcc_lo
	v_dual_cndmask_b32 v2, -1, v2 :: v_dual_and_b32 v9, v8, v15
	s_delay_alu instid0(VALU_DEP_1) | instskip(NEXT) | instid1(VALU_DEP_1)
	v_and_b32_e32 v8, v2, v14
	v_cmp_eq_u64_e32 vcc_lo, v[8:9], v[12:13]
	s_and_b32 exec_lo, exec_lo, vcc_lo
	s_cbranch_execz .LBB189_257
; %bb.262:                              ;   in Loop: Header=BB189_258 Depth=2
	v_mov_b32_e32 v2, v19
	ds_store_b128 v19, v[2:5] offset:3072
	s_branch .LBB189_257
.LBB189_263:                            ;   in Loop: Header=BB189_31 Depth=1
	s_set_inst_prefetch_distance 0x2
	s_or_b32 exec_lo, exec_lo, s59
	s_delay_alu instid0(SALU_CYCLE_1)
	s_and_b32 s26, s26, exec_lo
.LBB189_264:                            ;   in Loop: Header=BB189_31 Depth=1
	s_or_b32 exec_lo, exec_lo, s9
	s_mov_b32 s9, -1
	s_mov_b32 s8, 0
.LBB189_265:                            ;   in Loop: Header=BB189_31 Depth=1
	s_delay_alu instid0(SALU_CYCLE_1)
	s_and_b32 vcc_lo, exec_lo, s8
	s_mov_b32 s22, s8
	s_cbranch_vccz .LBB189_281
; %bb.266:                              ;   in Loop: Header=BB189_31 Depth=1
	s_mov_b32 s26, s61
	s_delay_alu instid0(SALU_CYCLE_1)
	s_cmp_lg_u64 s[26:27], 0
	s_cbranch_scc0 .LBB189_268
; %bb.267:                              ;   in Loop: Header=BB189_31 Depth=1
	v_cvt_f32_u32_e32 v2, s33
	s_sub_u32 s9, 0, s33
	s_subb_u32 s22, 0, 0
	s_delay_alu instid0(VALU_DEP_1) | instskip(NEXT) | instid1(VALU_DEP_1)
	v_fmac_f32_e64 v2, 0, 0x4f800000
	v_rcp_f32_e32 v2, v2
	s_waitcnt_depctr 0xfff
	v_mul_f32_e32 v2, 0x5f7ffffc, v2
	s_delay_alu instid0(VALU_DEP_1) | instskip(NEXT) | instid1(VALU_DEP_1)
	v_mul_f32_e32 v4, 0x2f800000, v2
	v_trunc_f32_e32 v4, v4
	s_delay_alu instid0(VALU_DEP_1) | instskip(SKIP_1) | instid1(VALU_DEP_2)
	v_fmac_f32_e32 v2, 0xcf800000, v4
	v_cvt_u32_f32_e32 v4, v4
	v_cvt_u32_f32_e32 v2, v2
	s_delay_alu instid0(VALU_DEP_2) | instskip(NEXT) | instid1(VALU_DEP_2)
	v_readfirstlane_b32 s3, v4
	v_readfirstlane_b32 s8, v2
	s_delay_alu instid0(VALU_DEP_2) | instskip(NEXT) | instid1(VALU_DEP_1)
	s_mul_i32 s23, s9, s3
	s_mul_hi_u32 s42, s9, s8
	s_mul_i32 s26, s22, s8
	s_add_i32 s23, s42, s23
	s_mul_i32 s43, s9, s8
	s_add_i32 s23, s23, s26
	s_mul_hi_u32 s42, s8, s43
	s_mul_hi_u32 s50, s3, s43
	s_mul_i32 s26, s3, s43
	s_mul_hi_u32 s43, s8, s23
	s_mul_i32 s8, s8, s23
	s_mul_hi_u32 s51, s3, s23
	s_add_u32 s8, s42, s8
	s_addc_u32 s42, 0, s43
	s_add_u32 s8, s8, s26
	s_mul_i32 s23, s3, s23
	s_addc_u32 s8, s42, s50
	s_addc_u32 s26, s51, 0
	s_add_u32 s8, s8, s23
	s_addc_u32 s23, 0, s26
	v_add_co_u32 v2, s8, v2, s8
	s_delay_alu instid0(VALU_DEP_1) | instskip(SKIP_1) | instid1(VALU_DEP_1)
	s_cmp_lg_u32 s8, 0
	s_addc_u32 s3, s3, s23
	v_readfirstlane_b32 s8, v2
	s_mul_i32 s23, s9, s3
	s_delay_alu instid0(VALU_DEP_1)
	s_mul_hi_u32 s26, s9, s8
	s_mul_i32 s22, s22, s8
	s_add_i32 s23, s26, s23
	s_mul_i32 s9, s9, s8
	s_add_i32 s23, s23, s22
	s_mul_hi_u32 s26, s3, s9
	s_mul_i32 s42, s3, s9
	s_mul_hi_u32 s9, s8, s9
	s_mul_hi_u32 s43, s8, s23
	s_mul_i32 s8, s8, s23
	s_mul_hi_u32 s22, s3, s23
	s_add_u32 s8, s9, s8
	s_addc_u32 s9, 0, s43
	s_add_u32 s8, s8, s42
	s_mul_i32 s23, s3, s23
	s_addc_u32 s8, s9, s26
	s_addc_u32 s9, s22, 0
	s_add_u32 s8, s8, s23
	s_addc_u32 s9, 0, s9
	v_add_co_u32 v2, s8, v2, s8
	s_delay_alu instid0(VALU_DEP_1) | instskip(SKIP_1) | instid1(VALU_DEP_1)
	s_cmp_lg_u32 s8, 0
	s_addc_u32 s3, s3, s9
	v_readfirstlane_b32 s8, v2
	s_mul_i32 s22, s87, s3
	s_mul_hi_u32 s9, s87, s3
	s_mul_hi_u32 s23, s27, s3
	s_mul_i32 s3, s27, s3
	s_mul_hi_u32 s26, s87, s8
	s_mul_hi_u32 s42, s27, s8
	s_mul_i32 s8, s27, s8
	s_add_u32 s22, s26, s22
	s_addc_u32 s9, 0, s9
	s_add_u32 s8, s22, s8
	s_addc_u32 s8, s9, s42
	s_addc_u32 s9, s23, 0
	s_add_u32 s3, s8, s3
	s_addc_u32 s8, 0, s9
	s_mul_hi_u32 s9, s33, s3
	s_mul_i32 s3, s33, s3
	s_mul_i32 s8, s33, s8
	v_sub_co_u32 v2, s3, s87, s3
	s_add_i32 s9, s9, s8
	s_cmp_lg_u32 s3, 0
	s_delay_alu instid0(VALU_DEP_1) | instskip(SKIP_3) | instid1(VALU_DEP_2)
	v_sub_co_u32 v4, s3, v2, s33
	s_subb_u32 s9, s27, s9
	s_cmp_lg_u32 s3, 0
	v_cmp_le_u32_e32 vcc_lo, s33, v2
	v_cmp_le_u32_e64 s8, s33, v4
	v_sub_co_u32 v5, s3, v4, s33
	s_subb_u32 s22, s9, 0
	s_cmp_lg_u32 s3, 0
	s_delay_alu instid0(VALU_DEP_2)
	v_cndmask_b32_e64 v8, 0, -1, s8
	s_subb_u32 s3, s22, 0
	s_cmp_eq_u32 s22, 0
	v_cndmask_b32_e64 v9, 0, -1, vcc_lo
	s_cselect_b32 vcc_lo, -1, 0
	s_cmp_eq_u32 s9, 0
	v_cndmask_b32_e32 v8, -1, v8, vcc_lo
	s_cselect_b32 vcc_lo, -1, 0
	v_dual_mov_b32 v10, s3 :: v_dual_cndmask_b32 v9, -1, v9
	s_delay_alu instid0(VALU_DEP_2) | instskip(NEXT) | instid1(VALU_DEP_2)
	v_cmp_ne_u32_e32 vcc_lo, 0, v8
	v_cmp_ne_u32_e64 s8, 0, v9
	s_delay_alu instid0(VALU_DEP_3) | instskip(SKIP_1) | instid1(VALU_DEP_2)
	v_cndmask_b32_e32 v8, s22, v10, vcc_lo
	v_cndmask_b32_e32 v4, v4, v5, vcc_lo
	v_cndmask_b32_e64 v5, s9, v8, s8
	s_delay_alu instid0(VALU_DEP_2)
	v_cndmask_b32_e64 v4, v2, v4, s8
	s_mov_b32 s8, 0
	s_branch .LBB189_269
.LBB189_268:                            ;   in Loop: Header=BB189_31 Depth=1
	s_mov_b32 s8, -1
                                        ; implicit-def: $vgpr4_vgpr5
.LBB189_269:                            ;   in Loop: Header=BB189_31 Depth=1
	s_delay_alu instid0(SALU_CYCLE_1)
	s_and_not1_b32 vcc_lo, exec_lo, s8
	s_cbranch_vccnz .LBB189_271
; %bb.270:                              ;   in Loop: Header=BB189_31 Depth=1
	v_cvt_f32_u32_e32 v2, s33
	s_sub_i32 s3, 0, s33
	s_delay_alu instid0(VALU_DEP_1) | instskip(SKIP_2) | instid1(VALU_DEP_1)
	v_rcp_iflag_f32_e32 v2, v2
	s_waitcnt_depctr 0xfff
	v_mul_f32_e32 v2, 0x4f7ffffe, v2
	v_cvt_u32_f32_e32 v2, v2
	s_delay_alu instid0(VALU_DEP_1) | instskip(NEXT) | instid1(VALU_DEP_1)
	v_mul_lo_u32 v4, s3, v2
	v_mul_hi_u32 v4, v2, v4
	s_delay_alu instid0(VALU_DEP_1) | instskip(NEXT) | instid1(VALU_DEP_1)
	v_add_nc_u32_e32 v2, v2, v4
	v_mul_hi_u32 v2, s87, v2
	s_delay_alu instid0(VALU_DEP_1) | instskip(NEXT) | instid1(VALU_DEP_1)
	v_mul_lo_u32 v2, v2, s33
	v_sub_nc_u32_e32 v2, s87, v2
	s_delay_alu instid0(VALU_DEP_1) | instskip(SKIP_1) | instid1(VALU_DEP_2)
	v_subrev_nc_u32_e32 v4, s33, v2
	v_cmp_le_u32_e32 vcc_lo, s33, v2
	v_cndmask_b32_e32 v2, v2, v4, vcc_lo
	s_delay_alu instid0(VALU_DEP_1) | instskip(SKIP_1) | instid1(VALU_DEP_2)
	v_subrev_nc_u32_e32 v4, s33, v2
	v_cmp_le_u32_e32 vcc_lo, s33, v2
	v_cndmask_b32_e32 v18, v2, v4, vcc_lo
	s_delay_alu instid0(VALU_DEP_1)
	v_dual_mov_b32 v4, v18 :: v_dual_mov_b32 v5, v19
.LBB189_271:                            ;   in Loop: Header=BB189_31 Depth=1
	s_delay_alu instid0(VALU_DEP_1) | instskip(NEXT) | instid1(VALU_DEP_2)
	v_sub_co_u32 v40, vcc_lo, s87, v4
	v_sub_co_ci_u32_e32 v41, vcc_lo, s27, v5, vcc_lo
	s_mov_b32 s26, 0
	s_mov_b32 s9, exec_lo
                                        ; implicit-def: $vgpr10_vgpr11
	s_delay_alu instid0(VALU_DEP_1)
	v_cmpx_gt_u64_e64 v[40:41], v[0:1]
	s_cbranch_execz .LBB189_280
; %bb.272:                              ;   in Loop: Header=BB189_31 Depth=1
	v_dual_mov_b32 v43, v31 :: v_dual_mov_b32 v42, v30
	v_dual_mov_b32 v45, v1 :: v_dual_mov_b32 v44, v0
	s_mov_b32 s23, 0
                                        ; implicit-def: $sgpr22
	s_branch .LBB189_274
.LBB189_273:                            ;   in Loop: Header=BB189_274 Depth=2
	s_or_b32 exec_lo, exec_lo, s8
	s_waitcnt vmcnt(0) lgkmcnt(0)
	s_barrier
	buffer_gl0_inv
	ds_load_b128 v[8:11], v19 offset:3072
	v_add_co_u32 v44, s8, v44, s33
	s_delay_alu instid0(VALU_DEP_1)
	v_add_co_ci_u32_e64 v45, s8, 0, v45, s8
	s_waitcnt lgkmcnt(0)
	s_barrier
	buffer_gl0_inv
	v_cmp_ge_u64_e64 s8, v[44:45], v[40:41]
	v_cmp_neq_f64_e32 vcc_lo, 0, v[8:9]
	s_delay_alu instid0(VALU_DEP_2)
	s_or_b32 s3, s8, vcc_lo
	v_add_co_u32 v42, s8, v42, s34
	s_and_b32 s3, exec_lo, s3
	v_add_co_ci_u32_e64 v43, s8, s35, v43, s8
	s_or_b32 s23, s3, s23
	s_and_not1_b32 s3, s22, exec_lo
	s_and_b32 s8, vcc_lo, exec_lo
	s_delay_alu instid0(SALU_CYCLE_1)
	s_or_b32 s22, s3, s8
	s_and_not1_b32 exec_lo, exec_lo, s23
	s_cbranch_execz .LBB189_279
.LBB189_274:                            ;   Parent Loop BB189_31 Depth=1
                                        ; =>  This Inner Loop Header: Depth=2
	s_delay_alu instid0(VALU_DEP_1)
	v_cmp_gt_u64_e32 vcc_lo, s[36:37], v[44:45]
	v_mov_b32_e32 v4, 0
	v_mov_b32_e32 v5, 0
	s_and_saveexec_b32 s8, vcc_lo
	s_cbranch_execz .LBB189_276
; %bb.275:                              ;   in Loop: Header=BB189_274 Depth=2
	global_load_b64 v[4:5], v[42:43], off
.LBB189_276:                            ;   in Loop: Header=BB189_274 Depth=2
	s_or_b32 exec_lo, exec_lo, s8
	s_and_saveexec_b32 s8, vcc_lo
	s_cbranch_execz .LBB189_273
; %bb.277:                              ;   in Loop: Header=BB189_274 Depth=2
	s_waitcnt vmcnt(0)
	v_cmp_o_f64_e32 vcc_lo, v[4:5], v[4:5]
	v_ashrrev_i32_e32 v2, 31, v5
	s_delay_alu instid0(VALU_DEP_1) | instskip(SKIP_1) | instid1(VALU_DEP_2)
	v_or_b32_e32 v8, 0x80000000, v2
	v_xor_b32_e32 v2, v2, v4
	v_xor_b32_e32 v8, v8, v5
	s_delay_alu instid0(VALU_DEP_1) | instskip(NEXT) | instid1(VALU_DEP_1)
	v_cndmask_b32_e32 v8, -1, v8, vcc_lo
	v_dual_cndmask_b32 v2, -1, v2 :: v_dual_and_b32 v9, v8, v15
	s_delay_alu instid0(VALU_DEP_1) | instskip(NEXT) | instid1(VALU_DEP_1)
	v_and_b32_e32 v8, v2, v14
	v_cmp_eq_u64_e32 vcc_lo, v[8:9], v[12:13]
	s_and_b32 exec_lo, exec_lo, vcc_lo
	s_cbranch_execz .LBB189_273
; %bb.278:                              ;   in Loop: Header=BB189_274 Depth=2
	v_mov_b32_e32 v2, v19
	ds_store_b128 v19, v[2:5] offset:3072
	s_branch .LBB189_273
.LBB189_279:                            ;   in Loop: Header=BB189_31 Depth=1
	s_or_b32 exec_lo, exec_lo, s23
	s_delay_alu instid0(SALU_CYCLE_1)
	s_and_b32 s26, s22, exec_lo
.LBB189_280:                            ;   in Loop: Header=BB189_31 Depth=1
	s_or_b32 exec_lo, exec_lo, s9
	s_mov_b32 s22, -1
	s_mov_b32 s8, 0
	s_mov_b32 s9, 0
.LBB189_281:                            ;   in Loop: Header=BB189_31 Depth=1
	s_or_not1_b32 s26, s26, exec_lo
.LBB189_282:                            ;   in Loop: Header=BB189_31 Depth=1
	s_or_b32 exec_lo, exec_lo, s58
	s_mov_b32 s58, 0
                                        ; implicit-def: $vgpr2
                                        ; implicit-def: $vgpr4_vgpr5
	s_and_saveexec_b32 s23, s26
	s_cbranch_execz .LBB189_294
; %bb.283:                              ;   in Loop: Header=BB189_31 Depth=1
	v_mov_b32_e32 v4, 1
	v_dual_mov_b32 v5, 0 :: v_dual_mov_b32 v2, 1
	s_xor_b32 s3, s47, -1
	s_delay_alu instid0(SALU_CYCLE_1)
	s_and_saveexec_b32 s26, s3
	s_cbranch_execz .LBB189_293
; %bb.284:                              ;   in Loop: Header=BB189_31 Depth=1
                                        ; implicit-def: $sgpr58
	s_mov_b32 s3, exec_lo
	v_cmpx_ge_u64_e64 s[20:21], v[38:39]
	s_xor_b32 s47, exec_lo, s3
	s_cbranch_execz .LBB189_290
; %bb.285:                              ;   in Loop: Header=BB189_31 Depth=1
	ds_load_b64 v[4:5], v19 offset:5120
	s_waitcnt lgkmcnt(0)
	v_cmp_ne_u64_e32 vcc_lo, 0, v[4:5]
	s_cbranch_vccnz .LBB189_289
; %bb.286:                              ;   in Loop: Header=BB189_31 Depth=1
	s_and_saveexec_b32 s58, s5
	s_cbranch_execz .LBB189_288
; %bb.287:                              ;   in Loop: Header=BB189_31 Depth=1
	v_dual_mov_b32 v4, s20 :: v_dual_mov_b32 v5, s21
	ds_store_b64 v19, v[4:5] offset:5128
.LBB189_288:                            ;   in Loop: Header=BB189_31 Depth=1
	s_or_b32 exec_lo, exec_lo, s58
	s_waitcnt lgkmcnt(0)
	s_barrier
	buffer_gl0_inv
.LBB189_289:                            ;   in Loop: Header=BB189_31 Depth=1
	v_or_b32_e32 v13, s13, v13
	v_or_b32_e32 v12, s12, v12
	;; [unrolled: 1-line block ×4, first 2 shown]
	s_mov_b32 s58, 8
.LBB189_290:                            ;   in Loop: Header=BB189_31 Depth=1
	s_or_saveexec_b32 s47, s47
	v_mov_b32_e32 v2, s58
	s_xor_b32 exec_lo, exec_lo, s47
; %bb.291:                              ;   in Loop: Header=BB189_31 Depth=1
	v_sub_co_u32 v38, vcc_lo, v38, s20
	v_subrev_co_ci_u32_e32 v39, vcc_lo, s21, v39, vcc_lo
	v_mov_b32_e32 v2, 8
; %bb.292:                              ;   in Loop: Header=BB189_31 Depth=1
	s_or_b32 exec_lo, exec_lo, s47
	s_delay_alu instid0(VALU_DEP_2)
	v_dual_mov_b32 v4, v38 :: v_dual_mov_b32 v5, v39
.LBB189_293:                            ;   in Loop: Header=BB189_31 Depth=1
	s_or_b32 exec_lo, exec_lo, s26
	s_delay_alu instid0(SALU_CYCLE_1)
	s_mov_b32 s58, exec_lo
.LBB189_294:                            ;   in Loop: Header=BB189_31 Depth=1
	s_or_b32 exec_lo, exec_lo, s23
	s_delay_alu instid0(VALU_DEP_1)
	v_dual_mov_b32 v39, v5 :: v_dual_mov_b32 v38, v4
	s_or_not1_b32 s23, s58, exec_lo
.LBB189_295:                            ;   in Loop: Header=BB189_31 Depth=1
	s_or_b32 exec_lo, exec_lo, s46
	s_delay_alu instid0(SALU_CYCLE_1)
	s_and_not1_b32 s3, s78, exec_lo
	s_and_b32 s8, s8, exec_lo
	v_dual_mov_b32 v41, v39 :: v_dual_mov_b32 v40, v38
	s_or_b32 s78, s3, s8
	s_and_not1_b32 s3, s56, exec_lo
	s_and_b32 s8, s22, exec_lo
	s_and_not1_b32 s22, s79, exec_lo
	s_and_b32 s9, s9, exec_lo
	s_or_b32 s56, s3, s8
	s_or_b32 s79, s22, s9
	s_and_b32 s26, s23, exec_lo
.LBB189_296:                            ;   in Loop: Header=BB189_31 Depth=1
	s_or_b32 exec_lo, exec_lo, s57
	s_delay_alu instid0(SALU_CYCLE_1)
	s_and_b32 s23, s78, exec_lo
	s_and_b32 s22, s56, exec_lo
	;; [unrolled: 1-line block ×3, first 2 shown]
	s_or_not1_b32 s8, s26, exec_lo
.LBB189_297:                            ;   in Loop: Header=BB189_31 Depth=1
	s_or_b32 exec_lo, exec_lo, s77
	s_delay_alu instid0(SALU_CYCLE_1)
	s_and_not1_b32 s26, s60, exec_lo
	s_and_b32 s23, s23, exec_lo
	v_dual_mov_b32 v38, v40 :: v_dual_mov_b32 v39, v41
	s_or_b32 s60, s26, s23
	s_and_not1_b32 s23, s75, exec_lo
	s_and_b32 s22, s22, exec_lo
	s_and_not1_b32 s26, s74, exec_lo
	s_and_b32 s9, s9, exec_lo
	s_or_b32 s75, s23, s22
	s_or_b32 s74, s26, s9
	s_and_b32 s26, s8, exec_lo
.LBB189_298:                            ;   in Loop: Header=BB189_31 Depth=1
	s_or_b32 exec_lo, exec_lo, s76
	s_delay_alu instid0(SALU_CYCLE_1)
	s_and_b32 s23, s60, exec_lo
	s_and_b32 s22, s75, exec_lo
	;; [unrolled: 1-line block ×3, first 2 shown]
	s_or_not1_b32 s46, s26, exec_lo
.LBB189_299:                            ;   in Loop: Header=BB189_31 Depth=1
	s_or_b32 exec_lo, exec_lo, s55
	s_mov_b32 s8, 0
	s_mov_b32 s26, 0
	s_and_saveexec_b32 s47, s46
	s_delay_alu instid0(SALU_CYCLE_1)
	s_xor_b32 s46, exec_lo, s47
; %bb.300:                              ;   in Loop: Header=BB189_31 Depth=1
	v_cmp_ne_u32_e32 vcc_lo, 8, v2
	v_cmp_eq_u32_e64 s8, 8, v2
	s_and_not1_b32 s23, s23, exec_lo
	s_and_not1_b32 s22, s22, exec_lo
	;; [unrolled: 1-line block ×3, first 2 shown]
	s_and_b32 s26, vcc_lo, exec_lo
	s_and_b32 s8, s8, exec_lo
; %bb.301:                              ;   in Loop: Header=BB189_31 Depth=1
	s_or_b32 exec_lo, exec_lo, s46
	s_delay_alu instid0(SALU_CYCLE_1)
	s_and_not1_b32 s25, s25, exec_lo
	s_and_b32 s23, s23, exec_lo
	s_and_b32 s22, s22, exec_lo
	s_or_b32 s25, s25, s23
	s_and_not1_b32 s23, s71, exec_lo
	s_and_not1_b32 s46, s70, exec_lo
	s_and_b32 s9, s9, exec_lo
	s_or_b32 s71, s23, s22
	s_or_b32 s70, s46, s9
	s_and_b32 s55, s26, exec_lo
	s_and_b32 s60, s8, exec_lo
.LBB189_302:                            ;   in Loop: Header=BB189_31 Depth=1
	s_or_b32 exec_lo, exec_lo, s73
	s_delay_alu instid0(SALU_CYCLE_1)
	s_and_b32 vcc_lo, exec_lo, s72
	s_cbranch_vccz .LBB189_121
.LBB189_303:                            ;   in Loop: Header=BB189_31 Depth=1
	s_delay_alu instid0(VALU_DEP_1) | instskip(SKIP_1) | instid1(SALU_CYCLE_1)
	s_cmp_eq_u64 s[20:21], 1
                                        ; implicit-def: $sgpr22
                                        ; implicit-def: $sgpr23
                                        ; implicit-def: $sgpr25
	s_cselect_b32 s8, -1, 0
	s_and_b32 s46, s8, s7
	s_mov_b32 s7, -1
	s_and_saveexec_b32 s47, s46
	s_cbranch_execz .LBB189_335
; %bb.304:                              ;   in Loop: Header=BB189_31 Depth=1
	ds_load_b64 v[4:5], v19 offset:5120
	s_waitcnt lgkmcnt(0)
	s_barrier
	buffer_gl0_inv
	v_readfirstlane_b32 s8, v4
	v_readfirstlane_b32 s9, v5
	s_and_saveexec_b32 s7, s6
	s_cbranch_execz .LBB189_306
; %bb.305:                              ;   in Loop: Header=BB189_31 Depth=1
	v_mov_b32_e32 v18, v19
	ds_store_b64 v52, v[18:19]
.LBB189_306:                            ;   in Loop: Header=BB189_31 Depth=1
	s_or_b32 exec_lo, exec_lo, s7
	v_or_b32_e32 v35, s13, v35
	v_or_b32_e32 v34, s12, v34
	;; [unrolled: 1-line block ×4, first 2 shown]
	s_cmp_eq_u64 s[8:9], 0
	s_waitcnt lgkmcnt(0)
	s_barrier
	buffer_gl0_inv
	s_cbranch_scc1 .LBB189_318
; %bb.307:                              ;   in Loop: Header=BB189_31 Depth=1
	s_add_u32 s25, s85, s8
	s_addc_u32 s23, s86, s9
	s_mov_b32 s22, s61
	s_delay_alu instid0(SALU_CYCLE_1)
	s_cmp_lg_u64 s[22:23], 0
	s_cbranch_scc0 .LBB189_362
; %bb.308:                              ;   in Loop: Header=BB189_31 Depth=1
	v_cvt_f32_u32_e32 v2, s33
	s_sub_u32 s26, 0, s33
	s_subb_u32 s56, 0, 0
	s_delay_alu instid0(VALU_DEP_1) | instskip(NEXT) | instid1(VALU_DEP_1)
	v_fmac_f32_e64 v2, 0, 0x4f800000
	v_rcp_f32_e32 v2, v2
	s_waitcnt_depctr 0xfff
	v_mul_f32_e32 v2, 0x5f7ffffc, v2
	s_delay_alu instid0(VALU_DEP_1) | instskip(NEXT) | instid1(VALU_DEP_1)
	v_mul_f32_e32 v4, 0x2f800000, v2
	v_trunc_f32_e32 v4, v4
	s_delay_alu instid0(VALU_DEP_1) | instskip(SKIP_1) | instid1(VALU_DEP_2)
	v_fmac_f32_e32 v2, 0xcf800000, v4
	v_cvt_u32_f32_e32 v4, v4
	v_cvt_u32_f32_e32 v2, v2
	s_delay_alu instid0(VALU_DEP_2) | instskip(NEXT) | instid1(VALU_DEP_2)
	v_readfirstlane_b32 s7, v4
	v_readfirstlane_b32 s22, v2
	s_delay_alu instid0(VALU_DEP_2) | instskip(NEXT) | instid1(VALU_DEP_1)
	s_mul_i32 s57, s26, s7
	s_mul_hi_u32 s59, s26, s22
	s_mul_i32 s58, s56, s22
	s_add_i32 s57, s59, s57
	s_mul_i32 s70, s26, s22
	s_add_i32 s57, s57, s58
	s_mul_hi_u32 s59, s22, s70
	s_mul_hi_u32 s71, s7, s70
	s_mul_i32 s58, s7, s70
	s_mul_hi_u32 s70, s22, s57
	s_mul_i32 s22, s22, s57
	s_mul_hi_u32 s72, s7, s57
	s_add_u32 s22, s59, s22
	s_addc_u32 s59, 0, s70
	s_add_u32 s22, s22, s58
	s_mul_i32 s57, s7, s57
	s_addc_u32 s22, s59, s71
	s_addc_u32 s58, s72, 0
	s_add_u32 s22, s22, s57
	s_addc_u32 s57, 0, s58
	v_add_co_u32 v2, s22, v2, s22
	s_delay_alu instid0(VALU_DEP_1) | instskip(SKIP_1) | instid1(VALU_DEP_1)
	s_cmp_lg_u32 s22, 0
	s_addc_u32 s7, s7, s57
	v_readfirstlane_b32 s22, v2
	s_mul_i32 s57, s26, s7
	s_delay_alu instid0(VALU_DEP_1)
	s_mul_hi_u32 s58, s26, s22
	s_mul_i32 s56, s56, s22
	s_add_i32 s57, s58, s57
	s_mul_i32 s26, s26, s22
	s_add_i32 s57, s57, s56
	s_mul_hi_u32 s58, s7, s26
	s_mul_i32 s59, s7, s26
	s_mul_hi_u32 s26, s22, s26
	s_mul_hi_u32 s70, s22, s57
	s_mul_i32 s22, s22, s57
	s_mul_hi_u32 s56, s7, s57
	s_add_u32 s22, s26, s22
	s_addc_u32 s26, 0, s70
	s_add_u32 s22, s22, s59
	s_mul_i32 s57, s7, s57
	s_addc_u32 s22, s26, s58
	s_addc_u32 s26, s56, 0
	s_add_u32 s22, s22, s57
	s_addc_u32 s26, 0, s26
	v_add_co_u32 v2, s22, v2, s22
	s_delay_alu instid0(VALU_DEP_1) | instskip(SKIP_1) | instid1(VALU_DEP_1)
	s_cmp_lg_u32 s22, 0
	s_addc_u32 s7, s7, s26
	v_readfirstlane_b32 s22, v2
	s_mul_i32 s56, s25, s7
	s_mul_hi_u32 s26, s25, s7
	s_mul_hi_u32 s57, s23, s7
	s_mul_i32 s7, s23, s7
	s_mul_hi_u32 s58, s25, s22
	s_mul_hi_u32 s59, s23, s22
	s_mul_i32 s22, s23, s22
	s_add_u32 s56, s58, s56
	s_addc_u32 s26, 0, s26
	s_add_u32 s22, s56, s22
	s_addc_u32 s22, s26, s59
	s_addc_u32 s26, s57, 0
	s_add_u32 s7, s22, s7
	s_addc_u32 s22, 0, s26
	s_mul_hi_u32 s26, s33, s7
	s_mul_i32 s7, s33, s7
	s_mul_i32 s22, s33, s22
	v_sub_co_u32 v2, s7, s25, s7
	s_add_i32 s26, s26, s22
	s_cmp_lg_u32 s7, 0
	s_delay_alu instid0(VALU_DEP_1) | instskip(SKIP_3) | instid1(VALU_DEP_2)
	v_sub_co_u32 v4, s7, v2, s33
	s_subb_u32 s22, s23, s26
	s_cmp_lg_u32 s7, 0
	v_cmp_le_u32_e32 vcc_lo, s33, v2
	v_cmp_le_u32_e64 s7, s33, v4
	v_sub_co_u32 v5, s26, v4, s33
	s_subb_u32 s56, s22, 0
	s_cmp_lg_u32 s26, 0
	s_delay_alu instid0(VALU_DEP_2)
	v_cndmask_b32_e64 v6, 0, -1, s7
	s_subb_u32 s26, s56, 0
	s_cmp_eq_u32 s56, 0
	v_cndmask_b32_e64 v7, 0, -1, vcc_lo
	s_cselect_b32 vcc_lo, -1, 0
	s_cmp_eq_u32 s22, 0
	v_cndmask_b32_e32 v6, -1, v6, vcc_lo
	s_cselect_b32 vcc_lo, -1, 0
	v_dual_mov_b32 v8, s26 :: v_dual_cndmask_b32 v7, -1, v7
	s_delay_alu instid0(VALU_DEP_2) | instskip(NEXT) | instid1(VALU_DEP_2)
	v_cmp_ne_u32_e32 vcc_lo, 0, v6
	v_cmp_ne_u32_e64 s7, 0, v7
	s_delay_alu instid0(VALU_DEP_3) | instskip(SKIP_1) | instid1(VALU_DEP_2)
	v_cndmask_b32_e32 v6, s56, v8, vcc_lo
	v_cndmask_b32_e32 v4, v4, v5, vcc_lo
	v_cndmask_b32_e64 v5, s22, v6, s7
	s_delay_alu instid0(VALU_DEP_2)
	v_cndmask_b32_e64 v4, v2, v4, s7
	s_cbranch_execnz .LBB189_310
.LBB189_309:                            ;   in Loop: Header=BB189_31 Depth=1
	v_cvt_f32_u32_e32 v2, s33
	s_sub_i32 s7, 0, s33
	s_delay_alu instid0(VALU_DEP_1) | instskip(SKIP_2) | instid1(VALU_DEP_1)
	v_rcp_iflag_f32_e32 v2, v2
	s_waitcnt_depctr 0xfff
	v_mul_f32_e32 v2, 0x4f7ffffe, v2
	v_cvt_u32_f32_e32 v2, v2
	s_delay_alu instid0(VALU_DEP_1) | instskip(NEXT) | instid1(VALU_DEP_1)
	v_mul_lo_u32 v4, s7, v2
	v_mul_hi_u32 v4, v2, v4
	s_delay_alu instid0(VALU_DEP_1) | instskip(NEXT) | instid1(VALU_DEP_1)
	v_add_nc_u32_e32 v2, v2, v4
	v_mul_hi_u32 v2, s25, v2
	s_delay_alu instid0(VALU_DEP_1) | instskip(NEXT) | instid1(VALU_DEP_1)
	v_mul_lo_u32 v2, v2, s33
	v_sub_nc_u32_e32 v2, s25, v2
	s_delay_alu instid0(VALU_DEP_1) | instskip(SKIP_1) | instid1(VALU_DEP_2)
	v_subrev_nc_u32_e32 v4, s33, v2
	v_cmp_le_u32_e32 vcc_lo, s33, v2
	v_cndmask_b32_e32 v2, v2, v4, vcc_lo
	s_delay_alu instid0(VALU_DEP_1) | instskip(SKIP_1) | instid1(VALU_DEP_2)
	v_subrev_nc_u32_e32 v4, s33, v2
	v_cmp_le_u32_e32 vcc_lo, s33, v2
	v_cndmask_b32_e32 v18, v2, v4, vcc_lo
	s_delay_alu instid0(VALU_DEP_1)
	v_dual_mov_b32 v4, v18 :: v_dual_mov_b32 v5, v19
.LBB189_310:                            ;   in Loop: Header=BB189_31 Depth=1
	s_delay_alu instid0(VALU_DEP_1) | instskip(NEXT) | instid1(VALU_DEP_2)
	v_sub_co_u32 v8, vcc_lo, s25, v4
	v_sub_co_ci_u32_e32 v9, vcc_lo, s23, v5, vcc_lo
	s_mov_b32 s7, 0
	s_mov_b32 s22, exec_lo
                                        ; implicit-def: $vgpr6_vgpr7
	s_delay_alu instid0(VALU_DEP_1)
	v_cmpx_gt_u64_e64 v[8:9], v[0:1]
	s_cbranch_execz .LBB189_320
; %bb.311:                              ;   in Loop: Header=BB189_31 Depth=1
	v_dual_mov_b32 v12, v51 :: v_dual_mov_b32 v11, v1
	v_mov_b32_e32 v10, v0
	s_mov_b32 s25, 0
                                        ; implicit-def: $sgpr23
	s_set_inst_prefetch_distance 0x1
	s_branch .LBB189_313
	.p2align	6
.LBB189_312:                            ;   in Loop: Header=BB189_313 Depth=2
	s_or_b32 exec_lo, exec_lo, s7
	s_waitcnt lgkmcnt(0)
	s_barrier
	buffer_gl0_inv
	ds_load_b128 v[4:7], v19 offset:3072
	v_add_co_u32 v10, s7, v10, s33
	s_delay_alu instid0(VALU_DEP_1) | instskip(SKIP_3) | instid1(VALU_DEP_2)
	v_add_co_ci_u32_e64 v11, s7, 0, v11, s7
	v_add_nc_u32_e32 v12, s93, v12
	s_waitcnt lgkmcnt(0)
	s_barrier
	v_cmp_ge_u64_e64 s7, v[10:11], v[8:9]
	buffer_gl0_inv
	v_cmp_neq_f64_e32 vcc_lo, 0, v[4:5]
	s_or_b32 s7, s7, vcc_lo
	s_delay_alu instid0(SALU_CYCLE_1) | instskip(NEXT) | instid1(SALU_CYCLE_1)
	s_and_b32 s7, exec_lo, s7
	s_or_b32 s25, s7, s25
	s_and_not1_b32 s7, s23, exec_lo
	s_and_b32 s23, vcc_lo, exec_lo
	s_delay_alu instid0(SALU_CYCLE_1)
	s_or_b32 s23, s7, s23
	s_and_not1_b32 exec_lo, exec_lo, s25
	s_cbranch_execz .LBB189_319
.LBB189_313:                            ;   Parent Loop BB189_31 Depth=1
                                        ; =>  This Inner Loop Header: Depth=2
	s_delay_alu instid0(VALU_DEP_1)
	v_cmp_gt_u64_e32 vcc_lo, s[8:9], v[10:11]
	v_mov_b32_e32 v4, 0
	v_mov_b32_e32 v5, 0
	s_and_saveexec_b32 s7, vcc_lo
	s_cbranch_execz .LBB189_315
; %bb.314:                              ;   in Loop: Header=BB189_313 Depth=2
	ds_load_b64 v[4:5], v12
.LBB189_315:                            ;   in Loop: Header=BB189_313 Depth=2
	s_or_b32 exec_lo, exec_lo, s7
	s_and_saveexec_b32 s7, vcc_lo
	s_cbranch_execz .LBB189_312
; %bb.316:                              ;   in Loop: Header=BB189_313 Depth=2
	s_waitcnt lgkmcnt(0)
	v_cmp_o_f64_e32 vcc_lo, v[4:5], v[4:5]
	v_ashrrev_i32_e32 v2, 31, v5
	s_delay_alu instid0(VALU_DEP_1) | instskip(SKIP_1) | instid1(VALU_DEP_2)
	v_or_b32_e32 v6, 0x80000000, v2
	v_xor_b32_e32 v2, v2, v4
	v_xor_b32_e32 v6, v6, v5
	s_delay_alu instid0(VALU_DEP_1) | instskip(NEXT) | instid1(VALU_DEP_1)
	v_cndmask_b32_e32 v6, -1, v6, vcc_lo
	v_dual_cndmask_b32 v2, -1, v2 :: v_dual_and_b32 v7, v6, v33
	s_delay_alu instid0(VALU_DEP_1) | instskip(NEXT) | instid1(VALU_DEP_1)
	v_and_b32_e32 v6, v2, v32
	v_cmp_eq_u64_e32 vcc_lo, v[6:7], v[34:35]
	s_and_b32 exec_lo, exec_lo, vcc_lo
	s_cbranch_execz .LBB189_312
; %bb.317:                              ;   in Loop: Header=BB189_313 Depth=2
	v_mov_b32_e32 v2, v19
	ds_store_b128 v19, v[2:5] offset:3072
	s_branch .LBB189_312
.LBB189_318:                            ;   in Loop: Header=BB189_31 Depth=1
	s_mov_b32 s22, -1
	s_mov_b32 s7, 0
                                        ; implicit-def: $sgpr23
                                        ; implicit-def: $vgpr6_vgpr7
	s_mov_b32 s25, s22
	s_cbranch_execnz .LBB189_321
	s_branch .LBB189_334
.LBB189_319:                            ;   in Loop: Header=BB189_31 Depth=1
	s_set_inst_prefetch_distance 0x2
	s_or_b32 exec_lo, exec_lo, s25
	s_delay_alu instid0(SALU_CYCLE_1)
	s_and_b32 s7, s23, exec_lo
.LBB189_320:                            ;   in Loop: Header=BB189_31 Depth=1
	s_or_b32 exec_lo, exec_lo, s22
	s_mov_b32 s22, 0
	s_mov_b32 s23, -1
	s_mov_b32 s25, s22
	s_branch .LBB189_334
.LBB189_321:                            ;   in Loop: Header=BB189_31 Depth=1
	s_mov_b32 s26, s61
	s_delay_alu instid0(SALU_CYCLE_1)
	s_cmp_lg_u64 s[26:27], 0
	s_cbranch_scc0 .LBB189_363
; %bb.322:                              ;   in Loop: Header=BB189_31 Depth=1
	v_cvt_f32_u32_e32 v2, s33
	s_sub_u32 s9, 0, s33
	s_subb_u32 s22, 0, 0
	s_delay_alu instid0(VALU_DEP_1) | instskip(NEXT) | instid1(VALU_DEP_1)
	v_fmac_f32_e64 v2, 0, 0x4f800000
	v_rcp_f32_e32 v2, v2
	s_waitcnt_depctr 0xfff
	v_mul_f32_e32 v2, 0x5f7ffffc, v2
	s_delay_alu instid0(VALU_DEP_1) | instskip(NEXT) | instid1(VALU_DEP_1)
	v_mul_f32_e32 v4, 0x2f800000, v2
	v_trunc_f32_e32 v4, v4
	s_delay_alu instid0(VALU_DEP_1) | instskip(SKIP_1) | instid1(VALU_DEP_2)
	v_fmac_f32_e32 v2, 0xcf800000, v4
	v_cvt_u32_f32_e32 v4, v4
	v_cvt_u32_f32_e32 v2, v2
	s_delay_alu instid0(VALU_DEP_2) | instskip(NEXT) | instid1(VALU_DEP_2)
	v_readfirstlane_b32 s7, v4
	v_readfirstlane_b32 s8, v2
	s_delay_alu instid0(VALU_DEP_2) | instskip(NEXT) | instid1(VALU_DEP_1)
	s_mul_i32 s23, s9, s7
	s_mul_hi_u32 s26, s9, s8
	s_mul_i32 s25, s22, s8
	s_add_i32 s23, s26, s23
	s_mul_i32 s56, s9, s8
	s_add_i32 s23, s23, s25
	s_mul_hi_u32 s26, s8, s56
	s_mul_hi_u32 s57, s7, s56
	s_mul_i32 s25, s7, s56
	s_mul_hi_u32 s56, s8, s23
	s_mul_i32 s8, s8, s23
	s_mul_hi_u32 s58, s7, s23
	s_add_u32 s8, s26, s8
	s_addc_u32 s26, 0, s56
	s_add_u32 s8, s8, s25
	s_mul_i32 s23, s7, s23
	s_addc_u32 s8, s26, s57
	s_addc_u32 s25, s58, 0
	s_add_u32 s8, s8, s23
	s_addc_u32 s23, 0, s25
	v_add_co_u32 v2, s8, v2, s8
	s_delay_alu instid0(VALU_DEP_1) | instskip(SKIP_1) | instid1(VALU_DEP_1)
	s_cmp_lg_u32 s8, 0
	s_addc_u32 s7, s7, s23
	v_readfirstlane_b32 s8, v2
	s_mul_i32 s23, s9, s7
	s_delay_alu instid0(VALU_DEP_1)
	s_mul_hi_u32 s25, s9, s8
	s_mul_i32 s22, s22, s8
	s_add_i32 s23, s25, s23
	s_mul_i32 s9, s9, s8
	s_add_i32 s23, s23, s22
	s_mul_hi_u32 s25, s7, s9
	s_mul_i32 s26, s7, s9
	s_mul_hi_u32 s9, s8, s9
	s_mul_hi_u32 s56, s8, s23
	s_mul_i32 s8, s8, s23
	s_mul_hi_u32 s22, s7, s23
	s_add_u32 s8, s9, s8
	s_addc_u32 s9, 0, s56
	s_add_u32 s8, s8, s26
	s_mul_i32 s23, s7, s23
	s_addc_u32 s8, s9, s25
	s_addc_u32 s9, s22, 0
	s_add_u32 s8, s8, s23
	s_addc_u32 s9, 0, s9
	v_add_co_u32 v2, s8, v2, s8
	s_delay_alu instid0(VALU_DEP_1) | instskip(SKIP_1) | instid1(VALU_DEP_1)
	s_cmp_lg_u32 s8, 0
	s_addc_u32 s7, s7, s9
	v_readfirstlane_b32 s8, v2
	s_mul_i32 s22, s87, s7
	s_mul_hi_u32 s9, s87, s7
	s_mul_hi_u32 s23, s27, s7
	s_mul_i32 s7, s27, s7
	s_mul_hi_u32 s25, s87, s8
	s_mul_hi_u32 s26, s27, s8
	s_mul_i32 s8, s27, s8
	s_add_u32 s22, s25, s22
	s_addc_u32 s9, 0, s9
	s_add_u32 s8, s22, s8
	s_addc_u32 s8, s9, s26
	s_addc_u32 s9, s23, 0
	s_add_u32 s7, s8, s7
	s_addc_u32 s8, 0, s9
	s_mul_hi_u32 s9, s33, s7
	s_mul_i32 s7, s33, s7
	s_mul_i32 s8, s33, s8
	v_sub_co_u32 v2, s7, s87, s7
	s_add_i32 s9, s9, s8
	s_cmp_lg_u32 s7, 0
	s_delay_alu instid0(VALU_DEP_1) | instskip(SKIP_2) | instid1(VALU_DEP_1)
	v_sub_co_u32 v4, s7, v2, s33
	s_subb_u32 s8, s27, s9
	s_cmp_lg_u32 s7, 0
	v_cmp_le_u32_e32 vcc_lo, s33, v4
	v_sub_co_u32 v5, s7, v4, s33
	s_subb_u32 s9, s8, 0
	s_cmp_lg_u32 s7, 0
	v_cndmask_b32_e64 v6, 0, -1, vcc_lo
	s_subb_u32 s7, s9, 0
	s_cmp_eq_u32 s9, 0
	v_mov_b32_e32 v8, s7
	s_cselect_b32 vcc_lo, -1, 0
	s_cmp_eq_u32 s8, 0
	v_cndmask_b32_e32 v6, -1, v6, vcc_lo
	v_cmp_le_u32_e32 vcc_lo, s33, v2
	s_cselect_b32 s7, -1, 0
	v_cndmask_b32_e64 v7, 0, -1, vcc_lo
	s_delay_alu instid0(VALU_DEP_3) | instskip(NEXT) | instid1(VALU_DEP_2)
	v_cmp_ne_u32_e32 vcc_lo, 0, v6
	v_cndmask_b32_e64 v6, -1, v7, s7
	v_cndmask_b32_e32 v7, s9, v8, vcc_lo
	v_cndmask_b32_e32 v4, v4, v5, vcc_lo
	s_delay_alu instid0(VALU_DEP_3) | instskip(NEXT) | instid1(VALU_DEP_3)
	v_cmp_ne_u32_e32 vcc_lo, 0, v6
	v_cndmask_b32_e32 v5, s8, v7, vcc_lo
	s_delay_alu instid0(VALU_DEP_3)
	v_cndmask_b32_e32 v4, v2, v4, vcc_lo
	s_cbranch_execnz .LBB189_324
.LBB189_323:                            ;   in Loop: Header=BB189_31 Depth=1
	v_cvt_f32_u32_e32 v2, s33
	s_sub_i32 s7, 0, s33
	s_delay_alu instid0(VALU_DEP_1) | instskip(SKIP_2) | instid1(VALU_DEP_1)
	v_rcp_iflag_f32_e32 v2, v2
	s_waitcnt_depctr 0xfff
	v_mul_f32_e32 v2, 0x4f7ffffe, v2
	v_cvt_u32_f32_e32 v2, v2
	s_delay_alu instid0(VALU_DEP_1) | instskip(NEXT) | instid1(VALU_DEP_1)
	v_mul_lo_u32 v4, s7, v2
	v_mul_hi_u32 v4, v2, v4
	s_delay_alu instid0(VALU_DEP_1) | instskip(NEXT) | instid1(VALU_DEP_1)
	v_add_nc_u32_e32 v2, v2, v4
	v_mul_hi_u32 v2, s87, v2
	s_delay_alu instid0(VALU_DEP_1) | instskip(NEXT) | instid1(VALU_DEP_1)
	v_mul_lo_u32 v2, v2, s33
	v_sub_nc_u32_e32 v2, s87, v2
	s_delay_alu instid0(VALU_DEP_1) | instskip(SKIP_1) | instid1(VALU_DEP_2)
	v_subrev_nc_u32_e32 v4, s33, v2
	v_cmp_le_u32_e32 vcc_lo, s33, v2
	v_cndmask_b32_e32 v2, v2, v4, vcc_lo
	s_delay_alu instid0(VALU_DEP_1) | instskip(SKIP_1) | instid1(VALU_DEP_2)
	v_subrev_nc_u32_e32 v4, s33, v2
	v_cmp_le_u32_e32 vcc_lo, s33, v2
	v_cndmask_b32_e32 v18, v2, v4, vcc_lo
	s_delay_alu instid0(VALU_DEP_1)
	v_dual_mov_b32 v4, v18 :: v_dual_mov_b32 v5, v19
.LBB189_324:                            ;   in Loop: Header=BB189_31 Depth=1
	s_delay_alu instid0(VALU_DEP_1) | instskip(NEXT) | instid1(VALU_DEP_2)
	v_sub_co_u32 v8, vcc_lo, s87, v4
	v_sub_co_ci_u32_e32 v9, vcc_lo, s27, v5, vcc_lo
	s_mov_b32 s7, 0
	s_mov_b32 s8, exec_lo
                                        ; implicit-def: $vgpr6_vgpr7
	s_delay_alu instid0(VALU_DEP_1)
	v_cmpx_gt_u64_e64 v[8:9], v[0:1]
	s_cbranch_execz .LBB189_333
; %bb.325:                              ;   in Loop: Header=BB189_31 Depth=1
	v_dual_mov_b32 v10, v30 :: v_dual_mov_b32 v11, v31
	v_dual_mov_b32 v13, v1 :: v_dual_mov_b32 v12, v0
	s_mov_b32 s22, 0
                                        ; implicit-def: $sgpr9
	s_branch .LBB189_327
.LBB189_326:                            ;   in Loop: Header=BB189_327 Depth=2
	s_or_b32 exec_lo, exec_lo, s7
	s_waitcnt vmcnt(0) lgkmcnt(0)
	s_barrier
	buffer_gl0_inv
	ds_load_b128 v[4:7], v19 offset:3072
	v_add_co_u32 v12, s7, v12, s33
	s_delay_alu instid0(VALU_DEP_1)
	v_add_co_ci_u32_e64 v13, s7, 0, v13, s7
	s_waitcnt lgkmcnt(0)
	s_barrier
	buffer_gl0_inv
	v_cmp_ge_u64_e64 s7, v[12:13], v[8:9]
	v_cmp_neq_f64_e32 vcc_lo, 0, v[4:5]
	s_delay_alu instid0(VALU_DEP_2) | instskip(NEXT) | instid1(SALU_CYCLE_1)
	s_or_b32 s7, s7, vcc_lo
	s_and_b32 s23, exec_lo, s7
	v_add_co_u32 v10, s7, v10, s34
	s_delay_alu instid0(VALU_DEP_1) | instskip(SKIP_3) | instid1(SALU_CYCLE_1)
	v_add_co_ci_u32_e64 v11, s7, s35, v11, s7
	s_or_b32 s22, s23, s22
	s_and_not1_b32 s7, s9, exec_lo
	s_and_b32 s9, vcc_lo, exec_lo
	s_or_b32 s9, s7, s9
	s_and_not1_b32 exec_lo, exec_lo, s22
	s_cbranch_execz .LBB189_332
.LBB189_327:                            ;   Parent Loop BB189_31 Depth=1
                                        ; =>  This Inner Loop Header: Depth=2
	s_delay_alu instid0(VALU_DEP_1)
	v_cmp_gt_u64_e32 vcc_lo, s[36:37], v[12:13]
	v_mov_b32_e32 v4, 0
	v_mov_b32_e32 v5, 0
	s_and_saveexec_b32 s7, vcc_lo
	s_cbranch_execz .LBB189_329
; %bb.328:                              ;   in Loop: Header=BB189_327 Depth=2
	global_load_b64 v[4:5], v[10:11], off
.LBB189_329:                            ;   in Loop: Header=BB189_327 Depth=2
	s_or_b32 exec_lo, exec_lo, s7
	s_and_saveexec_b32 s7, vcc_lo
	s_cbranch_execz .LBB189_326
; %bb.330:                              ;   in Loop: Header=BB189_327 Depth=2
	s_waitcnt vmcnt(0)
	v_cmp_o_f64_e32 vcc_lo, v[4:5], v[4:5]
	v_ashrrev_i32_e32 v2, 31, v5
	s_delay_alu instid0(VALU_DEP_1) | instskip(SKIP_1) | instid1(VALU_DEP_2)
	v_or_b32_e32 v6, 0x80000000, v2
	v_xor_b32_e32 v2, v2, v4
	v_xor_b32_e32 v6, v6, v5
	s_delay_alu instid0(VALU_DEP_1) | instskip(NEXT) | instid1(VALU_DEP_1)
	v_cndmask_b32_e32 v6, -1, v6, vcc_lo
	v_dual_cndmask_b32 v2, -1, v2 :: v_dual_and_b32 v7, v6, v33
	s_delay_alu instid0(VALU_DEP_1) | instskip(NEXT) | instid1(VALU_DEP_1)
	v_and_b32_e32 v6, v2, v32
	v_cmp_eq_u64_e32 vcc_lo, v[6:7], v[34:35]
	s_and_b32 exec_lo, exec_lo, vcc_lo
	s_cbranch_execz .LBB189_326
; %bb.331:                              ;   in Loop: Header=BB189_327 Depth=2
	v_mov_b32_e32 v2, v19
	ds_store_b128 v19, v[2:5] offset:3072
	s_branch .LBB189_326
.LBB189_332:                            ;   in Loop: Header=BB189_31 Depth=1
	s_or_b32 exec_lo, exec_lo, s22
	s_delay_alu instid0(SALU_CYCLE_1)
	s_and_b32 s7, s9, exec_lo
.LBB189_333:                            ;   in Loop: Header=BB189_31 Depth=1
	s_or_b32 exec_lo, exec_lo, s8
	s_mov_b32 s23, 0
	s_mov_b32 s22, -1
	s_mov_b32 s25, 0
.LBB189_334:                            ;   in Loop: Header=BB189_31 Depth=1
	s_or_not1_b32 s7, s7, exec_lo
.LBB189_335:                            ;   in Loop: Header=BB189_31 Depth=1
	s_or_b32 exec_lo, exec_lo, s47
                                        ; implicit-def: $vgpr2
                                        ; implicit-def: $vgpr38_vgpr39
                                        ; implicit-def: $vgpr12_vgpr13
                                        ; implicit-def: $vgpr14_vgpr15
                                        ; implicit-def: $vgpr10_vgpr11
	s_and_saveexec_b32 s70, s7
	s_cbranch_execz .LBB189_498
; %bb.336:                              ;   in Loop: Header=BB189_31 Depth=1
	v_mov_b32_e32 v38, 1
	v_dual_mov_b32 v39, 0 :: v_dual_mov_b32 v2, 1
	s_xor_b32 s8, s46, -1
	s_mov_b32 s26, 0
	s_and_saveexec_b32 s7, s8
	s_cbranch_execz .LBB189_346
; %bb.337:                              ;   in Loop: Header=BB189_31 Depth=1
	s_mov_b32 s9, exec_lo
                                        ; implicit-def: $sgpr26
                                        ; implicit-def: $sgpr8
	v_cmpx_ge_u64_e64 s[20:21], v[36:37]
	s_xor_b32 s9, exec_lo, s9
	s_cbranch_execz .LBB189_343
; %bb.338:                              ;   in Loop: Header=BB189_31 Depth=1
	ds_load_b64 v[4:5], v19 offset:5120
	s_waitcnt lgkmcnt(0)
	v_cmp_ne_u64_e32 vcc_lo, 0, v[4:5]
	s_cbranch_vccnz .LBB189_342
; %bb.339:                              ;   in Loop: Header=BB189_31 Depth=1
	s_and_saveexec_b32 s8, s5
	s_cbranch_execz .LBB189_341
; %bb.340:                              ;   in Loop: Header=BB189_31 Depth=1
	v_dual_mov_b32 v4, s20 :: v_dual_mov_b32 v5, s21
	ds_store_b64 v19, v[4:5] offset:5128
.LBB189_341:                            ;   in Loop: Header=BB189_31 Depth=1
	s_or_b32 exec_lo, exec_lo, s8
	s_waitcnt lgkmcnt(0)
	s_barrier
	buffer_gl0_inv
.LBB189_342:                            ;   in Loop: Header=BB189_31 Depth=1
	v_or_b32_e32 v35, s13, v35
	v_or_b32_e32 v34, s12, v34
	v_or_b32_e32 v33, s13, v33
	v_or_b32_e32 v32, s12, v32
	s_mov_b32 s8, 0
	s_mov_b32 s26, 5
.LBB189_343:                            ;   in Loop: Header=BB189_31 Depth=1
	s_or_saveexec_b32 s9, s9
	v_mov_b32_e32 v2, s26
	s_xor_b32 exec_lo, exec_lo, s9
; %bb.344:                              ;   in Loop: Header=BB189_31 Depth=1
	v_sub_co_u32 v36, vcc_lo, v36, s20
	v_subrev_co_ci_u32_e32 v37, vcc_lo, s21, v37, vcc_lo
	v_mov_b32_e32 v2, 0
	s_or_b32 s8, s8, exec_lo
; %bb.345:                              ;   in Loop: Header=BB189_31 Depth=1
	s_or_b32 exec_lo, exec_lo, s9
	s_delay_alu instid0(VALU_DEP_2)
	v_dual_mov_b32 v39, v37 :: v_dual_mov_b32 v38, v36
	s_and_b32 s26, s8, exec_lo
.LBB189_346:                            ;   in Loop: Header=BB189_31 Depth=1
	s_or_b32 exec_lo, exec_lo, s7
	s_mov_b32 s21, -1
                                        ; implicit-def: $sgpr8
                                        ; implicit-def: $sgpr9
                                        ; implicit-def: $sgpr20
	s_and_saveexec_b32 s7, s26
	s_delay_alu instid0(SALU_CYCLE_1)
	s_xor_b32 s71, exec_lo, s7
	s_cbranch_execz .LBB189_495
; %bb.347:                              ;   in Loop: Header=BB189_31 Depth=1
	v_cmp_eq_u64_e32 vcc_lo, 1, v[38:39]
	s_cmp_eq_u64 s[18:19], 1
                                        ; implicit-def: $sgpr20
                                        ; implicit-def: $sgpr21
                                        ; implicit-def: $sgpr72
	s_cselect_b32 s7, -1, 0
	s_delay_alu instid0(SALU_CYCLE_1)
	s_and_b32 s46, s7, vcc_lo
	s_mov_b32 s7, -1
	s_and_saveexec_b32 s47, s46
	s_cbranch_execz .LBB189_381
; %bb.348:                              ;   in Loop: Header=BB189_31 Depth=1
	ds_load_b64 v[4:5], v19 offset:5120
	s_waitcnt lgkmcnt(0)
	s_barrier
	buffer_gl0_inv
	v_readfirstlane_b32 s8, v4
	v_readfirstlane_b32 s9, v5
	s_and_saveexec_b32 s7, s6
	s_cbranch_execz .LBB189_350
; %bb.349:                              ;   in Loop: Header=BB189_31 Depth=1
	v_mov_b32_e32 v18, v19
	ds_store_b64 v52, v[18:19]
.LBB189_350:                            ;   in Loop: Header=BB189_31 Depth=1
	s_or_b32 exec_lo, exec_lo, s7
	v_and_b32_e32 v2, s15, v35
	v_and_b32_e32 v4, s14, v34
	s_lshl_b64 s[20:21], 2, s24
	v_or_b32_e32 v33, s13, v33
	v_or_b32_e32 v32, s12, v32
	;; [unrolled: 1-line block ×4, first 2 shown]
	s_cmp_eq_u64 s[8:9], 0
	s_waitcnt lgkmcnt(0)
	s_barrier
	buffer_gl0_inv
	s_cbranch_scc1 .LBB189_364
; %bb.351:                              ;   in Loop: Header=BB189_31 Depth=1
	s_add_u32 s26, s85, s8
	s_addc_u32 s21, s86, s9
	s_mov_b32 s20, s61
	s_delay_alu instid0(SALU_CYCLE_1)
	s_cmp_lg_u64 s[20:21], 0
	s_cbranch_scc0 .LBB189_408
; %bb.352:                              ;   in Loop: Header=BB189_31 Depth=1
	v_cvt_f32_u32_e32 v2, s33
	s_sub_u32 s56, 0, s33
	s_subb_u32 s57, 0, 0
	s_delay_alu instid0(VALU_DEP_1) | instskip(NEXT) | instid1(VALU_DEP_1)
	v_fmac_f32_e64 v2, 0, 0x4f800000
	v_rcp_f32_e32 v2, v2
	s_waitcnt_depctr 0xfff
	v_mul_f32_e32 v2, 0x5f7ffffc, v2
	s_delay_alu instid0(VALU_DEP_1) | instskip(NEXT) | instid1(VALU_DEP_1)
	v_mul_f32_e32 v4, 0x2f800000, v2
	v_trunc_f32_e32 v4, v4
	s_delay_alu instid0(VALU_DEP_1) | instskip(SKIP_1) | instid1(VALU_DEP_2)
	v_fmac_f32_e32 v2, 0xcf800000, v4
	v_cvt_u32_f32_e32 v4, v4
	v_cvt_u32_f32_e32 v2, v2
	s_delay_alu instid0(VALU_DEP_2) | instskip(NEXT) | instid1(VALU_DEP_2)
	v_readfirstlane_b32 s7, v4
	v_readfirstlane_b32 s20, v2
	s_delay_alu instid0(VALU_DEP_2) | instskip(NEXT) | instid1(VALU_DEP_1)
	s_mul_i32 s58, s56, s7
	s_mul_hi_u32 s72, s56, s20
	s_mul_i32 s59, s57, s20
	s_add_i32 s58, s72, s58
	s_mul_i32 s73, s56, s20
	s_add_i32 s58, s58, s59
	s_mul_hi_u32 s72, s20, s73
	s_mul_hi_u32 s74, s7, s73
	s_mul_i32 s59, s7, s73
	s_mul_hi_u32 s73, s20, s58
	s_mul_i32 s20, s20, s58
	s_mul_hi_u32 s75, s7, s58
	s_add_u32 s20, s72, s20
	s_addc_u32 s72, 0, s73
	s_add_u32 s20, s20, s59
	s_mul_i32 s58, s7, s58
	s_addc_u32 s20, s72, s74
	s_addc_u32 s59, s75, 0
	s_add_u32 s20, s20, s58
	s_addc_u32 s58, 0, s59
	v_add_co_u32 v2, s20, v2, s20
	s_delay_alu instid0(VALU_DEP_1) | instskip(SKIP_1) | instid1(VALU_DEP_1)
	s_cmp_lg_u32 s20, 0
	s_addc_u32 s7, s7, s58
	v_readfirstlane_b32 s20, v2
	s_mul_i32 s58, s56, s7
	s_delay_alu instid0(VALU_DEP_1)
	s_mul_hi_u32 s59, s56, s20
	s_mul_i32 s57, s57, s20
	s_add_i32 s58, s59, s58
	s_mul_i32 s56, s56, s20
	s_add_i32 s58, s58, s57
	s_mul_hi_u32 s59, s7, s56
	s_mul_i32 s72, s7, s56
	s_mul_hi_u32 s56, s20, s56
	s_mul_hi_u32 s73, s20, s58
	s_mul_i32 s20, s20, s58
	s_mul_hi_u32 s57, s7, s58
	s_add_u32 s20, s56, s20
	s_addc_u32 s56, 0, s73
	s_add_u32 s20, s20, s72
	s_mul_i32 s58, s7, s58
	s_addc_u32 s20, s56, s59
	s_addc_u32 s56, s57, 0
	s_add_u32 s20, s20, s58
	s_addc_u32 s56, 0, s56
	v_add_co_u32 v2, s20, v2, s20
	s_delay_alu instid0(VALU_DEP_1) | instskip(SKIP_1) | instid1(VALU_DEP_1)
	s_cmp_lg_u32 s20, 0
	s_addc_u32 s7, s7, s56
	v_readfirstlane_b32 s20, v2
	s_mul_i32 s57, s26, s7
	s_mul_hi_u32 s56, s26, s7
	s_mul_hi_u32 s58, s21, s7
	s_mul_i32 s7, s21, s7
	s_mul_hi_u32 s59, s26, s20
	s_mul_hi_u32 s72, s21, s20
	s_mul_i32 s20, s21, s20
	s_add_u32 s57, s59, s57
	s_addc_u32 s56, 0, s56
	s_add_u32 s20, s57, s20
	s_addc_u32 s20, s56, s72
	s_addc_u32 s56, s58, 0
	s_add_u32 s7, s20, s7
	s_addc_u32 s20, 0, s56
	s_mul_hi_u32 s56, s33, s7
	s_mul_i32 s7, s33, s7
	s_mul_i32 s20, s33, s20
	v_sub_co_u32 v2, s7, s26, s7
	s_add_i32 s56, s56, s20
	s_cmp_lg_u32 s7, 0
	s_delay_alu instid0(VALU_DEP_1) | instskip(SKIP_3) | instid1(VALU_DEP_2)
	v_sub_co_u32 v4, s7, v2, s33
	s_subb_u32 s20, s21, s56
	s_cmp_lg_u32 s7, 0
	v_cmp_le_u32_e32 vcc_lo, s33, v2
	v_cmp_le_u32_e64 s7, s33, v4
	v_sub_co_u32 v5, s56, v4, s33
	s_subb_u32 s57, s20, 0
	s_cmp_lg_u32 s56, 0
	s_delay_alu instid0(VALU_DEP_2)
	v_cndmask_b32_e64 v6, 0, -1, s7
	s_subb_u32 s56, s57, 0
	s_cmp_eq_u32 s57, 0
	v_cndmask_b32_e64 v7, 0, -1, vcc_lo
	s_cselect_b32 vcc_lo, -1, 0
	s_cmp_eq_u32 s20, 0
	v_cndmask_b32_e32 v6, -1, v6, vcc_lo
	s_cselect_b32 vcc_lo, -1, 0
	v_dual_mov_b32 v8, s56 :: v_dual_cndmask_b32 v7, -1, v7
	s_delay_alu instid0(VALU_DEP_2) | instskip(NEXT) | instid1(VALU_DEP_2)
	v_cmp_ne_u32_e32 vcc_lo, 0, v6
	v_cmp_ne_u32_e64 s7, 0, v7
	s_delay_alu instid0(VALU_DEP_3) | instskip(SKIP_1) | instid1(VALU_DEP_2)
	v_cndmask_b32_e32 v6, s57, v8, vcc_lo
	v_cndmask_b32_e32 v4, v4, v5, vcc_lo
	v_cndmask_b32_e64 v5, s20, v6, s7
	s_delay_alu instid0(VALU_DEP_2)
	v_cndmask_b32_e64 v4, v2, v4, s7
	s_cbranch_execnz .LBB189_354
.LBB189_353:                            ;   in Loop: Header=BB189_31 Depth=1
	v_cvt_f32_u32_e32 v2, s33
	s_sub_i32 s7, 0, s33
	s_delay_alu instid0(VALU_DEP_1) | instskip(SKIP_2) | instid1(VALU_DEP_1)
	v_rcp_iflag_f32_e32 v2, v2
	s_waitcnt_depctr 0xfff
	v_mul_f32_e32 v2, 0x4f7ffffe, v2
	v_cvt_u32_f32_e32 v2, v2
	s_delay_alu instid0(VALU_DEP_1) | instskip(NEXT) | instid1(VALU_DEP_1)
	v_mul_lo_u32 v4, s7, v2
	v_mul_hi_u32 v4, v2, v4
	s_delay_alu instid0(VALU_DEP_1) | instskip(NEXT) | instid1(VALU_DEP_1)
	v_add_nc_u32_e32 v2, v2, v4
	v_mul_hi_u32 v2, s26, v2
	s_delay_alu instid0(VALU_DEP_1) | instskip(NEXT) | instid1(VALU_DEP_1)
	v_mul_lo_u32 v2, v2, s33
	v_sub_nc_u32_e32 v2, s26, v2
	s_delay_alu instid0(VALU_DEP_1) | instskip(SKIP_1) | instid1(VALU_DEP_2)
	v_subrev_nc_u32_e32 v4, s33, v2
	v_cmp_le_u32_e32 vcc_lo, s33, v2
	v_cndmask_b32_e32 v2, v2, v4, vcc_lo
	s_delay_alu instid0(VALU_DEP_1) | instskip(SKIP_1) | instid1(VALU_DEP_2)
	v_subrev_nc_u32_e32 v4, s33, v2
	v_cmp_le_u32_e32 vcc_lo, s33, v2
	v_cndmask_b32_e32 v18, v2, v4, vcc_lo
	s_delay_alu instid0(VALU_DEP_1)
	v_dual_mov_b32 v4, v18 :: v_dual_mov_b32 v5, v19
.LBB189_354:                            ;   in Loop: Header=BB189_31 Depth=1
	s_delay_alu instid0(VALU_DEP_1) | instskip(NEXT) | instid1(VALU_DEP_2)
	v_sub_co_u32 v8, vcc_lo, s26, v4
	v_sub_co_ci_u32_e32 v9, vcc_lo, s21, v5, vcc_lo
	s_mov_b32 s7, 0
	s_mov_b32 s20, exec_lo
                                        ; implicit-def: $vgpr6_vgpr7
	s_delay_alu instid0(VALU_DEP_1)
	v_cmpx_gt_u64_e64 v[8:9], v[0:1]
	s_cbranch_execz .LBB189_366
; %bb.355:                              ;   in Loop: Header=BB189_31 Depth=1
	v_dual_mov_b32 v12, v51 :: v_dual_mov_b32 v11, v1
	v_mov_b32_e32 v10, v0
	s_mov_b32 s26, 0
                                        ; implicit-def: $sgpr21
	s_set_inst_prefetch_distance 0x1
	s_branch .LBB189_357
	.p2align	6
.LBB189_356:                            ;   in Loop: Header=BB189_357 Depth=2
	s_or_b32 exec_lo, exec_lo, s7
	s_waitcnt lgkmcnt(0)
	s_barrier
	buffer_gl0_inv
	ds_load_b128 v[4:7], v19 offset:3072
	v_add_co_u32 v10, s7, v10, s33
	s_delay_alu instid0(VALU_DEP_1) | instskip(SKIP_3) | instid1(VALU_DEP_2)
	v_add_co_ci_u32_e64 v11, s7, 0, v11, s7
	v_add_nc_u32_e32 v12, s93, v12
	s_waitcnt lgkmcnt(0)
	s_barrier
	v_cmp_ge_u64_e64 s7, v[10:11], v[8:9]
	buffer_gl0_inv
	v_cmp_neq_f64_e32 vcc_lo, 0, v[4:5]
	s_or_b32 s7, s7, vcc_lo
	s_delay_alu instid0(SALU_CYCLE_1) | instskip(NEXT) | instid1(SALU_CYCLE_1)
	s_and_b32 s7, exec_lo, s7
	s_or_b32 s26, s7, s26
	s_and_not1_b32 s7, s21, exec_lo
	s_and_b32 s21, vcc_lo, exec_lo
	s_delay_alu instid0(SALU_CYCLE_1)
	s_or_b32 s21, s7, s21
	s_and_not1_b32 exec_lo, exec_lo, s26
	s_cbranch_execz .LBB189_365
.LBB189_357:                            ;   Parent Loop BB189_31 Depth=1
                                        ; =>  This Inner Loop Header: Depth=2
	s_delay_alu instid0(VALU_DEP_1)
	v_cmp_gt_u64_e32 vcc_lo, s[8:9], v[10:11]
	v_mov_b32_e32 v4, 0
	v_mov_b32_e32 v5, 0
	s_and_saveexec_b32 s7, vcc_lo
	s_cbranch_execz .LBB189_359
; %bb.358:                              ;   in Loop: Header=BB189_357 Depth=2
	ds_load_b64 v[4:5], v12
.LBB189_359:                            ;   in Loop: Header=BB189_357 Depth=2
	s_or_b32 exec_lo, exec_lo, s7
	s_and_saveexec_b32 s7, vcc_lo
	s_cbranch_execz .LBB189_356
; %bb.360:                              ;   in Loop: Header=BB189_357 Depth=2
	s_waitcnt lgkmcnt(0)
	v_cmp_o_f64_e32 vcc_lo, v[4:5], v[4:5]
	v_ashrrev_i32_e32 v2, 31, v5
	s_delay_alu instid0(VALU_DEP_1) | instskip(SKIP_1) | instid1(VALU_DEP_2)
	v_or_b32_e32 v6, 0x80000000, v2
	v_xor_b32_e32 v2, v2, v4
	v_xor_b32_e32 v6, v6, v5
	s_delay_alu instid0(VALU_DEP_1) | instskip(NEXT) | instid1(VALU_DEP_1)
	v_cndmask_b32_e32 v6, -1, v6, vcc_lo
	v_dual_cndmask_b32 v2, -1, v2 :: v_dual_and_b32 v7, v6, v33
	s_delay_alu instid0(VALU_DEP_1) | instskip(NEXT) | instid1(VALU_DEP_1)
	v_and_b32_e32 v6, v2, v32
	v_cmp_eq_u64_e32 vcc_lo, v[6:7], v[34:35]
	s_and_b32 exec_lo, exec_lo, vcc_lo
	s_cbranch_execz .LBB189_356
; %bb.361:                              ;   in Loop: Header=BB189_357 Depth=2
	v_mov_b32_e32 v2, v19
	ds_store_b128 v19, v[2:5] offset:3072
	s_branch .LBB189_356
.LBB189_362:                            ;   in Loop: Header=BB189_31 Depth=1
                                        ; implicit-def: $vgpr4_vgpr5
	s_branch .LBB189_309
.LBB189_363:                            ;   in Loop: Header=BB189_31 Depth=1
                                        ; implicit-def: $vgpr4_vgpr5
	s_branch .LBB189_323
.LBB189_364:                            ;   in Loop: Header=BB189_31 Depth=1
	s_mov_b32 s20, -1
	s_mov_b32 s7, 0
                                        ; implicit-def: $sgpr21
                                        ; implicit-def: $vgpr6_vgpr7
	s_mov_b32 s72, s20
	s_cbranch_execnz .LBB189_367
	s_branch .LBB189_380
.LBB189_365:                            ;   in Loop: Header=BB189_31 Depth=1
	s_set_inst_prefetch_distance 0x2
	s_or_b32 exec_lo, exec_lo, s26
	s_delay_alu instid0(SALU_CYCLE_1)
	s_and_b32 s7, s21, exec_lo
.LBB189_366:                            ;   in Loop: Header=BB189_31 Depth=1
	s_or_b32 exec_lo, exec_lo, s20
	s_mov_b32 s20, 0
	s_mov_b32 s21, -1
	s_mov_b32 s72, s20
	s_branch .LBB189_380
.LBB189_367:                            ;   in Loop: Header=BB189_31 Depth=1
	s_mov_b32 s26, s61
	s_delay_alu instid0(SALU_CYCLE_1)
	s_cmp_lg_u64 s[26:27], 0
	s_cbranch_scc0 .LBB189_409
; %bb.368:                              ;   in Loop: Header=BB189_31 Depth=1
	v_cvt_f32_u32_e32 v2, s33
	s_sub_u32 s9, 0, s33
	s_subb_u32 s20, 0, 0
	s_delay_alu instid0(VALU_DEP_1) | instskip(NEXT) | instid1(VALU_DEP_1)
	v_fmac_f32_e64 v2, 0, 0x4f800000
	v_rcp_f32_e32 v2, v2
	s_waitcnt_depctr 0xfff
	v_mul_f32_e32 v2, 0x5f7ffffc, v2
	s_delay_alu instid0(VALU_DEP_1) | instskip(NEXT) | instid1(VALU_DEP_1)
	v_mul_f32_e32 v4, 0x2f800000, v2
	v_trunc_f32_e32 v4, v4
	s_delay_alu instid0(VALU_DEP_1) | instskip(SKIP_1) | instid1(VALU_DEP_2)
	v_fmac_f32_e32 v2, 0xcf800000, v4
	v_cvt_u32_f32_e32 v4, v4
	v_cvt_u32_f32_e32 v2, v2
	s_delay_alu instid0(VALU_DEP_2) | instskip(NEXT) | instid1(VALU_DEP_2)
	v_readfirstlane_b32 s7, v4
	v_readfirstlane_b32 s8, v2
	s_delay_alu instid0(VALU_DEP_2) | instskip(NEXT) | instid1(VALU_DEP_1)
	s_mul_i32 s21, s9, s7
	s_mul_hi_u32 s56, s9, s8
	s_mul_i32 s26, s20, s8
	s_add_i32 s21, s56, s21
	s_mul_i32 s57, s9, s8
	s_add_i32 s21, s21, s26
	s_mul_hi_u32 s56, s8, s57
	s_mul_hi_u32 s58, s7, s57
	s_mul_i32 s26, s7, s57
	s_mul_hi_u32 s57, s8, s21
	s_mul_i32 s8, s8, s21
	s_mul_hi_u32 s59, s7, s21
	s_add_u32 s8, s56, s8
	s_addc_u32 s56, 0, s57
	s_add_u32 s8, s8, s26
	s_mul_i32 s21, s7, s21
	s_addc_u32 s8, s56, s58
	s_addc_u32 s26, s59, 0
	s_add_u32 s8, s8, s21
	s_addc_u32 s21, 0, s26
	v_add_co_u32 v2, s8, v2, s8
	s_delay_alu instid0(VALU_DEP_1) | instskip(SKIP_1) | instid1(VALU_DEP_1)
	s_cmp_lg_u32 s8, 0
	s_addc_u32 s7, s7, s21
	v_readfirstlane_b32 s8, v2
	s_mul_i32 s21, s9, s7
	s_delay_alu instid0(VALU_DEP_1)
	s_mul_hi_u32 s26, s9, s8
	s_mul_i32 s20, s20, s8
	s_add_i32 s21, s26, s21
	s_mul_i32 s9, s9, s8
	s_add_i32 s21, s21, s20
	s_mul_hi_u32 s26, s7, s9
	s_mul_i32 s56, s7, s9
	s_mul_hi_u32 s9, s8, s9
	s_mul_hi_u32 s57, s8, s21
	s_mul_i32 s8, s8, s21
	s_mul_hi_u32 s20, s7, s21
	s_add_u32 s8, s9, s8
	s_addc_u32 s9, 0, s57
	s_add_u32 s8, s8, s56
	s_mul_i32 s21, s7, s21
	s_addc_u32 s8, s9, s26
	s_addc_u32 s9, s20, 0
	s_add_u32 s8, s8, s21
	s_addc_u32 s9, 0, s9
	v_add_co_u32 v2, s8, v2, s8
	s_delay_alu instid0(VALU_DEP_1) | instskip(SKIP_1) | instid1(VALU_DEP_1)
	s_cmp_lg_u32 s8, 0
	s_addc_u32 s7, s7, s9
	v_readfirstlane_b32 s8, v2
	s_mul_i32 s20, s87, s7
	s_mul_hi_u32 s9, s87, s7
	s_mul_hi_u32 s21, s27, s7
	s_mul_i32 s7, s27, s7
	s_mul_hi_u32 s26, s87, s8
	s_mul_hi_u32 s56, s27, s8
	s_mul_i32 s8, s27, s8
	s_add_u32 s20, s26, s20
	s_addc_u32 s9, 0, s9
	s_add_u32 s8, s20, s8
	s_addc_u32 s8, s9, s56
	s_addc_u32 s9, s21, 0
	s_add_u32 s7, s8, s7
	s_addc_u32 s8, 0, s9
	s_mul_hi_u32 s9, s33, s7
	s_mul_i32 s7, s33, s7
	s_mul_i32 s8, s33, s8
	v_sub_co_u32 v2, s7, s87, s7
	s_add_i32 s9, s9, s8
	s_cmp_lg_u32 s7, 0
	s_delay_alu instid0(VALU_DEP_1) | instskip(SKIP_2) | instid1(VALU_DEP_1)
	v_sub_co_u32 v4, s7, v2, s33
	s_subb_u32 s8, s27, s9
	s_cmp_lg_u32 s7, 0
	v_cmp_le_u32_e32 vcc_lo, s33, v4
	v_sub_co_u32 v5, s7, v4, s33
	s_subb_u32 s9, s8, 0
	s_cmp_lg_u32 s7, 0
	v_cndmask_b32_e64 v6, 0, -1, vcc_lo
	s_subb_u32 s7, s9, 0
	s_cmp_eq_u32 s9, 0
	v_mov_b32_e32 v8, s7
	s_cselect_b32 vcc_lo, -1, 0
	s_cmp_eq_u32 s8, 0
	v_cndmask_b32_e32 v6, -1, v6, vcc_lo
	v_cmp_le_u32_e32 vcc_lo, s33, v2
	s_cselect_b32 s7, -1, 0
	v_cndmask_b32_e64 v7, 0, -1, vcc_lo
	s_delay_alu instid0(VALU_DEP_3) | instskip(NEXT) | instid1(VALU_DEP_2)
	v_cmp_ne_u32_e32 vcc_lo, 0, v6
	v_cndmask_b32_e64 v6, -1, v7, s7
	v_cndmask_b32_e32 v7, s9, v8, vcc_lo
	v_cndmask_b32_e32 v4, v4, v5, vcc_lo
	s_delay_alu instid0(VALU_DEP_3) | instskip(NEXT) | instid1(VALU_DEP_3)
	v_cmp_ne_u32_e32 vcc_lo, 0, v6
	v_cndmask_b32_e32 v5, s8, v7, vcc_lo
	s_delay_alu instid0(VALU_DEP_3)
	v_cndmask_b32_e32 v4, v2, v4, vcc_lo
	s_cbranch_execnz .LBB189_370
.LBB189_369:                            ;   in Loop: Header=BB189_31 Depth=1
	v_cvt_f32_u32_e32 v2, s33
	s_sub_i32 s7, 0, s33
	s_delay_alu instid0(VALU_DEP_1) | instskip(SKIP_2) | instid1(VALU_DEP_1)
	v_rcp_iflag_f32_e32 v2, v2
	s_waitcnt_depctr 0xfff
	v_mul_f32_e32 v2, 0x4f7ffffe, v2
	v_cvt_u32_f32_e32 v2, v2
	s_delay_alu instid0(VALU_DEP_1) | instskip(NEXT) | instid1(VALU_DEP_1)
	v_mul_lo_u32 v4, s7, v2
	v_mul_hi_u32 v4, v2, v4
	s_delay_alu instid0(VALU_DEP_1) | instskip(NEXT) | instid1(VALU_DEP_1)
	v_add_nc_u32_e32 v2, v2, v4
	v_mul_hi_u32 v2, s87, v2
	s_delay_alu instid0(VALU_DEP_1) | instskip(NEXT) | instid1(VALU_DEP_1)
	v_mul_lo_u32 v2, v2, s33
	v_sub_nc_u32_e32 v2, s87, v2
	s_delay_alu instid0(VALU_DEP_1) | instskip(SKIP_1) | instid1(VALU_DEP_2)
	v_subrev_nc_u32_e32 v4, s33, v2
	v_cmp_le_u32_e32 vcc_lo, s33, v2
	v_cndmask_b32_e32 v2, v2, v4, vcc_lo
	s_delay_alu instid0(VALU_DEP_1) | instskip(SKIP_1) | instid1(VALU_DEP_2)
	v_subrev_nc_u32_e32 v4, s33, v2
	v_cmp_le_u32_e32 vcc_lo, s33, v2
	v_cndmask_b32_e32 v18, v2, v4, vcc_lo
	s_delay_alu instid0(VALU_DEP_1)
	v_dual_mov_b32 v4, v18 :: v_dual_mov_b32 v5, v19
.LBB189_370:                            ;   in Loop: Header=BB189_31 Depth=1
	s_delay_alu instid0(VALU_DEP_1) | instskip(NEXT) | instid1(VALU_DEP_2)
	v_sub_co_u32 v8, vcc_lo, s87, v4
	v_sub_co_ci_u32_e32 v9, vcc_lo, s27, v5, vcc_lo
	s_mov_b32 s7, 0
	s_mov_b32 s8, exec_lo
                                        ; implicit-def: $vgpr6_vgpr7
	s_delay_alu instid0(VALU_DEP_1)
	v_cmpx_gt_u64_e64 v[8:9], v[0:1]
	s_cbranch_execz .LBB189_379
; %bb.371:                              ;   in Loop: Header=BB189_31 Depth=1
	v_dual_mov_b32 v10, v30 :: v_dual_mov_b32 v11, v31
	v_dual_mov_b32 v13, v1 :: v_dual_mov_b32 v12, v0
	s_mov_b32 s20, 0
                                        ; implicit-def: $sgpr9
	s_branch .LBB189_373
.LBB189_372:                            ;   in Loop: Header=BB189_373 Depth=2
	s_or_b32 exec_lo, exec_lo, s7
	s_waitcnt vmcnt(0) lgkmcnt(0)
	s_barrier
	buffer_gl0_inv
	ds_load_b128 v[4:7], v19 offset:3072
	v_add_co_u32 v12, s7, v12, s33
	s_delay_alu instid0(VALU_DEP_1)
	v_add_co_ci_u32_e64 v13, s7, 0, v13, s7
	s_waitcnt lgkmcnt(0)
	s_barrier
	buffer_gl0_inv
	v_cmp_ge_u64_e64 s7, v[12:13], v[8:9]
	v_cmp_neq_f64_e32 vcc_lo, 0, v[4:5]
	s_delay_alu instid0(VALU_DEP_2) | instskip(NEXT) | instid1(SALU_CYCLE_1)
	s_or_b32 s7, s7, vcc_lo
	s_and_b32 s21, exec_lo, s7
	v_add_co_u32 v10, s7, v10, s34
	s_delay_alu instid0(VALU_DEP_1) | instskip(SKIP_3) | instid1(SALU_CYCLE_1)
	v_add_co_ci_u32_e64 v11, s7, s35, v11, s7
	s_or_b32 s20, s21, s20
	s_and_not1_b32 s7, s9, exec_lo
	s_and_b32 s9, vcc_lo, exec_lo
	s_or_b32 s9, s7, s9
	s_and_not1_b32 exec_lo, exec_lo, s20
	s_cbranch_execz .LBB189_378
.LBB189_373:                            ;   Parent Loop BB189_31 Depth=1
                                        ; =>  This Inner Loop Header: Depth=2
	s_delay_alu instid0(VALU_DEP_1)
	v_cmp_gt_u64_e32 vcc_lo, s[36:37], v[12:13]
	v_mov_b32_e32 v4, 0
	v_mov_b32_e32 v5, 0
	s_and_saveexec_b32 s7, vcc_lo
	s_cbranch_execz .LBB189_375
; %bb.374:                              ;   in Loop: Header=BB189_373 Depth=2
	global_load_b64 v[4:5], v[10:11], off
.LBB189_375:                            ;   in Loop: Header=BB189_373 Depth=2
	s_or_b32 exec_lo, exec_lo, s7
	s_and_saveexec_b32 s7, vcc_lo
	s_cbranch_execz .LBB189_372
; %bb.376:                              ;   in Loop: Header=BB189_373 Depth=2
	s_waitcnt vmcnt(0)
	v_cmp_o_f64_e32 vcc_lo, v[4:5], v[4:5]
	v_ashrrev_i32_e32 v2, 31, v5
	s_delay_alu instid0(VALU_DEP_1) | instskip(SKIP_1) | instid1(VALU_DEP_2)
	v_or_b32_e32 v6, 0x80000000, v2
	v_xor_b32_e32 v2, v2, v4
	v_xor_b32_e32 v6, v6, v5
	s_delay_alu instid0(VALU_DEP_1) | instskip(NEXT) | instid1(VALU_DEP_1)
	v_cndmask_b32_e32 v6, -1, v6, vcc_lo
	v_dual_cndmask_b32 v2, -1, v2 :: v_dual_and_b32 v7, v6, v33
	s_delay_alu instid0(VALU_DEP_1) | instskip(NEXT) | instid1(VALU_DEP_1)
	v_and_b32_e32 v6, v2, v32
	v_cmp_eq_u64_e32 vcc_lo, v[6:7], v[34:35]
	s_and_b32 exec_lo, exec_lo, vcc_lo
	s_cbranch_execz .LBB189_372
; %bb.377:                              ;   in Loop: Header=BB189_373 Depth=2
	v_mov_b32_e32 v2, v19
	ds_store_b128 v19, v[2:5] offset:3072
	s_branch .LBB189_372
.LBB189_378:                            ;   in Loop: Header=BB189_31 Depth=1
	s_or_b32 exec_lo, exec_lo, s20
	s_delay_alu instid0(SALU_CYCLE_1)
	s_and_b32 s7, s9, exec_lo
.LBB189_379:                            ;   in Loop: Header=BB189_31 Depth=1
	s_or_b32 exec_lo, exec_lo, s8
	s_mov_b32 s21, 0
	s_mov_b32 s20, -1
	s_mov_b32 s72, 0
.LBB189_380:                            ;   in Loop: Header=BB189_31 Depth=1
	s_or_not1_b32 s7, s7, exec_lo
.LBB189_381:                            ;   in Loop: Header=BB189_31 Depth=1
	s_or_b32 exec_lo, exec_lo, s47
	s_mov_b32 s26, 0
                                        ; implicit-def: $vgpr2
	s_and_saveexec_b32 s73, s7
	s_cbranch_execz .LBB189_494
; %bb.382:                              ;   in Loop: Header=BB189_31 Depth=1
	v_mov_b32_e32 v8, 1
	v_dual_mov_b32 v9, 0 :: v_dual_mov_b32 v2, 1
	s_xor_b32 s8, s46, -1
	s_delay_alu instid0(SALU_CYCLE_1)
	s_and_saveexec_b32 s7, s8
	s_cbranch_execz .LBB189_392
; %bb.383:                              ;   in Loop: Header=BB189_31 Depth=1
	s_mov_b32 s9, exec_lo
                                        ; implicit-def: $sgpr26
                                        ; implicit-def: $sgpr8
	v_cmpx_ge_u64_e64 s[18:19], v[38:39]
	s_xor_b32 s9, exec_lo, s9
	s_cbranch_execz .LBB189_389
; %bb.384:                              ;   in Loop: Header=BB189_31 Depth=1
	ds_load_b64 v[4:5], v19 offset:5120
	s_waitcnt lgkmcnt(0)
	v_cmp_ne_u64_e32 vcc_lo, 0, v[4:5]
	s_cbranch_vccnz .LBB189_388
; %bb.385:                              ;   in Loop: Header=BB189_31 Depth=1
	s_and_saveexec_b32 s8, s5
	s_cbranch_execz .LBB189_387
; %bb.386:                              ;   in Loop: Header=BB189_31 Depth=1
	v_dual_mov_b32 v4, s18 :: v_dual_mov_b32 v5, s19
	ds_store_b64 v19, v[4:5] offset:5128
.LBB189_387:                            ;   in Loop: Header=BB189_31 Depth=1
	s_or_b32 exec_lo, exec_lo, s8
	s_waitcnt lgkmcnt(0)
	s_barrier
	buffer_gl0_inv
.LBB189_388:                            ;   in Loop: Header=BB189_31 Depth=1
	v_and_b32_e32 v2, s15, v35
	v_and_b32_e32 v4, s14, v34
	s_lshl_b64 s[46:47], 2, s24
	v_or_b32_e32 v33, s13, v33
	v_or_b32_e32 v32, s12, v32
	;; [unrolled: 1-line block ×4, first 2 shown]
	s_mov_b32 s8, 0
	s_mov_b32 s26, 5
.LBB189_389:                            ;   in Loop: Header=BB189_31 Depth=1
	s_or_saveexec_b32 s9, s9
	v_mov_b32_e32 v2, s26
	s_xor_b32 exec_lo, exec_lo, s9
; %bb.390:                              ;   in Loop: Header=BB189_31 Depth=1
	v_sub_co_u32 v38, vcc_lo, v38, s18
	v_subrev_co_ci_u32_e32 v39, vcc_lo, s19, v39, vcc_lo
	v_mov_b32_e32 v2, 0
	s_or_b32 s8, s8, exec_lo
; %bb.391:                              ;   in Loop: Header=BB189_31 Depth=1
	s_or_b32 exec_lo, exec_lo, s9
	s_delay_alu instid0(VALU_DEP_2)
	v_dual_mov_b32 v8, v38 :: v_dual_mov_b32 v9, v39
	s_and_b32 s26, s8, exec_lo
.LBB189_392:                            ;   in Loop: Header=BB189_31 Depth=1
	s_or_b32 exec_lo, exec_lo, s7
	s_mov_b32 s7, -1
                                        ; implicit-def: $sgpr8
                                        ; implicit-def: $sgpr9
                                        ; implicit-def: $sgpr18
	s_and_saveexec_b32 s74, s26
	s_cbranch_execz .LBB189_493
; %bb.393:                              ;   in Loop: Header=BB189_31 Depth=1
	v_cmp_eq_u64_e32 vcc_lo, 1, v[8:9]
	s_cmp_eq_u64 s[16:17], 1
                                        ; implicit-def: $sgpr18
                                        ; implicit-def: $sgpr19
                                        ; implicit-def: $sgpr56
	s_cselect_b32 s7, -1, 0
	s_delay_alu instid0(SALU_CYCLE_1)
	s_and_b32 s46, s7, vcc_lo
	s_mov_b32 s7, -1
	s_and_saveexec_b32 s47, s46
	s_cbranch_execz .LBB189_427
; %bb.394:                              ;   in Loop: Header=BB189_31 Depth=1
	ds_load_b64 v[4:5], v19 offset:5120
	s_waitcnt lgkmcnt(0)
	s_barrier
	buffer_gl0_inv
	v_readfirstlane_b32 s8, v4
	v_readfirstlane_b32 s9, v5
	s_and_saveexec_b32 s7, s6
	s_cbranch_execz .LBB189_396
; %bb.395:                              ;   in Loop: Header=BB189_31 Depth=1
	v_mov_b32_e32 v18, v19
	ds_store_b64 v52, v[18:19]
.LBB189_396:                            ;   in Loop: Header=BB189_31 Depth=1
	s_or_b32 exec_lo, exec_lo, s7
	v_and_b32_e32 v2, s15, v35
	v_and_b32_e32 v4, s14, v34
	s_lshl_b64 s[18:19], 1, s24
	v_or_b32_e32 v33, s13, v33
	v_or_b32_e32 v32, s12, v32
	;; [unrolled: 1-line block ×4, first 2 shown]
	s_cmp_eq_u64 s[8:9], 0
	s_waitcnt lgkmcnt(0)
	s_barrier
	buffer_gl0_inv
	s_cbranch_scc1 .LBB189_410
; %bb.397:                              ;   in Loop: Header=BB189_31 Depth=1
	s_add_u32 s26, s85, s8
	s_addc_u32 s19, s86, s9
	s_mov_b32 s18, s61
	s_delay_alu instid0(SALU_CYCLE_1)
	s_cmp_lg_u64 s[18:19], 0
	s_cbranch_scc0 .LBB189_445
; %bb.398:                              ;   in Loop: Header=BB189_31 Depth=1
	v_cvt_f32_u32_e32 v2, s33
	s_sub_u32 s56, 0, s33
	s_subb_u32 s57, 0, 0
	s_delay_alu instid0(VALU_DEP_1) | instskip(NEXT) | instid1(VALU_DEP_1)
	v_fmac_f32_e64 v2, 0, 0x4f800000
	v_rcp_f32_e32 v2, v2
	s_waitcnt_depctr 0xfff
	v_mul_f32_e32 v2, 0x5f7ffffc, v2
	s_delay_alu instid0(VALU_DEP_1) | instskip(NEXT) | instid1(VALU_DEP_1)
	v_mul_f32_e32 v4, 0x2f800000, v2
	v_trunc_f32_e32 v4, v4
	s_delay_alu instid0(VALU_DEP_1) | instskip(SKIP_1) | instid1(VALU_DEP_2)
	v_fmac_f32_e32 v2, 0xcf800000, v4
	v_cvt_u32_f32_e32 v4, v4
	v_cvt_u32_f32_e32 v2, v2
	s_delay_alu instid0(VALU_DEP_2) | instskip(NEXT) | instid1(VALU_DEP_2)
	v_readfirstlane_b32 s7, v4
	v_readfirstlane_b32 s18, v2
	s_delay_alu instid0(VALU_DEP_2) | instskip(NEXT) | instid1(VALU_DEP_1)
	s_mul_i32 s58, s56, s7
	s_mul_hi_u32 s75, s56, s18
	s_mul_i32 s59, s57, s18
	s_add_i32 s58, s75, s58
	s_mul_i32 s76, s56, s18
	s_add_i32 s58, s58, s59
	s_mul_hi_u32 s75, s18, s76
	s_mul_hi_u32 s77, s7, s76
	s_mul_i32 s59, s7, s76
	s_mul_hi_u32 s76, s18, s58
	s_mul_i32 s18, s18, s58
	s_mul_hi_u32 s78, s7, s58
	s_add_u32 s18, s75, s18
	s_addc_u32 s75, 0, s76
	s_add_u32 s18, s18, s59
	s_mul_i32 s58, s7, s58
	s_addc_u32 s18, s75, s77
	s_addc_u32 s59, s78, 0
	s_add_u32 s18, s18, s58
	s_addc_u32 s58, 0, s59
	v_add_co_u32 v2, s18, v2, s18
	s_delay_alu instid0(VALU_DEP_1) | instskip(SKIP_1) | instid1(VALU_DEP_1)
	s_cmp_lg_u32 s18, 0
	s_addc_u32 s7, s7, s58
	v_readfirstlane_b32 s18, v2
	s_mul_i32 s58, s56, s7
	s_delay_alu instid0(VALU_DEP_1)
	s_mul_hi_u32 s59, s56, s18
	s_mul_i32 s57, s57, s18
	s_add_i32 s58, s59, s58
	s_mul_i32 s56, s56, s18
	s_add_i32 s58, s58, s57
	s_mul_hi_u32 s59, s7, s56
	s_mul_i32 s75, s7, s56
	s_mul_hi_u32 s56, s18, s56
	s_mul_hi_u32 s76, s18, s58
	s_mul_i32 s18, s18, s58
	s_mul_hi_u32 s57, s7, s58
	s_add_u32 s18, s56, s18
	s_addc_u32 s56, 0, s76
	s_add_u32 s18, s18, s75
	s_mul_i32 s58, s7, s58
	s_addc_u32 s18, s56, s59
	s_addc_u32 s56, s57, 0
	s_add_u32 s18, s18, s58
	s_addc_u32 s56, 0, s56
	v_add_co_u32 v2, s18, v2, s18
	s_delay_alu instid0(VALU_DEP_1) | instskip(SKIP_1) | instid1(VALU_DEP_1)
	s_cmp_lg_u32 s18, 0
	s_addc_u32 s7, s7, s56
	v_readfirstlane_b32 s18, v2
	s_mul_i32 s57, s26, s7
	s_mul_hi_u32 s56, s26, s7
	s_mul_hi_u32 s58, s19, s7
	s_mul_i32 s7, s19, s7
	s_mul_hi_u32 s59, s26, s18
	s_mul_hi_u32 s75, s19, s18
	s_mul_i32 s18, s19, s18
	s_add_u32 s57, s59, s57
	s_addc_u32 s56, 0, s56
	s_add_u32 s18, s57, s18
	s_addc_u32 s18, s56, s75
	s_addc_u32 s56, s58, 0
	s_add_u32 s7, s18, s7
	s_addc_u32 s18, 0, s56
	s_mul_hi_u32 s56, s33, s7
	s_mul_i32 s7, s33, s7
	s_mul_i32 s18, s33, s18
	v_sub_co_u32 v2, s7, s26, s7
	s_add_i32 s56, s56, s18
	s_cmp_lg_u32 s7, 0
	s_delay_alu instid0(VALU_DEP_1) | instskip(SKIP_3) | instid1(VALU_DEP_2)
	v_sub_co_u32 v4, s7, v2, s33
	s_subb_u32 s18, s19, s56
	s_cmp_lg_u32 s7, 0
	v_cmp_le_u32_e32 vcc_lo, s33, v2
	v_cmp_le_u32_e64 s7, s33, v4
	v_sub_co_u32 v5, s56, v4, s33
	s_subb_u32 s57, s18, 0
	s_cmp_lg_u32 s56, 0
	s_delay_alu instid0(VALU_DEP_2)
	v_cndmask_b32_e64 v6, 0, -1, s7
	s_subb_u32 s56, s57, 0
	s_cmp_eq_u32 s57, 0
	v_cndmask_b32_e64 v7, 0, -1, vcc_lo
	s_cselect_b32 vcc_lo, -1, 0
	s_cmp_eq_u32 s18, 0
	v_cndmask_b32_e32 v6, -1, v6, vcc_lo
	s_cselect_b32 vcc_lo, -1, 0
	v_dual_mov_b32 v10, s56 :: v_dual_cndmask_b32 v7, -1, v7
	s_delay_alu instid0(VALU_DEP_2) | instskip(NEXT) | instid1(VALU_DEP_2)
	v_cmp_ne_u32_e32 vcc_lo, 0, v6
	v_cmp_ne_u32_e64 s7, 0, v7
	s_delay_alu instid0(VALU_DEP_3) | instskip(SKIP_1) | instid1(VALU_DEP_2)
	v_cndmask_b32_e32 v6, s57, v10, vcc_lo
	v_cndmask_b32_e32 v4, v4, v5, vcc_lo
	v_cndmask_b32_e64 v5, s18, v6, s7
	s_delay_alu instid0(VALU_DEP_2)
	v_cndmask_b32_e64 v4, v2, v4, s7
	s_cbranch_execnz .LBB189_400
.LBB189_399:                            ;   in Loop: Header=BB189_31 Depth=1
	v_cvt_f32_u32_e32 v2, s33
	s_sub_i32 s7, 0, s33
	s_delay_alu instid0(VALU_DEP_1) | instskip(SKIP_2) | instid1(VALU_DEP_1)
	v_rcp_iflag_f32_e32 v2, v2
	s_waitcnt_depctr 0xfff
	v_mul_f32_e32 v2, 0x4f7ffffe, v2
	v_cvt_u32_f32_e32 v2, v2
	s_delay_alu instid0(VALU_DEP_1) | instskip(NEXT) | instid1(VALU_DEP_1)
	v_mul_lo_u32 v4, s7, v2
	v_mul_hi_u32 v4, v2, v4
	s_delay_alu instid0(VALU_DEP_1) | instskip(NEXT) | instid1(VALU_DEP_1)
	v_add_nc_u32_e32 v2, v2, v4
	v_mul_hi_u32 v2, s26, v2
	s_delay_alu instid0(VALU_DEP_1) | instskip(NEXT) | instid1(VALU_DEP_1)
	v_mul_lo_u32 v2, v2, s33
	v_sub_nc_u32_e32 v2, s26, v2
	s_delay_alu instid0(VALU_DEP_1) | instskip(SKIP_1) | instid1(VALU_DEP_2)
	v_subrev_nc_u32_e32 v4, s33, v2
	v_cmp_le_u32_e32 vcc_lo, s33, v2
	v_cndmask_b32_e32 v2, v2, v4, vcc_lo
	s_delay_alu instid0(VALU_DEP_1) | instskip(SKIP_1) | instid1(VALU_DEP_2)
	v_subrev_nc_u32_e32 v4, s33, v2
	v_cmp_le_u32_e32 vcc_lo, s33, v2
	v_cndmask_b32_e32 v18, v2, v4, vcc_lo
	s_delay_alu instid0(VALU_DEP_1)
	v_dual_mov_b32 v4, v18 :: v_dual_mov_b32 v5, v19
.LBB189_400:                            ;   in Loop: Header=BB189_31 Depth=1
	s_delay_alu instid0(VALU_DEP_1) | instskip(NEXT) | instid1(VALU_DEP_2)
	v_sub_co_u32 v10, vcc_lo, s26, v4
	v_sub_co_ci_u32_e32 v11, vcc_lo, s19, v5, vcc_lo
	s_mov_b32 s7, 0
	s_mov_b32 s18, exec_lo
                                        ; implicit-def: $vgpr6_vgpr7
	s_delay_alu instid0(VALU_DEP_1)
	v_cmpx_gt_u64_e64 v[10:11], v[0:1]
	s_cbranch_execz .LBB189_412
; %bb.401:                              ;   in Loop: Header=BB189_31 Depth=1
	v_dual_mov_b32 v14, v51 :: v_dual_mov_b32 v13, v1
	v_mov_b32_e32 v12, v0
	s_mov_b32 s26, 0
                                        ; implicit-def: $sgpr19
	s_set_inst_prefetch_distance 0x1
	s_branch .LBB189_403
	.p2align	6
.LBB189_402:                            ;   in Loop: Header=BB189_403 Depth=2
	s_or_b32 exec_lo, exec_lo, s7
	s_waitcnt lgkmcnt(0)
	s_barrier
	buffer_gl0_inv
	ds_load_b128 v[4:7], v19 offset:3072
	v_add_co_u32 v12, s7, v12, s33
	s_delay_alu instid0(VALU_DEP_1) | instskip(SKIP_3) | instid1(VALU_DEP_2)
	v_add_co_ci_u32_e64 v13, s7, 0, v13, s7
	v_add_nc_u32_e32 v14, s93, v14
	s_waitcnt lgkmcnt(0)
	s_barrier
	v_cmp_ge_u64_e64 s7, v[12:13], v[10:11]
	buffer_gl0_inv
	v_cmp_neq_f64_e32 vcc_lo, 0, v[4:5]
	s_or_b32 s7, s7, vcc_lo
	s_delay_alu instid0(SALU_CYCLE_1) | instskip(NEXT) | instid1(SALU_CYCLE_1)
	s_and_b32 s7, exec_lo, s7
	s_or_b32 s26, s7, s26
	s_and_not1_b32 s7, s19, exec_lo
	s_and_b32 s19, vcc_lo, exec_lo
	s_delay_alu instid0(SALU_CYCLE_1)
	s_or_b32 s19, s7, s19
	s_and_not1_b32 exec_lo, exec_lo, s26
	s_cbranch_execz .LBB189_411
.LBB189_403:                            ;   Parent Loop BB189_31 Depth=1
                                        ; =>  This Inner Loop Header: Depth=2
	s_delay_alu instid0(VALU_DEP_1)
	v_cmp_gt_u64_e32 vcc_lo, s[8:9], v[12:13]
	v_mov_b32_e32 v4, 0
	v_mov_b32_e32 v5, 0
	s_and_saveexec_b32 s7, vcc_lo
	s_cbranch_execz .LBB189_405
; %bb.404:                              ;   in Loop: Header=BB189_403 Depth=2
	ds_load_b64 v[4:5], v14
.LBB189_405:                            ;   in Loop: Header=BB189_403 Depth=2
	s_or_b32 exec_lo, exec_lo, s7
	s_and_saveexec_b32 s7, vcc_lo
	s_cbranch_execz .LBB189_402
; %bb.406:                              ;   in Loop: Header=BB189_403 Depth=2
	s_waitcnt lgkmcnt(0)
	v_cmp_o_f64_e32 vcc_lo, v[4:5], v[4:5]
	v_ashrrev_i32_e32 v2, 31, v5
	s_delay_alu instid0(VALU_DEP_1) | instskip(SKIP_1) | instid1(VALU_DEP_2)
	v_or_b32_e32 v6, 0x80000000, v2
	v_xor_b32_e32 v2, v2, v4
	v_xor_b32_e32 v6, v6, v5
	s_delay_alu instid0(VALU_DEP_1) | instskip(NEXT) | instid1(VALU_DEP_1)
	v_cndmask_b32_e32 v6, -1, v6, vcc_lo
	v_dual_cndmask_b32 v2, -1, v2 :: v_dual_and_b32 v7, v6, v33
	s_delay_alu instid0(VALU_DEP_1) | instskip(NEXT) | instid1(VALU_DEP_1)
	v_and_b32_e32 v6, v2, v32
	v_cmp_eq_u64_e32 vcc_lo, v[6:7], v[34:35]
	s_and_b32 exec_lo, exec_lo, vcc_lo
	s_cbranch_execz .LBB189_402
; %bb.407:                              ;   in Loop: Header=BB189_403 Depth=2
	v_mov_b32_e32 v2, v19
	ds_store_b128 v19, v[2:5] offset:3072
	s_branch .LBB189_402
.LBB189_408:                            ;   in Loop: Header=BB189_31 Depth=1
                                        ; implicit-def: $vgpr4_vgpr5
	s_branch .LBB189_353
.LBB189_409:                            ;   in Loop: Header=BB189_31 Depth=1
                                        ; implicit-def: $vgpr4_vgpr5
	s_branch .LBB189_369
.LBB189_410:                            ;   in Loop: Header=BB189_31 Depth=1
	s_mov_b32 s18, -1
	s_mov_b32 s7, 0
                                        ; implicit-def: $sgpr19
                                        ; implicit-def: $vgpr6_vgpr7
	s_mov_b32 s56, s18
	s_cbranch_execnz .LBB189_413
	s_branch .LBB189_426
.LBB189_411:                            ;   in Loop: Header=BB189_31 Depth=1
	s_set_inst_prefetch_distance 0x2
	s_or_b32 exec_lo, exec_lo, s26
	s_delay_alu instid0(SALU_CYCLE_1)
	s_and_b32 s7, s19, exec_lo
.LBB189_412:                            ;   in Loop: Header=BB189_31 Depth=1
	s_or_b32 exec_lo, exec_lo, s18
	s_mov_b32 s18, 0
	s_mov_b32 s19, -1
	s_mov_b32 s56, s18
	s_branch .LBB189_426
.LBB189_413:                            ;   in Loop: Header=BB189_31 Depth=1
	s_mov_b32 s26, s61
	s_delay_alu instid0(SALU_CYCLE_1)
	s_cmp_lg_u64 s[26:27], 0
	s_cbranch_scc0 .LBB189_446
; %bb.414:                              ;   in Loop: Header=BB189_31 Depth=1
	v_cvt_f32_u32_e32 v2, s33
	s_sub_u32 s9, 0, s33
	s_subb_u32 s18, 0, 0
	s_delay_alu instid0(VALU_DEP_1) | instskip(NEXT) | instid1(VALU_DEP_1)
	v_fmac_f32_e64 v2, 0, 0x4f800000
	v_rcp_f32_e32 v2, v2
	s_waitcnt_depctr 0xfff
	v_mul_f32_e32 v2, 0x5f7ffffc, v2
	s_delay_alu instid0(VALU_DEP_1) | instskip(NEXT) | instid1(VALU_DEP_1)
	v_mul_f32_e32 v4, 0x2f800000, v2
	v_trunc_f32_e32 v4, v4
	s_delay_alu instid0(VALU_DEP_1) | instskip(SKIP_1) | instid1(VALU_DEP_2)
	v_fmac_f32_e32 v2, 0xcf800000, v4
	v_cvt_u32_f32_e32 v4, v4
	v_cvt_u32_f32_e32 v2, v2
	s_delay_alu instid0(VALU_DEP_2) | instskip(NEXT) | instid1(VALU_DEP_2)
	v_readfirstlane_b32 s7, v4
	v_readfirstlane_b32 s8, v2
	s_delay_alu instid0(VALU_DEP_2) | instskip(NEXT) | instid1(VALU_DEP_1)
	s_mul_i32 s19, s9, s7
	s_mul_hi_u32 s56, s9, s8
	s_mul_i32 s26, s18, s8
	s_add_i32 s19, s56, s19
	s_mul_i32 s57, s9, s8
	s_add_i32 s19, s19, s26
	s_mul_hi_u32 s56, s8, s57
	s_mul_hi_u32 s58, s7, s57
	s_mul_i32 s26, s7, s57
	s_mul_hi_u32 s57, s8, s19
	s_mul_i32 s8, s8, s19
	s_mul_hi_u32 s59, s7, s19
	s_add_u32 s8, s56, s8
	s_addc_u32 s56, 0, s57
	s_add_u32 s8, s8, s26
	s_mul_i32 s19, s7, s19
	s_addc_u32 s8, s56, s58
	s_addc_u32 s26, s59, 0
	s_add_u32 s8, s8, s19
	s_addc_u32 s19, 0, s26
	v_add_co_u32 v2, s8, v2, s8
	s_delay_alu instid0(VALU_DEP_1) | instskip(SKIP_1) | instid1(VALU_DEP_1)
	s_cmp_lg_u32 s8, 0
	s_addc_u32 s7, s7, s19
	v_readfirstlane_b32 s8, v2
	s_mul_i32 s19, s9, s7
	s_delay_alu instid0(VALU_DEP_1)
	s_mul_hi_u32 s26, s9, s8
	s_mul_i32 s18, s18, s8
	s_add_i32 s19, s26, s19
	s_mul_i32 s9, s9, s8
	s_add_i32 s19, s19, s18
	s_mul_hi_u32 s26, s7, s9
	s_mul_i32 s56, s7, s9
	s_mul_hi_u32 s9, s8, s9
	s_mul_hi_u32 s57, s8, s19
	s_mul_i32 s8, s8, s19
	s_mul_hi_u32 s18, s7, s19
	s_add_u32 s8, s9, s8
	s_addc_u32 s9, 0, s57
	s_add_u32 s8, s8, s56
	s_mul_i32 s19, s7, s19
	s_addc_u32 s8, s9, s26
	s_addc_u32 s9, s18, 0
	s_add_u32 s8, s8, s19
	s_addc_u32 s9, 0, s9
	v_add_co_u32 v2, s8, v2, s8
	s_delay_alu instid0(VALU_DEP_1) | instskip(SKIP_1) | instid1(VALU_DEP_1)
	s_cmp_lg_u32 s8, 0
	s_addc_u32 s7, s7, s9
	v_readfirstlane_b32 s8, v2
	s_mul_i32 s18, s87, s7
	s_mul_hi_u32 s9, s87, s7
	s_mul_hi_u32 s19, s27, s7
	s_mul_i32 s7, s27, s7
	s_mul_hi_u32 s26, s87, s8
	s_mul_hi_u32 s56, s27, s8
	s_mul_i32 s8, s27, s8
	s_add_u32 s18, s26, s18
	s_addc_u32 s9, 0, s9
	s_add_u32 s8, s18, s8
	s_addc_u32 s8, s9, s56
	s_addc_u32 s9, s19, 0
	s_add_u32 s7, s8, s7
	s_addc_u32 s8, 0, s9
	s_mul_hi_u32 s9, s33, s7
	s_mul_i32 s7, s33, s7
	s_mul_i32 s8, s33, s8
	v_sub_co_u32 v2, s7, s87, s7
	s_add_i32 s9, s9, s8
	s_cmp_lg_u32 s7, 0
	s_delay_alu instid0(VALU_DEP_1) | instskip(SKIP_3) | instid1(VALU_DEP_2)
	v_sub_co_u32 v4, s7, v2, s33
	s_subb_u32 s8, s27, s9
	s_cmp_lg_u32 s7, 0
	v_cmp_le_u32_e32 vcc_lo, s33, v2
	v_cmp_le_u32_e64 s7, s33, v4
	v_sub_co_u32 v5, s9, v4, s33
	s_subb_u32 s18, s8, 0
	s_cmp_lg_u32 s9, 0
	s_delay_alu instid0(VALU_DEP_2)
	v_cndmask_b32_e64 v6, 0, -1, s7
	s_subb_u32 s9, s18, 0
	s_cmp_eq_u32 s18, 0
	v_cndmask_b32_e64 v7, 0, -1, vcc_lo
	s_cselect_b32 vcc_lo, -1, 0
	s_cmp_eq_u32 s8, 0
	v_cndmask_b32_e32 v6, -1, v6, vcc_lo
	s_cselect_b32 vcc_lo, -1, 0
	v_dual_mov_b32 v10, s9 :: v_dual_cndmask_b32 v7, -1, v7
	s_delay_alu instid0(VALU_DEP_2) | instskip(NEXT) | instid1(VALU_DEP_2)
	v_cmp_ne_u32_e32 vcc_lo, 0, v6
	v_cmp_ne_u32_e64 s7, 0, v7
	s_delay_alu instid0(VALU_DEP_3) | instskip(SKIP_1) | instid1(VALU_DEP_2)
	v_cndmask_b32_e32 v6, s18, v10, vcc_lo
	v_cndmask_b32_e32 v4, v4, v5, vcc_lo
	v_cndmask_b32_e64 v5, s8, v6, s7
	s_delay_alu instid0(VALU_DEP_2)
	v_cndmask_b32_e64 v4, v2, v4, s7
	s_cbranch_execnz .LBB189_416
.LBB189_415:                            ;   in Loop: Header=BB189_31 Depth=1
	v_cvt_f32_u32_e32 v2, s33
	s_sub_i32 s7, 0, s33
	s_delay_alu instid0(VALU_DEP_1) | instskip(SKIP_2) | instid1(VALU_DEP_1)
	v_rcp_iflag_f32_e32 v2, v2
	s_waitcnt_depctr 0xfff
	v_mul_f32_e32 v2, 0x4f7ffffe, v2
	v_cvt_u32_f32_e32 v2, v2
	s_delay_alu instid0(VALU_DEP_1) | instskip(NEXT) | instid1(VALU_DEP_1)
	v_mul_lo_u32 v4, s7, v2
	v_mul_hi_u32 v4, v2, v4
	s_delay_alu instid0(VALU_DEP_1) | instskip(NEXT) | instid1(VALU_DEP_1)
	v_add_nc_u32_e32 v2, v2, v4
	v_mul_hi_u32 v2, s87, v2
	s_delay_alu instid0(VALU_DEP_1) | instskip(NEXT) | instid1(VALU_DEP_1)
	v_mul_lo_u32 v2, v2, s33
	v_sub_nc_u32_e32 v2, s87, v2
	s_delay_alu instid0(VALU_DEP_1) | instskip(SKIP_1) | instid1(VALU_DEP_2)
	v_subrev_nc_u32_e32 v4, s33, v2
	v_cmp_le_u32_e32 vcc_lo, s33, v2
	v_cndmask_b32_e32 v2, v2, v4, vcc_lo
	s_delay_alu instid0(VALU_DEP_1) | instskip(SKIP_1) | instid1(VALU_DEP_2)
	v_subrev_nc_u32_e32 v4, s33, v2
	v_cmp_le_u32_e32 vcc_lo, s33, v2
	v_cndmask_b32_e32 v18, v2, v4, vcc_lo
	s_delay_alu instid0(VALU_DEP_1)
	v_dual_mov_b32 v4, v18 :: v_dual_mov_b32 v5, v19
.LBB189_416:                            ;   in Loop: Header=BB189_31 Depth=1
	s_delay_alu instid0(VALU_DEP_1) | instskip(NEXT) | instid1(VALU_DEP_2)
	v_sub_co_u32 v10, vcc_lo, s87, v4
	v_sub_co_ci_u32_e32 v11, vcc_lo, s27, v5, vcc_lo
	s_mov_b32 s7, 0
	s_mov_b32 s8, exec_lo
                                        ; implicit-def: $vgpr6_vgpr7
	s_delay_alu instid0(VALU_DEP_1)
	v_cmpx_gt_u64_e64 v[10:11], v[0:1]
	s_cbranch_execz .LBB189_425
; %bb.417:                              ;   in Loop: Header=BB189_31 Depth=1
	v_dual_mov_b32 v12, v30 :: v_dual_mov_b32 v13, v31
	v_dual_mov_b32 v15, v1 :: v_dual_mov_b32 v14, v0
	s_mov_b32 s18, 0
                                        ; implicit-def: $sgpr9
	s_branch .LBB189_419
.LBB189_418:                            ;   in Loop: Header=BB189_419 Depth=2
	s_or_b32 exec_lo, exec_lo, s7
	s_waitcnt vmcnt(0) lgkmcnt(0)
	s_barrier
	buffer_gl0_inv
	ds_load_b128 v[4:7], v19 offset:3072
	v_add_co_u32 v14, s7, v14, s33
	s_delay_alu instid0(VALU_DEP_1)
	v_add_co_ci_u32_e64 v15, s7, 0, v15, s7
	s_waitcnt lgkmcnt(0)
	s_barrier
	buffer_gl0_inv
	v_cmp_ge_u64_e64 s7, v[14:15], v[10:11]
	v_cmp_neq_f64_e32 vcc_lo, 0, v[4:5]
	s_delay_alu instid0(VALU_DEP_2) | instskip(NEXT) | instid1(SALU_CYCLE_1)
	s_or_b32 s7, s7, vcc_lo
	s_and_b32 s19, exec_lo, s7
	v_add_co_u32 v12, s7, v12, s34
	s_delay_alu instid0(VALU_DEP_1) | instskip(SKIP_3) | instid1(SALU_CYCLE_1)
	v_add_co_ci_u32_e64 v13, s7, s35, v13, s7
	s_or_b32 s18, s19, s18
	s_and_not1_b32 s7, s9, exec_lo
	s_and_b32 s9, vcc_lo, exec_lo
	s_or_b32 s9, s7, s9
	s_and_not1_b32 exec_lo, exec_lo, s18
	s_cbranch_execz .LBB189_424
.LBB189_419:                            ;   Parent Loop BB189_31 Depth=1
                                        ; =>  This Inner Loop Header: Depth=2
	s_delay_alu instid0(VALU_DEP_1)
	v_cmp_gt_u64_e32 vcc_lo, s[36:37], v[14:15]
	v_mov_b32_e32 v4, 0
	v_mov_b32_e32 v5, 0
	s_and_saveexec_b32 s7, vcc_lo
	s_cbranch_execz .LBB189_421
; %bb.420:                              ;   in Loop: Header=BB189_419 Depth=2
	global_load_b64 v[4:5], v[12:13], off
.LBB189_421:                            ;   in Loop: Header=BB189_419 Depth=2
	s_or_b32 exec_lo, exec_lo, s7
	s_and_saveexec_b32 s7, vcc_lo
	s_cbranch_execz .LBB189_418
; %bb.422:                              ;   in Loop: Header=BB189_419 Depth=2
	s_waitcnt vmcnt(0)
	v_cmp_o_f64_e32 vcc_lo, v[4:5], v[4:5]
	v_ashrrev_i32_e32 v2, 31, v5
	s_delay_alu instid0(VALU_DEP_1) | instskip(SKIP_1) | instid1(VALU_DEP_2)
	v_or_b32_e32 v6, 0x80000000, v2
	v_xor_b32_e32 v2, v2, v4
	v_xor_b32_e32 v6, v6, v5
	s_delay_alu instid0(VALU_DEP_1) | instskip(NEXT) | instid1(VALU_DEP_1)
	v_cndmask_b32_e32 v6, -1, v6, vcc_lo
	v_dual_cndmask_b32 v2, -1, v2 :: v_dual_and_b32 v7, v6, v33
	s_delay_alu instid0(VALU_DEP_1) | instskip(NEXT) | instid1(VALU_DEP_1)
	v_and_b32_e32 v6, v2, v32
	v_cmp_eq_u64_e32 vcc_lo, v[6:7], v[34:35]
	s_and_b32 exec_lo, exec_lo, vcc_lo
	s_cbranch_execz .LBB189_418
; %bb.423:                              ;   in Loop: Header=BB189_419 Depth=2
	v_mov_b32_e32 v2, v19
	ds_store_b128 v19, v[2:5] offset:3072
	s_branch .LBB189_418
.LBB189_424:                            ;   in Loop: Header=BB189_31 Depth=1
	s_or_b32 exec_lo, exec_lo, s18
	s_delay_alu instid0(SALU_CYCLE_1)
	s_and_b32 s7, s9, exec_lo
.LBB189_425:                            ;   in Loop: Header=BB189_31 Depth=1
	s_or_b32 exec_lo, exec_lo, s8
	s_mov_b32 s19, 0
	s_mov_b32 s18, -1
	s_mov_b32 s56, 0
.LBB189_426:                            ;   in Loop: Header=BB189_31 Depth=1
	s_or_not1_b32 s7, s7, exec_lo
.LBB189_427:                            ;   in Loop: Header=BB189_31 Depth=1
	s_or_b32 exec_lo, exec_lo, s47
	s_mov_b32 s26, 0
                                        ; implicit-def: $vgpr2
	s_and_saveexec_b32 s57, s7
	s_cbranch_execz .LBB189_492
; %bb.428:                              ;   in Loop: Header=BB189_31 Depth=1
	v_mov_b32_e32 v10, 1
	v_dual_mov_b32 v11, 0 :: v_dual_mov_b32 v2, 1
	s_xor_b32 s8, s46, -1
	s_delay_alu instid0(SALU_CYCLE_1)
	s_and_saveexec_b32 s7, s8
	s_cbranch_execz .LBB189_438
; %bb.429:                              ;   in Loop: Header=BB189_31 Depth=1
	s_mov_b32 s9, exec_lo
                                        ; implicit-def: $sgpr26
                                        ; implicit-def: $sgpr8
	v_cmpx_ge_u64_e64 s[16:17], v[8:9]
	s_xor_b32 s9, exec_lo, s9
	s_cbranch_execz .LBB189_435
; %bb.430:                              ;   in Loop: Header=BB189_31 Depth=1
	ds_load_b64 v[4:5], v19 offset:5120
	s_waitcnt lgkmcnt(0)
	v_cmp_ne_u64_e32 vcc_lo, 0, v[4:5]
	s_cbranch_vccnz .LBB189_434
; %bb.431:                              ;   in Loop: Header=BB189_31 Depth=1
	s_and_saveexec_b32 s8, s5
	s_cbranch_execz .LBB189_433
; %bb.432:                              ;   in Loop: Header=BB189_31 Depth=1
	v_dual_mov_b32 v4, s16 :: v_dual_mov_b32 v5, s17
	ds_store_b64 v19, v[4:5] offset:5128
.LBB189_433:                            ;   in Loop: Header=BB189_31 Depth=1
	s_or_b32 exec_lo, exec_lo, s8
	s_waitcnt lgkmcnt(0)
	s_barrier
	buffer_gl0_inv
.LBB189_434:                            ;   in Loop: Header=BB189_31 Depth=1
	v_and_b32_e32 v2, s15, v35
	v_and_b32_e32 v4, s14, v34
	s_lshl_b64 s[46:47], 1, s24
	v_or_b32_e32 v33, s13, v33
	v_or_b32_e32 v32, s12, v32
	;; [unrolled: 1-line block ×4, first 2 shown]
	s_mov_b32 s8, 0
	s_mov_b32 s26, 5
.LBB189_435:                            ;   in Loop: Header=BB189_31 Depth=1
	s_or_saveexec_b32 s9, s9
	v_mov_b32_e32 v2, s26
	s_xor_b32 exec_lo, exec_lo, s9
; %bb.436:                              ;   in Loop: Header=BB189_31 Depth=1
	v_sub_co_u32 v8, vcc_lo, v8, s16
	v_subrev_co_ci_u32_e32 v9, vcc_lo, s17, v9, vcc_lo
	v_mov_b32_e32 v2, 0
	s_or_b32 s8, s8, exec_lo
; %bb.437:                              ;   in Loop: Header=BB189_31 Depth=1
	s_or_b32 exec_lo, exec_lo, s9
	s_delay_alu instid0(VALU_DEP_2)
	v_dual_mov_b32 v11, v9 :: v_dual_mov_b32 v10, v8
	s_and_b32 s26, s8, exec_lo
.LBB189_438:                            ;   in Loop: Header=BB189_31 Depth=1
	s_or_b32 exec_lo, exec_lo, s7
	s_mov_b32 s16, -1
                                        ; implicit-def: $sgpr7
                                        ; implicit-def: $sgpr8
                                        ; implicit-def: $sgpr9
	s_and_saveexec_b32 s24, s26
	s_cbranch_execz .LBB189_491
; %bb.439:                              ;   in Loop: Header=BB189_31 Depth=1
	v_cmp_eq_u64_e32 vcc_lo, 1, v[10:11]
	s_cmp_eq_u64 s[10:11], 1
	s_mov_b32 s17, -1
	s_cselect_b32 s7, -1, 0
                                        ; implicit-def: $sgpr8
                                        ; implicit-def: $sgpr9
	s_delay_alu instid0(SALU_CYCLE_1) | instskip(NEXT) | instid1(SALU_CYCLE_1)
	s_and_b32 s46, s7, vcc_lo
                                        ; implicit-def: $sgpr7
	s_and_saveexec_b32 s47, s46
	s_cbranch_execz .LBB189_478
; %bb.440:                              ;   in Loop: Header=BB189_31 Depth=1
	ds_load_b64 v[4:5], v19 offset:5120
	s_waitcnt lgkmcnt(0)
	s_barrier
	buffer_gl0_inv
	v_readfirstlane_b32 s8, v4
	v_readfirstlane_b32 s9, v5
	s_and_saveexec_b32 s7, s6
	s_cbranch_execz .LBB189_442
; %bb.441:                              ;   in Loop: Header=BB189_31 Depth=1
	v_mov_b32_e32 v18, v19
	ds_store_b64 v52, v[18:19]
.LBB189_442:                            ;   in Loop: Header=BB189_31 Depth=1
	s_or_b32 exec_lo, exec_lo, s7
	v_and_b32_e32 v35, s15, v35
	v_and_b32_e32 v34, s14, v34
	v_or_b32_e32 v33, s13, v33
	v_or_b32_e32 v32, s12, v32
	s_cmp_eq_u64 s[8:9], 0
	s_waitcnt lgkmcnt(0)
	s_barrier
	buffer_gl0_inv
	s_cbranch_scc1 .LBB189_447
; %bb.443:                              ;   in Loop: Header=BB189_31 Depth=1
	s_add_u32 s26, s85, s8
	s_addc_u32 s17, s86, s9
	s_mov_b32 s16, s61
	s_delay_alu instid0(SALU_CYCLE_1)
	s_cmp_lg_u64 s[16:17], 0
	s_cbranch_scc0 .LBB189_448
; %bb.444:                              ;   in Loop: Header=BB189_31 Depth=1
	v_cvt_f32_u32_e32 v2, s33
	s_sub_u32 s58, 0, s33
	s_subb_u32 s59, 0, 0
	s_delay_alu instid0(VALU_DEP_1) | instskip(NEXT) | instid1(VALU_DEP_1)
	v_fmac_f32_e64 v2, 0, 0x4f800000
	v_rcp_f32_e32 v2, v2
	s_waitcnt_depctr 0xfff
	v_mul_f32_e32 v2, 0x5f7ffffc, v2
	s_delay_alu instid0(VALU_DEP_1) | instskip(NEXT) | instid1(VALU_DEP_1)
	v_mul_f32_e32 v4, 0x2f800000, v2
	v_trunc_f32_e32 v4, v4
	s_delay_alu instid0(VALU_DEP_1) | instskip(SKIP_1) | instid1(VALU_DEP_2)
	v_fmac_f32_e32 v2, 0xcf800000, v4
	v_cvt_u32_f32_e32 v4, v4
	v_cvt_u32_f32_e32 v2, v2
	s_delay_alu instid0(VALU_DEP_2) | instskip(NEXT) | instid1(VALU_DEP_2)
	v_readfirstlane_b32 s7, v4
	v_readfirstlane_b32 s16, v2
	s_delay_alu instid0(VALU_DEP_2) | instskip(NEXT) | instid1(VALU_DEP_1)
	s_mul_i32 s75, s58, s7
	s_mul_hi_u32 s77, s58, s16
	s_mul_i32 s76, s59, s16
	s_add_i32 s75, s77, s75
	s_mul_i32 s78, s58, s16
	s_add_i32 s75, s75, s76
	s_mul_hi_u32 s77, s16, s78
	s_mul_hi_u32 s79, s7, s78
	s_mul_i32 s76, s7, s78
	s_mul_hi_u32 s78, s16, s75
	s_mul_i32 s16, s16, s75
	s_mul_hi_u32 vcc_lo, s7, s75
	s_add_u32 s16, s77, s16
	s_addc_u32 s77, 0, s78
	s_add_u32 s16, s16, s76
	s_mul_i32 s75, s7, s75
	s_addc_u32 s16, s77, s79
	s_addc_u32 s76, vcc_lo, 0
	s_add_u32 s16, s16, s75
	s_addc_u32 s75, 0, s76
	v_add_co_u32 v2, s16, v2, s16
	s_delay_alu instid0(VALU_DEP_1) | instskip(SKIP_1) | instid1(VALU_DEP_1)
	s_cmp_lg_u32 s16, 0
	s_addc_u32 s7, s7, s75
	v_readfirstlane_b32 s16, v2
	s_mul_i32 s75, s58, s7
	s_delay_alu instid0(VALU_DEP_1)
	s_mul_hi_u32 s76, s58, s16
	s_mul_i32 s59, s59, s16
	s_add_i32 s75, s76, s75
	s_mul_i32 s58, s58, s16
	s_add_i32 s75, s75, s59
	s_mul_hi_u32 s76, s7, s58
	s_mul_i32 s77, s7, s58
	s_mul_hi_u32 s58, s16, s58
	s_mul_hi_u32 s78, s16, s75
	s_mul_i32 s16, s16, s75
	s_mul_hi_u32 s59, s7, s75
	s_add_u32 s16, s58, s16
	s_addc_u32 s58, 0, s78
	s_add_u32 s16, s16, s77
	s_mul_i32 s75, s7, s75
	s_addc_u32 s16, s58, s76
	s_addc_u32 s58, s59, 0
	s_add_u32 s16, s16, s75
	s_addc_u32 s58, 0, s58
	v_add_co_u32 v2, s16, v2, s16
	s_delay_alu instid0(VALU_DEP_1) | instskip(SKIP_1) | instid1(VALU_DEP_1)
	s_cmp_lg_u32 s16, 0
	s_addc_u32 s7, s7, s58
	v_readfirstlane_b32 s16, v2
	s_mul_i32 s59, s26, s7
	s_mul_hi_u32 s58, s26, s7
	s_mul_hi_u32 s75, s17, s7
	s_mul_i32 s7, s17, s7
	s_mul_hi_u32 s76, s26, s16
	s_mul_hi_u32 s77, s17, s16
	s_mul_i32 s16, s17, s16
	s_add_u32 s59, s76, s59
	s_addc_u32 s58, 0, s58
	s_add_u32 s16, s59, s16
	s_addc_u32 s16, s58, s77
	s_addc_u32 s58, s75, 0
	s_add_u32 s7, s16, s7
	s_addc_u32 s16, 0, s58
	s_mul_hi_u32 s58, s33, s7
	s_mul_i32 s7, s33, s7
	s_mul_i32 s16, s33, s16
	v_sub_co_u32 v2, s7, s26, s7
	s_add_i32 s58, s58, s16
	s_cmp_lg_u32 s7, 0
	s_delay_alu instid0(VALU_DEP_1) | instskip(SKIP_3) | instid1(VALU_DEP_2)
	v_sub_co_u32 v4, s7, v2, s33
	s_subb_u32 s16, s17, s58
	s_cmp_lg_u32 s7, 0
	v_cmp_le_u32_e32 vcc_lo, s33, v2
	v_cmp_le_u32_e64 s7, s33, v4
	v_sub_co_u32 v5, s58, v4, s33
	s_subb_u32 s59, s16, 0
	s_cmp_lg_u32 s58, 0
	s_delay_alu instid0(VALU_DEP_2)
	v_cndmask_b32_e64 v6, 0, -1, s7
	s_subb_u32 s58, s59, 0
	s_cmp_eq_u32 s59, 0
	v_cndmask_b32_e64 v7, 0, -1, vcc_lo
	s_cselect_b32 vcc_lo, -1, 0
	s_cmp_eq_u32 s16, 0
	v_cndmask_b32_e32 v6, -1, v6, vcc_lo
	s_cselect_b32 vcc_lo, -1, 0
	v_dual_mov_b32 v8, s58 :: v_dual_cndmask_b32 v7, -1, v7
	s_delay_alu instid0(VALU_DEP_2) | instskip(NEXT) | instid1(VALU_DEP_2)
	v_cmp_ne_u32_e32 vcc_lo, 0, v6
	v_cmp_ne_u32_e64 s7, 0, v7
	s_delay_alu instid0(VALU_DEP_3) | instskip(SKIP_1) | instid1(VALU_DEP_2)
	v_cndmask_b32_e32 v6, s59, v8, vcc_lo
	v_cndmask_b32_e32 v4, v4, v5, vcc_lo
	v_cndmask_b32_e64 v5, s16, v6, s7
	s_delay_alu instid0(VALU_DEP_2)
	v_cndmask_b32_e64 v4, v2, v4, s7
	s_mov_b32 s7, 0
	s_branch .LBB189_449
.LBB189_445:                            ;   in Loop: Header=BB189_31 Depth=1
                                        ; implicit-def: $vgpr4_vgpr5
	s_branch .LBB189_399
.LBB189_446:                            ;   in Loop: Header=BB189_31 Depth=1
                                        ; implicit-def: $vgpr4_vgpr5
	s_branch .LBB189_415
.LBB189_447:                            ;   in Loop: Header=BB189_31 Depth=1
	s_mov_b32 s7, -1
	s_mov_b32 s17, 0
                                        ; implicit-def: $sgpr8
                                        ; implicit-def: $vgpr6_vgpr7
	s_branch .LBB189_461
.LBB189_448:                            ;   in Loop: Header=BB189_31 Depth=1
	s_mov_b32 s7, -1
                                        ; implicit-def: $vgpr4_vgpr5
.LBB189_449:                            ;   in Loop: Header=BB189_31 Depth=1
	s_delay_alu instid0(SALU_CYCLE_1)
	s_and_not1_b32 vcc_lo, exec_lo, s7
	s_cbranch_vccnz .LBB189_451
; %bb.450:                              ;   in Loop: Header=BB189_31 Depth=1
	v_cvt_f32_u32_e32 v2, s33
	s_sub_i32 s7, 0, s33
	s_delay_alu instid0(VALU_DEP_1) | instskip(SKIP_2) | instid1(VALU_DEP_1)
	v_rcp_iflag_f32_e32 v2, v2
	s_waitcnt_depctr 0xfff
	v_mul_f32_e32 v2, 0x4f7ffffe, v2
	v_cvt_u32_f32_e32 v2, v2
	s_delay_alu instid0(VALU_DEP_1) | instskip(NEXT) | instid1(VALU_DEP_1)
	v_mul_lo_u32 v4, s7, v2
	v_mul_hi_u32 v4, v2, v4
	s_delay_alu instid0(VALU_DEP_1) | instskip(NEXT) | instid1(VALU_DEP_1)
	v_add_nc_u32_e32 v2, v2, v4
	v_mul_hi_u32 v2, s26, v2
	s_delay_alu instid0(VALU_DEP_1) | instskip(NEXT) | instid1(VALU_DEP_1)
	v_mul_lo_u32 v2, v2, s33
	v_sub_nc_u32_e32 v2, s26, v2
	s_delay_alu instid0(VALU_DEP_1) | instskip(SKIP_1) | instid1(VALU_DEP_2)
	v_subrev_nc_u32_e32 v4, s33, v2
	v_cmp_le_u32_e32 vcc_lo, s33, v2
	v_cndmask_b32_e32 v2, v2, v4, vcc_lo
	s_delay_alu instid0(VALU_DEP_1) | instskip(SKIP_1) | instid1(VALU_DEP_2)
	v_subrev_nc_u32_e32 v4, s33, v2
	v_cmp_le_u32_e32 vcc_lo, s33, v2
	v_cndmask_b32_e32 v18, v2, v4, vcc_lo
	s_delay_alu instid0(VALU_DEP_1)
	v_dual_mov_b32 v4, v18 :: v_dual_mov_b32 v5, v19
.LBB189_451:                            ;   in Loop: Header=BB189_31 Depth=1
	s_delay_alu instid0(VALU_DEP_1) | instskip(NEXT) | instid1(VALU_DEP_2)
	v_sub_co_u32 v8, vcc_lo, s26, v4
	v_sub_co_ci_u32_e32 v9, vcc_lo, s17, v5, vcc_lo
	s_mov_b32 s17, 0
	s_mov_b32 s16, exec_lo
                                        ; implicit-def: $vgpr6_vgpr7
	s_delay_alu instid0(VALU_DEP_1)
	v_cmpx_gt_u64_e64 v[8:9], v[0:1]
	s_cbranch_execz .LBB189_460
; %bb.452:                              ;   in Loop: Header=BB189_31 Depth=1
	v_dual_mov_b32 v14, v51 :: v_dual_mov_b32 v13, v1
	v_mov_b32_e32 v12, v0
	s_mov_b32 s26, 0
                                        ; implicit-def: $sgpr17
	s_set_inst_prefetch_distance 0x1
	s_branch .LBB189_454
	.p2align	6
.LBB189_453:                            ;   in Loop: Header=BB189_454 Depth=2
	s_or_b32 exec_lo, exec_lo, s7
	s_waitcnt lgkmcnt(0)
	s_barrier
	buffer_gl0_inv
	ds_load_b128 v[4:7], v19 offset:3072
	v_add_co_u32 v12, s7, v12, s33
	s_delay_alu instid0(VALU_DEP_1) | instskip(SKIP_3) | instid1(VALU_DEP_2)
	v_add_co_ci_u32_e64 v13, s7, 0, v13, s7
	v_add_nc_u32_e32 v14, s93, v14
	s_waitcnt lgkmcnt(0)
	s_barrier
	v_cmp_ge_u64_e64 s7, v[12:13], v[8:9]
	buffer_gl0_inv
	v_cmp_neq_f64_e32 vcc_lo, 0, v[4:5]
	s_or_b32 s7, s7, vcc_lo
	s_delay_alu instid0(SALU_CYCLE_1) | instskip(NEXT) | instid1(SALU_CYCLE_1)
	s_and_b32 s7, exec_lo, s7
	s_or_b32 s26, s7, s26
	s_and_not1_b32 s7, s17, exec_lo
	s_and_b32 s17, vcc_lo, exec_lo
	s_delay_alu instid0(SALU_CYCLE_1)
	s_or_b32 s17, s7, s17
	s_and_not1_b32 exec_lo, exec_lo, s26
	s_cbranch_execz .LBB189_459
.LBB189_454:                            ;   Parent Loop BB189_31 Depth=1
                                        ; =>  This Inner Loop Header: Depth=2
	s_delay_alu instid0(VALU_DEP_1)
	v_cmp_gt_u64_e32 vcc_lo, s[8:9], v[12:13]
	v_mov_b32_e32 v4, 0
	v_mov_b32_e32 v5, 0
	s_and_saveexec_b32 s7, vcc_lo
	s_cbranch_execz .LBB189_456
; %bb.455:                              ;   in Loop: Header=BB189_454 Depth=2
	ds_load_b64 v[4:5], v14
.LBB189_456:                            ;   in Loop: Header=BB189_454 Depth=2
	s_or_b32 exec_lo, exec_lo, s7
	s_and_saveexec_b32 s7, vcc_lo
	s_cbranch_execz .LBB189_453
; %bb.457:                              ;   in Loop: Header=BB189_454 Depth=2
	s_waitcnt lgkmcnt(0)
	v_cmp_o_f64_e32 vcc_lo, v[4:5], v[4:5]
	v_ashrrev_i32_e32 v2, 31, v5
	s_delay_alu instid0(VALU_DEP_1) | instskip(SKIP_1) | instid1(VALU_DEP_2)
	v_or_b32_e32 v6, 0x80000000, v2
	v_xor_b32_e32 v2, v2, v4
	v_xor_b32_e32 v6, v6, v5
	s_delay_alu instid0(VALU_DEP_1) | instskip(NEXT) | instid1(VALU_DEP_1)
	v_cndmask_b32_e32 v6, -1, v6, vcc_lo
	v_dual_cndmask_b32 v2, -1, v2 :: v_dual_and_b32 v7, v6, v33
	s_delay_alu instid0(VALU_DEP_1) | instskip(NEXT) | instid1(VALU_DEP_1)
	v_and_b32_e32 v6, v2, v32
	v_cmp_eq_u64_e32 vcc_lo, v[6:7], v[34:35]
	s_and_b32 exec_lo, exec_lo, vcc_lo
	s_cbranch_execz .LBB189_453
; %bb.458:                              ;   in Loop: Header=BB189_454 Depth=2
	v_mov_b32_e32 v2, v19
	ds_store_b128 v19, v[2:5] offset:3072
	s_branch .LBB189_453
.LBB189_459:                            ;   in Loop: Header=BB189_31 Depth=1
	s_set_inst_prefetch_distance 0x2
	s_or_b32 exec_lo, exec_lo, s26
	s_delay_alu instid0(SALU_CYCLE_1)
	s_and_b32 s17, s17, exec_lo
.LBB189_460:                            ;   in Loop: Header=BB189_31 Depth=1
	s_or_b32 exec_lo, exec_lo, s16
	s_mov_b32 s7, 0
	s_mov_b32 s8, -1
.LBB189_461:                            ;   in Loop: Header=BB189_31 Depth=1
	s_and_b32 vcc_lo, exec_lo, s7
	s_mov_b32 s9, s7
	s_cbranch_vccz .LBB189_477
; %bb.462:                              ;   in Loop: Header=BB189_31 Depth=1
	s_mov_b32 s26, s61
	s_delay_alu instid0(SALU_CYCLE_1)
	s_cmp_lg_u64 s[26:27], 0
	s_cbranch_scc0 .LBB189_464
; %bb.463:                              ;   in Loop: Header=BB189_31 Depth=1
	v_cvt_f32_u32_e32 v2, s33
	s_sub_u32 s9, 0, s33
	s_subb_u32 s16, 0, 0
	s_delay_alu instid0(VALU_DEP_1) | instskip(NEXT) | instid1(VALU_DEP_1)
	v_fmac_f32_e64 v2, 0, 0x4f800000
	v_rcp_f32_e32 v2, v2
	s_waitcnt_depctr 0xfff
	v_mul_f32_e32 v2, 0x5f7ffffc, v2
	s_delay_alu instid0(VALU_DEP_1) | instskip(NEXT) | instid1(VALU_DEP_1)
	v_mul_f32_e32 v4, 0x2f800000, v2
	v_trunc_f32_e32 v4, v4
	s_delay_alu instid0(VALU_DEP_1) | instskip(SKIP_1) | instid1(VALU_DEP_2)
	v_fmac_f32_e32 v2, 0xcf800000, v4
	v_cvt_u32_f32_e32 v4, v4
	v_cvt_u32_f32_e32 v2, v2
	s_delay_alu instid0(VALU_DEP_2) | instskip(NEXT) | instid1(VALU_DEP_2)
	v_readfirstlane_b32 s7, v4
	v_readfirstlane_b32 s8, v2
	s_delay_alu instid0(VALU_DEP_2) | instskip(NEXT) | instid1(VALU_DEP_1)
	s_mul_i32 s17, s9, s7
	s_mul_hi_u32 s58, s9, s8
	s_mul_i32 s26, s16, s8
	s_add_i32 s17, s58, s17
	s_mul_i32 s59, s9, s8
	s_add_i32 s17, s17, s26
	s_mul_hi_u32 s58, s8, s59
	s_mul_hi_u32 s75, s7, s59
	s_mul_i32 s26, s7, s59
	s_mul_hi_u32 s59, s8, s17
	s_mul_i32 s8, s8, s17
	s_mul_hi_u32 s76, s7, s17
	s_add_u32 s8, s58, s8
	s_addc_u32 s58, 0, s59
	s_add_u32 s8, s8, s26
	s_mul_i32 s17, s7, s17
	s_addc_u32 s8, s58, s75
	s_addc_u32 s26, s76, 0
	s_add_u32 s8, s8, s17
	s_addc_u32 s17, 0, s26
	v_add_co_u32 v2, s8, v2, s8
	s_delay_alu instid0(VALU_DEP_1) | instskip(SKIP_1) | instid1(VALU_DEP_1)
	s_cmp_lg_u32 s8, 0
	s_addc_u32 s7, s7, s17
	v_readfirstlane_b32 s8, v2
	s_mul_i32 s17, s9, s7
	s_delay_alu instid0(VALU_DEP_1)
	s_mul_hi_u32 s26, s9, s8
	s_mul_i32 s16, s16, s8
	s_add_i32 s17, s26, s17
	s_mul_i32 s9, s9, s8
	s_add_i32 s17, s17, s16
	s_mul_hi_u32 s26, s7, s9
	s_mul_i32 s58, s7, s9
	s_mul_hi_u32 s9, s8, s9
	s_mul_hi_u32 s59, s8, s17
	s_mul_i32 s8, s8, s17
	s_mul_hi_u32 s16, s7, s17
	s_add_u32 s8, s9, s8
	s_addc_u32 s9, 0, s59
	s_add_u32 s8, s8, s58
	s_mul_i32 s17, s7, s17
	s_addc_u32 s8, s9, s26
	s_addc_u32 s9, s16, 0
	s_add_u32 s8, s8, s17
	s_addc_u32 s9, 0, s9
	v_add_co_u32 v2, s8, v2, s8
	s_delay_alu instid0(VALU_DEP_1) | instskip(SKIP_1) | instid1(VALU_DEP_1)
	s_cmp_lg_u32 s8, 0
	s_addc_u32 s7, s7, s9
	v_readfirstlane_b32 s8, v2
	s_mul_i32 s16, s87, s7
	s_mul_hi_u32 s9, s87, s7
	s_mul_hi_u32 s17, s27, s7
	s_mul_i32 s7, s27, s7
	s_mul_hi_u32 s26, s87, s8
	s_mul_hi_u32 s58, s27, s8
	s_mul_i32 s8, s27, s8
	s_add_u32 s16, s26, s16
	s_addc_u32 s9, 0, s9
	s_add_u32 s8, s16, s8
	s_addc_u32 s8, s9, s58
	s_addc_u32 s9, s17, 0
	s_add_u32 s7, s8, s7
	s_addc_u32 s8, 0, s9
	s_mul_hi_u32 s9, s33, s7
	s_mul_i32 s7, s33, s7
	s_mul_i32 s8, s33, s8
	v_sub_co_u32 v2, s7, s87, s7
	s_add_i32 s9, s9, s8
	s_cmp_lg_u32 s7, 0
	s_delay_alu instid0(VALU_DEP_1) | instskip(SKIP_3) | instid1(VALU_DEP_2)
	v_sub_co_u32 v4, s7, v2, s33
	s_subb_u32 s8, s27, s9
	s_cmp_lg_u32 s7, 0
	v_cmp_le_u32_e32 vcc_lo, s33, v2
	v_cmp_le_u32_e64 s7, s33, v4
	v_sub_co_u32 v5, s9, v4, s33
	s_subb_u32 s16, s8, 0
	s_cmp_lg_u32 s9, 0
	s_delay_alu instid0(VALU_DEP_2)
	v_cndmask_b32_e64 v6, 0, -1, s7
	s_subb_u32 s9, s16, 0
	s_cmp_eq_u32 s16, 0
	v_cndmask_b32_e64 v7, 0, -1, vcc_lo
	s_cselect_b32 vcc_lo, -1, 0
	s_cmp_eq_u32 s8, 0
	v_cndmask_b32_e32 v6, -1, v6, vcc_lo
	s_cselect_b32 vcc_lo, -1, 0
	v_dual_mov_b32 v8, s9 :: v_dual_cndmask_b32 v7, -1, v7
	s_delay_alu instid0(VALU_DEP_2) | instskip(NEXT) | instid1(VALU_DEP_2)
	v_cmp_ne_u32_e32 vcc_lo, 0, v6
	v_cmp_ne_u32_e64 s7, 0, v7
	s_delay_alu instid0(VALU_DEP_3) | instskip(SKIP_1) | instid1(VALU_DEP_2)
	v_cndmask_b32_e32 v6, s16, v8, vcc_lo
	v_cndmask_b32_e32 v4, v4, v5, vcc_lo
	v_cndmask_b32_e64 v5, s8, v6, s7
	s_delay_alu instid0(VALU_DEP_2)
	v_cndmask_b32_e64 v4, v2, v4, s7
	s_mov_b32 s7, 0
	s_branch .LBB189_465
.LBB189_464:                            ;   in Loop: Header=BB189_31 Depth=1
	s_mov_b32 s7, -1
                                        ; implicit-def: $vgpr4_vgpr5
.LBB189_465:                            ;   in Loop: Header=BB189_31 Depth=1
	s_delay_alu instid0(SALU_CYCLE_1)
	s_and_not1_b32 vcc_lo, exec_lo, s7
	s_cbranch_vccnz .LBB189_467
; %bb.466:                              ;   in Loop: Header=BB189_31 Depth=1
	v_cvt_f32_u32_e32 v2, s33
	s_sub_i32 s7, 0, s33
	s_delay_alu instid0(VALU_DEP_1) | instskip(SKIP_2) | instid1(VALU_DEP_1)
	v_rcp_iflag_f32_e32 v2, v2
	s_waitcnt_depctr 0xfff
	v_mul_f32_e32 v2, 0x4f7ffffe, v2
	v_cvt_u32_f32_e32 v2, v2
	s_delay_alu instid0(VALU_DEP_1) | instskip(NEXT) | instid1(VALU_DEP_1)
	v_mul_lo_u32 v4, s7, v2
	v_mul_hi_u32 v4, v2, v4
	s_delay_alu instid0(VALU_DEP_1) | instskip(NEXT) | instid1(VALU_DEP_1)
	v_add_nc_u32_e32 v2, v2, v4
	v_mul_hi_u32 v2, s87, v2
	s_delay_alu instid0(VALU_DEP_1) | instskip(NEXT) | instid1(VALU_DEP_1)
	v_mul_lo_u32 v2, v2, s33
	v_sub_nc_u32_e32 v2, s87, v2
	s_delay_alu instid0(VALU_DEP_1) | instskip(SKIP_1) | instid1(VALU_DEP_2)
	v_subrev_nc_u32_e32 v4, s33, v2
	v_cmp_le_u32_e32 vcc_lo, s33, v2
	v_cndmask_b32_e32 v2, v2, v4, vcc_lo
	s_delay_alu instid0(VALU_DEP_1) | instskip(SKIP_1) | instid1(VALU_DEP_2)
	v_subrev_nc_u32_e32 v4, s33, v2
	v_cmp_le_u32_e32 vcc_lo, s33, v2
	v_cndmask_b32_e32 v18, v2, v4, vcc_lo
	s_delay_alu instid0(VALU_DEP_1)
	v_dual_mov_b32 v4, v18 :: v_dual_mov_b32 v5, v19
.LBB189_467:                            ;   in Loop: Header=BB189_31 Depth=1
	s_delay_alu instid0(VALU_DEP_1) | instskip(NEXT) | instid1(VALU_DEP_2)
	v_sub_co_u32 v8, vcc_lo, s87, v4
	v_sub_co_ci_u32_e32 v9, vcc_lo, s27, v5, vcc_lo
	s_mov_b32 s17, 0
	s_mov_b32 s8, exec_lo
                                        ; implicit-def: $vgpr6_vgpr7
	s_delay_alu instid0(VALU_DEP_1)
	v_cmpx_gt_u64_e64 v[8:9], v[0:1]
	s_cbranch_execz .LBB189_476
; %bb.468:                              ;   in Loop: Header=BB189_31 Depth=1
	v_dual_mov_b32 v12, v30 :: v_dual_mov_b32 v13, v31
	v_dual_mov_b32 v15, v1 :: v_dual_mov_b32 v14, v0
	s_mov_b32 s16, 0
                                        ; implicit-def: $sgpr9
	s_branch .LBB189_470
.LBB189_469:                            ;   in Loop: Header=BB189_470 Depth=2
	s_or_b32 exec_lo, exec_lo, s7
	s_waitcnt vmcnt(0) lgkmcnt(0)
	s_barrier
	buffer_gl0_inv
	ds_load_b128 v[4:7], v19 offset:3072
	v_add_co_u32 v14, s7, v14, s33
	s_delay_alu instid0(VALU_DEP_1)
	v_add_co_ci_u32_e64 v15, s7, 0, v15, s7
	s_waitcnt lgkmcnt(0)
	s_barrier
	buffer_gl0_inv
	v_cmp_ge_u64_e64 s7, v[14:15], v[8:9]
	v_cmp_neq_f64_e32 vcc_lo, 0, v[4:5]
	s_delay_alu instid0(VALU_DEP_2)
	s_or_b32 s17, s7, vcc_lo
	v_add_co_u32 v12, s7, v12, s34
	s_and_b32 s17, exec_lo, s17
	v_add_co_ci_u32_e64 v13, s7, s35, v13, s7
	s_or_b32 s16, s17, s16
	s_and_not1_b32 s7, s9, exec_lo
	s_and_b32 s9, vcc_lo, exec_lo
	s_delay_alu instid0(SALU_CYCLE_1)
	s_or_b32 s9, s7, s9
	s_and_not1_b32 exec_lo, exec_lo, s16
	s_cbranch_execz .LBB189_475
.LBB189_470:                            ;   Parent Loop BB189_31 Depth=1
                                        ; =>  This Inner Loop Header: Depth=2
	s_delay_alu instid0(VALU_DEP_1)
	v_cmp_gt_u64_e32 vcc_lo, s[36:37], v[14:15]
	v_mov_b32_e32 v4, 0
	v_mov_b32_e32 v5, 0
	s_and_saveexec_b32 s7, vcc_lo
	s_cbranch_execz .LBB189_472
; %bb.471:                              ;   in Loop: Header=BB189_470 Depth=2
	global_load_b64 v[4:5], v[12:13], off
.LBB189_472:                            ;   in Loop: Header=BB189_470 Depth=2
	s_or_b32 exec_lo, exec_lo, s7
	s_and_saveexec_b32 s7, vcc_lo
	s_cbranch_execz .LBB189_469
; %bb.473:                              ;   in Loop: Header=BB189_470 Depth=2
	s_waitcnt vmcnt(0)
	v_cmp_o_f64_e32 vcc_lo, v[4:5], v[4:5]
	v_ashrrev_i32_e32 v2, 31, v5
	s_delay_alu instid0(VALU_DEP_1) | instskip(SKIP_1) | instid1(VALU_DEP_2)
	v_or_b32_e32 v6, 0x80000000, v2
	v_xor_b32_e32 v2, v2, v4
	v_xor_b32_e32 v6, v6, v5
	s_delay_alu instid0(VALU_DEP_1) | instskip(NEXT) | instid1(VALU_DEP_1)
	v_cndmask_b32_e32 v6, -1, v6, vcc_lo
	v_dual_cndmask_b32 v2, -1, v2 :: v_dual_and_b32 v7, v6, v33
	s_delay_alu instid0(VALU_DEP_1) | instskip(NEXT) | instid1(VALU_DEP_1)
	v_and_b32_e32 v6, v2, v32
	v_cmp_eq_u64_e32 vcc_lo, v[6:7], v[34:35]
	s_and_b32 exec_lo, exec_lo, vcc_lo
	s_cbranch_execz .LBB189_469
; %bb.474:                              ;   in Loop: Header=BB189_470 Depth=2
	v_mov_b32_e32 v2, v19
	ds_store_b128 v19, v[2:5] offset:3072
	s_branch .LBB189_469
.LBB189_475:                            ;   in Loop: Header=BB189_31 Depth=1
	s_or_b32 exec_lo, exec_lo, s16
	s_delay_alu instid0(SALU_CYCLE_1)
	s_and_b32 s17, s9, exec_lo
.LBB189_476:                            ;   in Loop: Header=BB189_31 Depth=1
	s_or_b32 exec_lo, exec_lo, s8
	s_mov_b32 s8, 0
	s_mov_b32 s7, -1
	s_mov_b32 s9, 0
.LBB189_477:                            ;   in Loop: Header=BB189_31 Depth=1
	s_or_not1_b32 s17, s17, exec_lo
.LBB189_478:                            ;   in Loop: Header=BB189_31 Depth=1
	s_or_b32 exec_lo, exec_lo, s47
	s_mov_b32 s26, 0
                                        ; implicit-def: $vgpr2
                                        ; implicit-def: $vgpr4_vgpr5
	s_and_saveexec_b32 s16, s17
	s_cbranch_execz .LBB189_490
; %bb.479:                              ;   in Loop: Header=BB189_31 Depth=1
	v_mov_b32_e32 v4, 1
	v_dual_mov_b32 v5, 0 :: v_dual_mov_b32 v2, 1
	s_xor_b32 s26, s46, -1
	s_delay_alu instid0(SALU_CYCLE_1)
	s_and_saveexec_b32 s17, s26
	s_cbranch_execz .LBB189_489
; %bb.480:                              ;   in Loop: Header=BB189_31 Depth=1
	s_mov_b32 s26, exec_lo
                                        ; implicit-def: $sgpr46
	v_cmpx_ge_u64_e64 s[10:11], v[10:11]
	s_xor_b32 s26, exec_lo, s26
	s_cbranch_execz .LBB189_486
; %bb.481:                              ;   in Loop: Header=BB189_31 Depth=1
	ds_load_b64 v[4:5], v19 offset:5120
	s_waitcnt lgkmcnt(0)
	v_cmp_ne_u64_e32 vcc_lo, 0, v[4:5]
	s_cbranch_vccnz .LBB189_485
; %bb.482:                              ;   in Loop: Header=BB189_31 Depth=1
	s_and_saveexec_b32 s46, s5
	s_cbranch_execz .LBB189_484
; %bb.483:                              ;   in Loop: Header=BB189_31 Depth=1
	v_dual_mov_b32 v4, s10 :: v_dual_mov_b32 v5, s11
	ds_store_b64 v19, v[4:5] offset:5128
.LBB189_484:                            ;   in Loop: Header=BB189_31 Depth=1
	s_or_b32 exec_lo, exec_lo, s46
	s_waitcnt lgkmcnt(0)
	s_barrier
	buffer_gl0_inv
.LBB189_485:                            ;   in Loop: Header=BB189_31 Depth=1
	v_and_b32_e32 v35, s15, v35
	v_and_b32_e32 v34, s14, v34
	v_or_b32_e32 v33, s13, v33
	v_or_b32_e32 v32, s12, v32
	s_mov_b32 s46, 5
.LBB189_486:                            ;   in Loop: Header=BB189_31 Depth=1
	s_or_saveexec_b32 s12, s26
	v_mov_b32_e32 v2, s46
	s_xor_b32 exec_lo, exec_lo, s12
; %bb.487:                              ;   in Loop: Header=BB189_31 Depth=1
	v_sub_co_u32 v10, vcc_lo, v10, s10
	v_subrev_co_ci_u32_e32 v11, vcc_lo, s11, v11, vcc_lo
	v_mov_b32_e32 v2, 5
; %bb.488:                              ;   in Loop: Header=BB189_31 Depth=1
	s_or_b32 exec_lo, exec_lo, s12
	s_delay_alu instid0(VALU_DEP_2)
	v_dual_mov_b32 v4, v10 :: v_dual_mov_b32 v5, v11
.LBB189_489:                            ;   in Loop: Header=BB189_31 Depth=1
	s_or_b32 exec_lo, exec_lo, s17
	s_delay_alu instid0(SALU_CYCLE_1)
	s_mov_b32 s26, exec_lo
.LBB189_490:                            ;   in Loop: Header=BB189_31 Depth=1
	s_or_b32 exec_lo, exec_lo, s16
	s_delay_alu instid0(VALU_DEP_1)
	v_dual_mov_b32 v11, v5 :: v_dual_mov_b32 v10, v4
	s_or_not1_b32 s16, s26, exec_lo
.LBB189_491:                            ;   in Loop: Header=BB189_31 Depth=1
	s_or_b32 exec_lo, exec_lo, s24
	s_delay_alu instid0(SALU_CYCLE_1)
	s_and_not1_b32 s10, s18, exec_lo
	s_and_b32 s7, s7, exec_lo
	s_and_b32 s8, s8, exec_lo
	s_or_b32 s18, s10, s7
	s_and_not1_b32 s7, s19, exec_lo
	s_and_not1_b32 s10, s56, exec_lo
	s_and_b32 s9, s9, exec_lo
	v_dual_mov_b32 v8, v10 :: v_dual_mov_b32 v9, v11
	s_or_b32 s19, s7, s8
	s_or_b32 s56, s10, s9
	s_and_b32 s26, s16, exec_lo
.LBB189_492:                            ;   in Loop: Header=BB189_31 Depth=1
	s_or_b32 exec_lo, exec_lo, s57
	s_delay_alu instid0(SALU_CYCLE_1)
	s_and_b32 s18, s18, exec_lo
	s_and_b32 s9, s19, exec_lo
	;; [unrolled: 1-line block ×3, first 2 shown]
	s_or_not1_b32 s7, s26, exec_lo
.LBB189_493:                            ;   in Loop: Header=BB189_31 Depth=1
	s_or_b32 exec_lo, exec_lo, s74
	s_delay_alu instid0(SALU_CYCLE_1)
	s_and_not1_b32 s10, s20, exec_lo
	s_and_b32 s11, s18, exec_lo
	s_and_b32 s9, s9, exec_lo
	s_or_b32 s20, s10, s11
	s_and_not1_b32 s10, s21, exec_lo
	s_and_not1_b32 s11, s72, exec_lo
	s_and_b32 s8, s8, exec_lo
	v_dual_mov_b32 v39, v9 :: v_dual_mov_b32 v38, v8
	s_or_b32 s21, s10, s9
	s_or_b32 s72, s11, s8
	s_and_b32 s26, s7, exec_lo
.LBB189_494:                            ;   in Loop: Header=BB189_31 Depth=1
	s_or_b32 exec_lo, exec_lo, s73
	s_delay_alu instid0(SALU_CYCLE_1)
	s_and_b32 s20, s20, exec_lo
	s_and_b32 s9, s21, exec_lo
	s_and_b32 s8, s72, exec_lo
	s_or_not1_b32 s21, s26, exec_lo
.LBB189_495:                            ;   in Loop: Header=BB189_31 Depth=1
	s_or_b32 exec_lo, exec_lo, s71
	s_mov_b32 s7, s60
	s_mov_b32 s10, s55
	s_and_saveexec_b32 s11, s21
; %bb.496:                              ;   in Loop: Header=BB189_31 Depth=1
	v_cmp_eq_u32_e32 vcc_lo, 5, v2
	v_cmp_ne_u32_e64 s7, 5, v2
	s_and_not1_b32 s10, s55, exec_lo
	s_and_not1_b32 s12, s60, exec_lo
	;; [unrolled: 1-line block ×3, first 2 shown]
	s_and_b32 s13, vcc_lo, exec_lo
	s_and_b32 s7, s7, exec_lo
	s_and_not1_b32 s9, s9, exec_lo
	s_and_not1_b32 s8, s8, exec_lo
	s_or_b32 s10, s10, s7
	s_or_b32 s7, s12, s13
; %bb.497:                              ;   in Loop: Header=BB189_31 Depth=1
	s_or_b32 exec_lo, exec_lo, s11
	s_delay_alu instid0(SALU_CYCLE_1)
	s_and_not1_b32 s3, s22, exec_lo
	s_and_b32 s11, s20, exec_lo
	s_and_b32 s9, s9, exec_lo
	s_or_b32 s22, s3, s11
	s_and_not1_b32 s3, s23, exec_lo
	s_and_not1_b32 s11, s25, exec_lo
	s_and_b32 s8, s8, exec_lo
	v_dual_mov_b32 v12, v34 :: v_dual_mov_b32 v13, v35
	v_dual_mov_b32 v14, v32 :: v_dual_mov_b32 v15, v33
	;; [unrolled: 1-line block ×3, first 2 shown]
	s_or_b32 s23, s3, s9
	s_or_b32 s25, s11, s8
	s_and_not1_b32 s3, s55, exec_lo
	s_and_b32 s8, s10, exec_lo
	s_and_not1_b32 s9, s60, exec_lo
	s_and_b32 s7, s7, exec_lo
	s_or_b32 s55, s3, s8
	s_or_b32 s60, s9, s7
.LBB189_498:                            ;   in Loop: Header=BB189_31 Depth=1
	s_or_b32 exec_lo, exec_lo, s70
	s_mov_b32 s71, s25
	s_mov_b32 s70, s25
	s_and_saveexec_b32 s7, s60
.LBB189_499:                            ;   in Loop: Header=BB189_31 Depth=1
	v_mov_b32_e32 v2, 0
	s_and_not1_b32 s25, s25, exec_lo
	s_and_not1_b32 s22, s22, exec_lo
	;; [unrolled: 1-line block ×5, first 2 shown]
	s_or_b32 s55, s55, exec_lo
.LBB189_500:                            ;   in Loop: Header=BB189_31 Depth=1
	s_or_b32 exec_lo, exec_lo, s7
	s_delay_alu instid0(SALU_CYCLE_1)
	s_and_not1_b32 s3, s54, exec_lo
	s_and_b32 s7, s25, exec_lo
	s_and_not1_b32 s9, s103, exec_lo
	s_or_b32 s54, s3, s7
	s_and_not1_b32 s3, vcc_hi, exec_lo
	s_and_b32 s7, s22, exec_lo
	s_and_b32 s10, s23, exec_lo
	s_or_b32 vcc_hi, s3, s7
	s_or_b32 s103, s9, s10
	s_and_not1_b32 s3, s104, exec_lo
	s_and_b32 s7, s71, exec_lo
	s_and_not1_b32 s9, s102, exec_lo
	s_and_b32 s10, s70, exec_lo
	s_mov_b32 s8, -1
	s_or_b32 s104, s3, s7
	s_or_b32 s102, s9, s10
                                        ; implicit-def: $vgpr32_vgpr33
                                        ; implicit-def: $vgpr34_vgpr35
                                        ; implicit-def: $vgpr36_vgpr37
                                        ; implicit-def: $vgpr6_vgpr7
	s_and_saveexec_b32 s3, s55
	s_delay_alu instid0(SALU_CYCLE_1)
	s_xor_b32 s7, exec_lo, s3
	s_cbranch_execz .LBB189_30
; %bb.501:                              ;   in Loop: Header=BB189_31 Depth=1
	s_mov_b32 s9, -1
	s_mov_b32 s10, exec_lo
	v_cmpx_eq_u32_e32 0, v2
	s_cbranch_execz .LBB189_29
; %bb.502:                              ;   in Loop: Header=BB189_31 Depth=1
	s_xor_b32 s96, s96, 1
	s_add_i32 s11, s100, -2
	s_cmp_eq_u32 s100, 0
	s_mov_b32 s100, s11
	s_cselect_b32 s8, -1, 0
	s_xor_b32 s9, exec_lo, -1
	s_or_not1_b32 s8, s8, exec_lo
	s_branch .LBB189_29
.LBB189_503:
	s_or_b32 exec_lo, exec_lo, s94
	s_xor_b32 s7, s101, -1
	s_xor_b32 s9, s98, -1
	;; [unrolled: 1-line block ×5, first 2 shown]
	s_mov_b32 s8, 0
	s_and_saveexec_b32 s11, s3
	s_delay_alu instid0(SALU_CYCLE_1)
	s_xor_b32 s12, exec_lo, s11
	s_cbranch_execz .LBB189_564
; %bb.504:
	s_and_saveexec_b32 s3, s10
	s_delay_alu instid0(SALU_CYCLE_1)
	s_xor_b32 s13, exec_lo, s3
	s_cbranch_execz .LBB189_562
; %bb.505:
	;; [unrolled: 5-line block ×4, first 2 shown]
	s_and_saveexec_b32 s3, s6
	s_delay_alu instid0(SALU_CYCLE_1)
	s_xor_b32 s6, exec_lo, s3
; %bb.508:
	v_lshrrev_b32_e32 v2, 31, v13
	s_delay_alu instid0(VALU_DEP_1) | instskip(NEXT) | instid1(VALU_DEP_1)
	v_add_co_u32 v2, s3, v2, -1
	v_add_co_ci_u32_e64 v3, null, 0, -1, s3
	s_delay_alu instid0(VALU_DEP_2) | instskip(NEXT) | instid1(VALU_DEP_2)
	v_xor_b32_e32 v10, v2, v12
	v_or_b32_e32 v3, 0x80000000, v3
	s_delay_alu instid0(VALU_DEP_1)
	v_xor_b32_e32 v11, v3, v13
; %bb.509:
	s_or_b32 exec_lo, exec_lo, s6
	s_and_saveexec_b32 s6, s5
	s_cbranch_execz .LBB189_511
; %bb.510:
	v_mov_b32_e32 v2, 0
	s_delay_alu instid0(VALU_DEP_1)
	v_mov_b32_e32 v3, v2
	ds_store_b64 v2, v[2:3] offset:5136
.LBB189_511:
	s_or_b32 exec_lo, exec_lo, s6
	v_mov_b32_e32 v4, 0
	v_mov_b32_e32 v5, 0
	s_waitcnt lgkmcnt(0)
	s_barrier
	buffer_gl0_inv
	s_and_saveexec_b32 s5, s4
	s_cbranch_execz .LBB189_513
; %bb.512:
	global_load_b64 v[4:5], v[16:17], off
.LBB189_513:
	s_or_b32 exec_lo, exec_lo, s5
	v_readlane_b32 s6, v57, 0
	v_readlane_b32 s7, v57, 1
	v_cmp_o_f64_e32 vcc_lo, v[10:11], v[10:11]
	s_add_u32 s3, s36, 31
	s_addc_u32 s11, s37, 0
	s_mul_i32 s5, s6, s41
	s_mul_hi_u32 s10, s6, s40
	s_mul_i32 s17, s7, s40
	s_mul_i32 s16, s6, s40
	s_load_b64 s[6:7], s[0:1], 0x440
	v_ashrrev_i32_e32 v2, 31, v11
	v_add_nc_u32_e32 v22, s33, v0
	s_mov_b32 s21, -1
	s_delay_alu instid0(VALU_DEP_2) | instskip(SKIP_1) | instid1(VALU_DEP_2)
	v_or_b32_e32 v3, 0x80000000, v2
	v_xor_b32_e32 v2, v2, v10
	v_xor_b32_e32 v3, v3, v11
	s_waitcnt lgkmcnt(0)
	s_mul_i32 s19, s6, s53
	s_mul_hi_u32 s20, s6, s52
	s_mul_i32 s22, s7, s52
	s_mul_i32 s18, s6, s52
	s_clause 0x1
	s_load_b64 s[6:7], s[0:1], 0x368
	s_load_b64 s[8:9], s[0:1], 0x510
	s_add_i32 s0, s10, s5
	s_and_b32 s10, s3, 0xffffffe0
	s_add_i32 s17, s0, s17
	s_add_i32 s3, s20, s19
	s_lshl_b64 s[0:1], s[16:17], 3
	v_readlane_b32 s16, v57, 2
	v_readlane_b32 s17, v57, 3
	s_add_i32 s19, s3, s22
	v_dual_cndmask_b32 v3, -1, v3 :: v_dual_cndmask_b32 v2, -1, v2
	s_delay_alu instid0(VALU_DEP_3) | instskip(NEXT) | instid1(VALU_DEP_2)
	s_add_u32 s3, s16, s0
	s_addc_u32 s5, s17, s1
	s_lshl_b64 s[16:17], s[28:29], 3
	s_mov_b32 s20, exec_lo
	s_add_u32 s1, s3, s16
	s_addc_u32 s5, s5, s17
	s_lshl_b64 s[16:17], s[18:19], 3
	v_readlane_b32 s18, v57, 4
	v_readlane_b32 s19, v57, 5
	s_delay_alu instid0(VALU_DEP_2) | instskip(NEXT) | instid1(VALU_DEP_1)
	s_add_u32 s3, s18, s16
	s_addc_u32 s18, s19, s17
	s_lshl_b64 s[16:17], s[44:45], 3
	s_mov_b32 s19, 0
	s_add_u32 s16, s3, s16
	s_addc_u32 s17, s18, s17
	s_mov_b32 s18, 0
	v_cmpx_gt_u64_e64 s[10:11], v[0:1]
	s_cbranch_execz .LBB189_531
; %bb.514:
	v_mad_u64_u32 v[6:7], null, s30, v22, 0
	v_readlane_b32 s22, v57, 9
	v_readlane_b32 s23, v57, 10
	s_add_u32 s0, s64, s48
	s_addc_u32 s3, s65, s49
	v_mov_b32_e32 v19, v1
	s_add_u32 s0, s0, s22
	s_delay_alu instid0(VALU_DEP_4) | instskip(SKIP_2) | instid1(VALU_DEP_2)
	v_mad_u64_u32 v[8:9], null, s31, v22, v[7:8]
	s_addc_u32 s3, s3, s23
                                        ; implicit-def: $sgpr21
                                        ; implicit-def: $vgpr14_vgpr15
	v_mov_b32_e32 v18, v0
	v_mov_b32_e32 v7, v8
	s_delay_alu instid0(VALU_DEP_1) | instskip(SKIP_1) | instid1(VALU_DEP_2)
	v_lshlrev_b64 v[8:9], 3, v[6:7]
	v_mov_b32_e32 v7, 0
	v_add_co_u32 v8, vcc_lo, s0, v8
	s_delay_alu instid0(VALU_DEP_3)
	v_add_co_ci_u32_e32 v9, vcc_lo, s3, v9, vcc_lo
	s_branch .LBB189_516
.LBB189_515:                            ;   in Loop: Header=BB189_516 Depth=1
	s_or_b32 exec_lo, exec_lo, s22
	s_xor_b32 s3, s24, -1
	s_and_b32 s0, exec_lo, s0
	s_waitcnt vmcnt(0)
	v_dual_mov_b32 v4, v12 :: v_dual_mov_b32 v5, v13
	s_or_b32 s18, s0, s18
	v_dual_mov_b32 v19, v11 :: v_dual_mov_b32 v18, v10
	s_and_not1_b32 s0, s21, exec_lo
	s_and_b32 s3, s3, exec_lo
	s_delay_alu instid0(SALU_CYCLE_1)
	s_or_b32 s21, s0, s3
	s_and_not1_b32 exec_lo, exec_lo, s18
	s_cbranch_execz .LBB189_530
.LBB189_516:                            ; =>This Inner Loop Header: Depth=1
	v_add_co_u32 v10, vcc_lo, v18, s33
	v_mov_b32_e32 v12, 0
	v_add_co_ci_u32_e32 v11, vcc_lo, 0, v19, vcc_lo
	v_mov_b32_e32 v13, 0
	s_mov_b32 s0, exec_lo
	s_delay_alu instid0(VALU_DEP_2)
	v_cmpx_gt_u64_e64 s[36:37], v[10:11]
	s_cbranch_execz .LBB189_518
; %bb.517:                              ;   in Loop: Header=BB189_516 Depth=1
	global_load_b64 v[12:13], v[8:9], off
.LBB189_518:                            ;   in Loop: Header=BB189_516 Depth=1
	s_or_b32 exec_lo, exec_lo, s0
	s_mov_b32 s22, 0
	s_mov_b32 s0, exec_lo
	v_cmpx_gt_u64_e64 s[36:37], v[18:19]
	s_cbranch_execz .LBB189_520
; %bb.519:                              ;   in Loop: Header=BB189_516 Depth=1
	s_waitcnt vmcnt(0)
	v_cmp_o_f64_e32 vcc_lo, v[4:5], v[4:5]
	v_ashrrev_i32_e32 v6, 31, v5
	s_delay_alu instid0(VALU_DEP_1) | instskip(SKIP_1) | instid1(VALU_DEP_2)
	v_or_b32_e32 v20, 0x80000000, v6
	v_xor_b32_e32 v6, v6, v4
	v_xor_b32_e32 v20, v20, v5
	s_delay_alu instid0(VALU_DEP_1) | instskip(NEXT) | instid1(VALU_DEP_1)
	v_dual_cndmask_b32 v21, -1, v20 :: v_dual_cndmask_b32 v20, -1, v6
	v_cmp_gt_u64_e32 vcc_lo, v[20:21], v[2:3]
	v_cndmask_b32_e64 v6, 0, 1, vcc_lo
	v_cmp_lt_u64_e32 vcc_lo, v[20:21], v[2:3]
	v_cndmask_b32_e64 v20, 0, 1, vcc_lo
	s_delay_alu instid0(VALU_DEP_1) | instskip(NEXT) | instid1(VALU_DEP_1)
	v_cndmask_b32_e64 v6, v20, v6, s88
	v_and_b32_e32 v6, 1, v6
	s_delay_alu instid0(VALU_DEP_1)
	v_cmp_eq_u32_e32 vcc_lo, 1, v6
	s_and_b32 s22, vcc_lo, exec_lo
.LBB189_520:                            ;   in Loop: Header=BB189_516 Depth=1
	s_or_b32 exec_lo, exec_lo, s0
	v_cndmask_b32_e64 v6, 0, 1, s22
	s_delay_alu instid0(VALU_DEP_1) | instskip(SKIP_2) | instid1(SALU_CYCLE_1)
	v_cmp_ne_u32_e32 vcc_lo, 0, v6
	s_cmp_lg_u32 vcc_lo, 0
	s_cselect_b32 s0, -1, 0
	s_and_b32 s0, s2, s0
	s_delay_alu instid0(SALU_CYCLE_1)
	s_and_saveexec_b32 s23, s0
	s_cbranch_execz .LBB189_524
; %bb.521:                              ;   in Loop: Header=BB189_516 Depth=1
	s_mov_b32 s26, exec_lo
	s_bcnt1_i32_b32 s24, vcc_lo
	v_mbcnt_lo_u32_b32 v20, s26, 0
	s_mov_b32 s25, exec_lo
                                        ; implicit-def: $vgpr14_vgpr15
	s_delay_alu instid0(VALU_DEP_1)
	v_cmpx_eq_u32_e32 0, v20
	s_cbranch_execz .LBB189_523
; %bb.522:                              ;   in Loop: Header=BB189_516 Depth=1
	s_bcnt1_i32_b32 s0, s26
	s_delay_alu instid0(SALU_CYCLE_1) | instskip(NEXT) | instid1(SALU_CYCLE_1)
	s_mul_i32 s0, s24, s0
	v_mov_b32_e32 v6, s0
	s_waitcnt lgkmcnt(0)
	ds_add_rtn_u64 v[14:15], v7, v[6:7] offset:5136
.LBB189_523:                            ;   in Loop: Header=BB189_516 Depth=1
	s_or_b32 exec_lo, exec_lo, s25
	s_waitcnt lgkmcnt(0)
	v_readfirstlane_b32 s27, v15
	v_readfirstlane_b32 s26, v14
	s_delay_alu instid0(VALU_DEP_1)
	v_mad_u64_u32 v[14:15], null, s24, v20, s[26:27]
.LBB189_524:                            ;   in Loop: Header=BB189_516 Depth=1
	s_or_b32 exec_lo, exec_lo, s23
	s_waitcnt lgkmcnt(0)
	ds_bpermute_b32 v14, v7, v14
	ds_bpermute_b32 v15, v7, v15
	s_mov_b32 s0, -1
	s_mov_b32 s25, -1
                                        ; implicit-def: $sgpr24
	s_and_saveexec_b32 s23, s22
	s_cbranch_execz .LBB189_528
; %bb.525:                              ;   in Loop: Header=BB189_516 Depth=1
	v_and_b32_e32 v6, vcc_lo, v48
	s_mov_b32 s22, 0
	s_mov_b32 s24, exec_lo
	s_delay_alu instid0(VALU_DEP_1) | instskip(SKIP_1) | instid1(VALU_DEP_1)
	v_bcnt_u32_b32 v6, v6, 0
	s_waitcnt lgkmcnt(0)
	v_add_co_u32 v20, vcc_lo, v14, v6
	v_add_co_ci_u32_e32 v21, vcc_lo, 0, v15, vcc_lo
	s_delay_alu instid0(VALU_DEP_1)
	v_cmpx_gt_u64_e64 s[38:39], v[20:21]
	s_cbranch_execz .LBB189_527
; %bb.526:                              ;   in Loop: Header=BB189_516 Depth=1
	v_mul_lo_u32 v6, v21, s6
	v_mul_lo_u32 v27, v20, s7
	v_mad_u64_u32 v[23:24], null, v20, s6, 0
	v_mul_lo_u32 v21, v21, s8
	v_mul_lo_u32 v28, v20, s9
	v_mad_u64_u32 v[25:26], null, v20, s8, 0
	s_mov_b32 s22, exec_lo
	s_delay_alu instid0(VALU_DEP_4) | instskip(NEXT) | instid1(VALU_DEP_2)
	v_add3_u32 v24, v24, v27, v6
	v_add3_u32 v26, v26, v28, v21
	s_delay_alu instid0(VALU_DEP_2) | instskip(NEXT) | instid1(VALU_DEP_2)
	v_lshlrev_b64 v[20:21], 3, v[23:24]
	v_lshlrev_b64 v[23:24], 3, v[25:26]
	s_delay_alu instid0(VALU_DEP_2) | instskip(NEXT) | instid1(VALU_DEP_3)
	v_add_co_u32 v20, vcc_lo, s1, v20
	v_add_co_ci_u32_e32 v21, vcc_lo, s5, v21, vcc_lo
	s_delay_alu instid0(VALU_DEP_3) | instskip(NEXT) | instid1(VALU_DEP_4)
	v_add_co_u32 v23, vcc_lo, s16, v23
	v_add_co_ci_u32_e32 v24, vcc_lo, s17, v24, vcc_lo
	s_waitcnt vmcnt(0)
	global_store_b64 v[20:21], v[4:5], off
	global_store_b64 v[23:24], v[18:19], off
.LBB189_527:                            ;   in Loop: Header=BB189_516 Depth=1
	s_or_b32 exec_lo, exec_lo, s24
	s_mov_b32 s24, -1
	s_or_not1_b32 s25, s22, exec_lo
.LBB189_528:                            ;   in Loop: Header=BB189_516 Depth=1
	s_or_b32 exec_lo, exec_lo, s23
	s_and_saveexec_b32 s22, s25
	s_cbranch_execz .LBB189_515
; %bb.529:                              ;   in Loop: Header=BB189_516 Depth=1
	v_cmp_le_u64_e32 vcc_lo, s[10:11], v[10:11]
	v_add_co_u32 v8, s0, v8, s34
	s_delay_alu instid0(VALU_DEP_1)
	v_add_co_ci_u32_e64 v9, s0, s35, v9, s0
	s_and_not1_b32 s24, s24, exec_lo
	s_or_not1_b32 s0, vcc_lo, exec_lo
	s_branch .LBB189_515
.LBB189_530:
	s_or_b32 exec_lo, exec_lo, s18
	s_delay_alu instid0(SALU_CYCLE_1)
	s_mov_b32 s18, exec_lo
	s_or_not1_b32 s21, s21, exec_lo
.LBB189_531:
	s_or_b32 exec_lo, exec_lo, s20
	s_and_saveexec_b32 s3, s21
	s_cbranch_execz .LBB189_556
; %bb.532:
	v_mov_b32_e32 v10, 0
	v_mov_b32_e32 v11, 0
	s_waitcnt vmcnt(0) lgkmcnt(0)
	s_waitcnt_vscnt null, 0x0
	s_barrier
	buffer_gl0_inv
	s_and_saveexec_b32 s0, s4
	s_cbranch_execz .LBB189_534
; %bb.533:
	global_load_b64 v[10:11], v[16:17], off
.LBB189_534:
	s_or_b32 exec_lo, exec_lo, s0
	v_mad_u64_u32 v[4:5], null, s30, v22, 0
	v_readlane_b32 s20, v57, 9
	v_readlane_b32 s21, v57, 10
	s_add_u32 s0, s64, s48
	s_addc_u32 s4, s65, s49
	s_mov_b32 s19, 0
	s_add_u32 s0, s0, s20
	s_delay_alu instid0(VALU_DEP_3) | instskip(SKIP_2) | instid1(VALU_DEP_2)
	v_mad_u64_u32 v[6:7], null, s31, v22, v[5:6]
	s_addc_u32 s4, s4, s21
	v_mov_b32_e32 v7, 0
                                        ; implicit-def: $sgpr20
                                        ; implicit-def: $sgpr21
                                        ; implicit-def: $vgpr8_vgpr9
	v_mov_b32_e32 v5, v6
	s_delay_alu instid0(VALU_DEP_1) | instskip(NEXT) | instid1(VALU_DEP_1)
	v_lshlrev_b64 v[4:5], 3, v[4:5]
	v_add_co_u32 v4, vcc_lo, s0, v4
	s_delay_alu instid0(VALU_DEP_2)
	v_add_co_ci_u32_e32 v5, vcc_lo, s4, v5, vcc_lo
                                        ; implicit-def: $sgpr4
	s_branch .LBB189_537
.LBB189_535:                            ;   in Loop: Header=BB189_537 Depth=1
	s_or_b32 exec_lo, exec_lo, s24
	v_dual_mov_b32 v0, v12 :: v_dual_mov_b32 v1, v13
	v_dual_mov_b32 v10, v16 :: v_dual_mov_b32 v11, v17
	s_and_not1_b32 s21, s21, exec_lo
	s_and_b32 s23, s26, exec_lo
	s_and_not1_b32 s20, s20, exec_lo
	s_and_b32 s0, s0, exec_lo
	s_or_b32 s21, s21, s23
	s_or_b32 s20, s20, s0
.LBB189_536:                            ;   in Loop: Header=BB189_537 Depth=1
	s_or_b32 exec_lo, exec_lo, s22
	s_xor_b32 s0, s21, -1
	s_and_b32 s22, exec_lo, s20
	s_delay_alu instid0(SALU_CYCLE_1) | instskip(SKIP_2) | instid1(SALU_CYCLE_1)
	s_or_b32 s19, s22, s19
	s_and_not1_b32 s4, s4, exec_lo
	s_and_b32 s0, s0, exec_lo
	s_or_b32 s4, s4, s0
	s_and_not1_b32 exec_lo, exec_lo, s19
	s_cbranch_execz .LBB189_554
.LBB189_537:                            ; =>This Inner Loop Header: Depth=1
	s_or_b32 s21, s21, exec_lo
	s_or_b32 s20, s20, exec_lo
	s_mov_b32 s22, exec_lo
	v_cmpx_gt_u64_e64 s[10:11], v[0:1]
	s_cbranch_execz .LBB189_536
; %bb.538:                              ;   in Loop: Header=BB189_537 Depth=1
	v_add_co_u32 v12, vcc_lo, v0, s33
	v_mov_b32_e32 v14, 0
	v_add_co_ci_u32_e32 v13, vcc_lo, 0, v1, vcc_lo
	v_mov_b32_e32 v15, 0
	s_mov_b32 s0, exec_lo
	s_delay_alu instid0(VALU_DEP_2)
	v_cmpx_gt_u64_e64 s[36:37], v[12:13]
	s_cbranch_execz .LBB189_540
; %bb.539:                              ;   in Loop: Header=BB189_537 Depth=1
	global_load_b64 v[14:15], v[4:5], off
.LBB189_540:                            ;   in Loop: Header=BB189_537 Depth=1
	s_or_b32 exec_lo, exec_lo, s0
	s_mov_b32 s24, 0
	s_mov_b32 s0, exec_lo
	v_cmpx_gt_u64_e64 s[36:37], v[0:1]
	s_cbranch_execz .LBB189_542
; %bb.541:                              ;   in Loop: Header=BB189_537 Depth=1
	s_waitcnt vmcnt(0)
	v_cmp_o_f64_e32 vcc_lo, v[10:11], v[10:11]
	v_ashrrev_i32_e32 v6, 31, v11
	s_delay_alu instid0(VALU_DEP_1) | instskip(SKIP_1) | instid1(VALU_DEP_2)
	v_or_b32_e32 v16, 0x80000000, v6
	v_xor_b32_e32 v6, v6, v10
	v_xor_b32_e32 v16, v16, v11
	s_delay_alu instid0(VALU_DEP_1) | instskip(NEXT) | instid1(VALU_DEP_1)
	v_dual_cndmask_b32 v17, -1, v16 :: v_dual_cndmask_b32 v16, -1, v6
	v_cmp_eq_u64_e32 vcc_lo, v[16:17], v[2:3]
	s_and_b32 s24, vcc_lo, exec_lo
.LBB189_542:                            ;   in Loop: Header=BB189_537 Depth=1
	s_or_b32 exec_lo, exec_lo, s0
	v_cndmask_b32_e64 v6, 0, 1, s24
	s_delay_alu instid0(VALU_DEP_1) | instskip(SKIP_2) | instid1(SALU_CYCLE_1)
	v_cmp_ne_u32_e32 vcc_lo, 0, v6
	s_cmp_lg_u32 vcc_lo, 0
	s_cselect_b32 s0, -1, 0
	s_and_b32 s0, s2, s0
	s_delay_alu instid0(SALU_CYCLE_1)
	s_and_saveexec_b32 s23, s0
	s_cbranch_execz .LBB189_546
; %bb.543:                              ;   in Loop: Header=BB189_537 Depth=1
	s_mov_b32 s27, exec_lo
	s_bcnt1_i32_b32 s25, vcc_lo
	v_mbcnt_lo_u32_b32 v16, s27, 0
	s_mov_b32 s26, exec_lo
                                        ; implicit-def: $vgpr8_vgpr9
	s_delay_alu instid0(VALU_DEP_1)
	v_cmpx_eq_u32_e32 0, v16
	s_cbranch_execz .LBB189_545
; %bb.544:                              ;   in Loop: Header=BB189_537 Depth=1
	s_bcnt1_i32_b32 s0, s27
	s_delay_alu instid0(SALU_CYCLE_1) | instskip(NEXT) | instid1(SALU_CYCLE_1)
	s_mul_i32 s0, s25, s0
	v_mov_b32_e32 v6, s0
	ds_add_rtn_u64 v[8:9], v7, v[6:7] offset:5136
.LBB189_545:                            ;   in Loop: Header=BB189_537 Depth=1
	s_or_b32 exec_lo, exec_lo, s26
	s_waitcnt lgkmcnt(0)
	v_readfirstlane_b32 s27, v9
	v_readfirstlane_b32 s26, v8
	s_delay_alu instid0(VALU_DEP_1)
	v_mad_u64_u32 v[8:9], null, s25, v16, s[26:27]
.LBB189_546:                            ;   in Loop: Header=BB189_537 Depth=1
	s_or_b32 exec_lo, exec_lo, s23
	ds_bpermute_b32 v8, v7, v8
	ds_bpermute_b32 v9, v7, v9
	s_cmp_eq_u32 vcc_lo, 0
	s_mov_b32 s25, -1
	s_cselect_b32 s23, -1, 0
	s_mov_b32 s26, -1
	s_waitcnt lgkmcnt(0)
	v_cmp_gt_u64_e64 s0, s[38:39], v[8:9]
	s_delay_alu instid0(VALU_DEP_1)
	s_or_b32 s23, s23, s0
	s_mov_b32 s0, -1
	s_waitcnt vmcnt(0)
	v_cndmask_b32_e64 v17, v11, v15, s23
	v_cndmask_b32_e64 v16, v10, v14, s23
	s_and_b32 s27, s24, s23
	s_delay_alu instid0(SALU_CYCLE_1)
	s_and_saveexec_b32 s24, s27
	s_cbranch_execz .LBB189_552
; %bb.547:                              ;   in Loop: Header=BB189_537 Depth=1
	v_and_b32_e32 v6, vcc_lo, v48
	v_sub_co_u32 v16, vcc_lo, s38, v8
	v_sub_co_ci_u32_e32 v17, vcc_lo, s39, v9, vcc_lo
	s_delay_alu instid0(VALU_DEP_3) | instskip(SKIP_2) | instid1(VALU_DEP_1)
	v_bcnt_u32_b32 v6, v6, 0
	s_mov_b32 s27, -1
	s_mov_b32 s26, exec_lo
	v_cmp_le_u64_e64 s25, v[16:17], v[6:7]
	v_cmpx_gt_u64_e64 v[16:17], v[6:7]
	s_cbranch_execz .LBB189_551
; %bb.548:                              ;   in Loop: Header=BB189_537 Depth=1
	v_add_co_u32 v16, vcc_lo, v8, v6
	v_add_co_ci_u32_e32 v17, vcc_lo, 0, v9, vcc_lo
	s_delay_alu instid0(VALU_DEP_4) | instskip(SKIP_1) | instid1(VALU_DEP_1)
	s_mov_b32 s28, s25
	s_mov_b32 s27, exec_lo
	v_cmpx_gt_u64_e64 s[38:39], v[16:17]
	s_cbranch_execz .LBB189_550
; %bb.549:                              ;   in Loop: Header=BB189_537 Depth=1
	v_mul_lo_u32 v6, v17, s6
	v_mul_lo_u32 v22, v16, s7
	v_mad_u64_u32 v[18:19], null, v16, s6, 0
	v_mul_lo_u32 v17, v17, s8
	v_mul_lo_u32 v23, v16, s9
	v_mad_u64_u32 v[20:21], null, v16, s8, 0
	s_or_b32 s28, s25, exec_lo
	s_delay_alu instid0(VALU_DEP_4) | instskip(NEXT) | instid1(VALU_DEP_2)
	v_add3_u32 v19, v19, v22, v6
	v_add3_u32 v21, v21, v23, v17
	s_delay_alu instid0(VALU_DEP_2) | instskip(NEXT) | instid1(VALU_DEP_2)
	v_lshlrev_b64 v[16:17], 3, v[18:19]
	v_lshlrev_b64 v[18:19], 3, v[20:21]
	s_delay_alu instid0(VALU_DEP_2) | instskip(NEXT) | instid1(VALU_DEP_3)
	v_add_co_u32 v16, vcc_lo, s1, v16
	v_add_co_ci_u32_e32 v17, vcc_lo, s5, v17, vcc_lo
	s_delay_alu instid0(VALU_DEP_3) | instskip(NEXT) | instid1(VALU_DEP_4)
	v_add_co_u32 v18, vcc_lo, s16, v18
	v_add_co_ci_u32_e32 v19, vcc_lo, s17, v19, vcc_lo
	global_store_b64 v[16:17], v[10:11], off
	global_store_b64 v[18:19], v[0:1], off
.LBB189_550:                            ;   in Loop: Header=BB189_537 Depth=1
	s_or_b32 exec_lo, exec_lo, s27
	s_delay_alu instid0(SALU_CYCLE_1)
	s_and_not1_b32 s25, s25, exec_lo
	s_and_b32 s28, s28, exec_lo
	s_xor_b32 s27, exec_lo, -1
	s_or_b32 s25, s25, s28
.LBB189_551:                            ;   in Loop: Header=BB189_537 Depth=1
	s_or_b32 exec_lo, exec_lo, s26
	v_dual_mov_b32 v17, v15 :: v_dual_mov_b32 v16, v14
	s_or_not1_b32 s26, s27, exec_lo
	s_or_b32 s23, s23, exec_lo
	s_or_not1_b32 s25, s25, exec_lo
.LBB189_552:                            ;   in Loop: Header=BB189_537 Depth=1
	s_or_b32 exec_lo, exec_lo, s24
	s_and_saveexec_b32 s24, s25
	s_cbranch_execz .LBB189_535
; %bb.553:                              ;   in Loop: Header=BB189_537 Depth=1
	v_add_co_u32 v4, vcc_lo, v4, s34
	v_add_co_ci_u32_e32 v5, vcc_lo, s35, v5, vcc_lo
	s_xor_b32 s0, s23, -1
	s_or_b32 s26, s26, exec_lo
	s_or_not1_b32 s0, s0, exec_lo
	s_branch .LBB189_535
.LBB189_554:
	s_or_b32 exec_lo, exec_lo, s19
	s_mov_b32 s0, 0
	s_and_saveexec_b32 s1, s4
	s_delay_alu instid0(SALU_CYCLE_1)
	s_xor_b32 s1, exec_lo, s1
	s_cbranch_execnz .LBB189_586
.LBB189_555:
	s_or_b32 exec_lo, exec_lo, s1
	s_delay_alu instid0(SALU_CYCLE_1)
	s_and_b32 s19, s0, exec_lo
	s_and_not1_b32 s18, s18, exec_lo
.LBB189_556:
	s_or_b32 exec_lo, exec_lo, s3
	s_and_saveexec_b32 s0, s18
	s_delay_alu instid0(SALU_CYCLE_1)
	s_xor_b32 s0, exec_lo, s0
	s_cbranch_execnz .LBB189_582
.LBB189_557:
	s_or_b32 exec_lo, exec_lo, s0
	s_waitcnt lgkmcnt(0)
	s_and_b32 s8, s19, exec_lo
.LBB189_558:
	s_and_not1_saveexec_b32 s0, s15
	s_cbranch_execnz .LBB189_578
.LBB189_559:
	s_or_b32 exec_lo, exec_lo, s0
	s_delay_alu instid0(SALU_CYCLE_1)
	s_and_b32 s8, s8, exec_lo
.LBB189_560:
	s_and_not1_saveexec_b32 s0, s14
	s_cbranch_execnz .LBB189_574
.LBB189_561:
	s_or_b32 exec_lo, exec_lo, s0
	s_delay_alu instid0(SALU_CYCLE_1)
	s_and_b32 s8, s8, exec_lo
.LBB189_562:
	s_and_not1_saveexec_b32 s0, s13
	s_cbranch_execnz .LBB189_570
.LBB189_563:
	s_or_b32 exec_lo, exec_lo, s0
	s_delay_alu instid0(SALU_CYCLE_1)
	s_and_b32 s8, s8, exec_lo
.LBB189_564:
	s_and_not1_saveexec_b32 s0, s12
	s_cbranch_execnz .LBB189_568
; %bb.565:
	s_or_b32 exec_lo, exec_lo, s0
	s_and_saveexec_b32 s0, s8
.LBB189_566:
	; divergent unreachable
.LBB189_567:
	s_nop 0
	s_sendmsg sendmsg(MSG_DEALLOC_VGPRS)
	s_endpgm
.LBB189_568:
	s_cbranch_execnz .LBB189_572
; %bb.569:
	s_or_b32 s8, s8, exec_lo
	s_or_b32 exec_lo, exec_lo, s0
	s_and_saveexec_b32 s0, s8
	s_cbranch_execnz .LBB189_566
	s_branch .LBB189_567
.LBB189_570:
	s_cbranch_execnz .LBB189_576
; %bb.571:
	s_or_b32 s8, s8, exec_lo
	s_branch .LBB189_563
.LBB189_572:
	s_trap 2
	s_sendmsg_rtn_b32 s0, sendmsg(MSG_RTN_GET_DOORBELL)
	s_mov_b32 ttmp2, m0
	s_waitcnt lgkmcnt(0)
	s_and_b32 s0, s0, 0x3ff
	s_delay_alu instid0(SALU_CYCLE_1) | instskip(NEXT) | instid1(SALU_CYCLE_1)
	s_bitset1_b32 s0, 10
	s_mov_b32 m0, s0
	s_sendmsg sendmsg(MSG_INTERRUPT)
	s_mov_b32 m0, ttmp2
.LBB189_573:                            ; =>This Inner Loop Header: Depth=1
	s_sethalt 5
	s_branch .LBB189_573
.LBB189_574:
	s_cbranch_execnz .LBB189_580
; %bb.575:
	s_or_b32 s8, s8, exec_lo
	s_branch .LBB189_561
.LBB189_576:
	s_trap 2
	s_sendmsg_rtn_b32 s0, sendmsg(MSG_RTN_GET_DOORBELL)
	s_mov_b32 ttmp2, m0
	s_waitcnt lgkmcnt(0)
	s_and_b32 s0, s0, 0x3ff
	s_delay_alu instid0(SALU_CYCLE_1) | instskip(NEXT) | instid1(SALU_CYCLE_1)
	s_bitset1_b32 s0, 10
	s_mov_b32 m0, s0
	s_sendmsg sendmsg(MSG_INTERRUPT)
	s_mov_b32 m0, ttmp2
.LBB189_577:                            ; =>This Inner Loop Header: Depth=1
	s_sethalt 5
	s_branch .LBB189_577
.LBB189_578:
	s_cbranch_execnz .LBB189_584
; %bb.579:
	s_or_b32 s8, s8, exec_lo
	s_branch .LBB189_559
.LBB189_580:
	s_trap 2
	s_sendmsg_rtn_b32 s0, sendmsg(MSG_RTN_GET_DOORBELL)
	s_mov_b32 ttmp2, m0
	s_waitcnt lgkmcnt(0)
	s_and_b32 s0, s0, 0x3ff
	s_delay_alu instid0(SALU_CYCLE_1) | instskip(NEXT) | instid1(SALU_CYCLE_1)
	s_bitset1_b32 s0, 10
	s_mov_b32 m0, s0
	s_sendmsg sendmsg(MSG_INTERRUPT)
	s_mov_b32 m0, ttmp2
.LBB189_581:                            ; =>This Inner Loop Header: Depth=1
	s_sethalt 5
	s_branch .LBB189_581
.LBB189_582:
	s_cbranch_execnz .LBB189_588
; %bb.583:
	s_or_b32 s19, s19, exec_lo
	s_branch .LBB189_557
.LBB189_584:
	s_trap 2
	s_sendmsg_rtn_b32 s0, sendmsg(MSG_RTN_GET_DOORBELL)
	s_mov_b32 ttmp2, m0
	s_waitcnt lgkmcnt(0)
	s_and_b32 s0, s0, 0x3ff
	s_delay_alu instid0(SALU_CYCLE_1) | instskip(NEXT) | instid1(SALU_CYCLE_1)
	s_bitset1_b32 s0, 10
	s_mov_b32 m0, s0
	s_sendmsg sendmsg(MSG_INTERRUPT)
	s_mov_b32 m0, ttmp2
.LBB189_585:                            ; =>This Inner Loop Header: Depth=1
	s_sethalt 5
	s_branch .LBB189_585
.LBB189_586:
	s_cbranch_execnz .LBB189_590
; %bb.587:
	s_mov_b32 s0, exec_lo
	s_branch .LBB189_555
.LBB189_588:
	s_trap 2
	s_sendmsg_rtn_b32 s0, sendmsg(MSG_RTN_GET_DOORBELL)
	s_mov_b32 ttmp2, m0
	s_waitcnt lgkmcnt(0)
	s_and_b32 s0, s0, 0x3ff
	s_delay_alu instid0(SALU_CYCLE_1) | instskip(NEXT) | instid1(SALU_CYCLE_1)
	s_bitset1_b32 s0, 10
	s_mov_b32 m0, s0
	s_sendmsg sendmsg(MSG_INTERRUPT)
	s_mov_b32 m0, ttmp2
.LBB189_589:                            ; =>This Inner Loop Header: Depth=1
	s_sethalt 5
	s_branch .LBB189_589
.LBB189_590:
	s_trap 2
	s_sendmsg_rtn_b32 s0, sendmsg(MSG_RTN_GET_DOORBELL)
	s_mov_b32 ttmp2, m0
	s_waitcnt lgkmcnt(0)
	s_and_b32 s0, s0, 0x3ff
	s_delay_alu instid0(SALU_CYCLE_1) | instskip(NEXT) | instid1(SALU_CYCLE_1)
	s_bitset1_b32 s0, 10
	s_mov_b32 m0, s0
	s_sendmsg sendmsg(MSG_INTERRUPT)
	s_mov_b32 m0, ttmp2
.LBB189_591:                            ; =>This Inner Loop Header: Depth=1
	s_sethalt 5
	s_branch .LBB189_591
	.section	.rodata,"a",@progbits
	.p2align	6, 0x0
	.amdhsa_kernel _ZN2at6native6sbtopk10gatherTopKIdmLin1ELb0EEEvNS_4cuda6detail10TensorInfoIKT_T0_EES8_S8_bS8_S8_NS5_IS6_S8_EES8_NS5_IlS8_EES8_PS6_
		.amdhsa_group_segment_fixed_size 5152
		.amdhsa_private_segment_fixed_size 0
		.amdhsa_kernarg_size 1568
		.amdhsa_user_sgpr_count 13
		.amdhsa_user_sgpr_dispatch_ptr 0
		.amdhsa_user_sgpr_queue_ptr 0
		.amdhsa_user_sgpr_kernarg_segment_ptr 1
		.amdhsa_user_sgpr_dispatch_id 0
		.amdhsa_user_sgpr_private_segment_size 0
		.amdhsa_wavefront_size32 1
		.amdhsa_uses_dynamic_stack 0
		.amdhsa_enable_private_segment 0
		.amdhsa_system_sgpr_workgroup_id_x 1
		.amdhsa_system_sgpr_workgroup_id_y 1
		.amdhsa_system_sgpr_workgroup_id_z 1
		.amdhsa_system_sgpr_workgroup_info 0
		.amdhsa_system_vgpr_workitem_id 0
		.amdhsa_next_free_vgpr 58
		.amdhsa_next_free_sgpr 105
		.amdhsa_reserve_vcc 1
		.amdhsa_float_round_mode_32 0
		.amdhsa_float_round_mode_16_64 0
		.amdhsa_float_denorm_mode_32 3
		.amdhsa_float_denorm_mode_16_64 3
		.amdhsa_dx10_clamp 1
		.amdhsa_ieee_mode 1
		.amdhsa_fp16_overflow 0
		.amdhsa_workgroup_processor_mode 1
		.amdhsa_memory_ordered 1
		.amdhsa_forward_progress 0
		.amdhsa_shared_vgpr_count 0
		.amdhsa_exception_fp_ieee_invalid_op 0
		.amdhsa_exception_fp_denorm_src 0
		.amdhsa_exception_fp_ieee_div_zero 0
		.amdhsa_exception_fp_ieee_overflow 0
		.amdhsa_exception_fp_ieee_underflow 0
		.amdhsa_exception_fp_ieee_inexact 0
		.amdhsa_exception_int_div_zero 0
	.end_amdhsa_kernel
	.section	.text._ZN2at6native6sbtopk10gatherTopKIdmLin1ELb0EEEvNS_4cuda6detail10TensorInfoIKT_T0_EES8_S8_bS8_S8_NS5_IS6_S8_EES8_NS5_IlS8_EES8_PS6_,"axG",@progbits,_ZN2at6native6sbtopk10gatherTopKIdmLin1ELb0EEEvNS_4cuda6detail10TensorInfoIKT_T0_EES8_S8_bS8_S8_NS5_IS6_S8_EES8_NS5_IlS8_EES8_PS6_,comdat
.Lfunc_end189:
	.size	_ZN2at6native6sbtopk10gatherTopKIdmLin1ELb0EEEvNS_4cuda6detail10TensorInfoIKT_T0_EES8_S8_bS8_S8_NS5_IS6_S8_EES8_NS5_IlS8_EES8_PS6_, .Lfunc_end189-_ZN2at6native6sbtopk10gatherTopKIdmLin1ELb0EEEvNS_4cuda6detail10TensorInfoIKT_T0_EES8_S8_bS8_S8_NS5_IS6_S8_EES8_NS5_IlS8_EES8_PS6_
                                        ; -- End function
	.section	.AMDGPU.csdata,"",@progbits
; Kernel info:
; codeLenInByte = 33220
; NumSgprs: 107
; NumVgprs: 58
; ScratchSize: 0
; MemoryBound: 0
; FloatMode: 240
; IeeeMode: 1
; LDSByteSize: 5152 bytes/workgroup (compile time only)
; SGPRBlocks: 13
; VGPRBlocks: 7
; NumSGPRsForWavesPerEU: 107
; NumVGPRsForWavesPerEU: 58
; Occupancy: 16
; WaveLimiterHint : 1
; COMPUTE_PGM_RSRC2:SCRATCH_EN: 0
; COMPUTE_PGM_RSRC2:USER_SGPR: 13
; COMPUTE_PGM_RSRC2:TRAP_HANDLER: 0
; COMPUTE_PGM_RSRC2:TGID_X_EN: 1
; COMPUTE_PGM_RSRC2:TGID_Y_EN: 1
; COMPUTE_PGM_RSRC2:TGID_Z_EN: 1
; COMPUTE_PGM_RSRC2:TIDIG_COMP_CNT: 0
	.section	.text._ZN2at6native6mbtopk23computeBlockDigitCountsIfmjLi1EEEvNS_4cuda6detail10TensorInfoIKT_T0_EEjPjjS8_iijT1_PSB_Ps,"axG",@progbits,_ZN2at6native6mbtopk23computeBlockDigitCountsIfmjLi1EEEvNS_4cuda6detail10TensorInfoIKT_T0_EEjPjjS8_iijT1_PSB_Ps,comdat
	.protected	_ZN2at6native6mbtopk23computeBlockDigitCountsIfmjLi1EEEvNS_4cuda6detail10TensorInfoIKT_T0_EEjPjjS8_iijT1_PSB_Ps ; -- Begin function _ZN2at6native6mbtopk23computeBlockDigitCountsIfmjLi1EEEvNS_4cuda6detail10TensorInfoIKT_T0_EEjPjjS8_iijT1_PSB_Ps
	.globl	_ZN2at6native6mbtopk23computeBlockDigitCountsIfmjLi1EEEvNS_4cuda6detail10TensorInfoIKT_T0_EEjPjjS8_iijT1_PSB_Ps
	.p2align	8
	.type	_ZN2at6native6mbtopk23computeBlockDigitCountsIfmjLi1EEEvNS_4cuda6detail10TensorInfoIKT_T0_EEjPjjS8_iijT1_PSB_Ps,@function
_ZN2at6native6mbtopk23computeBlockDigitCountsIfmjLi1EEEvNS_4cuda6detail10TensorInfoIKT_T0_EEjPjjS8_iijT1_PSB_Ps: ; @_ZN2at6native6mbtopk23computeBlockDigitCountsIfmjLi1EEEvNS_4cuda6detail10TensorInfoIKT_T0_EEjPjjS8_iijT1_PSB_Ps
; %bb.0:
	s_clause 0x2
	s_load_b128 s[8:11], s[0:1], 0x1c0
	s_load_b32 s5, s[0:1], 0x1b0
	s_load_b64 s[2:3], s[0:1], 0x1e0
	s_waitcnt lgkmcnt(0)
	v_cvt_f32_u32_e32 v1, s10
	s_sub_i32 s6, 0, s10
	s_mul_i32 s3, s3, s15
	s_delay_alu instid0(SALU_CYCLE_1) | instskip(NEXT) | instid1(VALU_DEP_1)
	s_add_i32 s3, s3, s14
	v_rcp_iflag_f32_e32 v1, v1
	s_mul_i32 s14, s3, s2
	s_delay_alu instid0(SALU_CYCLE_1) | instskip(SKIP_3) | instid1(VALU_DEP_1)
	s_add_i32 s14, s14, s13
	s_mov_b32 s13, 0
	s_waitcnt_depctr 0xfff
	v_mul_f32_e32 v1, 0x4f7ffffe, v1
	v_cvt_u32_f32_e32 v1, v1
	s_delay_alu instid0(VALU_DEP_1) | instskip(NEXT) | instid1(VALU_DEP_1)
	v_readfirstlane_b32 s4, v1
	s_mul_i32 s6, s6, s4
	s_delay_alu instid0(SALU_CYCLE_1) | instskip(NEXT) | instid1(SALU_CYCLE_1)
	s_mul_hi_u32 s2, s4, s6
	s_add_i32 s4, s4, s2
	s_delay_alu instid0(SALU_CYCLE_1) | instskip(NEXT) | instid1(SALU_CYCLE_1)
	s_mul_hi_u32 s2, s14, s4
	s_mul_i32 s3, s2, s10
	s_add_i32 s4, s2, 1
	s_sub_i32 s3, s14, s3
	s_delay_alu instid0(SALU_CYCLE_1)
	s_sub_i32 s6, s3, s10
	s_cmp_ge_u32 s3, s10
	s_cselect_b32 s2, s4, s2
	s_cselect_b32 s3, s6, s3
	s_add_i32 s4, s2, 1
	s_cmp_ge_u32 s3, s10
	s_cselect_b32 s12, s4, s2
	s_delay_alu instid0(SALU_CYCLE_1)
	s_cmp_ge_u32 s12, s5
	s_cbranch_scc1 .LBB190_23
; %bb.1:
	s_load_b128 s[4:7], s[0:1], 0x1d0
	s_lshl_b64 s[2:3], s[12:13], 2
	v_cmp_gt_u32_e32 vcc_lo, 0x100, v0
	v_lshlrev_b32_e32 v1, 2, v0
	s_waitcnt lgkmcnt(0)
	s_add_u32 s4, s4, s2
	s_addc_u32 s5, s5, s3
	s_and_saveexec_b32 s2, vcc_lo
	s_cbranch_execz .LBB190_3
; %bb.2:
	v_mov_b32_e32 v2, 0
	ds_store_b32 v1, v2
.LBB190_3:
	s_or_b32 exec_lo, exec_lo, s2
	s_load_b32 s13, s[0:1], 0x1a0
	s_mul_i32 s2, s12, s10
	s_waitcnt lgkmcnt(0)
	s_sub_i32 s2, s14, s2
	s_barrier
	s_mul_i32 s3, s9, s2
	s_add_i32 s2, s2, 1
	s_lshl_b32 s16, s3, 8
	buffer_gl0_inv
	s_sub_i32 s3, s13, s16
	s_delay_alu instid0(SALU_CYCLE_1) | instskip(SKIP_4) | instid1(VALU_DEP_1)
	s_add_u32 s3, s3, 0xff
	s_addc_u32 s15, 0, 0
	s_cmp_lt_u32 s2, s10
	v_alignbit_b32 v2, s15, s3, 8
	s_mov_b32 s15, 0
	v_readfirstlane_b32 s3, v2
	s_delay_alu instid0(VALU_DEP_1) | instskip(NEXT) | instid1(SALU_CYCLE_1)
	s_cselect_b32 s9, s9, s3
	s_cmp_lt_i32 s9, 1
	s_cbranch_scc1 .LBB190_19
; %bb.4:
	s_clause 0x2
	s_load_b64 s[18:19], s[0:1], 0xd0
	s_load_b64 s[2:3], s[0:1], 0x1b8
	;; [unrolled: 1-line block ×3, first 2 shown]
	s_load_b32 s1, s[4:5], 0x0
	v_add_nc_u32_e32 v2, s16, v0
	s_waitcnt lgkmcnt(0)
	s_mul_i32 s0, s19, s12
	s_mul_hi_u32 s5, s18, s12
	s_mul_i32 s4, s18, s12
	s_add_i32 s5, s5, s0
	s_delay_alu instid0(SALU_CYCLE_1) | instskip(NEXT) | instid1(SALU_CYCLE_1)
	s_lshl_b64 s[18:19], s[4:5], 2
	s_add_u32 s5, s20, s18
	s_addc_u32 s10, s21, s19
	s_and_b32 s4, s8, 0xff
	s_cmp_eq_u32 s9, 1
	s_cbranch_scc1 .LBB190_14
; %bb.5:
	v_dual_mov_b32 v3, 1 :: v_dual_mov_b32 v4, v2
	s_and_b32 s8, s9, 0x7ffffffe
	s_mov_b32 s12, 0
	s_branch .LBB190_7
.LBB190_6:                              ;   in Loop: Header=BB190_7 Depth=1
	s_or_b32 exec_lo, exec_lo, s15
	v_add_nc_u32_e32 v4, 0x200, v4
	s_add_i32 s12, s12, 2
	s_delay_alu instid0(SALU_CYCLE_1)
	s_cmp_eq_u32 s8, s12
	s_cbranch_scc1 .LBB190_13
.LBB190_7:                              ; =>This Inner Loop Header: Depth=1
	s_mov_b32 s15, exec_lo
	v_cmpx_gt_u32_e64 s13, v4
	s_cbranch_execz .LBB190_10
; %bb.8:                                ;   in Loop: Header=BB190_7 Depth=1
	v_mad_u64_u32 v[5:6], null, v4, s2, 0
	s_delay_alu instid0(VALU_DEP_1) | instskip(NEXT) | instid1(VALU_DEP_1)
	v_mad_u64_u32 v[7:8], null, v4, s3, v[6:7]
	v_mov_b32_e32 v6, v7
	s_delay_alu instid0(VALU_DEP_1) | instskip(NEXT) | instid1(VALU_DEP_1)
	v_lshlrev_b64 v[5:6], 2, v[5:6]
	v_add_co_u32 v5, s0, s5, v5
	s_delay_alu instid0(VALU_DEP_1) | instskip(SKIP_3) | instid1(VALU_DEP_1)
	v_add_co_ci_u32_e64 v6, s0, s10, v6, s0
	global_load_b32 v5, v[5:6], off
	s_waitcnt vmcnt(0)
	v_cmp_lt_i32_e64 s0, -1, v5
	v_cndmask_b32_e64 v6, -1, 0x80000000, s0
	v_cmp_o_f32_e64 s0, v5, v5
	s_delay_alu instid0(VALU_DEP_2) | instskip(NEXT) | instid1(VALU_DEP_1)
	v_xor_b32_e32 v6, v6, v5
	v_cndmask_b32_e64 v5, -1, v6, s0
	s_delay_alu instid0(VALU_DEP_1) | instskip(NEXT) | instid1(VALU_DEP_1)
	v_xor_b32_e32 v6, s1, v5
	v_and_b32_e32 v6, s11, v6
	s_delay_alu instid0(VALU_DEP_1) | instskip(NEXT) | instid1(VALU_DEP_1)
	v_cmp_eq_u32_e64 s0, 0, v6
	s_and_b32 exec_lo, exec_lo, s0
	s_cbranch_execz .LBB190_10
; %bb.9:                                ;   in Loop: Header=BB190_7 Depth=1
	v_bfe_u32 v5, v5, s4, 8
	s_delay_alu instid0(VALU_DEP_1)
	v_lshlrev_b32_e32 v5, 2, v5
	ds_add_u32 v5, v3
.LBB190_10:                             ;   in Loop: Header=BB190_7 Depth=1
	s_or_b32 exec_lo, exec_lo, s15
	v_add_nc_u32_e32 v5, 0x100, v4
	s_mov_b32 s15, exec_lo
	s_delay_alu instid0(VALU_DEP_1)
	v_cmpx_gt_u32_e64 s13, v5
	s_cbranch_execz .LBB190_6
; %bb.11:                               ;   in Loop: Header=BB190_7 Depth=1
	v_mad_u64_u32 v[6:7], null, v5, s2, 0
	s_delay_alu instid0(VALU_DEP_1) | instskip(NEXT) | instid1(VALU_DEP_1)
	v_mad_u64_u32 v[8:9], null, v5, s3, v[7:8]
	v_mov_b32_e32 v7, v8
	s_delay_alu instid0(VALU_DEP_1) | instskip(NEXT) | instid1(VALU_DEP_1)
	v_lshlrev_b64 v[5:6], 2, v[6:7]
	v_add_co_u32 v5, s0, s5, v5
	s_delay_alu instid0(VALU_DEP_1) | instskip(SKIP_3) | instid1(VALU_DEP_1)
	v_add_co_ci_u32_e64 v6, s0, s10, v6, s0
	global_load_b32 v5, v[5:6], off
	s_waitcnt vmcnt(0)
	v_cmp_lt_i32_e64 s0, -1, v5
	v_cndmask_b32_e64 v6, -1, 0x80000000, s0
	v_cmp_o_f32_e64 s0, v5, v5
	s_delay_alu instid0(VALU_DEP_2) | instskip(NEXT) | instid1(VALU_DEP_1)
	v_xor_b32_e32 v6, v6, v5
	v_cndmask_b32_e64 v5, -1, v6, s0
	s_delay_alu instid0(VALU_DEP_1) | instskip(NEXT) | instid1(VALU_DEP_1)
	v_xor_b32_e32 v6, s1, v5
	v_and_b32_e32 v6, s11, v6
	s_delay_alu instid0(VALU_DEP_1) | instskip(NEXT) | instid1(VALU_DEP_1)
	v_cmp_eq_u32_e64 s0, 0, v6
	s_and_b32 exec_lo, exec_lo, s0
	s_cbranch_execz .LBB190_6
; %bb.12:                               ;   in Loop: Header=BB190_7 Depth=1
	v_bfe_u32 v5, v5, s4, 8
	s_delay_alu instid0(VALU_DEP_1)
	v_lshlrev_b32_e32 v5, 2, v5
	ds_add_u32 v5, v3
	s_branch .LBB190_6
.LBB190_13:
	s_lshl_b32 s15, s8, 8
.LBB190_14:
	s_bitcmp0_b32 s9, 0
	s_cbranch_scc1 .LBB190_19
; %bb.15:
	v_add_nc_u32_e32 v2, s15, v2
	s_mov_b32 s8, exec_lo
	s_delay_alu instid0(VALU_DEP_1)
	v_cmpx_gt_u32_e64 s13, v2
	s_cbranch_execz .LBB190_18
; %bb.16:
	v_mad_u64_u32 v[3:4], null, v2, s2, 0
	s_delay_alu instid0(VALU_DEP_1) | instskip(NEXT) | instid1(VALU_DEP_1)
	v_mad_u64_u32 v[5:6], null, v2, s3, v[4:5]
	v_mov_b32_e32 v4, v5
	s_delay_alu instid0(VALU_DEP_1) | instskip(NEXT) | instid1(VALU_DEP_1)
	v_lshlrev_b64 v[2:3], 2, v[3:4]
	v_add_co_u32 v2, s0, s5, v2
	s_delay_alu instid0(VALU_DEP_1) | instskip(SKIP_3) | instid1(VALU_DEP_1)
	v_add_co_ci_u32_e64 v3, s0, s10, v3, s0
	global_load_b32 v2, v[2:3], off
	s_waitcnt vmcnt(0)
	v_cmp_lt_i32_e64 s0, -1, v2
	v_cndmask_b32_e64 v3, -1, 0x80000000, s0
	v_cmp_o_f32_e64 s0, v2, v2
	s_delay_alu instid0(VALU_DEP_2) | instskip(NEXT) | instid1(VALU_DEP_1)
	v_xor_b32_e32 v3, v3, v2
	v_cndmask_b32_e64 v2, -1, v3, s0
	s_delay_alu instid0(VALU_DEP_1) | instskip(NEXT) | instid1(VALU_DEP_1)
	v_xor_b32_e32 v3, s1, v2
	v_and_b32_e32 v3, s11, v3
	s_delay_alu instid0(VALU_DEP_1) | instskip(NEXT) | instid1(VALU_DEP_1)
	v_cmp_eq_u32_e64 s0, 0, v3
	s_and_b32 exec_lo, exec_lo, s0
	s_cbranch_execz .LBB190_18
; %bb.17:
	v_bfe_u32 v2, v2, s4, 8
	s_delay_alu instid0(VALU_DEP_1)
	v_dual_mov_b32 v3, 1 :: v_dual_lshlrev_b32 v2, 2, v2
	ds_add_u32 v2, v3
.LBB190_18:
	s_or_b32 exec_lo, exec_lo, s8
.LBB190_19:
	v_mov_b32_e32 v2, 0
	s_waitcnt lgkmcnt(0)
	s_barrier
	buffer_gl0_inv
	s_and_saveexec_b32 s0, vcc_lo
	s_cbranch_execz .LBB190_21
; %bb.20:
	ds_load_b32 v2, v1
.LBB190_21:
	s_or_b32 exec_lo, exec_lo, s0
	s_and_saveexec_b32 s0, vcc_lo
	s_cbranch_execz .LBB190_23
; %bb.22:
	v_lshl_or_b32 v0, s14, 8, v0
	v_mov_b32_e32 v1, 0
	s_delay_alu instid0(VALU_DEP_1) | instskip(NEXT) | instid1(VALU_DEP_1)
	v_lshlrev_b64 v[0:1], 1, v[0:1]
	v_add_co_u32 v0, vcc_lo, s6, v0
	s_delay_alu instid0(VALU_DEP_2)
	v_add_co_ci_u32_e32 v1, vcc_lo, s7, v1, vcc_lo
	s_waitcnt lgkmcnt(0)
	global_store_b16 v[0:1], v2, off
.LBB190_23:
	s_nop 0
	s_sendmsg sendmsg(MSG_DEALLOC_VGPRS)
	s_endpgm
	.section	.rodata,"a",@progbits
	.p2align	6, 0x0
	.amdhsa_kernel _ZN2at6native6mbtopk23computeBlockDigitCountsIfmjLi1EEEvNS_4cuda6detail10TensorInfoIKT_T0_EEjPjjS8_iijT1_PSB_Ps
		.amdhsa_group_segment_fixed_size 1024
		.amdhsa_private_segment_fixed_size 0
		.amdhsa_kernarg_size 736
		.amdhsa_user_sgpr_count 13
		.amdhsa_user_sgpr_dispatch_ptr 0
		.amdhsa_user_sgpr_queue_ptr 0
		.amdhsa_user_sgpr_kernarg_segment_ptr 1
		.amdhsa_user_sgpr_dispatch_id 0
		.amdhsa_user_sgpr_private_segment_size 0
		.amdhsa_wavefront_size32 1
		.amdhsa_uses_dynamic_stack 0
		.amdhsa_enable_private_segment 0
		.amdhsa_system_sgpr_workgroup_id_x 1
		.amdhsa_system_sgpr_workgroup_id_y 1
		.amdhsa_system_sgpr_workgroup_id_z 1
		.amdhsa_system_sgpr_workgroup_info 0
		.amdhsa_system_vgpr_workitem_id 0
		.amdhsa_next_free_vgpr 10
		.amdhsa_next_free_sgpr 22
		.amdhsa_reserve_vcc 1
		.amdhsa_float_round_mode_32 0
		.amdhsa_float_round_mode_16_64 0
		.amdhsa_float_denorm_mode_32 3
		.amdhsa_float_denorm_mode_16_64 3
		.amdhsa_dx10_clamp 1
		.amdhsa_ieee_mode 1
		.amdhsa_fp16_overflow 0
		.amdhsa_workgroup_processor_mode 1
		.amdhsa_memory_ordered 1
		.amdhsa_forward_progress 0
		.amdhsa_shared_vgpr_count 0
		.amdhsa_exception_fp_ieee_invalid_op 0
		.amdhsa_exception_fp_denorm_src 0
		.amdhsa_exception_fp_ieee_div_zero 0
		.amdhsa_exception_fp_ieee_overflow 0
		.amdhsa_exception_fp_ieee_underflow 0
		.amdhsa_exception_fp_ieee_inexact 0
		.amdhsa_exception_int_div_zero 0
	.end_amdhsa_kernel
	.section	.text._ZN2at6native6mbtopk23computeBlockDigitCountsIfmjLi1EEEvNS_4cuda6detail10TensorInfoIKT_T0_EEjPjjS8_iijT1_PSB_Ps,"axG",@progbits,_ZN2at6native6mbtopk23computeBlockDigitCountsIfmjLi1EEEvNS_4cuda6detail10TensorInfoIKT_T0_EEjPjjS8_iijT1_PSB_Ps,comdat
.Lfunc_end190:
	.size	_ZN2at6native6mbtopk23computeBlockDigitCountsIfmjLi1EEEvNS_4cuda6detail10TensorInfoIKT_T0_EEjPjjS8_iijT1_PSB_Ps, .Lfunc_end190-_ZN2at6native6mbtopk23computeBlockDigitCountsIfmjLi1EEEvNS_4cuda6detail10TensorInfoIKT_T0_EEjPjjS8_iijT1_PSB_Ps
                                        ; -- End function
	.section	.AMDGPU.csdata,"",@progbits
; Kernel info:
; codeLenInByte = 1192
; NumSgprs: 24
; NumVgprs: 10
; ScratchSize: 0
; MemoryBound: 0
; FloatMode: 240
; IeeeMode: 1
; LDSByteSize: 1024 bytes/workgroup (compile time only)
; SGPRBlocks: 2
; VGPRBlocks: 1
; NumSGPRsForWavesPerEU: 24
; NumVGPRsForWavesPerEU: 10
; Occupancy: 16
; WaveLimiterHint : 1
; COMPUTE_PGM_RSRC2:SCRATCH_EN: 0
; COMPUTE_PGM_RSRC2:USER_SGPR: 13
; COMPUTE_PGM_RSRC2:TRAP_HANDLER: 0
; COMPUTE_PGM_RSRC2:TGID_X_EN: 1
; COMPUTE_PGM_RSRC2:TGID_Y_EN: 1
; COMPUTE_PGM_RSRC2:TGID_Z_EN: 1
; COMPUTE_PGM_RSRC2:TIDIG_COMP_CNT: 0
	.section	.text._ZN2at6native6mbtopk10gatherTopKIfmLi1EEEvNS_4cuda6detail10TensorInfoIKT_T0_EES8_S8_bjS8_NS5_IS6_S8_EES8_NS5_IlS8_EES8_jjPS6_PjSD_j,"axG",@progbits,_ZN2at6native6mbtopk10gatherTopKIfmLi1EEEvNS_4cuda6detail10TensorInfoIKT_T0_EES8_S8_bjS8_NS5_IS6_S8_EES8_NS5_IlS8_EES8_jjPS6_PjSD_j,comdat
	.protected	_ZN2at6native6mbtopk10gatherTopKIfmLi1EEEvNS_4cuda6detail10TensorInfoIKT_T0_EES8_S8_bjS8_NS5_IS6_S8_EES8_NS5_IlS8_EES8_jjPS6_PjSD_j ; -- Begin function _ZN2at6native6mbtopk10gatherTopKIfmLi1EEEvNS_4cuda6detail10TensorInfoIKT_T0_EES8_S8_bjS8_NS5_IS6_S8_EES8_NS5_IlS8_EES8_jjPS6_PjSD_j
	.globl	_ZN2at6native6mbtopk10gatherTopKIfmLi1EEEvNS_4cuda6detail10TensorInfoIKT_T0_EES8_S8_bjS8_NS5_IS6_S8_EES8_NS5_IlS8_EES8_jjPS6_PjSD_j
	.p2align	8
	.type	_ZN2at6native6mbtopk10gatherTopKIfmLi1EEEvNS_4cuda6detail10TensorInfoIKT_T0_EES8_S8_bjS8_NS5_IS6_S8_EES8_NS5_IlS8_EES8_jjPS6_PjSD_j,@function
_ZN2at6native6mbtopk10gatherTopKIfmLi1EEEvNS_4cuda6detail10TensorInfoIKT_T0_EES8_S8_bjS8_NS5_IS6_S8_EES8_NS5_IlS8_EES8_jjPS6_PjSD_j: ; @_ZN2at6native6mbtopk10gatherTopKIfmLi1EEEvNS_4cuda6detail10TensorInfoIKT_T0_EES8_S8_bjS8_NS5_IS6_S8_EES8_NS5_IlS8_EES8_jjPS6_PjSD_j
; %bb.0:
	s_clause 0x1
	s_load_b64 s[2:3], s[0:1], 0x538
	s_load_b32 s4, s[0:1], 0x530
	s_waitcnt lgkmcnt(0)
	s_mul_i32 s3, s3, s15
	s_delay_alu instid0(SALU_CYCLE_1) | instskip(NEXT) | instid1(SALU_CYCLE_1)
	s_add_i32 s3, s3, s14
	s_mul_i32 s2, s3, s2
	s_delay_alu instid0(SALU_CYCLE_1) | instskip(NEXT) | instid1(SALU_CYCLE_1)
	s_add_i32 s2, s2, s13
	s_cmp_ge_u32 s2, s4
	s_cbranch_scc1 .LBB191_42
; %bb.1:
	s_load_b64 s[16:17], s[0:1], 0x510
	s_mov_b32 s19, 0
	s_waitcnt lgkmcnt(0)
	v_cvt_f32_u32_e32 v1, s17
	s_sub_i32 s4, 0, s17
	s_lshl_b32 s33, s16, 8
	s_delay_alu instid0(VALU_DEP_1) | instskip(SKIP_2) | instid1(VALU_DEP_1)
	v_rcp_iflag_f32_e32 v1, v1
	s_waitcnt_depctr 0xfff
	v_mul_f32_e32 v1, 0x4f7ffffe, v1
	v_cvt_u32_f32_e32 v1, v1
	s_delay_alu instid0(VALU_DEP_1) | instskip(NEXT) | instid1(VALU_DEP_1)
	v_readfirstlane_b32 s3, v1
	s_mul_i32 s4, s4, s3
	s_delay_alu instid0(SALU_CYCLE_1) | instskip(NEXT) | instid1(SALU_CYCLE_1)
	s_mul_hi_u32 s4, s3, s4
	s_add_i32 s3, s3, s4
	s_load_b128 s[4:7], s[0:1], 0x1a0
	s_mul_hi_u32 s3, s2, s3
	s_delay_alu instid0(SALU_CYCLE_1) | instskip(SKIP_2) | instid1(SALU_CYCLE_1)
	s_mul_i32 s8, s3, s17
	s_add_i32 s9, s3, 1
	s_sub_i32 s8, s2, s8
	s_sub_i32 s10, s8, s17
	s_cmp_ge_u32 s8, s17
	s_cselect_b32 s3, s9, s3
	s_cselect_b32 s8, s10, s8
	s_add_i32 s9, s3, 1
	s_cmp_ge_u32 s8, s17
	s_cselect_b32 s18, s9, s3
	s_delay_alu instid0(SALU_CYCLE_1) | instskip(NEXT) | instid1(SALU_CYCLE_1)
	s_mul_i32 s24, s18, s17
	s_sub_i32 s36, s2, s24
	s_delay_alu instid0(SALU_CYCLE_1) | instskip(NEXT) | instid1(SALU_CYCLE_1)
	s_add_i32 s2, s36, 1
	s_cmp_lt_u32 s2, s17
	s_cbranch_scc1 .LBB191_3
; %bb.2:
	s_mul_i32 s2, s36, s33
	s_waitcnt lgkmcnt(0)
	s_sub_u32 s2, s4, s2
	s_subb_u32 s3, s5, 0
	s_add_u32 s2, s2, 0xff
	s_addc_u32 s3, s3, 0
	s_delay_alu instid0(SALU_CYCLE_1) | instskip(NEXT) | instid1(SALU_CYCLE_1)
	s_ashr_i32 s8, s3, 31
	s_lshr_b32 s8, s8, 24
	s_delay_alu instid0(SALU_CYCLE_1) | instskip(SKIP_1) | instid1(SALU_CYCLE_1)
	s_add_u32 s2, s2, s8
	s_addc_u32 s3, s3, 0
	v_alignbit_b32 v1, s3, s2, 8
	s_delay_alu instid0(VALU_DEP_1)
	v_readfirstlane_b32 s16, v1
.LBB191_3:
	s_load_b128 s[8:11], s[0:1], 0x518
	s_lshl_b64 s[2:3], s[18:19], 2
	s_waitcnt lgkmcnt(0)
	s_add_u32 s2, s8, s2
	s_addc_u32 s3, s9, s3
	s_clause 0x3
	s_load_b64 s[20:21], s[0:1], 0x0
	s_load_b64 s[28:29], s[0:1], 0xd0
	;; [unrolled: 1-line block ×4, first 2 shown]
	s_load_b32 s37, s[2:3], 0x0
	v_cmp_ne_u32_e64 s2, 0, v0
	v_cmp_eq_u32_e64 s3, 0, v0
	s_delay_alu instid0(VALU_DEP_1)
	s_and_saveexec_b32 s19, s3
	s_cbranch_execz .LBB191_19
; %bb.4:
	s_load_b64 s[8:9], s[0:1], 0x528
	s_mov_b32 s25, 0
	s_mov_b32 s38, 0
	s_lshl_b64 s[30:31], s[24:25], 2
	s_mov_b32 s24, 0
	s_add_u32 s12, s10, s30
	s_addc_u32 s13, s11, s31
	s_waitcnt lgkmcnt(0)
	s_add_u32 s14, s8, s30
	s_addc_u32 s15, s9, s31
	s_cmp_lt_u32 s17, 4
	s_cbranch_scc1 .LBB191_16
; %bb.5:
	s_mov_b32 s39, 0
.LBB191_6:                              ; =>This Inner Loop Header: Depth=1
	s_add_u32 s12, s10, s30
	s_addc_u32 s13, s11, s31
	s_add_u32 s34, s8, s30
	s_load_b128 s[12:15], s[12:13], 0x0
	s_addc_u32 s35, s9, s31
	s_cmp_ge_u32 s39, s36
	s_cbranch_scc0 .LBB191_13
; %bb.7:                                ;   in Loop: Header=BB191_6 Depth=1
	s_add_i32 s40, s39, 1
	s_delay_alu instid0(SALU_CYCLE_1)
	s_cmp_ge_u32 s40, s36
	s_cbranch_scc0 .LBB191_14
.LBB191_8:                              ;   in Loop: Header=BB191_6 Depth=1
	s_add_i32 s40, s40, 1
	s_delay_alu instid0(SALU_CYCLE_1)
	s_cmp_ge_u32 s40, s36
	s_cbranch_scc0 .LBB191_15
.LBB191_9:                              ;   in Loop: Header=BB191_6 Depth=1
	s_add_i32 s40, s40, 1
	s_delay_alu instid0(SALU_CYCLE_1)
	s_cmp_ge_u32 s40, s36
	s_cbranch_scc1 .LBB191_11
.LBB191_10:                             ;   in Loop: Header=BB191_6 Depth=1
	s_load_b32 s34, s[34:35], 0xc
	s_waitcnt lgkmcnt(0)
	s_add_i32 s25, s25, s15
	s_add_i32 s24, s34, s24
.LBB191_11:                             ;   in Loop: Header=BB191_6 Depth=1
	s_waitcnt lgkmcnt(0)
	s_add_i32 s12, s12, s38
	s_delay_alu instid0(SALU_CYCLE_1) | instskip(NEXT) | instid1(SALU_CYCLE_1)
	s_add_i32 s12, s12, s13
	s_add_i32 s12, s12, s14
	s_delay_alu instid0(SALU_CYCLE_1)
	s_add_i32 s38, s12, s15
	s_add_u32 s10, s10, 16
	s_addc_u32 s11, s11, 0
	s_add_u32 s8, s8, 16
	s_addc_u32 s9, s9, 0
	s_add_i32 s35, s40, 4
	s_add_u32 s14, s8, s30
	s_addc_u32 s15, s9, s31
	s_add_u32 s12, s10, s30
	s_addc_u32 s13, s11, s31
	s_add_i32 s34, s40, 1
	s_cmp_ge_u32 s35, s17
	s_cbranch_scc1 .LBB191_17
; %bb.12:                               ;   in Loop: Header=BB191_6 Depth=1
	s_mov_b32 s39, s34
	s_branch .LBB191_6
.LBB191_13:                             ;   in Loop: Header=BB191_6 Depth=1
	s_load_b32 s40, s[34:35], 0x0
	s_waitcnt lgkmcnt(0)
	s_add_i32 s25, s12, s25
	s_add_i32 s24, s40, s24
	;; [unrolled: 1-line block ×3, first 2 shown]
	s_delay_alu instid0(SALU_CYCLE_1)
	s_cmp_ge_u32 s40, s36
	s_cbranch_scc1 .LBB191_8
.LBB191_14:                             ;   in Loop: Header=BB191_6 Depth=1
	s_load_b32 s41, s[34:35], 0x4
	s_waitcnt lgkmcnt(0)
	s_add_i32 s25, s25, s13
	s_add_i32 s24, s41, s24
	s_add_i32 s40, s40, 1
	s_delay_alu instid0(SALU_CYCLE_1)
	s_cmp_ge_u32 s40, s36
	s_cbranch_scc1 .LBB191_9
.LBB191_15:                             ;   in Loop: Header=BB191_6 Depth=1
	s_load_b32 s41, s[34:35], 0x8
	s_waitcnt lgkmcnt(0)
	s_add_i32 s25, s25, s14
	s_add_i32 s24, s41, s24
	;; [unrolled: 1-line block ×3, first 2 shown]
	s_delay_alu instid0(SALU_CYCLE_1)
	s_cmp_ge_u32 s40, s36
	s_cbranch_scc0 .LBB191_10
	s_branch .LBB191_11
.LBB191_16:
	s_mov_b32 s8, 0
	s_delay_alu instid0(SALU_CYCLE_1)
	s_cmp_ge_u32 s8, s17
	s_cbranch_scc0 .LBB191_40
	s_branch .LBB191_18
.LBB191_17:
	s_add_i32 s8, s39, 4
	s_delay_alu instid0(SALU_CYCLE_1)
	s_cmp_ge_u32 s8, s17
	s_cbranch_scc0 .LBB191_40
.LBB191_18:
	v_dual_mov_b32 v1, s24 :: v_dual_mov_b32 v2, s38
	v_dual_mov_b32 v3, s25 :: v_dual_mov_b32 v4, 0
	ds_store_b96 v4, v[1:3] offset:1056
.LBB191_19:
	s_or_b32 exec_lo, exec_lo, s19
	s_clause 0x1
	s_load_b128 s[8:11], s[0:1], 0x1b8
	s_load_b128 s[12:15], s[0:1], 0x360
	s_cmp_eq_u32 s16, 0
	s_waitcnt lgkmcnt(0)
	s_barrier
	buffer_gl0_inv
	s_cbranch_scc1 .LBB191_42
; %bb.20:
	v_dual_mov_b32 v5, 0 :: v_dual_add_nc_u32 v4, -1, v0
	s_mul_i32 s17, s29, s18
	s_mul_hi_u32 s19, s28, s18
	s_mul_i32 s24, s28, s18
	s_add_i32 s25, s19, s17
	s_mul_i32 s17, s27, s18
	s_mul_hi_u32 s19, s26, s18
	ds_load_b96 v[1:3], v5 offset:1056
	s_add_i32 s27, s19, s17
	s_mul_i32 s17, s23, s18
	s_mul_hi_u32 s19, s22, s18
	s_lshl_b64 s[24:25], s[24:25], 2
	s_mul_i32 s26, s26, s18
	s_add_i32 s23, s19, s17
	s_add_u32 s17, s20, s24
	s_addc_u32 s19, s21, s25
	s_lshl_b64 s[20:21], s[26:27], 2
	s_mul_i32 s22, s22, s18
	s_add_u32 s18, s10, s20
	s_addc_u32 s20, s11, s21
	s_lshl_b64 s[10:11], s[22:23], 3
	s_load_b32 s22, s[0:1], 0x1b0
	s_add_u32 s14, s14, s10
	s_addc_u32 s15, s15, s11
	s_cmp_gt_i32 s37, -1
	v_cmp_o_f32_e64 s10, s37, s37
	s_cselect_b32 s11, 0x80000000, -1
	s_waitcnt lgkmcnt(0)
	v_add_nc_u32_e32 v1, v1, v2
	s_xor_b32 s11, s11, s37
	v_lshrrev_b32_e32 v2, 5, v0
	s_and_b32 s10, s10, exec_lo
	s_cselect_b32 s21, s11, -1
	s_load_b64 s[10:11], s[0:1], 0x508
	v_mad_u64_u32 v[6:7], null, s36, s33, v[0:1]
	v_lshlrev_b32_e32 v10, 3, v0
	v_lshrrev_b32_e32 v11, 2, v0
	v_lshrrev_b32_e32 v12, 5, v4
	v_mbcnt_lo_u32_b32 v8, -1, 0
	v_add_lshl_u32 v9, v2, v0, 2
	v_cmp_gt_u32_e64 s0, 32, v0
	v_add_lshl_u32 v0, v11, v10, 2
	v_add_lshl_u32 v10, v12, v4, 2
	v_dual_mov_b32 v4, v6 :: v_dual_and_b32 v11, 15, v8
	v_bfe_i32 v12, v8, 4, 1
	v_add_nc_u32_e32 v13, -1, v8
	s_bitcmp1_b32 s22, 0
                                        ; implicit-def: $vgpr14
	s_cselect_b32 s1, -1, 0
	s_branch .LBB191_23
.LBB191_21:                             ;   in Loop: Header=BB191_23 Depth=1
	s_or_b32 exec_lo, exec_lo, s22
	v_add_nc_u32_e32 v1, v2, v1
.LBB191_22:                             ;   in Loop: Header=BB191_23 Depth=1
	v_add_nc_u32_e32 v3, v15, v3
	v_add_nc_u32_e32 v4, 0x100, v4
	s_add_i32 s16, s16, -1
	s_delay_alu instid0(SALU_CYCLE_1)
	s_cmp_lg_u32 s16, 0
	s_cbranch_scc0 .LBB191_42
.LBB191_23:                             ; =>This Inner Loop Header: Depth=1
	v_mov_b32_e32 v2, v5
	v_mov_b32_e32 v6, v5
	s_mov_b32 s22, exec_lo
	v_cmpx_gt_u64_e64 s[4:5], v[4:5]
	s_cbranch_execz .LBB191_25
; %bb.24:                               ;   in Loop: Header=BB191_23 Depth=1
	v_mad_u64_u32 v[6:7], null, v4, s8, 0
	s_delay_alu instid0(VALU_DEP_1) | instskip(NEXT) | instid1(VALU_DEP_1)
	v_mov_b32_e32 v2, v7
	v_mad_u64_u32 v[14:15], null, v4, s9, v[2:3]
	s_delay_alu instid0(VALU_DEP_1) | instskip(NEXT) | instid1(VALU_DEP_1)
	v_mov_b32_e32 v7, v14
	v_lshlrev_b64 v[6:7], 2, v[6:7]
	s_delay_alu instid0(VALU_DEP_1) | instskip(NEXT) | instid1(VALU_DEP_2)
	v_add_co_u32 v6, vcc_lo, s17, v6
	v_add_co_ci_u32_e32 v7, vcc_lo, s19, v7, vcc_lo
	global_load_b32 v14, v[6:7], off
	s_waitcnt vmcnt(0)
	v_cmp_lt_i32_e32 vcc_lo, -1, v14
	v_cndmask_b32_e64 v2, -1, 0x80000000, vcc_lo
	v_cmp_o_f32_e32 vcc_lo, v14, v14
	s_delay_alu instid0(VALU_DEP_2) | instskip(NEXT) | instid1(VALU_DEP_1)
	v_xor_b32_e32 v2, v2, v14
	v_cndmask_b32_e32 v6, -1, v2, vcc_lo
	s_delay_alu instid0(VALU_DEP_1) | instskip(SKIP_4) | instid1(VALU_DEP_2)
	v_cmp_lt_u32_e32 vcc_lo, s21, v6
	v_cndmask_b32_e64 v2, 0, 1, vcc_lo
	v_cmp_gt_u32_e32 vcc_lo, s21, v6
	v_cndmask_b32_e64 v7, 0, 1, vcc_lo
	v_cmp_eq_u32_e32 vcc_lo, s21, v6
	v_cndmask_b32_e64 v2, v7, v2, s1
	v_cndmask_b32_e64 v6, 0, 1, vcc_lo
	s_delay_alu instid0(VALU_DEP_2)
	v_and_b32_e32 v2, 1, v2
.LBB191_25:                             ;   in Loop: Header=BB191_23 Depth=1
	s_or_b32 exec_lo, exec_lo, s22
	ds_store_b32 v9, v2
	s_waitcnt lgkmcnt(0)
	s_waitcnt_vscnt null, 0x0
	s_barrier
	buffer_gl0_inv
	s_and_saveexec_b32 s22, s0
	s_cbranch_execz .LBB191_27
; %bb.26:                               ;   in Loop: Header=BB191_23 Depth=1
	ds_load_2addr_b32 v[15:16], v0 offset1:1
	ds_load_2addr_b32 v[17:18], v0 offset0:2 offset1:3
	ds_load_2addr_b32 v[19:20], v0 offset0:4 offset1:5
	;; [unrolled: 1-line block ×3, first 2 shown]
	v_cmp_ne_u32_e32 vcc_lo, 0, v11
	; wave barrier
	s_waitcnt lgkmcnt(3)
	v_add_nc_u32_e32 v7, v16, v15
	s_waitcnt lgkmcnt(2)
	s_delay_alu instid0(VALU_DEP_1) | instskip(SKIP_1) | instid1(VALU_DEP_1)
	v_add3_u32 v7, v7, v17, v18
	s_waitcnt lgkmcnt(1)
	v_add3_u32 v7, v7, v19, v20
	s_waitcnt lgkmcnt(0)
	s_delay_alu instid0(VALU_DEP_1) | instskip(NEXT) | instid1(VALU_DEP_1)
	v_add3_u32 v7, v7, v21, v22
	v_mov_b32_dpp v16, v7 row_shr:1 row_mask:0xf bank_mask:0xf
	s_delay_alu instid0(VALU_DEP_1) | instskip(SKIP_1) | instid1(VALU_DEP_2)
	v_cndmask_b32_e32 v16, 0, v16, vcc_lo
	v_cmp_lt_u32_e32 vcc_lo, 1, v11
	v_add_nc_u32_e32 v7, v16, v7
	s_delay_alu instid0(VALU_DEP_1) | instskip(NEXT) | instid1(VALU_DEP_1)
	v_mov_b32_dpp v16, v7 row_shr:2 row_mask:0xf bank_mask:0xf
	v_cndmask_b32_e32 v16, 0, v16, vcc_lo
	v_cmp_lt_u32_e32 vcc_lo, 3, v11
	s_delay_alu instid0(VALU_DEP_2) | instskip(NEXT) | instid1(VALU_DEP_1)
	v_add_nc_u32_e32 v7, v7, v16
	v_mov_b32_dpp v16, v7 row_shr:4 row_mask:0xf bank_mask:0xf
	s_delay_alu instid0(VALU_DEP_1) | instskip(SKIP_1) | instid1(VALU_DEP_2)
	v_cndmask_b32_e32 v16, 0, v16, vcc_lo
	v_cmp_lt_u32_e32 vcc_lo, 7, v11
	v_add_nc_u32_e32 v7, v7, v16
	s_delay_alu instid0(VALU_DEP_1) | instskip(NEXT) | instid1(VALU_DEP_1)
	v_mov_b32_dpp v16, v7 row_shr:8 row_mask:0xf bank_mask:0xf
	v_cndmask_b32_e32 v16, 0, v16, vcc_lo
	v_cmp_gt_i32_e32 vcc_lo, 0, v13
	s_delay_alu instid0(VALU_DEP_2)
	v_add_nc_u32_e32 v7, v7, v16
	v_cndmask_b32_e32 v17, v13, v8, vcc_lo
	ds_swizzle_b32 v16, v7 offset:swizzle(BROADCAST,32,15)
	v_lshlrev_b32_e32 v17, 2, v17
	s_waitcnt lgkmcnt(0)
	v_and_b32_e32 v16, v12, v16
	s_delay_alu instid0(VALU_DEP_1) | instskip(SKIP_3) | instid1(VALU_DEP_1)
	v_add_nc_u32_e32 v7, v7, v16
	ds_bpermute_b32 v7, v17, v7
	s_waitcnt lgkmcnt(0)
	v_add_nc_u32_e32 v7, v7, v15
	v_cndmask_b32_e64 v7, v7, v2, s3
	ds_store_b32 v0, v7
	; wave barrier
	ds_load_2addr_b32 v[15:16], v0 offset0:1 offset1:2
	ds_load_2addr_b32 v[17:18], v0 offset0:3 offset1:4
	;; [unrolled: 1-line block ×3, first 2 shown]
	ds_load_b32 v21, v0 offset:28
	s_waitcnt lgkmcnt(3)
	v_add_nc_u32_e32 v7, v15, v7
	s_delay_alu instid0(VALU_DEP_1) | instskip(SKIP_1) | instid1(VALU_DEP_1)
	v_add_nc_u32_e32 v15, v16, v7
	s_waitcnt lgkmcnt(2)
	v_add_nc_u32_e32 v16, v17, v15
	s_delay_alu instid0(VALU_DEP_1) | instskip(SKIP_1) | instid1(VALU_DEP_1)
	v_add_nc_u32_e32 v17, v18, v16
	;; [unrolled: 4-line block ×3, first 2 shown]
	s_waitcnt lgkmcnt(0)
	v_add_nc_u32_e32 v20, v21, v19
	ds_store_2addr_b32 v0, v7, v15 offset0:1 offset1:2
	ds_store_2addr_b32 v0, v16, v17 offset0:3 offset1:4
	;; [unrolled: 1-line block ×3, first 2 shown]
	ds_store_b32 v0, v20 offset:28
.LBB191_27:                             ;   in Loop: Header=BB191_23 Depth=1
	s_or_b32 exec_lo, exec_lo, s22
	v_mov_b32_e32 v7, 0
	s_waitcnt lgkmcnt(0)
	s_barrier
	buffer_gl0_inv
	s_and_saveexec_b32 s22, s2
	s_cbranch_execz .LBB191_29
; %bb.28:                               ;   in Loop: Header=BB191_23 Depth=1
	ds_load_b32 v7, v10
.LBB191_29:                             ;   in Loop: Header=BB191_23 Depth=1
	s_or_b32 exec_lo, exec_lo, s22
	ds_load_b32 v15, v5 offset:1048
	s_mov_b32 s22, exec_lo
	s_waitcnt lgkmcnt(0)
	s_barrier
	buffer_gl0_inv
	v_cmpx_ne_u32_e32 0, v2
	s_cbranch_execz .LBB191_31
; %bb.30:                               ;   in Loop: Header=BB191_23 Depth=1
	v_add_nc_u32_e32 v22, v7, v3
	s_delay_alu instid0(VALU_DEP_1) | instskip(SKIP_1) | instid1(VALU_DEP_1)
	v_mad_u64_u32 v[16:17], null, v22, s12, 0
	v_mad_u64_u32 v[18:19], null, v22, s10, 0
	v_dual_mov_b32 v2, v17 :: v_dual_mov_b32 v7, v19
	s_delay_alu instid0(VALU_DEP_1) | instskip(NEXT) | instid1(VALU_DEP_2)
	v_mad_u64_u32 v[19:20], null, v22, s13, v[2:3]
	v_mad_u64_u32 v[20:21], null, v22, s11, v[7:8]
	s_delay_alu instid0(VALU_DEP_2) | instskip(NEXT) | instid1(VALU_DEP_2)
	v_mov_b32_e32 v17, v19
	v_mov_b32_e32 v19, v20
	s_delay_alu instid0(VALU_DEP_2) | instskip(NEXT) | instid1(VALU_DEP_2)
	v_lshlrev_b64 v[16:17], 2, v[16:17]
	v_lshlrev_b64 v[18:19], 3, v[18:19]
	s_delay_alu instid0(VALU_DEP_2) | instskip(NEXT) | instid1(VALU_DEP_3)
	v_add_co_u32 v16, vcc_lo, s18, v16
	v_add_co_ci_u32_e32 v17, vcc_lo, s20, v17, vcc_lo
	s_delay_alu instid0(VALU_DEP_3) | instskip(NEXT) | instid1(VALU_DEP_4)
	v_add_co_u32 v18, vcc_lo, s14, v18
	v_add_co_ci_u32_e32 v19, vcc_lo, s15, v19, vcc_lo
	global_store_b32 v[16:17], v14, off
	global_store_b64 v[18:19], v[4:5], off
.LBB191_31:                             ;   in Loop: Header=BB191_23 Depth=1
	s_or_b32 exec_lo, exec_lo, s22
	v_mov_b32_e32 v2, v5
	s_delay_alu instid0(VALU_DEP_1)
	v_cmp_le_u64_e32 vcc_lo, s[6:7], v[1:2]
	s_cbranch_vccnz .LBB191_22
; %bb.32:                               ;   in Loop: Header=BB191_23 Depth=1
	ds_store_b32 v9, v6
	s_waitcnt lgkmcnt(0)
	s_waitcnt_vscnt null, 0x0
	s_barrier
	buffer_gl0_inv
	s_and_saveexec_b32 s22, s0
	s_cbranch_execz .LBB191_34
; %bb.33:                               ;   in Loop: Header=BB191_23 Depth=1
	ds_load_2addr_b32 v[16:17], v0 offset1:1
	ds_load_2addr_b32 v[18:19], v0 offset0:2 offset1:3
	ds_load_2addr_b32 v[20:21], v0 offset0:4 offset1:5
	;; [unrolled: 1-line block ×3, first 2 shown]
	v_cmp_ne_u32_e32 vcc_lo, 0, v11
	; wave barrier
	s_waitcnt lgkmcnt(3)
	v_add_nc_u32_e32 v2, v17, v16
	s_waitcnt lgkmcnt(2)
	s_delay_alu instid0(VALU_DEP_1) | instskip(SKIP_1) | instid1(VALU_DEP_1)
	v_add3_u32 v2, v2, v18, v19
	s_waitcnt lgkmcnt(1)
	v_add3_u32 v2, v2, v20, v21
	s_waitcnt lgkmcnt(0)
	s_delay_alu instid0(VALU_DEP_1) | instskip(NEXT) | instid1(VALU_DEP_1)
	v_add3_u32 v2, v2, v22, v23
	v_mov_b32_dpp v7, v2 row_shr:1 row_mask:0xf bank_mask:0xf
	s_delay_alu instid0(VALU_DEP_1) | instskip(SKIP_1) | instid1(VALU_DEP_2)
	v_cndmask_b32_e32 v7, 0, v7, vcc_lo
	v_cmp_lt_u32_e32 vcc_lo, 1, v11
	v_add_nc_u32_e32 v2, v7, v2
	s_delay_alu instid0(VALU_DEP_1) | instskip(NEXT) | instid1(VALU_DEP_1)
	v_mov_b32_dpp v7, v2 row_shr:2 row_mask:0xf bank_mask:0xf
	v_cndmask_b32_e32 v7, 0, v7, vcc_lo
	v_cmp_lt_u32_e32 vcc_lo, 3, v11
	s_delay_alu instid0(VALU_DEP_2) | instskip(NEXT) | instid1(VALU_DEP_1)
	v_add_nc_u32_e32 v2, v2, v7
	v_mov_b32_dpp v7, v2 row_shr:4 row_mask:0xf bank_mask:0xf
	s_delay_alu instid0(VALU_DEP_1) | instskip(SKIP_1) | instid1(VALU_DEP_2)
	v_cndmask_b32_e32 v7, 0, v7, vcc_lo
	v_cmp_lt_u32_e32 vcc_lo, 7, v11
	v_add_nc_u32_e32 v2, v2, v7
	s_delay_alu instid0(VALU_DEP_1) | instskip(NEXT) | instid1(VALU_DEP_1)
	v_mov_b32_dpp v7, v2 row_shr:8 row_mask:0xf bank_mask:0xf
	v_cndmask_b32_e32 v7, 0, v7, vcc_lo
	v_cmp_gt_i32_e32 vcc_lo, 0, v13
	s_delay_alu instid0(VALU_DEP_2) | instskip(SKIP_4) | instid1(VALU_DEP_1)
	v_dual_cndmask_b32 v17, v13, v8 :: v_dual_add_nc_u32 v2, v2, v7
	ds_swizzle_b32 v7, v2 offset:swizzle(BROADCAST,32,15)
	v_lshlrev_b32_e32 v17, 2, v17
	s_waitcnt lgkmcnt(0)
	v_and_b32_e32 v7, v12, v7
	v_add_nc_u32_e32 v2, v2, v7
	ds_bpermute_b32 v2, v17, v2
	s_waitcnt lgkmcnt(0)
	v_add_nc_u32_e32 v2, v2, v16
	s_delay_alu instid0(VALU_DEP_1)
	v_cndmask_b32_e64 v2, v2, v6, s3
	ds_store_b32 v0, v2
	; wave barrier
	ds_load_2addr_b32 v[16:17], v0 offset0:1 offset1:2
	ds_load_2addr_b32 v[18:19], v0 offset0:3 offset1:4
	ds_load_2addr_b32 v[20:21], v0 offset0:5 offset1:6
	ds_load_b32 v7, v0 offset:28
	s_waitcnt lgkmcnt(3)
	v_add_nc_u32_e32 v2, v16, v2
	s_delay_alu instid0(VALU_DEP_1) | instskip(SKIP_1) | instid1(VALU_DEP_1)
	v_add_nc_u32_e32 v16, v17, v2
	s_waitcnt lgkmcnt(2)
	v_add_nc_u32_e32 v17, v18, v16
	s_delay_alu instid0(VALU_DEP_1) | instskip(SKIP_1) | instid1(VALU_DEP_1)
	v_add_nc_u32_e32 v18, v19, v17
	;; [unrolled: 4-line block ×3, first 2 shown]
	s_waitcnt lgkmcnt(0)
	v_add_nc_u32_e32 v7, v7, v20
	ds_store_2addr_b32 v0, v2, v16 offset0:1 offset1:2
	ds_store_2addr_b32 v0, v17, v18 offset0:3 offset1:4
	;; [unrolled: 1-line block ×3, first 2 shown]
	ds_store_b32 v0, v7 offset:28
.LBB191_34:                             ;   in Loop: Header=BB191_23 Depth=1
	s_or_b32 exec_lo, exec_lo, s22
	v_mov_b32_e32 v7, 0
	s_waitcnt lgkmcnt(0)
	s_barrier
	buffer_gl0_inv
	s_and_saveexec_b32 s22, s2
	s_cbranch_execz .LBB191_36
; %bb.35:                               ;   in Loop: Header=BB191_23 Depth=1
	ds_load_b32 v7, v10
.LBB191_36:                             ;   in Loop: Header=BB191_23 Depth=1
	s_or_b32 exec_lo, exec_lo, s22
	ds_load_b32 v2, v5 offset:1048
	s_mov_b32 s22, exec_lo
	s_waitcnt lgkmcnt(0)
	s_barrier
	buffer_gl0_inv
	v_cmpx_ne_u32_e32 0, v6
	s_cbranch_execz .LBB191_21
; %bb.37:                               ;   in Loop: Header=BB191_23 Depth=1
	v_dual_mov_b32 v7, v5 :: v_dual_add_nc_u32 v6, v7, v1
	s_delay_alu instid0(VALU_DEP_1)
	v_cmp_gt_u64_e32 vcc_lo, s[6:7], v[6:7]
	s_and_b32 exec_lo, exec_lo, vcc_lo
	s_cbranch_execz .LBB191_21
; %bb.38:                               ;   in Loop: Header=BB191_23 Depth=1
	v_mad_u64_u32 v[16:17], null, v6, s12, 0
	v_mad_u64_u32 v[18:19], null, v6, s10, 0
	s_delay_alu instid0(VALU_DEP_2) | instskip(NEXT) | instid1(VALU_DEP_2)
	v_mov_b32_e32 v7, v17
	v_mov_b32_e32 v17, v19
	s_delay_alu instid0(VALU_DEP_2) | instskip(NEXT) | instid1(VALU_DEP_2)
	v_mad_u64_u32 v[19:20], null, v6, s13, v[7:8]
	v_mad_u64_u32 v[20:21], null, v6, s11, v[17:18]
	s_delay_alu instid0(VALU_DEP_2) | instskip(NEXT) | instid1(VALU_DEP_2)
	v_mov_b32_e32 v17, v19
	v_mov_b32_e32 v19, v20
	s_delay_alu instid0(VALU_DEP_2) | instskip(NEXT) | instid1(VALU_DEP_2)
	v_lshlrev_b64 v[6:7], 2, v[16:17]
	v_lshlrev_b64 v[16:17], 3, v[18:19]
	s_delay_alu instid0(VALU_DEP_2) | instskip(NEXT) | instid1(VALU_DEP_3)
	v_add_co_u32 v6, vcc_lo, s18, v6
	v_add_co_ci_u32_e32 v7, vcc_lo, s20, v7, vcc_lo
	s_delay_alu instid0(VALU_DEP_3) | instskip(NEXT) | instid1(VALU_DEP_4)
	v_add_co_u32 v16, vcc_lo, s14, v16
	v_add_co_ci_u32_e32 v17, vcc_lo, s15, v17, vcc_lo
	global_store_b32 v[6:7], v14, off
	global_store_b64 v[16:17], v[4:5], off
	s_branch .LBB191_21
	.p2align	6
.LBB191_39:                             ;   in Loop: Header=BB191_40 Depth=1
	s_add_u32 s12, s12, 4
	s_addc_u32 s13, s13, 0
	s_waitcnt lgkmcnt(0)
	s_add_i32 s38, s9, s38
	s_add_u32 s14, s14, 4
	s_addc_u32 s15, s15, 0
	s_add_i32 s8, s8, 1
	s_delay_alu instid0(SALU_CYCLE_1)
	s_cmp_lt_u32 s8, s17
	s_cbranch_scc0 .LBB191_18
.LBB191_40:                             ; =>This Inner Loop Header: Depth=1
	s_load_b32 s9, s[12:13], 0x0
	s_cmp_ge_u32 s8, s36
	s_cbranch_scc1 .LBB191_39
; %bb.41:                               ;   in Loop: Header=BB191_40 Depth=1
	s_load_b32 s10, s[14:15], 0x0
	s_waitcnt lgkmcnt(0)
	s_add_i32 s25, s9, s25
	s_add_i32 s24, s10, s24
	s_branch .LBB191_39
.LBB191_42:
	s_nop 0
	s_sendmsg sendmsg(MSG_DEALLOC_VGPRS)
	s_endpgm
	.section	.rodata,"a",@progbits
	.p2align	6, 0x0
	.amdhsa_kernel _ZN2at6native6mbtopk10gatherTopKIfmLi1EEEvNS_4cuda6detail10TensorInfoIKT_T0_EES8_S8_bjS8_NS5_IS6_S8_EES8_NS5_IlS8_EES8_jjPS6_PjSD_j
		.amdhsa_group_segment_fixed_size 1068
		.amdhsa_private_segment_fixed_size 0
		.amdhsa_kernarg_size 1592
		.amdhsa_user_sgpr_count 13
		.amdhsa_user_sgpr_dispatch_ptr 0
		.amdhsa_user_sgpr_queue_ptr 0
		.amdhsa_user_sgpr_kernarg_segment_ptr 1
		.amdhsa_user_sgpr_dispatch_id 0
		.amdhsa_user_sgpr_private_segment_size 0
		.amdhsa_wavefront_size32 1
		.amdhsa_uses_dynamic_stack 0
		.amdhsa_enable_private_segment 0
		.amdhsa_system_sgpr_workgroup_id_x 1
		.amdhsa_system_sgpr_workgroup_id_y 1
		.amdhsa_system_sgpr_workgroup_id_z 1
		.amdhsa_system_sgpr_workgroup_info 0
		.amdhsa_system_vgpr_workitem_id 0
		.amdhsa_next_free_vgpr 24
		.amdhsa_next_free_sgpr 42
		.amdhsa_reserve_vcc 1
		.amdhsa_float_round_mode_32 0
		.amdhsa_float_round_mode_16_64 0
		.amdhsa_float_denorm_mode_32 3
		.amdhsa_float_denorm_mode_16_64 3
		.amdhsa_dx10_clamp 1
		.amdhsa_ieee_mode 1
		.amdhsa_fp16_overflow 0
		.amdhsa_workgroup_processor_mode 1
		.amdhsa_memory_ordered 1
		.amdhsa_forward_progress 0
		.amdhsa_shared_vgpr_count 0
		.amdhsa_exception_fp_ieee_invalid_op 0
		.amdhsa_exception_fp_denorm_src 0
		.amdhsa_exception_fp_ieee_div_zero 0
		.amdhsa_exception_fp_ieee_overflow 0
		.amdhsa_exception_fp_ieee_underflow 0
		.amdhsa_exception_fp_ieee_inexact 0
		.amdhsa_exception_int_div_zero 0
	.end_amdhsa_kernel
	.section	.text._ZN2at6native6mbtopk10gatherTopKIfmLi1EEEvNS_4cuda6detail10TensorInfoIKT_T0_EES8_S8_bjS8_NS5_IS6_S8_EES8_NS5_IlS8_EES8_jjPS6_PjSD_j,"axG",@progbits,_ZN2at6native6mbtopk10gatherTopKIfmLi1EEEvNS_4cuda6detail10TensorInfoIKT_T0_EES8_S8_bjS8_NS5_IS6_S8_EES8_NS5_IlS8_EES8_jjPS6_PjSD_j,comdat
.Lfunc_end191:
	.size	_ZN2at6native6mbtopk10gatherTopKIfmLi1EEEvNS_4cuda6detail10TensorInfoIKT_T0_EES8_S8_bjS8_NS5_IS6_S8_EES8_NS5_IlS8_EES8_jjPS6_PjSD_j, .Lfunc_end191-_ZN2at6native6mbtopk10gatherTopKIfmLi1EEEvNS_4cuda6detail10TensorInfoIKT_T0_EES8_S8_bjS8_NS5_IS6_S8_EES8_NS5_IlS8_EES8_jjPS6_PjSD_j
                                        ; -- End function
	.section	.AMDGPU.csdata,"",@progbits
; Kernel info:
; codeLenInByte = 2696
; NumSgprs: 44
; NumVgprs: 24
; ScratchSize: 0
; MemoryBound: 0
; FloatMode: 240
; IeeeMode: 1
; LDSByteSize: 1068 bytes/workgroup (compile time only)
; SGPRBlocks: 5
; VGPRBlocks: 2
; NumSGPRsForWavesPerEU: 44
; NumVGPRsForWavesPerEU: 24
; Occupancy: 16
; WaveLimiterHint : 1
; COMPUTE_PGM_RSRC2:SCRATCH_EN: 0
; COMPUTE_PGM_RSRC2:USER_SGPR: 13
; COMPUTE_PGM_RSRC2:TRAP_HANDLER: 0
; COMPUTE_PGM_RSRC2:TGID_X_EN: 1
; COMPUTE_PGM_RSRC2:TGID_Y_EN: 1
; COMPUTE_PGM_RSRC2:TGID_Z_EN: 1
; COMPUTE_PGM_RSRC2:TIDIG_COMP_CNT: 0
	.section	.text._ZN2at6native6sbtopk10gatherTopKIfmLi1ELb0EEEvNS_4cuda6detail10TensorInfoIKT_T0_EES8_S8_bS8_S8_NS5_IS6_S8_EES8_NS5_IlS8_EES8_PS6_,"axG",@progbits,_ZN2at6native6sbtopk10gatherTopKIfmLi1ELb0EEEvNS_4cuda6detail10TensorInfoIKT_T0_EES8_S8_bS8_S8_NS5_IS6_S8_EES8_NS5_IlS8_EES8_PS6_,comdat
	.protected	_ZN2at6native6sbtopk10gatherTopKIfmLi1ELb0EEEvNS_4cuda6detail10TensorInfoIKT_T0_EES8_S8_bS8_S8_NS5_IS6_S8_EES8_NS5_IlS8_EES8_PS6_ ; -- Begin function _ZN2at6native6sbtopk10gatherTopKIfmLi1ELb0EEEvNS_4cuda6detail10TensorInfoIKT_T0_EES8_S8_bS8_S8_NS5_IS6_S8_EES8_NS5_IlS8_EES8_PS6_
	.globl	_ZN2at6native6sbtopk10gatherTopKIfmLi1ELb0EEEvNS_4cuda6detail10TensorInfoIKT_T0_EES8_S8_bS8_S8_NS5_IS6_S8_EES8_NS5_IlS8_EES8_PS6_
	.p2align	8
	.type	_ZN2at6native6sbtopk10gatherTopKIfmLi1ELb0EEEvNS_4cuda6detail10TensorInfoIKT_T0_EES8_S8_bS8_S8_NS5_IS6_S8_EES8_NS5_IlS8_EES8_PS6_,@function
_ZN2at6native6sbtopk10gatherTopKIfmLi1ELb0EEEvNS_4cuda6detail10TensorInfoIKT_T0_EES8_S8_bS8_S8_NS5_IS6_S8_EES8_NS5_IlS8_EES8_PS6_: ; @_ZN2at6native6sbtopk10gatherTopKIfmLi1ELb0EEEvNS_4cuda6detail10TensorInfoIKT_T0_EES8_S8_bS8_S8_NS5_IS6_S8_EES8_NS5_IlS8_EES8_PS6_
; %bb.0:
	s_clause 0x1
	s_load_b64 s[10:11], s[0:1], 0x520
	s_load_b128 s[36:39], s[0:1], 0x1b8
	s_add_u32 s8, s0, 0x520
	s_addc_u32 s9, s1, 0
	s_mov_b32 s43, 0
	s_waitcnt lgkmcnt(0)
	s_mul_i32 s2, s11, s15
	s_delay_alu instid0(SALU_CYCLE_1) | instskip(NEXT) | instid1(SALU_CYCLE_1)
	s_add_i32 s2, s2, s14
	s_mul_i32 s2, s2, s10
	s_delay_alu instid0(SALU_CYCLE_1) | instskip(NEXT) | instid1(SALU_CYCLE_1)
	s_add_i32 s42, s2, s13
	v_cmp_ge_u64_e64 s2, s[42:43], s[36:37]
	s_delay_alu instid0(VALU_DEP_1)
	s_and_b32 vcc_lo, exec_lo, s2
	s_cbranch_vccnz .LBB192_540
; %bb.1:
	s_clause 0x1
	s_load_b64 s[46:47], s[0:1], 0x440
	s_load_b64 s[2:3], s[0:1], 0x370
                                        ; implicit-def: $vgpr45 : SGPR spill to VGPR lane
	v_cmp_eq_u32_e64 s5, 0, v0
	s_waitcnt lgkmcnt(0)
	v_writelane_b32 v45, s2, 0
	v_writelane_b32 v45, s3, 1
	s_clause 0x4
	s_load_b64 s[50:51], s[0:1], 0x298
	s_load_b128 s[28:31], s[0:1], 0x1a0
	s_load_b64 s[48:49], s[0:1], 0x1c8
	s_load_b64 s[2:3], s[0:1], 0xd0
	;; [unrolled: 1-line block ×3, first 2 shown]
	s_and_saveexec_b32 s4, s5
	s_cbranch_execz .LBB192_3
; %bb.2:
	s_waitcnt lgkmcnt(0)
	v_dual_mov_b32 v1, 0 :: v_dual_mov_b32 v4, s29
	s_delay_alu instid0(VALU_DEP_1)
	v_dual_mov_b32 v3, s28 :: v_dual_mov_b32 v2, v1
	ds_store_b32 v1, v1 offset:5144
	ds_store_b128 v1, v[1:4] offset:5120
.LBB192_3:
	s_or_b32 exec_lo, exec_lo, s4
	v_mad_u64_u32 v[2:3], null, v0, s38, 0
	s_load_b32 s4, s[0:1], 0x1b0
	v_lshrrev_b32_e32 v6, 3, v0
	v_mov_b32_e32 v13, 0
	s_waitcnt lgkmcnt(0)
	s_mul_i32 s3, s3, s42
	s_mul_hi_u32 s6, s2, s42
	v_mbcnt_lo_u32_b32 v33, -1, 0
	v_dual_mov_b32 v1, v3 :: v_dual_and_b32 v34, 0x7c, v6
	v_lshlrev_b32_e32 v14, 2, v0
	s_mul_i32 s2, s2, s42
	v_lshlrev_b32_e32 v36, 4, v0
	s_delay_alu instid0(VALU_DEP_3)
	v_mad_u64_u32 v[3:4], null, v0, s39, v[1:2]
	v_mov_b32_e32 v1, v13
	s_barrier
	buffer_gl0_inv
	s_add_i32 s3, s6, s3
	s_load_b32 s7, s[8:9], 0xc
	s_lshl_b64 s[40:41], s[2:3], 2
	v_lshlrev_b64 v[4:5], 2, v[2:3]
	v_cmp_gt_u32_e32 vcc_lo, 32, v0
	v_cmp_gt_i32_e64 s3, 4, v33
	v_or_b32_e32 v9, 12, v36
	v_or_b32_e32 v12, 8, v36
	s_add_u32 s52, s36, s40
	s_addc_u32 s53, s37, s41
	s_bitcmp1_b32 s4, 0
	v_or_b32_e32 v22, 4, v36
	s_cselect_b32 s4, -1, 0
	s_and_b32 s74, vcc_lo, s3
	v_add_co_u32 v10, vcc_lo, s52, v4
	v_mad_u64_u32 v[16:17], null, s38, v9, 0
	v_mad_u64_u32 v[18:19], null, s38, v12, 0
	v_add_co_ci_u32_e32 v11, vcc_lo, s53, v5, vcc_lo
	v_lshlrev_b64 v[4:5], v33, -1
	v_mad_u64_u32 v[20:21], null, s38, v22, 0
	v_add_nc_u32_e32 v35, 0xc00, v14
	v_mov_b32_e32 v5, v19
	s_waitcnt lgkmcnt(0)
	s_and_b32 s33, s7, 0xffff
	v_not_b32_e32 v32, v4
	v_mov_b32_e32 v4, v17
	s_xor_b32 s43, s4, -1
	v_mov_b32_e32 v6, v21
	s_bfe_u32 s11, s7, 0xb0005
	s_add_u32 s76, s33, -1
	v_mad_u64_u32 v[7:8], null, s39, v9, v[4:5]
	s_addc_u32 s77, 0, -1
	s_add_u32 s78, s76, s28
	s_addc_u32 s27, s77, s29
	s_cmp_lt_u32 s13, s10
	v_mad_u64_u32 v[8:9], null, s39, v12, v[5:6]
	s_cselect_b32 s10, 12, 18
	s_delay_alu instid0(VALU_DEP_2)
	v_mad_u64_u32 v[4:5], null, s39, v22, v[6:7]
	s_add_u32 s56, s8, s10
	s_addc_u32 s57, s9, 0
	s_add_i32 s8, s11, -1
	s_bfe_u32 s79, s33, 0x30005
	s_cmp_gt_u32 s8, 6
	v_cmp_lt_u64_e64 s75, 0x300, s[28:29]
	s_cselect_b32 s80, -1, 0
	s_and_b32 s81, s11, 0x7f8
	v_cmp_gt_u64_e64 s3, s[28:29], v[0:1]
	v_dual_mov_b32 v15, v13 :: v_dual_mov_b32 v26, s30
	s_cmp_lg_u32 s79, 0
	v_cmp_gt_u16_e64 s82, s7, 31
	v_lshlrev_b64 v[21:22], 4, v[2:3]
	s_mul_i32 s7, s39, s33
	s_mul_hi_u32 s8, s38, s33
	v_cmp_eq_u32_e64 s2, 0, v33
	v_cmp_gt_u32_e64 s6, 2, v0
	v_dual_mov_b32 v17, v7 :: v_dual_mov_b32 v40, 0
	v_mov_b32_e32 v19, v8
	v_mov_b32_e32 v37, v4
	v_lshl_or_b32 v38, v33, 3, 0xc00
	v_mov_b32_e32 v27, s31
	v_mov_b32_e32 v23, 1.0
	v_mov_b32_e32 v25, 0
	v_mov_b32_e32 v39, 0
	s_cselect_b32 s83, -1, 0
	s_add_i32 s9, s8, s7
	s_mul_i32 s8, s38, s33
	s_mov_b32 s55, 0
	s_lshl_b64 s[58:59], s[38:39], 2
	s_lshl_b64 s[60:61], s[38:39], 4
	s_lshl_b32 s84, s33, 2
	s_lshl_b64 s[34:35], s[8:9], 2
	s_mov_b32 s91, 30
	s_mov_b32 s85, 0
	;; [unrolled: 1-line block ×3, first 2 shown]
                                        ; implicit-def: $sgpr86
                                        ; implicit-def: $sgpr90
                                        ; implicit-def: $sgpr89
                                        ; implicit-def: $sgpr92
                                        ; implicit-def: $sgpr88
                                        ; implicit-def: $sgpr93
                                        ; implicit-def: $sgpr95
                                        ; implicit-def: $sgpr94
                                        ; implicit-def: $sgpr96
                                        ; implicit-def: $sgpr97
	s_branch .LBB192_6
.LBB192_4:                              ;   in Loop: Header=BB192_6 Depth=1
	s_or_b32 exec_lo, exec_lo, s10
	v_dual_mov_b32 v39, v31 :: v_dual_mov_b32 v40, v30
	v_dual_mov_b32 v27, v3 :: v_dual_mov_b32 v26, v2
	v_mov_b32_e32 v25, v5
	s_and_not1_b32 s10, s97, exec_lo
	s_and_b32 s9, s9, exec_lo
	s_and_not1_b32 s96, s96, exec_lo
	s_or_b32 s97, s10, s9
	s_and_not1_b32 s94, s94, exec_lo
	s_and_not1_b32 s95, s95, exec_lo
	;; [unrolled: 1-line block ×3, first 2 shown]
	s_or_not1_b32 s8, s8, exec_lo
.LBB192_5:                              ;   in Loop: Header=BB192_6 Depth=1
	s_or_b32 exec_lo, exec_lo, s7
	s_delay_alu instid0(SALU_CYCLE_1) | instskip(NEXT) | instid1(SALU_CYCLE_1)
	s_and_b32 s7, exec_lo, s8
	s_or_b32 s85, s7, s85
	s_and_not1_b32 s7, s88, exec_lo
	s_and_b32 s8, s97, exec_lo
	s_and_not1_b32 s9, s92, exec_lo
	s_or_b32 s88, s7, s8
	s_and_b32 s7, s96, exec_lo
	s_and_not1_b32 s8, s89, exec_lo
	s_and_b32 s10, s94, exec_lo
	s_or_b32 s92, s9, s7
	s_or_b32 s89, s8, s10
	s_and_not1_b32 s7, s90, exec_lo
	s_and_b32 s8, s95, exec_lo
	s_and_not1_b32 s9, s86, exec_lo
	s_and_b32 s10, s93, exec_lo
	s_or_b32 s90, s7, s8
	s_or_b32 s86, s9, s10
	s_and_not1_b32 exec_lo, exec_lo, s85
	s_cbranch_execz .LBB192_478
.LBB192_6:                              ; =>This Loop Header: Depth=1
                                        ;     Child Loop BB192_14 Depth 2
                                        ;     Child Loop BB192_32 Depth 2
	;; [unrolled: 1-line block ×24, first 2 shown]
	ds_load_b128 v[2:5], v13 offset:5120
	s_waitcnt lgkmcnt(0)
	v_readfirstlane_b32 s63, v3
	v_readfirstlane_b32 s62, v2
	s_delay_alu instid0(VALU_DEP_1)
	s_cmp_lg_u64 s[62:63], 0
	s_cbranch_scc1 .LBB192_39
; %bb.7:                                ;   in Loop: Header=BB192_6 Depth=1
	s_and_b32 vcc_lo, exec_lo, s75
	s_cbranch_vccz .LBB192_22
; %bb.8:                                ;   in Loop: Header=BB192_6 Depth=1
	v_cmp_gt_u64_e32 vcc_lo, 0x301, v[4:5]
	s_mov_b32 s9, 0
	s_mov_b32 s7, 0
	s_cbranch_vccz .LBB192_23
; %bb.9:                                ;   in Loop: Header=BB192_6 Depth=1
	v_mov_b32_e32 v6, 0
	s_and_saveexec_b32 s7, s3
	s_cbranch_execz .LBB192_11
; %bb.10:                               ;   in Loop: Header=BB192_6 Depth=1
	global_load_b32 v6, v[10:11], off
.LBB192_11:                             ;   in Loop: Header=BB192_6 Depth=1
	s_or_b32 exec_lo, exec_lo, s7
	s_and_saveexec_b32 s10, s3
	s_cbranch_execz .LBB192_24
; %bb.12:                               ;   in Loop: Header=BB192_6 Depth=1
	global_load_u16 v7, v13, s[56:57]
	s_mov_b32 s13, 0
	s_waitcnt vmcnt(0)
	v_readfirstlane_b32 s7, v7
	v_and_b32_e32 v7, 0xffff, v7
	s_delay_alu instid0(VALU_DEP_2) | instskip(NEXT) | instid1(SALU_CYCLE_1)
	s_and_b32 s7, 0xffff, s7
	v_add_nc_u32_e32 v8, s7, v0
	s_mul_i32 s8, s59, s7
	s_mul_hi_u32 s11, s58, s7
	s_mul_i32 s12, s58, s7
	s_add_i32 s11, s11, s8
	v_mad_u64_u32 v[2:3], null, s58, v8, s[52:53]
	s_delay_alu instid0(VALU_DEP_1) | instskip(NEXT) | instid1(VALU_DEP_1)
	v_mad_u64_u32 v[4:5], null, s59, v8, v[3:4]
	v_mov_b32_e32 v3, v4
	v_dual_mov_b32 v5, v1 :: v_dual_mov_b32 v4, v0
	s_branch .LBB192_14
.LBB192_13:                             ;   in Loop: Header=BB192_14 Depth=2
	s_or_b32 exec_lo, exec_lo, s8
	v_add_co_u32 v2, vcc_lo, v2, s12
	v_add_co_ci_u32_e32 v3, vcc_lo, s11, v3, vcc_lo
	s_waitcnt vmcnt(0)
	v_mov_b32_e32 v6, v8
	s_and_not1_b32 exec_lo, exec_lo, s13
	s_cbranch_execz .LBB192_24
.LBB192_14:                             ;   Parent Loop BB192_6 Depth=1
                                        ; =>  This Inner Loop Header: Depth=2
	s_delay_alu instid0(VALU_DEP_1) | instskip(NEXT) | instid1(VALU_DEP_2)
	v_add_co_u32 v4, vcc_lo, v4, v7
	v_add_co_ci_u32_e32 v5, vcc_lo, 0, v5, vcc_lo
	s_waitcnt lgkmcnt(0)
	v_dual_mov_b32 v9, 0 :: v_dual_mov_b32 v8, 0
	s_mov_b32 s8, exec_lo
	s_delay_alu instid0(VALU_DEP_2)
	v_cmp_le_u64_e32 vcc_lo, s[28:29], v[4:5]
	v_cmpx_gt_u64_e64 s[28:29], v[4:5]
	s_cbranch_execz .LBB192_16
; %bb.15:                               ;   in Loop: Header=BB192_14 Depth=2
	global_load_b32 v8, v[2:3], off
.LBB192_16:                             ;   in Loop: Header=BB192_14 Depth=2
	s_or_b32 exec_lo, exec_lo, s8
	v_cmp_lt_i32_e64 s7, -1, v6
	s_delay_alu instid0(VALU_DEP_1) | instskip(SKIP_1) | instid1(VALU_DEP_2)
	v_cndmask_b32_e64 v12, -1, 0x80000000, s7
	v_cmp_o_f32_e64 s7, v6, v6
	v_xor_b32_e32 v12, v12, v6
	s_delay_alu instid0(VALU_DEP_1) | instskip(NEXT) | instid1(VALU_DEP_1)
	v_cndmask_b32_e64 v12, -1, v12, s7
	v_and_b32_e32 v12, v12, v39
	s_delay_alu instid0(VALU_DEP_1) | instskip(NEXT) | instid1(VALU_DEP_1)
	v_cmp_eq_u32_e64 s7, v12, v40
	s_cmp_lg_u32 s7, 0
	s_cselect_b32 s8, -1, 0
	s_delay_alu instid0(SALU_CYCLE_1) | instskip(NEXT) | instid1(SALU_CYCLE_1)
	s_and_b32 s8, s2, s8
	s_and_saveexec_b32 s14, s8
	s_cbranch_execz .LBB192_20
; %bb.17:                               ;   in Loop: Header=BB192_14 Depth=2
	s_mov_b32 s17, exec_lo
	s_bcnt1_i32_b32 s15, s7
	v_mbcnt_lo_u32_b32 v9, s17, 0
	s_mov_b32 s16, exec_lo
                                        ; implicit-def: $vgpr12
	s_delay_alu instid0(VALU_DEP_1)
	v_cmpx_eq_u32_e32 0, v9
	s_cbranch_execz .LBB192_19
; %bb.18:                               ;   in Loop: Header=BB192_14 Depth=2
	s_bcnt1_i32_b32 s8, s17
	s_delay_alu instid0(SALU_CYCLE_1) | instskip(NEXT) | instid1(SALU_CYCLE_1)
	s_mul_i32 s8, s15, s8
	v_mov_b32_e32 v12, s8
	ds_add_rtn_u32 v12, v13, v12 offset:5144
.LBB192_19:                             ;   in Loop: Header=BB192_14 Depth=2
	s_or_b32 exec_lo, exec_lo, s16
	s_waitcnt lgkmcnt(0)
	v_readfirstlane_b32 s8, v12
	s_delay_alu instid0(VALU_DEP_1)
	v_mad_u32_u24 v9, s15, v9, s8
.LBB192_20:                             ;   in Loop: Header=BB192_14 Depth=2
	s_or_b32 exec_lo, exec_lo, s14
	ds_bpermute_b32 v9, v13, v9
	s_and_b32 s8, exec_lo, vcc_lo
	s_delay_alu instid0(SALU_CYCLE_1)
	s_or_b32 s13, s8, s13
	s_and_saveexec_b32 s8, s7
	s_cbranch_execz .LBB192_13
; %bb.21:                               ;   in Loop: Header=BB192_14 Depth=2
	v_and_b32_e32 v12, s7, v32
	s_delay_alu instid0(VALU_DEP_1) | instskip(NEXT) | instid1(VALU_DEP_1)
	v_bcnt_u32_b32 v12, v12, 0
	v_lshlrev_b32_e32 v12, 2, v12
	s_waitcnt lgkmcnt(0)
	s_delay_alu instid0(VALU_DEP_1)
	v_lshl_add_u32 v9, v9, 2, v12
	ds_store_b32 v9, v6
	s_branch .LBB192_13
.LBB192_22:                             ;   in Loop: Header=BB192_6 Depth=1
	s_mov_b32 s7, 0
                                        ; implicit-def: $sgpr62_sgpr63
	s_cbranch_execnz .LBB192_27
	s_branch .LBB192_37
.LBB192_23:                             ;   in Loop: Header=BB192_6 Depth=1
	s_mov_b64 s[62:63], 0
	s_and_b32 vcc_lo, exec_lo, s9
	s_cbranch_vccnz .LBB192_27
	s_branch .LBB192_37
.LBB192_24:                             ;   in Loop: Header=BB192_6 Depth=1
	s_or_b32 exec_lo, exec_lo, s10
	s_waitcnt vmcnt(0) lgkmcnt(0)
	s_barrier
	buffer_gl0_inv
	s_and_saveexec_b32 s7, s5
	s_cbranch_execz .LBB192_26
; %bb.25:                               ;   in Loop: Header=BB192_6 Depth=1
	ds_load_b32 v2, v13 offset:5144
	s_waitcnt lgkmcnt(0)
	v_ashrrev_i32_e32 v3, 31, v2
	ds_store_b64 v13, v[2:3] offset:5120
.LBB192_26:                             ;   in Loop: Header=BB192_6 Depth=1
	s_or_b32 exec_lo, exec_lo, s7
	s_waitcnt lgkmcnt(0)
	s_mov_b32 s7, -1
	s_barrier
	s_mov_b64 s[62:63], 0
	s_and_b32 vcc_lo, exec_lo, s9
	s_cbranch_vccz .LBB192_37
.LBB192_27:                             ;   in Loop: Header=BB192_6 Depth=1
	v_mov_b32_e32 v6, 0
	s_and_saveexec_b32 s7, s3
	s_cbranch_execz .LBB192_29
; %bb.28:                               ;   in Loop: Header=BB192_6 Depth=1
	global_load_b32 v6, v[10:11], off
.LBB192_29:                             ;   in Loop: Header=BB192_6 Depth=1
	s_or_b32 exec_lo, exec_lo, s7
	s_and_saveexec_b32 s8, s3
	s_cbranch_execz .LBB192_34
; %bb.30:                               ;   in Loop: Header=BB192_6 Depth=1
	global_load_u16 v8, v13, s[56:57]
	s_mov_b32 s12, 0
	s_waitcnt vmcnt(0)
	v_readfirstlane_b32 s7, v8
	v_and_b32_e32 v8, 0xffff, v8
	s_delay_alu instid0(VALU_DEP_2) | instskip(NEXT) | instid1(SALU_CYCLE_1)
	s_and_b32 s7, 0xffff, s7
	v_add_nc_u32_e32 v7, s7, v0
	s_mul_i32 s10, s59, s7
	s_mul_hi_u32 s11, s58, s7
	s_lshl_b32 s9, s7, 2
	s_add_i32 s10, s11, s10
	v_mad_u64_u32 v[2:3], null, s58, v7, s[52:53]
	s_mul_i32 s11, s58, s7
	s_delay_alu instid0(VALU_DEP_1) | instskip(SKIP_1) | instid1(VALU_DEP_2)
	v_mad_u64_u32 v[4:5], null, s59, v7, v[3:4]
	v_mov_b32_e32 v7, v14
	v_mov_b32_e32 v3, v4
	v_dual_mov_b32 v5, v1 :: v_dual_mov_b32 v4, v0
	s_branch .LBB192_32
	.p2align	6
.LBB192_31:                             ;   in Loop: Header=BB192_32 Depth=2
	s_or_b32 exec_lo, exec_lo, s13
	s_delay_alu instid0(SALU_CYCLE_1)
	s_and_b32 s7, exec_lo, vcc_lo
	v_add_co_u32 v2, vcc_lo, v2, s11
	ds_store_b32 v7, v6
	s_waitcnt vmcnt(0)
	v_dual_mov_b32 v6, v9 :: v_dual_add_nc_u32 v7, s9, v7
	v_add_co_ci_u32_e32 v3, vcc_lo, s10, v3, vcc_lo
	s_or_b32 s12, s7, s12
	s_delay_alu instid0(SALU_CYCLE_1)
	s_and_not1_b32 exec_lo, exec_lo, s12
	s_cbranch_execz .LBB192_34
.LBB192_32:                             ;   Parent Loop BB192_6 Depth=1
                                        ; =>  This Inner Loop Header: Depth=2
	s_delay_alu instid0(VALU_DEP_1) | instskip(NEXT) | instid1(VALU_DEP_2)
	v_add_co_u32 v4, vcc_lo, v4, v8
	v_add_co_ci_u32_e32 v5, vcc_lo, 0, v5, vcc_lo
	v_mov_b32_e32 v9, 0
	s_mov_b32 s13, exec_lo
	s_delay_alu instid0(VALU_DEP_2)
	v_cmp_le_u64_e32 vcc_lo, s[28:29], v[4:5]
	v_cmpx_gt_u64_e64 s[28:29], v[4:5]
	s_cbranch_execz .LBB192_31
; %bb.33:                               ;   in Loop: Header=BB192_32 Depth=2
	global_load_b32 v9, v[2:3], off
	s_branch .LBB192_31
.LBB192_34:                             ;   in Loop: Header=BB192_6 Depth=1
	s_or_b32 exec_lo, exec_lo, s8
	s_waitcnt vmcnt(0) lgkmcnt(0)
	s_barrier
	buffer_gl0_inv
	s_and_saveexec_b32 s7, s5
	s_cbranch_execz .LBB192_36
; %bb.35:                               ;   in Loop: Header=BB192_6 Depth=1
	v_dual_mov_b32 v2, s28 :: v_dual_mov_b32 v3, s29
	ds_store_b64 v13, v[2:3] offset:5120
.LBB192_36:                             ;   in Loop: Header=BB192_6 Depth=1
	s_or_b32 exec_lo, exec_lo, s7
	s_mov_b32 s7, -1
	s_waitcnt lgkmcnt(0)
	s_barrier
                                        ; implicit-def: $sgpr62_sgpr63
.LBB192_37:                             ;   in Loop: Header=BB192_6 Depth=1
	s_and_b32 vcc_lo, exec_lo, s7
	s_cbranch_vccz .LBB192_39
; %bb.38:                               ;   in Loop: Header=BB192_6 Depth=1
	buffer_gl0_inv
	ds_load_b64 v[2:3], v13 offset:5120
	s_waitcnt lgkmcnt(0)
	v_readfirstlane_b32 s62, v2
.LBB192_39:                             ;   in Loop: Header=BB192_6 Depth=1
	s_delay_alu instid0(VALU_DEP_1)
	s_cmp_lt_i32 s62, 1
	s_cbranch_scc0 .LBB192_54
; %bb.40:                               ;   in Loop: Header=BB192_6 Depth=1
	global_load_u16 v2, v13, s[56:57]
	s_mov_b32 s8, s55
	s_mov_b32 s9, s29
	s_waitcnt vmcnt(0)
	v_readfirstlane_b32 s7, v2
	s_delay_alu instid0(VALU_DEP_1) | instskip(NEXT) | instid1(SALU_CYCLE_1)
	s_and_b32 s54, s7, 0xffff
	s_lshl_b32 s63, s54, 2
	s_cmp_lg_u64 s[8:9], 0
	s_cbranch_scc0 .LBB192_74
; %bb.41:                               ;   in Loop: Header=BB192_6 Depth=1
	v_cvt_f32_u32_e32 v2, s63
	s_sub_u32 s9, 0, s63
	s_subb_u32 s10, 0, 0
	s_delay_alu instid0(VALU_DEP_1) | instskip(NEXT) | instid1(VALU_DEP_1)
	v_fmac_f32_e64 v2, 0, 0x4f800000
	v_rcp_f32_e32 v2, v2
	s_waitcnt_depctr 0xfff
	v_mul_f32_e32 v2, 0x5f7ffffc, v2
	s_delay_alu instid0(VALU_DEP_1) | instskip(NEXT) | instid1(VALU_DEP_1)
	v_mul_f32_e32 v3, 0x2f800000, v2
	v_trunc_f32_e32 v3, v3
	s_delay_alu instid0(VALU_DEP_1) | instskip(SKIP_1) | instid1(VALU_DEP_2)
	v_fmac_f32_e32 v2, 0xcf800000, v3
	v_cvt_u32_f32_e32 v3, v3
	v_cvt_u32_f32_e32 v2, v2
	s_delay_alu instid0(VALU_DEP_2) | instskip(NEXT) | instid1(VALU_DEP_2)
	v_readfirstlane_b32 s7, v3
	v_readfirstlane_b32 s8, v2
	s_delay_alu instid0(VALU_DEP_2) | instskip(NEXT) | instid1(VALU_DEP_1)
	s_mul_i32 s11, s9, s7
	s_mul_hi_u32 s13, s9, s8
	s_mul_i32 s12, s10, s8
	s_add_i32 s11, s13, s11
	s_mul_i32 s14, s9, s8
	s_add_i32 s11, s11, s12
	s_mul_hi_u32 s13, s8, s14
	s_mul_hi_u32 s15, s7, s14
	s_mul_i32 s12, s7, s14
	s_mul_hi_u32 s14, s8, s11
	s_mul_i32 s8, s8, s11
	s_mul_hi_u32 s16, s7, s11
	s_add_u32 s8, s13, s8
	s_addc_u32 s13, 0, s14
	s_add_u32 s8, s8, s12
	s_mul_i32 s11, s7, s11
	s_addc_u32 s8, s13, s15
	s_addc_u32 s12, s16, 0
	s_add_u32 s8, s8, s11
	s_addc_u32 s11, 0, s12
	v_add_co_u32 v2, s8, v2, s8
	s_delay_alu instid0(VALU_DEP_1) | instskip(SKIP_1) | instid1(VALU_DEP_1)
	s_cmp_lg_u32 s8, 0
	s_addc_u32 s7, s7, s11
	v_readfirstlane_b32 s8, v2
	s_mul_i32 s11, s9, s7
	s_delay_alu instid0(VALU_DEP_1)
	s_mul_hi_u32 s12, s9, s8
	s_mul_i32 s10, s10, s8
	s_add_i32 s11, s12, s11
	s_mul_i32 s9, s9, s8
	s_add_i32 s11, s11, s10
	s_mul_hi_u32 s12, s7, s9
	s_mul_i32 s13, s7, s9
	s_mul_hi_u32 s9, s8, s9
	s_mul_hi_u32 s14, s8, s11
	s_mul_i32 s8, s8, s11
	s_mul_hi_u32 s10, s7, s11
	s_add_u32 s8, s9, s8
	s_addc_u32 s9, 0, s14
	s_add_u32 s8, s8, s13
	s_mul_i32 s11, s7, s11
	s_addc_u32 s8, s9, s12
	s_addc_u32 s9, s10, 0
	s_add_u32 s8, s8, s11
	s_addc_u32 s9, 0, s9
	v_add_co_u32 v2, s8, v2, s8
	s_delay_alu instid0(VALU_DEP_1) | instskip(SKIP_1) | instid1(VALU_DEP_1)
	s_cmp_lg_u32 s8, 0
	s_addc_u32 s7, s7, s9
	v_readfirstlane_b32 s8, v2
	s_mul_i32 s10, s28, s7
	s_mul_hi_u32 s9, s28, s7
	s_mul_hi_u32 s11, s29, s7
	s_mul_i32 s7, s29, s7
	s_mul_hi_u32 s12, s28, s8
	s_mul_hi_u32 s13, s29, s8
	s_mul_i32 s8, s29, s8
	s_add_u32 s10, s12, s10
	s_addc_u32 s9, 0, s9
	s_add_u32 s8, s10, s8
	s_addc_u32 s8, s9, s13
	s_addc_u32 s9, s11, 0
	s_add_u32 s7, s8, s7
	s_addc_u32 s8, 0, s9
	s_mul_hi_u32 s9, s63, s7
	s_mul_i32 s7, s63, s7
	s_mul_i32 s8, s63, s8
	v_sub_co_u32 v2, s7, s28, s7
	s_add_i32 s9, s9, s8
	s_cmp_lg_u32 s7, 0
	s_delay_alu instid0(VALU_DEP_1) | instskip(SKIP_2) | instid1(VALU_DEP_1)
	v_sub_co_u32 v3, s7, v2, s63
	s_subb_u32 s8, s29, s9
	s_cmp_lg_u32 s7, 0
	v_cmp_le_u32_e32 vcc_lo, s63, v3
	v_sub_co_u32 v4, s7, v3, s63
	s_subb_u32 s9, s8, 0
	s_cmp_lg_u32 s7, 0
	v_cndmask_b32_e64 v5, 0, -1, vcc_lo
	s_subb_u32 s7, s9, 0
	s_cmp_eq_u32 s9, 0
	v_mov_b32_e32 v7, s7
	s_cselect_b32 vcc_lo, -1, 0
	s_cmp_eq_u32 s8, 0
	v_cndmask_b32_e32 v5, -1, v5, vcc_lo
	v_cmp_le_u32_e32 vcc_lo, s63, v2
	s_cselect_b32 s7, -1, 0
	v_cndmask_b32_e64 v6, 0, -1, vcc_lo
	s_delay_alu instid0(VALU_DEP_3) | instskip(NEXT) | instid1(VALU_DEP_2)
	v_cmp_ne_u32_e32 vcc_lo, 0, v5
	v_cndmask_b32_e64 v5, -1, v6, s7
	v_cndmask_b32_e32 v6, s9, v7, vcc_lo
	v_cndmask_b32_e32 v4, v3, v4, vcc_lo
	s_delay_alu instid0(VALU_DEP_3) | instskip(NEXT) | instid1(VALU_DEP_3)
	v_cmp_ne_u32_e32 vcc_lo, 0, v5
	v_cndmask_b32_e32 v3, s8, v6, vcc_lo
	s_delay_alu instid0(VALU_DEP_3)
	v_cndmask_b32_e32 v2, v2, v4, vcc_lo
	s_cbranch_execnz .LBB192_43
.LBB192_42:                             ;   in Loop: Header=BB192_6 Depth=1
	v_cvt_f32_u32_e32 v2, s63
	s_sub_i32 s7, 0, s63
	s_delay_alu instid0(VALU_DEP_1) | instskip(SKIP_2) | instid1(VALU_DEP_1)
	v_rcp_iflag_f32_e32 v2, v2
	s_waitcnt_depctr 0xfff
	v_mul_f32_e32 v2, 0x4f7ffffe, v2
	v_cvt_u32_f32_e32 v2, v2
	s_delay_alu instid0(VALU_DEP_1) | instskip(NEXT) | instid1(VALU_DEP_1)
	v_mul_lo_u32 v3, s7, v2
	v_mul_hi_u32 v3, v2, v3
	s_delay_alu instid0(VALU_DEP_1) | instskip(NEXT) | instid1(VALU_DEP_1)
	v_add_nc_u32_e32 v2, v2, v3
	v_mul_hi_u32 v2, s28, v2
	s_delay_alu instid0(VALU_DEP_1) | instskip(NEXT) | instid1(VALU_DEP_1)
	v_mul_lo_u32 v2, v2, s63
	v_sub_nc_u32_e32 v2, s28, v2
	s_delay_alu instid0(VALU_DEP_1) | instskip(SKIP_1) | instid1(VALU_DEP_2)
	v_subrev_nc_u32_e32 v3, s63, v2
	v_cmp_le_u32_e32 vcc_lo, s63, v2
	v_cndmask_b32_e32 v2, v2, v3, vcc_lo
	s_delay_alu instid0(VALU_DEP_1) | instskip(SKIP_1) | instid1(VALU_DEP_2)
	v_subrev_nc_u32_e32 v3, s63, v2
	v_cmp_le_u32_e32 vcc_lo, s63, v2
	v_cndmask_b32_e32 v12, v2, v3, vcc_lo
	s_delay_alu instid0(VALU_DEP_1)
	v_dual_mov_b32 v2, v12 :: v_dual_mov_b32 v3, v13
.LBB192_43:                             ;   in Loop: Header=BB192_6 Depth=1
	s_delay_alu instid0(VALU_DEP_1) | instskip(NEXT) | instid1(VALU_DEP_2)
	v_sub_co_u32 v28, vcc_lo, s28, v2
	v_sub_co_ci_u32_e32 v29, vcc_lo, s29, v3, vcc_lo
	v_mov_b32_e32 v2, 0
	v_mov_b32_e32 v3, 0
	s_mov_b64 s[64:65], 0
	s_mov_b32 s98, exec_lo
	s_delay_alu instid0(VALU_DEP_1)
	v_dual_mov_b32 v5, v3 :: v_dual_mov_b32 v4, v2
	v_dual_mov_b32 v7, v3 :: v_dual_mov_b32 v6, v2
	;; [unrolled: 1-line block ×3, first 2 shown]
	v_cmpx_gt_u64_e64 v[28:29], v[14:15]
	s_cbranch_execz .LBB192_47
; %bb.44:                               ;   in Loop: Header=BB192_6 Depth=1
	v_dual_mov_b32 v31, v15 :: v_dual_mov_b32 v30, v14
	s_mul_i32 s7, s61, s54
	s_mul_hi_u32 s8, s60, s54
	s_and_b32 s99, s91, 0xfe
	s_add_i32 s100, s8, s7
	s_mul_i32 s101, s60, s54
	s_mov_b32 s102, 0
	s_mov_b64 s[66:67], s[52:53]
	s_mov_b64 s[68:69], 0
	;; [unrolled: 1-line block ×4, first 2 shown]
.LBB192_45:                             ;   Parent Loop BB192_6 Depth=1
                                        ; =>  This Inner Loop Header: Depth=2
	v_add_co_u32 v2, vcc_lo, s66, v21
	v_add_co_ci_u32_e32 v3, vcc_lo, s67, v22, vcc_lo
	v_add_co_u32 v4, vcc_lo, s66, v20
	v_add_co_ci_u32_e32 v5, vcc_lo, s67, v37, vcc_lo
	;; [unrolled: 2-line block ×4, first 2 shown]
	s_clause 0x3
	global_load_b32 v2, v[2:3], off
	global_load_b32 v3, v[4:5], off
	;; [unrolled: 1-line block ×4, first 2 shown]
	v_add_co_u32 v30, vcc_lo, v30, s63
	v_add_co_ci_u32_e32 v31, vcc_lo, 0, v31, vcc_lo
	s_delay_alu instid0(VALU_DEP_1)
	v_cmp_ge_u64_e32 vcc_lo, v[30:31], v[28:29]
	s_waitcnt vmcnt(3)
	v_cmp_lt_i32_e64 s7, -1, v2
	v_cmp_o_f32_e64 s10, v2, v2
	s_waitcnt vmcnt(1)
	v_cmp_o_f32_e64 s8, v4, v4
	s_waitcnt vmcnt(0)
	v_cmp_o_f32_e64 s9, v5, v5
	v_cndmask_b32_e64 v6, -1, 0x80000000, s7
	v_cmp_lt_i32_e64 s7, -1, v3
	s_delay_alu instid0(VALU_DEP_2) | instskip(NEXT) | instid1(VALU_DEP_2)
	v_xor_b32_e32 v6, v6, v2
	v_cndmask_b32_e64 v7, -1, 0x80000000, s7
	v_cmp_lt_i32_e64 s7, -1, v4
	s_delay_alu instid0(VALU_DEP_3) | instskip(NEXT) | instid1(VALU_DEP_3)
	v_cndmask_b32_e64 v2, -1, v6, s10
	v_xor_b32_e32 v7, v7, v3
	s_delay_alu instid0(VALU_DEP_3) | instskip(SKIP_1) | instid1(VALU_DEP_4)
	v_cndmask_b32_e64 v8, -1, 0x80000000, s7
	v_cmp_lt_i32_e64 s7, -1, v5
	v_and_b32_e32 v6, v2, v39
	v_bfe_u32 v2, v2, s99, 2
	s_delay_alu instid0(VALU_DEP_3) | instskip(SKIP_2) | instid1(VALU_DEP_4)
	v_cndmask_b32_e64 v9, -1, 0x80000000, s7
	v_cmp_o_f32_e64 s7, v3, v3
	v_xor_b32_e32 v3, v8, v4
	v_cmp_eq_u32_e64 s11, 0, v2
	v_cmp_eq_u32_e64 s15, 1, v2
	v_xor_b32_e32 v4, v9, v5
	v_cndmask_b32_e64 v5, -1, v7, s7
	v_cndmask_b32_e64 v3, -1, v3, s8
	v_cmp_eq_u32_e64 s7, v6, v40
	v_cmp_eq_u32_e64 s19, 2, v2
	v_cndmask_b32_e64 v4, -1, v4, s9
	v_and_b32_e32 v7, v5, v39
	v_bfe_u32 v5, v5, s99, 2
	v_and_b32_e32 v8, v3, v39
	v_bfe_u32 v3, v3, s99, 2
	v_and_b32_e32 v9, v4, v39
	v_bfe_u32 v4, v4, s99, 2
	v_cmp_eq_u32_e64 s8, v7, v40
	v_cmp_eq_u32_e64 s12, 0, v5
	;; [unrolled: 1-line block ×4, first 2 shown]
	s_and_b32 s11, s7, s11
	v_cmp_eq_u32_e64 s10, v9, v40
	v_cmp_eq_u32_e64 s14, 0, v4
	v_cmp_eq_u32_e64 s23, 3, v2
	v_cndmask_b32_e64 v2, 0, 1, s11
	s_and_b32 s11, s8, s12
	v_cmp_eq_u32_e64 s17, 1, v3
	v_cmp_eq_u32_e64 s21, 2, v3
	v_cmp_eq_u32_e64 s25, 3, v3
	v_cndmask_b32_e64 v3, 0, 1, s11
	;; [unrolled: 5-line block ×4, first 2 shown]
	v_cmp_ne_u32_e64 s11, 0, v2
	v_cmp_ne_u32_e64 s12, 0, v3
	;; [unrolled: 1-line block ×3, first 2 shown]
	s_delay_alu instid0(VALU_DEP_4) | instskip(NEXT) | instid1(VALU_DEP_4)
	v_cmp_ne_u32_e64 s14, 0, v5
	s_bcnt1_i32_b32 s11, s11
	s_delay_alu instid0(VALU_DEP_3) | instskip(NEXT) | instid1(VALU_DEP_2)
	s_bcnt1_i32_b32 s12, s12
	s_bcnt1_i32_b32 s13, s13
	s_add_i32 s11, s12, s11
	s_bcnt1_i32_b32 s14, s14
	s_add_i32 s11, s11, s13
	s_delay_alu instid0(SALU_CYCLE_1) | instskip(NEXT) | instid1(SALU_CYCLE_1)
	s_add_i32 s11, s11, s14
	s_add_u32 s72, s72, s11
	s_addc_u32 s73, s73, 0
	s_and_b32 s11, s7, s15
	v_mov_b32_e32 v2, s72
	v_cndmask_b32_e64 v4, 0, 1, s11
	s_and_b32 s11, s8, s16
	v_mov_b32_e32 v3, s73
	v_cndmask_b32_e64 v5, 0, 1, s11
	s_and_b32 s11, s9, s17
	s_delay_alu instid0(SALU_CYCLE_1) | instskip(SKIP_1) | instid1(VALU_DEP_2)
	v_cndmask_b32_e64 v6, 0, 1, s11
	s_and_b32 s11, s10, s18
	v_cmp_ne_u32_e64 s12, 0, v5
	v_cndmask_b32_e64 v7, 0, 1, s11
	v_cmp_ne_u32_e64 s11, 0, v4
	v_cmp_ne_u32_e64 s13, 0, v6
	s_delay_alu instid0(VALU_DEP_4) | instskip(NEXT) | instid1(VALU_DEP_3)
	s_bcnt1_i32_b32 s12, s12
	v_cmp_ne_u32_e64 s14, 0, v7
	s_delay_alu instid0(VALU_DEP_3) | instskip(NEXT) | instid1(VALU_DEP_2)
	s_bcnt1_i32_b32 s11, s11
	s_bcnt1_i32_b32 s13, s13
	s_add_i32 s11, s12, s11
	s_delay_alu instid0(VALU_DEP_1) | instskip(SKIP_1) | instid1(SALU_CYCLE_1)
	s_bcnt1_i32_b32 s14, s14
	s_add_i32 s11, s11, s13
	s_add_i32 s11, s11, s14
	s_delay_alu instid0(SALU_CYCLE_1) | instskip(SKIP_2) | instid1(SALU_CYCLE_1)
	s_add_u32 s70, s70, s11
	s_addc_u32 s71, s71, 0
	s_and_b32 s11, s7, s19
	v_cndmask_b32_e64 v4, 0, 1, s11
	s_and_b32 s11, s8, s20
	s_delay_alu instid0(SALU_CYCLE_1) | instskip(SKIP_1) | instid1(SALU_CYCLE_1)
	v_cndmask_b32_e64 v5, 0, 1, s11
	s_and_b32 s11, s9, s21
	v_cndmask_b32_e64 v6, 0, 1, s11
	s_and_b32 s11, s10, s22
	s_delay_alu instid0(VALU_DEP_2) | instskip(SKIP_3) | instid1(VALU_DEP_4)
	v_cmp_ne_u32_e64 s12, 0, v5
	v_cndmask_b32_e64 v7, 0, 1, s11
	v_cmp_ne_u32_e64 s11, 0, v4
	v_cmp_ne_u32_e64 s13, 0, v6
	s_bcnt1_i32_b32 s12, s12
	s_delay_alu instid0(VALU_DEP_3) | instskip(NEXT) | instid1(VALU_DEP_3)
	v_cmp_ne_u32_e64 s14, 0, v7
	s_bcnt1_i32_b32 s11, s11
	s_delay_alu instid0(VALU_DEP_2) | instskip(SKIP_1) | instid1(VALU_DEP_1)
	s_bcnt1_i32_b32 s13, s13
	s_add_i32 s11, s12, s11
	s_bcnt1_i32_b32 s14, s14
	s_add_i32 s11, s11, s13
	s_delay_alu instid0(SALU_CYCLE_1) | instskip(NEXT) | instid1(SALU_CYCLE_1)
	s_add_i32 s11, s11, s14
	s_add_u32 s68, s68, s11
	s_addc_u32 s69, s69, 0
	s_and_b32 s7, s7, s23
	s_delay_alu instid0(SALU_CYCLE_1) | instskip(SKIP_1) | instid1(SALU_CYCLE_1)
	v_cndmask_b32_e64 v4, 0, 1, s7
	s_and_b32 s7, s8, s24
	v_cndmask_b32_e64 v5, 0, 1, s7
	s_and_b32 s7, s9, s25
	s_delay_alu instid0(SALU_CYCLE_1) | instskip(SKIP_1) | instid1(VALU_DEP_2)
	v_cndmask_b32_e64 v6, 0, 1, s7
	s_and_b32 s7, s10, s26
	v_cmp_ne_u32_e64 s8, 0, v5
	v_cndmask_b32_e64 v7, 0, 1, s7
	v_cmp_ne_u32_e64 s7, 0, v4
	v_mov_b32_e32 v4, s70
	v_cmp_ne_u32_e64 s9, 0, v6
	s_bcnt1_i32_b32 s8, s8
	v_cmp_ne_u32_e64 s10, 0, v7
	s_bcnt1_i32_b32 s7, s7
	v_mov_b32_e32 v5, s71
	s_bcnt1_i32_b32 s9, s9
	s_add_i32 s7, s8, s7
	s_bcnt1_i32_b32 s8, s10
	s_add_i32 s7, s7, s9
	v_dual_mov_b32 v6, s68 :: v_dual_mov_b32 v7, s69
	s_add_i32 s7, s7, s8
	s_delay_alu instid0(SALU_CYCLE_1) | instskip(SKIP_1) | instid1(SALU_CYCLE_1)
	s_add_u32 s64, s64, s7
	s_addc_u32 s65, s65, 0
	v_dual_mov_b32 v8, s64 :: v_dual_mov_b32 v9, s65
	s_add_u32 s66, s66, s101
	s_addc_u32 s67, s67, s100
	s_or_b32 s102, vcc_lo, s102
	s_delay_alu instid0(SALU_CYCLE_1)
	s_and_not1_b32 exec_lo, exec_lo, s102
	s_cbranch_execnz .LBB192_45
; %bb.46:                               ;   in Loop: Header=BB192_6 Depth=1
	s_or_b32 exec_lo, exec_lo, s102
.LBB192_47:                             ;   in Loop: Header=BB192_6 Depth=1
	s_delay_alu instid0(SALU_CYCLE_1) | instskip(SKIP_3) | instid1(VALU_DEP_2)
	s_or_b32 exec_lo, exec_lo, s98
	v_add_co_u32 v28, vcc_lo, v28, v0
	v_add_co_ci_u32_e32 v29, vcc_lo, 0, v29, vcc_lo
	v_mov_b32_e32 v24, 0
	v_cmp_gt_u64_e32 vcc_lo, s[28:29], v[28:29]
	s_and_saveexec_b32 s8, vcc_lo
	s_cbranch_execz .LBB192_49
; %bb.48:                               ;   in Loop: Header=BB192_6 Depth=1
	v_mul_lo_u32 v12, v29, s38
	v_mul_lo_u32 v24, v28, s39
	v_mad_u64_u32 v[30:31], null, v28, s38, 0
	s_delay_alu instid0(VALU_DEP_1) | instskip(NEXT) | instid1(VALU_DEP_1)
	v_add3_u32 v31, v31, v24, v12
	v_lshlrev_b64 v[30:31], 2, v[30:31]
	s_delay_alu instid0(VALU_DEP_1) | instskip(NEXT) | instid1(VALU_DEP_1)
	v_add_co_u32 v30, s7, s52, v30
	v_add_co_ci_u32_e64 v31, s7, s53, v31, s7
	global_load_b32 v24, v[30:31], off
.LBB192_49:                             ;   in Loop: Header=BB192_6 Depth=1
	s_or_b32 exec_lo, exec_lo, s8
	s_and_saveexec_b32 s11, vcc_lo
	s_cbranch_execz .LBB192_56
; %bb.50:                               ;   in Loop: Header=BB192_6 Depth=1
	s_and_b32 s13, s91, 0xfe
	s_mov_b32 s12, 0
	s_branch .LBB192_52
.LBB192_51:                             ;   in Loop: Header=BB192_52 Depth=2
	s_or_b32 exec_lo, exec_lo, s8
	s_waitcnt vmcnt(0)
	v_cmp_lt_i32_e64 s7, -1, v24
	s_and_b32 s8, exec_lo, vcc_lo
	s_delay_alu instid0(SALU_CYCLE_1) | instskip(NEXT) | instid1(VALU_DEP_1)
	s_or_b32 s12, s8, s12
	v_cndmask_b32_e64 v30, -1, 0x80000000, s7
	v_cmp_o_f32_e64 s7, v24, v24
	s_delay_alu instid0(VALU_DEP_2) | instskip(NEXT) | instid1(VALU_DEP_1)
	v_xor_b32_e32 v30, v30, v24
	v_cndmask_b32_e64 v24, -1, v30, s7
	s_delay_alu instid0(VALU_DEP_1) | instskip(SKIP_1) | instid1(VALU_DEP_2)
	v_and_b32_e32 v30, v24, v39
	v_bfe_u32 v24, v24, s13, 2
	v_cmp_eq_u32_e32 vcc_lo, v30, v40
	s_delay_alu instid0(VALU_DEP_2) | instskip(SKIP_3) | instid1(VALU_DEP_4)
	v_cmp_eq_u32_e64 s7, 0, v24
	v_cmp_eq_u32_e64 s8, 1, v24
	;; [unrolled: 1-line block ×4, first 2 shown]
	s_and_b32 s7, vcc_lo, s7
	s_delay_alu instid0(SALU_CYCLE_1) | instskip(SKIP_1) | instid1(SALU_CYCLE_1)
	v_cndmask_b32_e64 v24, 0, 1, s7
	s_and_b32 s7, vcc_lo, s8
	v_cndmask_b32_e64 v30, 0, 1, s7
	s_and_b32 s7, vcc_lo, s9
	s_delay_alu instid0(SALU_CYCLE_1)
	v_cndmask_b32_e64 v31, 0, 1, s7
	s_and_b32 s7, vcc_lo, s10
	v_cmp_ne_u32_e32 vcc_lo, 0, v24
	v_cndmask_b32_e64 v41, 0, 1, s7
	v_cmp_ne_u32_e64 s7, 0, v30
	v_cmp_ne_u32_e64 s8, 0, v31
	v_mov_b32_e32 v24, v12
	s_bcnt1_i32_b32 s10, vcc_lo
	v_cmp_ne_u32_e64 s9, 0, v41
	v_add_co_u32 v2, vcc_lo, v2, s10
	s_bcnt1_i32_b32 s7, s7
	v_add_co_ci_u32_e32 v3, vcc_lo, 0, v3, vcc_lo
	v_add_co_u32 v4, vcc_lo, v4, s7
	s_bcnt1_i32_b32 s8, s8
	v_add_co_ci_u32_e32 v5, vcc_lo, 0, v5, vcc_lo
	;; [unrolled: 3-line block ×3, first 2 shown]
	v_add_co_u32 v8, vcc_lo, v8, s7
	v_add_co_ci_u32_e32 v9, vcc_lo, 0, v9, vcc_lo
	s_and_not1_b32 exec_lo, exec_lo, s12
	s_cbranch_execz .LBB192_55
.LBB192_52:                             ;   Parent Loop BB192_6 Depth=1
                                        ; =>  This Inner Loop Header: Depth=2
	v_add_co_u32 v28, vcc_lo, v28, s54
	v_add_co_ci_u32_e32 v29, vcc_lo, 0, v29, vcc_lo
	v_mov_b32_e32 v12, 0
	s_mov_b32 s8, exec_lo
	s_delay_alu instid0(VALU_DEP_2)
	v_cmp_le_u64_e32 vcc_lo, s[28:29], v[28:29]
	v_cmpx_gt_u64_e64 s[28:29], v[28:29]
	s_cbranch_execz .LBB192_51
; %bb.53:                               ;   in Loop: Header=BB192_52 Depth=2
	v_mul_lo_u32 v12, v29, s38
	v_mul_lo_u32 v41, v28, s39
	v_mad_u64_u32 v[30:31], null, v28, s38, 0
	s_delay_alu instid0(VALU_DEP_1) | instskip(NEXT) | instid1(VALU_DEP_1)
	v_add3_u32 v31, v31, v41, v12
	v_lshlrev_b64 v[30:31], 2, v[30:31]
	s_delay_alu instid0(VALU_DEP_1) | instskip(NEXT) | instid1(VALU_DEP_1)
	v_add_co_u32 v30, s7, s52, v30
	v_add_co_ci_u32_e64 v31, s7, s53, v31, s7
	global_load_b32 v12, v[30:31], off
	s_branch .LBB192_51
.LBB192_54:                             ;   in Loop: Header=BB192_6 Depth=1
                                        ; implicit-def: $vgpr8_vgpr9
                                        ; implicit-def: $vgpr4_vgpr5
	s_cbranch_execnz .LBB192_57
	s_branch .LBB192_66
.LBB192_55:                             ;   in Loop: Header=BB192_6 Depth=1
	s_or_b32 exec_lo, exec_lo, s12
.LBB192_56:                             ;   in Loop: Header=BB192_6 Depth=1
	s_delay_alu instid0(SALU_CYCLE_1)
	s_or_b32 exec_lo, exec_lo, s11
	s_branch .LBB192_66
.LBB192_57:                             ;   in Loop: Header=BB192_6 Depth=1
	global_load_u16 v8, v13, s[56:57]
	s_mov_b64 s[64:65], 0
	s_mov_b32 s72, exec_lo
	s_waitcnt vmcnt(0)
	v_readfirstlane_b32 s7, v8
	v_and_b32_e32 v24, 0xffff, v8
	s_delay_alu instid0(VALU_DEP_2) | instskip(NEXT) | instid1(SALU_CYCLE_1)
	s_and_b32 s7, 0xffff, s7
	s_lshl_b32 s63, s7, 2
	s_delay_alu instid0(SALU_CYCLE_1) | instskip(SKIP_1) | instid1(VALU_DEP_1)
	v_cvt_f32_u32_e32 v2, s63
	s_sub_i32 s8, 0, s63
	v_rcp_iflag_f32_e32 v2, v2
	s_waitcnt_depctr 0xfff
	v_mul_f32_e32 v2, 0x4f7ffffe, v2
	s_delay_alu instid0(VALU_DEP_1) | instskip(NEXT) | instid1(VALU_DEP_1)
	v_cvt_u32_f32_e32 v2, v2
	v_readfirstlane_b32 s7, v2
	v_mov_b32_e32 v2, 0
	v_mov_b32_e32 v3, 0
	s_delay_alu instid0(VALU_DEP_3) | instskip(NEXT) | instid1(VALU_DEP_1)
	s_mul_i32 s8, s8, s7
	v_dual_mov_b32 v5, v3 :: v_dual_mov_b32 v4, v2
	s_mul_hi_u32 s8, s7, s8
	v_dual_mov_b32 v7, v3 :: v_dual_mov_b32 v6, v2
	s_add_i32 s7, s7, s8
	v_dual_mov_b32 v9, v3 :: v_dual_mov_b32 v8, v2
	s_mul_hi_u32 s7, s62, s7
	s_delay_alu instid0(SALU_CYCLE_1) | instskip(NEXT) | instid1(SALU_CYCLE_1)
	s_mul_i32 s7, s7, s63
	s_sub_i32 s7, s62, s7
	s_delay_alu instid0(SALU_CYCLE_1) | instskip(SKIP_2) | instid1(SALU_CYCLE_1)
	s_sub_i32 s8, s7, s63
	s_cmp_ge_u32 s7, s63
	s_cselect_b32 s7, s8, s7
	s_sub_i32 s8, s7, s63
	s_cmp_ge_u32 s7, s63
	s_cselect_b32 s7, s8, s7
	s_delay_alu instid0(SALU_CYCLE_1) | instskip(NEXT) | instid1(SALU_CYCLE_1)
	s_sub_i32 s54, s62, s7
	v_cmpx_gt_u32_e64 s54, v14
	s_cbranch_execz .LBB192_61
; %bb.58:                               ;   in Loop: Header=BB192_6 Depth=1
	v_dual_mov_b32 v29, v15 :: v_dual_lshlrev_b32 v12, 4, v24
	v_mov_b32_e32 v30, v36
	v_mov_b32_e32 v28, v14
	s_and_b32 s73, s91, 0xfe
	s_mov_b32 s98, 0
	s_mov_b64 s[66:67], 0
	s_mov_b64 s[68:69], 0
	;; [unrolled: 1-line block ×3, first 2 shown]
.LBB192_59:                             ;   Parent Loop BB192_6 Depth=1
                                        ; =>  This Inner Loop Header: Depth=2
	ds_load_b128 v[2:5], v30
	v_add_co_u32 v28, vcc_lo, v28, s63
	v_add_co_ci_u32_e32 v29, vcc_lo, 0, v29, vcc_lo
	s_delay_alu instid0(VALU_DEP_1)
	v_cmp_le_u64_e32 vcc_lo, s[54:55], v[28:29]
	s_waitcnt lgkmcnt(0)
	v_cmp_lt_i32_e64 s7, -1, v2
	v_cmp_o_f32_e64 s10, v2, v2
	v_cmp_o_f32_e64 s8, v4, v4
	;; [unrolled: 1-line block ×3, first 2 shown]
	s_delay_alu instid0(VALU_DEP_4) | instskip(SKIP_1) | instid1(VALU_DEP_2)
	v_cndmask_b32_e64 v6, -1, 0x80000000, s7
	v_cmp_lt_i32_e64 s7, -1, v3
	v_xor_b32_e32 v6, v6, v2
	s_delay_alu instid0(VALU_DEP_2) | instskip(SKIP_1) | instid1(VALU_DEP_3)
	v_cndmask_b32_e64 v7, -1, 0x80000000, s7
	v_cmp_lt_i32_e64 s7, -1, v4
	v_cndmask_b32_e64 v2, -1, v6, s10
	s_delay_alu instid0(VALU_DEP_3) | instskip(NEXT) | instid1(VALU_DEP_3)
	v_xor_b32_e32 v7, v7, v3
	v_cndmask_b32_e64 v8, -1, 0x80000000, s7
	v_cmp_lt_i32_e64 s7, -1, v5
	s_delay_alu instid0(VALU_DEP_4) | instskip(SKIP_1) | instid1(VALU_DEP_3)
	v_and_b32_e32 v6, v2, v39
	v_bfe_u32 v2, v2, s73, 2
	v_cndmask_b32_e64 v9, -1, 0x80000000, s7
	v_cmp_o_f32_e64 s7, v3, v3
	v_xor_b32_e32 v3, v8, v4
	s_delay_alu instid0(VALU_DEP_4)
	v_cmp_eq_u32_e64 s11, 0, v2
	v_cmp_eq_u32_e64 s15, 1, v2
	v_xor_b32_e32 v4, v9, v5
	v_cndmask_b32_e64 v5, -1, v7, s7
	v_cndmask_b32_e64 v3, -1, v3, s8
	v_cmp_eq_u32_e64 s7, v6, v40
	v_cmp_eq_u32_e64 s19, 2, v2
	v_cndmask_b32_e64 v4, -1, v4, s9
	v_and_b32_e32 v7, v5, v39
	v_bfe_u32 v5, v5, s73, 2
	v_and_b32_e32 v8, v3, v39
	v_bfe_u32 v3, v3, s73, 2
	;; [unrolled: 2-line block ×3, first 2 shown]
	v_cmp_eq_u32_e64 s8, v7, v40
	v_cmp_eq_u32_e64 s12, 0, v5
	;; [unrolled: 1-line block ×4, first 2 shown]
	s_and_b32 s11, s7, s11
	v_cmp_eq_u32_e64 s10, v9, v40
	v_cmp_eq_u32_e64 s14, 0, v4
	v_cmp_eq_u32_e64 s23, 3, v2
	v_cndmask_b32_e64 v2, 0, 1, s11
	s_and_b32 s11, s8, s12
	v_cmp_eq_u32_e64 s17, 1, v3
	v_cmp_eq_u32_e64 s21, 2, v3
	v_cmp_eq_u32_e64 s25, 3, v3
	v_cndmask_b32_e64 v3, 0, 1, s11
	;; [unrolled: 5-line block ×4, first 2 shown]
	v_cmp_ne_u32_e64 s11, 0, v2
	v_cmp_ne_u32_e64 s12, 0, v3
	;; [unrolled: 1-line block ×3, first 2 shown]
	s_delay_alu instid0(VALU_DEP_4) | instskip(NEXT) | instid1(VALU_DEP_4)
	v_cmp_ne_u32_e64 s14, 0, v5
	s_bcnt1_i32_b32 s11, s11
	s_delay_alu instid0(VALU_DEP_3) | instskip(NEXT) | instid1(VALU_DEP_2)
	s_bcnt1_i32_b32 s12, s12
	s_bcnt1_i32_b32 s13, s13
	s_add_i32 s11, s12, s11
	s_bcnt1_i32_b32 s14, s14
	s_add_i32 s11, s11, s13
	s_delay_alu instid0(SALU_CYCLE_1) | instskip(NEXT) | instid1(SALU_CYCLE_1)
	s_add_i32 s11, s11, s14
	s_add_u32 s70, s70, s11
	s_addc_u32 s71, s71, 0
	s_and_b32 s11, s7, s15
	v_add_nc_u32_e32 v30, v30, v12
	v_cndmask_b32_e64 v2, 0, 1, s11
	s_and_b32 s11, s8, s16
	s_delay_alu instid0(SALU_CYCLE_1) | instskip(SKIP_1) | instid1(SALU_CYCLE_1)
	v_cndmask_b32_e64 v3, 0, 1, s11
	s_and_b32 s11, s9, s17
	v_cndmask_b32_e64 v4, 0, 1, s11
	s_and_b32 s11, s10, s18
	s_delay_alu instid0(VALU_DEP_2) | instskip(SKIP_3) | instid1(VALU_DEP_4)
	v_cmp_ne_u32_e64 s12, 0, v3
	v_cndmask_b32_e64 v5, 0, 1, s11
	v_cmp_ne_u32_e64 s11, 0, v2
	v_cmp_ne_u32_e64 s13, 0, v4
	s_bcnt1_i32_b32 s12, s12
	s_delay_alu instid0(VALU_DEP_3) | instskip(NEXT) | instid1(VALU_DEP_3)
	v_cmp_ne_u32_e64 s14, 0, v5
	s_bcnt1_i32_b32 s11, s11
	s_delay_alu instid0(VALU_DEP_2) | instskip(SKIP_1) | instid1(VALU_DEP_1)
	s_bcnt1_i32_b32 s13, s13
	s_add_i32 s11, s12, s11
	s_bcnt1_i32_b32 s14, s14
	s_add_i32 s11, s11, s13
	s_delay_alu instid0(SALU_CYCLE_1) | instskip(NEXT) | instid1(SALU_CYCLE_1)
	s_add_i32 s11, s11, s14
	s_add_u32 s68, s68, s11
	s_addc_u32 s69, s69, 0
	s_and_b32 s11, s7, s19
	s_delay_alu instid0(SALU_CYCLE_1) | instskip(SKIP_1) | instid1(SALU_CYCLE_1)
	v_cndmask_b32_e64 v2, 0, 1, s11
	s_and_b32 s11, s8, s20
	v_cndmask_b32_e64 v3, 0, 1, s11
	s_and_b32 s11, s9, s21
	s_delay_alu instid0(SALU_CYCLE_1) | instskip(SKIP_1) | instid1(VALU_DEP_2)
	v_cndmask_b32_e64 v4, 0, 1, s11
	s_and_b32 s11, s10, s22
	v_cmp_ne_u32_e64 s12, 0, v3
	v_cndmask_b32_e64 v5, 0, 1, s11
	v_cmp_ne_u32_e64 s11, 0, v2
	v_cmp_ne_u32_e64 s13, 0, v4
	s_delay_alu instid0(VALU_DEP_4) | instskip(NEXT) | instid1(VALU_DEP_3)
	s_bcnt1_i32_b32 s12, s12
	v_cmp_ne_u32_e64 s14, 0, v5
	s_delay_alu instid0(VALU_DEP_3) | instskip(NEXT) | instid1(VALU_DEP_2)
	s_bcnt1_i32_b32 s11, s11
	s_bcnt1_i32_b32 s13, s13
	s_add_i32 s11, s12, s11
	s_delay_alu instid0(VALU_DEP_1) | instskip(SKIP_1) | instid1(SALU_CYCLE_1)
	s_bcnt1_i32_b32 s14, s14
	s_add_i32 s11, s11, s13
	s_add_i32 s11, s11, s14
	s_delay_alu instid0(SALU_CYCLE_1) | instskip(SKIP_2) | instid1(SALU_CYCLE_1)
	s_add_u32 s66, s66, s11
	s_addc_u32 s67, s67, 0
	s_and_b32 s7, s7, s23
	v_cndmask_b32_e64 v2, 0, 1, s7
	s_and_b32 s7, s8, s24
	s_delay_alu instid0(SALU_CYCLE_1) | instskip(SKIP_1) | instid1(SALU_CYCLE_1)
	v_cndmask_b32_e64 v3, 0, 1, s7
	s_and_b32 s7, s9, s25
	v_cndmask_b32_e64 v4, 0, 1, s7
	s_and_b32 s7, s10, s26
	s_delay_alu instid0(VALU_DEP_2) | instskip(SKIP_4) | instid1(VALU_DEP_4)
	v_cmp_ne_u32_e64 s8, 0, v3
	v_cndmask_b32_e64 v5, 0, 1, s7
	v_cmp_ne_u32_e64 s7, 0, v2
	v_cmp_ne_u32_e64 s9, 0, v4
	v_dual_mov_b32 v2, s70 :: v_dual_mov_b32 v3, s71
	v_cmp_ne_u32_e64 s10, 0, v5
	s_delay_alu instid0(VALU_DEP_4)
	s_bcnt1_i32_b32 s7, s7
	s_bcnt1_i32_b32 s8, s8
	;; [unrolled: 1-line block ×3, first 2 shown]
	s_add_i32 s7, s8, s7
	s_bcnt1_i32_b32 s8, s10
	s_add_i32 s7, s7, s9
	v_mov_b32_e32 v4, s68
	s_add_i32 s7, s7, s8
	v_mov_b32_e32 v5, s69
	s_add_u32 s64, s64, s7
	s_addc_u32 s65, s65, 0
	v_mov_b32_e32 v6, s66
	v_dual_mov_b32 v8, s64 :: v_dual_mov_b32 v9, s65
	v_mov_b32_e32 v7, s67
	s_or_b32 s98, vcc_lo, s98
	s_delay_alu instid0(SALU_CYCLE_1)
	s_and_not1_b32 exec_lo, exec_lo, s98
	s_cbranch_execnz .LBB192_59
; %bb.60:                               ;   in Loop: Header=BB192_6 Depth=1
	s_or_b32 exec_lo, exec_lo, s98
.LBB192_61:                             ;   in Loop: Header=BB192_6 Depth=1
	s_delay_alu instid0(SALU_CYCLE_1) | instskip(SKIP_2) | instid1(VALU_DEP_1)
	s_or_b32 exec_lo, exec_lo, s72
	v_add_nc_u32_e32 v12, s54, v0
	s_mov_b32 s14, exec_lo
	v_cmpx_gt_u32_e64 s62, v12
	s_cbranch_execz .LBB192_65
; %bb.62:                               ;   in Loop: Header=BB192_6 Depth=1
	v_dual_mov_b32 v29, v13 :: v_dual_lshlrev_b32 v30, 2, v12
	v_mov_b32_e32 v28, v12
	s_mov_b32 s13, 0
	s_and_b32 s12, s62, 0x7fffffff
	s_and_b32 s16, s91, 0xfe
	s_mov_b32 s15, s13
.LBB192_63:                             ;   Parent Loop BB192_6 Depth=1
                                        ; =>  This Inner Loop Header: Depth=2
	ds_load_b32 v12, v30
	v_add_co_u32 v28, vcc_lo, v28, v24
	v_add_co_ci_u32_e32 v29, vcc_lo, 0, v29, vcc_lo
	v_add_nc_u32_e32 v30, s63, v30
	s_delay_alu instid0(VALU_DEP_2) | instskip(SKIP_2) | instid1(VALU_DEP_1)
	v_cmp_le_u64_e32 vcc_lo, s[12:13], v[28:29]
	s_waitcnt lgkmcnt(0)
	v_cmp_lt_i32_e64 s7, -1, v12
	v_cndmask_b32_e64 v31, -1, 0x80000000, s7
	v_cmp_o_f32_e64 s7, v12, v12
	s_delay_alu instid0(VALU_DEP_2) | instskip(NEXT) | instid1(VALU_DEP_1)
	v_xor_b32_e32 v31, v31, v12
	v_cndmask_b32_e64 v12, -1, v31, s7
	s_delay_alu instid0(VALU_DEP_1) | instskip(SKIP_1) | instid1(VALU_DEP_2)
	v_and_b32_e32 v31, v12, v39
	v_bfe_u32 v12, v12, s16, 2
	v_cmp_eq_u32_e64 s7, v31, v40
	s_delay_alu instid0(VALU_DEP_2) | instskip(SKIP_3) | instid1(VALU_DEP_4)
	v_cmp_eq_u32_e64 s8, 0, v12
	v_cmp_eq_u32_e64 s9, 1, v12
	;; [unrolled: 1-line block ×4, first 2 shown]
	s_and_b32 s8, s7, s8
	s_delay_alu instid0(SALU_CYCLE_1) | instskip(SKIP_1) | instid1(SALU_CYCLE_1)
	v_cndmask_b32_e64 v12, 0, 1, s8
	s_and_b32 s8, s7, s9
	v_cndmask_b32_e64 v31, 0, 1, s8
	s_and_b32 s8, s7, s10
	s_and_b32 s7, s7, s11
	v_cndmask_b32_e64 v41, 0, 1, s8
	v_cndmask_b32_e64 v42, 0, 1, s7
	v_cmp_ne_u32_e64 s7, 0, v12
	v_cmp_ne_u32_e64 s8, 0, v31
	s_delay_alu instid0(VALU_DEP_4) | instskip(NEXT) | instid1(VALU_DEP_4)
	v_cmp_ne_u32_e64 s9, 0, v41
	v_cmp_ne_u32_e64 s10, 0, v42
	s_delay_alu instid0(VALU_DEP_4) | instskip(NEXT) | instid1(VALU_DEP_3)
	s_bcnt1_i32_b32 s7, s7
	s_bcnt1_i32_b32 s8, s8
	v_add_co_u32 v2, s7, v2, s7
	s_delay_alu instid0(VALU_DEP_1)
	v_add_co_ci_u32_e64 v3, s7, 0, v3, s7
	v_add_co_u32 v4, s7, v4, s8
	s_bcnt1_i32_b32 s9, s9
	v_add_co_ci_u32_e64 v5, s7, 0, v5, s7
	v_add_co_u32 v6, s7, v6, s9
	s_bcnt1_i32_b32 s10, s10
	v_add_co_ci_u32_e64 v7, s7, 0, v7, s7
	v_add_co_u32 v8, s7, v8, s10
	s_delay_alu instid0(VALU_DEP_1) | instskip(SKIP_1) | instid1(SALU_CYCLE_1)
	v_add_co_ci_u32_e64 v9, s7, 0, v9, s7
	s_or_b32 s15, vcc_lo, s15
	s_and_not1_b32 exec_lo, exec_lo, s15
	s_cbranch_execnz .LBB192_63
; %bb.64:                               ;   in Loop: Header=BB192_6 Depth=1
	s_or_b32 exec_lo, exec_lo, s15
.LBB192_65:                             ;   in Loop: Header=BB192_6 Depth=1
	s_delay_alu instid0(SALU_CYCLE_1)
	s_or_b32 exec_lo, exec_lo, s14
.LBB192_66:                             ;   in Loop: Header=BB192_6 Depth=1
	s_lshl_b32 s7, s87, 7
	s_and_saveexec_b32 s8, s2
	s_cbranch_execz .LBB192_68
; %bb.67:                               ;   in Loop: Header=BB192_6 Depth=1
	v_or_b32_e32 v12, s7, v34
	s_delay_alu instid0(VALU_DEP_1)
	v_lshlrev_b32_e32 v12, 3, v12
	ds_store_b128 v12, v[2:5] offset:3072
	ds_store_b128 v12, v[6:9] offset:3088
.LBB192_68:                             ;   in Loop: Header=BB192_6 Depth=1
	s_or_b32 exec_lo, exec_lo, s8
	s_waitcnt vmcnt(0) lgkmcnt(0)
	s_barrier
	buffer_gl0_inv
	s_and_saveexec_b32 s8, s74
	s_cbranch_execz .LBB192_79
; %bb.69:                               ;   in Loop: Header=BB192_6 Depth=1
	v_mov_b32_e32 v2, 0
	v_mov_b32_e32 v3, 0
	s_and_not1_b32 vcc_lo, exec_lo, s82
	s_cbranch_vccnz .LBB192_78
; %bb.70:                               ;   in Loop: Header=BB192_6 Depth=1
	v_mov_b32_e32 v2, 0
	v_mov_b32_e32 v3, 0
	s_and_not1_b32 vcc_lo, exec_lo, s80
	s_cbranch_vccnz .LBB192_75
; %bb.71:                               ;   in Loop: Header=BB192_6 Depth=1
	v_lshl_add_u32 v4, s87, 10, v38
	s_mov_b32 s9, 0
	s_set_inst_prefetch_distance 0x1
	.p2align	6
.LBB192_72:                             ;   Parent Loop BB192_6 Depth=1
                                        ; =>  This Inner Loop Header: Depth=2
	ds_load_2addr_b64 v[5:8], v4 offset1:4
	ds_load_2addr_b64 v[28:31], v4 offset0:8 offset1:12
	ds_load_2addr_b64 v[41:44], v4 offset0:16 offset1:20
	s_add_i32 s9, s9, 8
	s_delay_alu instid0(SALU_CYCLE_1) | instskip(SKIP_3) | instid1(VALU_DEP_2)
	s_cmp_eq_u32 s81, s9
	s_waitcnt lgkmcnt(2)
	v_add_co_u32 v2, vcc_lo, v5, v2
	v_add_co_ci_u32_e32 v3, vcc_lo, v6, v3, vcc_lo
	v_add_co_u32 v2, vcc_lo, v7, v2
	s_delay_alu instid0(VALU_DEP_2)
	v_add_co_ci_u32_e32 v3, vcc_lo, v8, v3, vcc_lo
	ds_load_2addr_b64 v[5:8], v4 offset0:24 offset1:28
	s_waitcnt lgkmcnt(2)
	v_add_co_u32 v2, vcc_lo, v28, v2
	v_add_co_ci_u32_e32 v3, vcc_lo, v29, v3, vcc_lo
	v_add_nc_u32_e32 v4, 0x100, v4
	s_delay_alu instid0(VALU_DEP_3) | instskip(NEXT) | instid1(VALU_DEP_3)
	v_add_co_u32 v2, vcc_lo, v30, v2
	v_add_co_ci_u32_e32 v3, vcc_lo, v31, v3, vcc_lo
	s_waitcnt lgkmcnt(1)
	s_delay_alu instid0(VALU_DEP_2) | instskip(NEXT) | instid1(VALU_DEP_2)
	v_add_co_u32 v2, vcc_lo, v41, v2
	v_add_co_ci_u32_e32 v3, vcc_lo, v42, v3, vcc_lo
	s_delay_alu instid0(VALU_DEP_2) | instskip(NEXT) | instid1(VALU_DEP_2)
	v_add_co_u32 v2, vcc_lo, v43, v2
	v_add_co_ci_u32_e32 v3, vcc_lo, v44, v3, vcc_lo
	s_waitcnt lgkmcnt(0)
	s_delay_alu instid0(VALU_DEP_2) | instskip(NEXT) | instid1(VALU_DEP_2)
	v_add_co_u32 v2, vcc_lo, v5, v2
	v_add_co_ci_u32_e32 v3, vcc_lo, v6, v3, vcc_lo
	s_delay_alu instid0(VALU_DEP_2) | instskip(NEXT) | instid1(VALU_DEP_2)
	v_add_co_u32 v2, vcc_lo, v7, v2
	v_add_co_ci_u32_e32 v3, vcc_lo, v8, v3, vcc_lo
	s_cbranch_scc0 .LBB192_72
; %bb.73:                               ;   in Loop: Header=BB192_6 Depth=1
	s_set_inst_prefetch_distance 0x2
	s_mov_b32 s9, s81
	s_and_not1_b32 vcc_lo, exec_lo, s83
	s_cbranch_vccz .LBB192_76
	s_branch .LBB192_78
.LBB192_74:                             ;   in Loop: Header=BB192_6 Depth=1
                                        ; implicit-def: $vgpr2_vgpr3
	s_branch .LBB192_42
.LBB192_75:                             ;   in Loop: Header=BB192_6 Depth=1
	s_mov_b32 s9, 0
	s_and_not1_b32 vcc_lo, exec_lo, s83
	s_cbranch_vccnz .LBB192_78
.LBB192_76:                             ;   in Loop: Header=BB192_6 Depth=1
	s_lshl_b32 s10, s87, 10
	s_lshl_b32 s9, s9, 5
	s_delay_alu instid0(SALU_CYCLE_1)
	v_add3_u32 v4, s10, s9, v38
	s_mov_b32 s9, s79
.LBB192_77:                             ;   Parent Loop BB192_6 Depth=1
                                        ; =>  This Inner Loop Header: Depth=2
	ds_load_b64 v[5:6], v4
	v_add_nc_u32_e32 v4, 32, v4
	s_add_i32 s9, s9, -1
	s_delay_alu instid0(SALU_CYCLE_1)
	s_cmp_lg_u32 s9, 0
	s_waitcnt lgkmcnt(0)
	v_add_co_u32 v2, vcc_lo, v5, v2
	v_add_co_ci_u32_e32 v3, vcc_lo, v6, v3, vcc_lo
	s_cbranch_scc1 .LBB192_77
.LBB192_78:                             ;   in Loop: Header=BB192_6 Depth=1
	v_add_lshl_u32 v4, s7, v33, 3
	ds_store_b64 v4, v[2:3] offset:3072
.LBB192_79:                             ;   in Loop: Header=BB192_6 Depth=1
	s_or_b32 exec_lo, exec_lo, s8
	s_lshl_b32 s7, s7, 3
	s_waitcnt lgkmcnt(0)
	v_mov_b32_e32 v6, s7
	s_barrier
	buffer_gl0_inv
	s_and_b32 s22, s91, 0xfe
	v_cmp_eq_u64_e64 s7, 1, v[26:27]
	ds_load_b128 v[2:5], v6 offset:3072
	ds_load_b128 v[6:9], v6 offset:3088
	s_lshl_b32 s20, 3, s22
	s_and_not1_b32 vcc_lo, exec_lo, s43
	s_not_b32 s21, s20
	s_waitcnt lgkmcnt(1)
	v_readfirstlane_b32 s11, v3
	v_readfirstlane_b32 s10, v2
	;; [unrolled: 1-line block ×4, first 2 shown]
	s_waitcnt lgkmcnt(0)
	v_readfirstlane_b32 s15, v7
	v_readfirstlane_b32 s14, v6
	;; [unrolled: 1-line block ×4, first 2 shown]
	s_cbranch_vccnz .LBB192_95
; %bb.80:                               ;   in Loop: Header=BB192_6 Depth=1
	s_cmp_eq_u64 s[10:11], 1
	v_dual_mov_b32 v30, v40 :: v_dual_mov_b32 v31, v39
	v_mov_b32_e32 v5, v25
	s_cselect_b32 s8, -1, 0
                                        ; implicit-def: $sgpr23
                                        ; implicit-def: $sgpr62
                                        ; implicit-def: $sgpr54
	s_delay_alu instid0(SALU_CYCLE_1)
	s_and_b32 s65, s8, s7
	s_mov_b32 s8, -1
	s_and_saveexec_b32 s24, s65
	s_cbranch_execz .LBB192_114
; %bb.81:                               ;   in Loop: Header=BB192_6 Depth=1
	ds_load_b64 v[2:3], v13 offset:5120
	s_waitcnt lgkmcnt(0)
	s_barrier
	buffer_gl0_inv
	v_readfirstlane_b32 s18, v2
	v_readfirstlane_b32 s19, v3
	s_and_saveexec_b32 s8, s6
	s_cbranch_execz .LBB192_83
; %bb.82:                               ;   in Loop: Header=BB192_6 Depth=1
	ds_store_b32 v35, v13
.LBB192_83:                             ;   in Loop: Header=BB192_6 Depth=1
	s_or_b32 exec_lo, exec_lo, s8
	v_and_b32_e32 v30, s21, v40
	v_or_b32_e32 v31, s20, v39
	s_cmp_eq_u64 s[18:19], 0
	s_waitcnt lgkmcnt(0)
	s_barrier
	buffer_gl0_inv
	s_cbranch_scc1 .LBB192_97
; %bb.84:                               ;   in Loop: Header=BB192_6 Depth=1
	s_add_u32 s23, s76, s18
	s_addc_u32 s9, s77, s19
	s_mov_b32 s8, s55
	s_delay_alu instid0(SALU_CYCLE_1)
	s_cmp_lg_u64 s[8:9], 0
	s_cbranch_scc0 .LBB192_141
; %bb.85:                               ;   in Loop: Header=BB192_6 Depth=1
	v_cvt_f32_u32_e32 v2, s33
	s_sub_u32 s26, 0, s33
	s_subb_u32 s44, 0, 0
	s_delay_alu instid0(VALU_DEP_1) | instskip(NEXT) | instid1(VALU_DEP_1)
	v_fmac_f32_e64 v2, 0, 0x4f800000
	v_rcp_f32_e32 v2, v2
	s_waitcnt_depctr 0xfff
	v_mul_f32_e32 v2, 0x5f7ffffc, v2
	s_delay_alu instid0(VALU_DEP_1) | instskip(NEXT) | instid1(VALU_DEP_1)
	v_mul_f32_e32 v3, 0x2f800000, v2
	v_trunc_f32_e32 v3, v3
	s_delay_alu instid0(VALU_DEP_1) | instskip(SKIP_1) | instid1(VALU_DEP_2)
	v_fmac_f32_e32 v2, 0xcf800000, v3
	v_cvt_u32_f32_e32 v3, v3
	v_cvt_u32_f32_e32 v2, v2
	s_delay_alu instid0(VALU_DEP_2) | instskip(NEXT) | instid1(VALU_DEP_2)
	v_readfirstlane_b32 s8, v3
	v_readfirstlane_b32 s25, v2
	s_delay_alu instid0(VALU_DEP_2) | instskip(NEXT) | instid1(VALU_DEP_1)
	s_mul_i32 s45, s26, s8
	s_mul_hi_u32 s62, s26, s25
	s_mul_i32 s54, s44, s25
	s_add_i32 s45, s62, s45
	s_mul_i32 s63, s26, s25
	s_add_i32 s45, s45, s54
	s_mul_hi_u32 s62, s25, s63
	s_mul_hi_u32 s64, s8, s63
	s_mul_i32 s54, s8, s63
	s_mul_hi_u32 s63, s25, s45
	s_mul_i32 s25, s25, s45
	s_mul_hi_u32 s66, s8, s45
	s_add_u32 s25, s62, s25
	s_addc_u32 s62, 0, s63
	s_add_u32 s25, s25, s54
	s_mul_i32 s45, s8, s45
	s_addc_u32 s25, s62, s64
	s_addc_u32 s54, s66, 0
	s_add_u32 s25, s25, s45
	s_addc_u32 s45, 0, s54
	v_add_co_u32 v2, s25, v2, s25
	s_delay_alu instid0(VALU_DEP_1) | instskip(SKIP_1) | instid1(VALU_DEP_1)
	s_cmp_lg_u32 s25, 0
	s_addc_u32 s8, s8, s45
	v_readfirstlane_b32 s25, v2
	s_mul_i32 s45, s26, s8
	s_delay_alu instid0(VALU_DEP_1)
	s_mul_hi_u32 s54, s26, s25
	s_mul_i32 s44, s44, s25
	s_add_i32 s45, s54, s45
	s_mul_i32 s26, s26, s25
	s_add_i32 s45, s45, s44
	s_mul_hi_u32 s54, s8, s26
	s_mul_i32 s62, s8, s26
	s_mul_hi_u32 s26, s25, s26
	s_mul_hi_u32 s63, s25, s45
	s_mul_i32 s25, s25, s45
	s_mul_hi_u32 s44, s8, s45
	s_add_u32 s25, s26, s25
	s_addc_u32 s26, 0, s63
	s_add_u32 s25, s25, s62
	s_mul_i32 s45, s8, s45
	s_addc_u32 s25, s26, s54
	s_addc_u32 s26, s44, 0
	s_add_u32 s25, s25, s45
	s_addc_u32 s26, 0, s26
	v_add_co_u32 v2, s25, v2, s25
	s_delay_alu instid0(VALU_DEP_1) | instskip(SKIP_1) | instid1(VALU_DEP_1)
	s_cmp_lg_u32 s25, 0
	s_addc_u32 s8, s8, s26
	v_readfirstlane_b32 s25, v2
	s_mul_i32 s44, s23, s8
	s_mul_hi_u32 s26, s23, s8
	s_mul_hi_u32 s45, s9, s8
	s_mul_i32 s8, s9, s8
	s_mul_hi_u32 s54, s23, s25
	s_mul_hi_u32 s62, s9, s25
	s_mul_i32 s25, s9, s25
	s_add_u32 s44, s54, s44
	s_addc_u32 s26, 0, s26
	s_add_u32 s25, s44, s25
	s_addc_u32 s25, s26, s62
	s_addc_u32 s26, s45, 0
	s_add_u32 s8, s25, s8
	s_addc_u32 s25, 0, s26
	s_mul_hi_u32 s26, s33, s8
	s_mul_i32 s8, s33, s8
	s_mul_i32 s25, s33, s25
	v_sub_co_u32 v2, s8, s23, s8
	s_add_i32 s26, s26, s25
	s_cmp_lg_u32 s8, 0
	s_delay_alu instid0(VALU_DEP_1) | instskip(SKIP_2) | instid1(VALU_DEP_1)
	v_sub_co_u32 v3, s8, v2, s33
	s_subb_u32 s25, s9, s26
	s_cmp_lg_u32 s8, 0
	v_cmp_le_u32_e32 vcc_lo, s33, v3
	v_sub_co_u32 v4, s8, v3, s33
	s_subb_u32 s26, s25, 0
	s_cmp_lg_u32 s8, 0
	v_cndmask_b32_e64 v5, 0, -1, vcc_lo
	s_subb_u32 s8, s26, 0
	s_cmp_eq_u32 s26, 0
	v_mov_b32_e32 v7, s8
	s_cselect_b32 vcc_lo, -1, 0
	s_cmp_eq_u32 s25, 0
	v_cndmask_b32_e32 v5, -1, v5, vcc_lo
	v_cmp_le_u32_e32 vcc_lo, s33, v2
	s_cselect_b32 s8, -1, 0
	v_cndmask_b32_e64 v6, 0, -1, vcc_lo
	s_delay_alu instid0(VALU_DEP_3) | instskip(NEXT) | instid1(VALU_DEP_2)
	v_cmp_ne_u32_e32 vcc_lo, 0, v5
	v_cndmask_b32_e64 v5, -1, v6, s8
	v_cndmask_b32_e32 v6, s26, v7, vcc_lo
	v_cndmask_b32_e32 v4, v3, v4, vcc_lo
	s_delay_alu instid0(VALU_DEP_3) | instskip(NEXT) | instid1(VALU_DEP_3)
	v_cmp_ne_u32_e32 vcc_lo, 0, v5
	v_cndmask_b32_e32 v3, s25, v6, vcc_lo
	s_delay_alu instid0(VALU_DEP_3)
	v_cndmask_b32_e32 v2, v2, v4, vcc_lo
	s_cbranch_execnz .LBB192_87
.LBB192_86:                             ;   in Loop: Header=BB192_6 Depth=1
	v_cvt_f32_u32_e32 v2, s33
	s_sub_i32 s8, 0, s33
	s_delay_alu instid0(VALU_DEP_1) | instskip(SKIP_2) | instid1(VALU_DEP_1)
	v_rcp_iflag_f32_e32 v2, v2
	s_waitcnt_depctr 0xfff
	v_mul_f32_e32 v2, 0x4f7ffffe, v2
	v_cvt_u32_f32_e32 v2, v2
	s_delay_alu instid0(VALU_DEP_1) | instskip(NEXT) | instid1(VALU_DEP_1)
	v_mul_lo_u32 v3, s8, v2
	v_mul_hi_u32 v3, v2, v3
	s_delay_alu instid0(VALU_DEP_1) | instskip(NEXT) | instid1(VALU_DEP_1)
	v_add_nc_u32_e32 v2, v2, v3
	v_mul_hi_u32 v2, s23, v2
	s_delay_alu instid0(VALU_DEP_1) | instskip(NEXT) | instid1(VALU_DEP_1)
	v_mul_lo_u32 v2, v2, s33
	v_sub_nc_u32_e32 v2, s23, v2
	s_delay_alu instid0(VALU_DEP_1) | instskip(SKIP_1) | instid1(VALU_DEP_2)
	v_subrev_nc_u32_e32 v3, s33, v2
	v_cmp_le_u32_e32 vcc_lo, s33, v2
	v_cndmask_b32_e32 v2, v2, v3, vcc_lo
	s_delay_alu instid0(VALU_DEP_1) | instskip(SKIP_1) | instid1(VALU_DEP_2)
	v_subrev_nc_u32_e32 v3, s33, v2
	v_cmp_le_u32_e32 vcc_lo, s33, v2
	v_cndmask_b32_e32 v12, v2, v3, vcc_lo
	s_delay_alu instid0(VALU_DEP_1)
	v_dual_mov_b32 v2, v12 :: v_dual_mov_b32 v3, v13
.LBB192_87:                             ;   in Loop: Header=BB192_6 Depth=1
	s_delay_alu instid0(VALU_DEP_1) | instskip(NEXT) | instid1(VALU_DEP_2)
	v_sub_co_u32 v2, vcc_lo, s23, v2
	v_sub_co_ci_u32_e32 v3, vcc_lo, s9, v3, vcc_lo
	s_mov_b32 s8, 0
	s_mov_b32 s9, exec_lo
                                        ; implicit-def: $vgpr5
	s_delay_alu instid0(VALU_DEP_1)
	v_cmpx_gt_u64_e64 v[2:3], v[0:1]
	s_cbranch_execz .LBB192_99
; %bb.88:                               ;   in Loop: Header=BB192_6 Depth=1
	v_dual_mov_b32 v8, v14 :: v_dual_mov_b32 v7, v1
	v_mov_b32_e32 v6, v0
	s_mov_b32 s23, 0
                                        ; implicit-def: $sgpr25
	s_set_inst_prefetch_distance 0x1
	s_branch .LBB192_90
	.p2align	6
.LBB192_89:                             ;   in Loop: Header=BB192_90 Depth=2
	s_or_b32 exec_lo, exec_lo, s8
	s_waitcnt lgkmcnt(0)
	s_barrier
	buffer_gl0_inv
	ds_load_b64 v[4:5], v13 offset:3072
	v_add_co_u32 v6, vcc_lo, v6, s33
	v_add_co_ci_u32_e32 v7, vcc_lo, 0, v7, vcc_lo
	v_add_nc_u32_e32 v8, s84, v8
	s_waitcnt lgkmcnt(0)
	s_barrier
	s_delay_alu instid0(VALU_DEP_2) | instskip(SKIP_2) | instid1(VALU_DEP_1)
	v_cmp_ge_u64_e32 vcc_lo, v[6:7], v[2:3]
	buffer_gl0_inv
	v_cmp_neq_f32_e64 s8, 0, v4
	s_or_b32 s26, vcc_lo, s8
	s_delay_alu instid0(SALU_CYCLE_1) | instskip(NEXT) | instid1(SALU_CYCLE_1)
	s_and_b32 s26, exec_lo, s26
	s_or_b32 s23, s26, s23
	s_and_not1_b32 s25, s25, exec_lo
	s_and_b32 s8, s8, exec_lo
	s_delay_alu instid0(SALU_CYCLE_1)
	s_or_b32 s25, s25, s8
	s_and_not1_b32 exec_lo, exec_lo, s23
	s_cbranch_execz .LBB192_98
.LBB192_90:                             ;   Parent Loop BB192_6 Depth=1
                                        ; =>  This Inner Loop Header: Depth=2
	s_delay_alu instid0(VALU_DEP_1)
	v_cmp_gt_u64_e32 vcc_lo, s[18:19], v[6:7]
	v_mov_b32_e32 v24, 0
	s_and_saveexec_b32 s8, vcc_lo
	s_cbranch_execz .LBB192_92
; %bb.91:                               ;   in Loop: Header=BB192_90 Depth=2
	ds_load_b32 v24, v8
.LBB192_92:                             ;   in Loop: Header=BB192_90 Depth=2
	s_or_b32 exec_lo, exec_lo, s8
	s_and_saveexec_b32 s8, vcc_lo
	s_cbranch_execz .LBB192_89
; %bb.93:                               ;   in Loop: Header=BB192_90 Depth=2
	s_waitcnt lgkmcnt(0)
	v_cmp_lt_i32_e32 vcc_lo, -1, v24
	v_cndmask_b32_e64 v4, -1, 0x80000000, vcc_lo
	v_cmp_o_f32_e32 vcc_lo, v24, v24
	s_delay_alu instid0(VALU_DEP_2) | instskip(NEXT) | instid1(VALU_DEP_1)
	v_xor_b32_e32 v4, v4, v24
	v_cndmask_b32_e32 v4, -1, v4, vcc_lo
	s_delay_alu instid0(VALU_DEP_1) | instskip(NEXT) | instid1(VALU_DEP_1)
	v_and_b32_e32 v4, v4, v31
	v_cmp_eq_u32_e32 vcc_lo, v4, v30
	s_and_b32 exec_lo, exec_lo, vcc_lo
	s_cbranch_execz .LBB192_89
; %bb.94:                               ;   in Loop: Header=BB192_90 Depth=2
	ds_store_b64 v13, v[23:24] offset:3072
	s_branch .LBB192_89
.LBB192_95:                             ;   in Loop: Header=BB192_6 Depth=1
	s_mov_b32 s25, 0
	s_mov_b32 s24, 0
                                        ; implicit-def: $sgpr54
                                        ; implicit-def: $sgpr62
                                        ; implicit-def: $sgpr23
                                        ; implicit-def: $vgpr8
                                        ; implicit-def: $vgpr2_vgpr3
                                        ; implicit-def: $vgpr30
                                        ; implicit-def: $vgpr31
                                        ; implicit-def: $vgpr5
	s_cbranch_execnz .LBB192_278
.LBB192_96:                             ;   in Loop: Header=BB192_6 Depth=1
	s_mov_b32 s18, s23
	s_mov_b32 s19, s23
	s_and_saveexec_b32 s7, s25
	s_cbranch_execnz .LBB192_474
	s_branch .LBB192_475
.LBB192_97:                             ;   in Loop: Header=BB192_6 Depth=1
	s_mov_b32 s23, -1
	s_mov_b32 s8, 0
                                        ; implicit-def: $sgpr54
                                        ; implicit-def: $vgpr5
	s_mov_b32 s62, s23
	s_cbranch_execnz .LBB192_100
	s_branch .LBB192_113
.LBB192_98:                             ;   in Loop: Header=BB192_6 Depth=1
	s_set_inst_prefetch_distance 0x2
	s_or_b32 exec_lo, exec_lo, s23
	s_delay_alu instid0(SALU_CYCLE_1)
	s_and_b32 s8, s25, exec_lo
.LBB192_99:                             ;   in Loop: Header=BB192_6 Depth=1
	s_or_b32 exec_lo, exec_lo, s9
	s_mov_b32 s54, -1
	s_mov_b32 s23, 0
	s_delay_alu instid0(SALU_CYCLE_1)
	s_mov_b32 s62, s23
	s_branch .LBB192_113
.LBB192_100:                            ;   in Loop: Header=BB192_6 Depth=1
	s_mov_b32 s26, s55
	s_delay_alu instid0(SALU_CYCLE_1)
	s_cmp_lg_u64 s[26:27], 0
	s_cbranch_scc0 .LBB192_142
; %bb.101:                              ;   in Loop: Header=BB192_6 Depth=1
	v_cvt_f32_u32_e32 v2, s33
	s_sub_u32 s18, 0, s33
	s_subb_u32 s19, 0, 0
	s_delay_alu instid0(VALU_DEP_1) | instskip(NEXT) | instid1(VALU_DEP_1)
	v_fmac_f32_e64 v2, 0, 0x4f800000
	v_rcp_f32_e32 v2, v2
	s_waitcnt_depctr 0xfff
	v_mul_f32_e32 v2, 0x5f7ffffc, v2
	s_delay_alu instid0(VALU_DEP_1) | instskip(NEXT) | instid1(VALU_DEP_1)
	v_mul_f32_e32 v3, 0x2f800000, v2
	v_trunc_f32_e32 v3, v3
	s_delay_alu instid0(VALU_DEP_1) | instskip(SKIP_1) | instid1(VALU_DEP_2)
	v_fmac_f32_e32 v2, 0xcf800000, v3
	v_cvt_u32_f32_e32 v3, v3
	v_cvt_u32_f32_e32 v2, v2
	s_delay_alu instid0(VALU_DEP_2) | instskip(NEXT) | instid1(VALU_DEP_2)
	v_readfirstlane_b32 s8, v3
	v_readfirstlane_b32 s9, v2
	s_delay_alu instid0(VALU_DEP_2) | instskip(NEXT) | instid1(VALU_DEP_1)
	s_mul_i32 s23, s18, s8
	s_mul_hi_u32 s26, s18, s9
	s_mul_i32 s25, s19, s9
	s_add_i32 s23, s26, s23
	s_mul_i32 s44, s18, s9
	s_add_i32 s23, s23, s25
	s_mul_hi_u32 s26, s9, s44
	s_mul_hi_u32 s45, s8, s44
	s_mul_i32 s25, s8, s44
	s_mul_hi_u32 s44, s9, s23
	s_mul_i32 s9, s9, s23
	s_mul_hi_u32 s54, s8, s23
	s_add_u32 s9, s26, s9
	s_addc_u32 s26, 0, s44
	s_add_u32 s9, s9, s25
	s_mul_i32 s23, s8, s23
	s_addc_u32 s9, s26, s45
	s_addc_u32 s25, s54, 0
	s_add_u32 s9, s9, s23
	s_addc_u32 s23, 0, s25
	v_add_co_u32 v2, s9, v2, s9
	s_delay_alu instid0(VALU_DEP_1) | instskip(SKIP_1) | instid1(VALU_DEP_1)
	s_cmp_lg_u32 s9, 0
	s_addc_u32 s8, s8, s23
	v_readfirstlane_b32 s9, v2
	s_mul_i32 s23, s18, s8
	s_delay_alu instid0(VALU_DEP_1)
	s_mul_hi_u32 s25, s18, s9
	s_mul_i32 s19, s19, s9
	s_add_i32 s23, s25, s23
	s_mul_i32 s18, s18, s9
	s_add_i32 s23, s23, s19
	s_mul_hi_u32 s25, s8, s18
	s_mul_i32 s26, s8, s18
	s_mul_hi_u32 s18, s9, s18
	s_mul_hi_u32 s44, s9, s23
	s_mul_i32 s9, s9, s23
	s_mul_hi_u32 s19, s8, s23
	s_add_u32 s9, s18, s9
	s_addc_u32 s18, 0, s44
	s_add_u32 s9, s9, s26
	s_mul_i32 s23, s8, s23
	s_addc_u32 s9, s18, s25
	s_addc_u32 s18, s19, 0
	s_add_u32 s9, s9, s23
	s_addc_u32 s18, 0, s18
	v_add_co_u32 v2, s9, v2, s9
	s_delay_alu instid0(VALU_DEP_1) | instskip(SKIP_1) | instid1(VALU_DEP_1)
	s_cmp_lg_u32 s9, 0
	s_addc_u32 s8, s8, s18
	v_readfirstlane_b32 s9, v2
	s_mul_i32 s19, s78, s8
	s_mul_hi_u32 s18, s78, s8
	s_mul_hi_u32 s23, s27, s8
	s_mul_i32 s8, s27, s8
	s_mul_hi_u32 s25, s78, s9
	s_mul_hi_u32 s26, s27, s9
	s_mul_i32 s9, s27, s9
	s_add_u32 s19, s25, s19
	s_addc_u32 s18, 0, s18
	s_add_u32 s9, s19, s9
	s_addc_u32 s9, s18, s26
	s_addc_u32 s18, s23, 0
	s_add_u32 s8, s9, s8
	s_addc_u32 s9, 0, s18
	s_mul_hi_u32 s18, s33, s8
	s_mul_i32 s8, s33, s8
	s_mul_i32 s9, s33, s9
	v_sub_co_u32 v2, s8, s78, s8
	s_add_i32 s18, s18, s9
	s_cmp_lg_u32 s8, 0
	s_delay_alu instid0(VALU_DEP_1) | instskip(SKIP_2) | instid1(VALU_DEP_1)
	v_sub_co_u32 v3, s8, v2, s33
	s_subb_u32 s9, s27, s18
	s_cmp_lg_u32 s8, 0
	v_cmp_le_u32_e32 vcc_lo, s33, v3
	v_sub_co_u32 v4, s8, v3, s33
	s_subb_u32 s18, s9, 0
	s_cmp_lg_u32 s8, 0
	v_cndmask_b32_e64 v5, 0, -1, vcc_lo
	s_subb_u32 s8, s18, 0
	s_cmp_eq_u32 s18, 0
	v_mov_b32_e32 v7, s8
	s_cselect_b32 vcc_lo, -1, 0
	s_cmp_eq_u32 s9, 0
	v_cndmask_b32_e32 v5, -1, v5, vcc_lo
	v_cmp_le_u32_e32 vcc_lo, s33, v2
	s_cselect_b32 s8, -1, 0
	v_cndmask_b32_e64 v6, 0, -1, vcc_lo
	s_delay_alu instid0(VALU_DEP_3) | instskip(NEXT) | instid1(VALU_DEP_2)
	v_cmp_ne_u32_e32 vcc_lo, 0, v5
	v_cndmask_b32_e64 v5, -1, v6, s8
	v_cndmask_b32_e32 v6, s18, v7, vcc_lo
	v_cndmask_b32_e32 v4, v3, v4, vcc_lo
	s_delay_alu instid0(VALU_DEP_3) | instskip(NEXT) | instid1(VALU_DEP_3)
	v_cmp_ne_u32_e32 vcc_lo, 0, v5
	v_cndmask_b32_e32 v3, s9, v6, vcc_lo
	s_delay_alu instid0(VALU_DEP_3)
	v_cndmask_b32_e32 v2, v2, v4, vcc_lo
	s_cbranch_execnz .LBB192_103
.LBB192_102:                            ;   in Loop: Header=BB192_6 Depth=1
	v_cvt_f32_u32_e32 v2, s33
	s_sub_i32 s8, 0, s33
	s_delay_alu instid0(VALU_DEP_1) | instskip(SKIP_2) | instid1(VALU_DEP_1)
	v_rcp_iflag_f32_e32 v2, v2
	s_waitcnt_depctr 0xfff
	v_mul_f32_e32 v2, 0x4f7ffffe, v2
	v_cvt_u32_f32_e32 v2, v2
	s_delay_alu instid0(VALU_DEP_1) | instskip(NEXT) | instid1(VALU_DEP_1)
	v_mul_lo_u32 v3, s8, v2
	v_mul_hi_u32 v3, v2, v3
	s_delay_alu instid0(VALU_DEP_1) | instskip(NEXT) | instid1(VALU_DEP_1)
	v_add_nc_u32_e32 v2, v2, v3
	v_mul_hi_u32 v2, s78, v2
	s_delay_alu instid0(VALU_DEP_1) | instskip(NEXT) | instid1(VALU_DEP_1)
	v_mul_lo_u32 v2, v2, s33
	v_sub_nc_u32_e32 v2, s78, v2
	s_delay_alu instid0(VALU_DEP_1) | instskip(SKIP_1) | instid1(VALU_DEP_2)
	v_subrev_nc_u32_e32 v3, s33, v2
	v_cmp_le_u32_e32 vcc_lo, s33, v2
	v_cndmask_b32_e32 v2, v2, v3, vcc_lo
	s_delay_alu instid0(VALU_DEP_1) | instskip(SKIP_1) | instid1(VALU_DEP_2)
	v_subrev_nc_u32_e32 v3, s33, v2
	v_cmp_le_u32_e32 vcc_lo, s33, v2
	v_cndmask_b32_e32 v12, v2, v3, vcc_lo
	s_delay_alu instid0(VALU_DEP_1)
	v_dual_mov_b32 v2, v12 :: v_dual_mov_b32 v3, v13
.LBB192_103:                            ;   in Loop: Header=BB192_6 Depth=1
	s_delay_alu instid0(VALU_DEP_1) | instskip(NEXT) | instid1(VALU_DEP_2)
	v_sub_co_u32 v2, vcc_lo, s78, v2
	v_sub_co_ci_u32_e32 v3, vcc_lo, s27, v3, vcc_lo
	s_mov_b32 s8, 0
	s_mov_b32 s9, exec_lo
                                        ; implicit-def: $vgpr5
	s_delay_alu instid0(VALU_DEP_1)
	v_cmpx_gt_u64_e64 v[2:3], v[0:1]
	s_cbranch_execz .LBB192_112
; %bb.104:                              ;   in Loop: Header=BB192_6 Depth=1
	v_dual_mov_b32 v6, v10 :: v_dual_mov_b32 v7, v11
	v_dual_mov_b32 v9, v1 :: v_dual_mov_b32 v8, v0
	s_mov_b32 s18, 0
                                        ; implicit-def: $sgpr19
	s_set_inst_prefetch_distance 0x1
	s_branch .LBB192_106
	.p2align	6
.LBB192_105:                            ;   in Loop: Header=BB192_106 Depth=2
	s_or_b32 exec_lo, exec_lo, s8
	s_waitcnt vmcnt(0) lgkmcnt(0)
	s_barrier
	buffer_gl0_inv
	ds_load_b64 v[4:5], v13 offset:3072
	v_add_co_u32 v8, vcc_lo, v8, s33
	v_add_co_ci_u32_e32 v9, vcc_lo, 0, v9, vcc_lo
	s_waitcnt lgkmcnt(0)
	s_barrier
	buffer_gl0_inv
	v_cmp_ge_u64_e32 vcc_lo, v[8:9], v[2:3]
	v_cmp_neq_f32_e64 s8, 0, v4
	s_delay_alu instid0(VALU_DEP_1)
	s_or_b32 s23, vcc_lo, s8
	v_add_co_u32 v6, vcc_lo, v6, s34
	s_and_b32 s23, exec_lo, s23
	v_add_co_ci_u32_e32 v7, vcc_lo, s35, v7, vcc_lo
	s_or_b32 s18, s23, s18
	s_and_not1_b32 s19, s19, exec_lo
	s_and_b32 s8, s8, exec_lo
	s_delay_alu instid0(SALU_CYCLE_1)
	s_or_b32 s19, s19, s8
	s_and_not1_b32 exec_lo, exec_lo, s18
	s_cbranch_execz .LBB192_111
.LBB192_106:                            ;   Parent Loop BB192_6 Depth=1
                                        ; =>  This Inner Loop Header: Depth=2
	s_delay_alu instid0(VALU_DEP_1)
	v_cmp_gt_u64_e32 vcc_lo, s[28:29], v[8:9]
	v_mov_b32_e32 v24, 0
	s_and_saveexec_b32 s8, vcc_lo
	s_cbranch_execz .LBB192_108
; %bb.107:                              ;   in Loop: Header=BB192_106 Depth=2
	global_load_b32 v24, v[6:7], off
.LBB192_108:                            ;   in Loop: Header=BB192_106 Depth=2
	s_or_b32 exec_lo, exec_lo, s8
	s_and_saveexec_b32 s8, vcc_lo
	s_cbranch_execz .LBB192_105
; %bb.109:                              ;   in Loop: Header=BB192_106 Depth=2
	s_waitcnt vmcnt(0)
	v_cmp_lt_i32_e32 vcc_lo, -1, v24
	v_cndmask_b32_e64 v4, -1, 0x80000000, vcc_lo
	v_cmp_o_f32_e32 vcc_lo, v24, v24
	s_delay_alu instid0(VALU_DEP_2) | instskip(NEXT) | instid1(VALU_DEP_1)
	v_xor_b32_e32 v4, v4, v24
	v_cndmask_b32_e32 v4, -1, v4, vcc_lo
	s_delay_alu instid0(VALU_DEP_1) | instskip(NEXT) | instid1(VALU_DEP_1)
	v_and_b32_e32 v4, v4, v31
	v_cmp_eq_u32_e32 vcc_lo, v4, v30
	s_and_b32 exec_lo, exec_lo, vcc_lo
	s_cbranch_execz .LBB192_105
; %bb.110:                              ;   in Loop: Header=BB192_106 Depth=2
	ds_store_b64 v13, v[23:24] offset:3072
	s_branch .LBB192_105
.LBB192_111:                            ;   in Loop: Header=BB192_6 Depth=1
	s_set_inst_prefetch_distance 0x2
	s_or_b32 exec_lo, exec_lo, s18
	s_delay_alu instid0(SALU_CYCLE_1)
	s_and_b32 s8, s19, exec_lo
.LBB192_112:                            ;   in Loop: Header=BB192_6 Depth=1
	s_or_b32 exec_lo, exec_lo, s9
	s_mov_b32 s62, -1
	s_mov_b32 s23, 0
	s_mov_b32 s54, 0
.LBB192_113:                            ;   in Loop: Header=BB192_6 Depth=1
	s_or_not1_b32 s8, s8, exec_lo
.LBB192_114:                            ;   in Loop: Header=BB192_6 Depth=1
	s_or_b32 exec_lo, exec_lo, s24
	s_mov_b32 s63, 0
	s_mov_b32 s25, 0
	;; [unrolled: 1-line block ×3, first 2 shown]
                                        ; implicit-def: $vgpr8
                                        ; implicit-def: $vgpr2_vgpr3
	s_and_saveexec_b32 s64, s8
	s_cbranch_execz .LBB192_277
; %bb.115:                              ;   in Loop: Header=BB192_6 Depth=1
	v_mov_b32_e32 v2, 1
	v_dual_mov_b32 v3, 0 :: v_dual_mov_b32 v8, 1
	s_xor_b32 s9, s65, -1
	s_delay_alu instid0(SALU_CYCLE_1)
	s_and_saveexec_b32 s8, s9
	s_cbranch_execz .LBB192_125
; %bb.116:                              ;   in Loop: Header=BB192_6 Depth=1
	s_mov_b32 s18, exec_lo
                                        ; implicit-def: $sgpr19
                                        ; implicit-def: $sgpr9
	v_cmpx_ge_u64_e64 s[10:11], v[26:27]
	s_xor_b32 s18, exec_lo, s18
	s_cbranch_execz .LBB192_122
; %bb.117:                              ;   in Loop: Header=BB192_6 Depth=1
	ds_load_b64 v[2:3], v13 offset:5120
	s_waitcnt lgkmcnt(0)
	v_cmp_ne_u64_e32 vcc_lo, 0, v[2:3]
	s_cbranch_vccnz .LBB192_121
; %bb.118:                              ;   in Loop: Header=BB192_6 Depth=1
	s_and_saveexec_b32 s9, s5
	s_cbranch_execz .LBB192_120
; %bb.119:                              ;   in Loop: Header=BB192_6 Depth=1
	v_dual_mov_b32 v2, s10 :: v_dual_mov_b32 v3, s11
	ds_store_b64 v13, v[2:3] offset:5128
.LBB192_120:                            ;   in Loop: Header=BB192_6 Depth=1
	s_or_b32 exec_lo, exec_lo, s9
	s_waitcnt lgkmcnt(0)
	s_barrier
	buffer_gl0_inv
.LBB192_121:                            ;   in Loop: Header=BB192_6 Depth=1
	v_and_b32_e32 v30, s21, v30
	v_or_b32_e32 v31, s20, v31
	s_mov_b32 s9, 0
	s_mov_b32 s19, 8
.LBB192_122:                            ;   in Loop: Header=BB192_6 Depth=1
	s_or_saveexec_b32 s18, s18
	v_mov_b32_e32 v2, v26
	v_dual_mov_b32 v8, s19 :: v_dual_mov_b32 v3, v27
	s_xor_b32 exec_lo, exec_lo, s18
; %bb.123:                              ;   in Loop: Header=BB192_6 Depth=1
	v_sub_co_u32 v2, vcc_lo, v26, s10
	v_subrev_co_ci_u32_e32 v3, vcc_lo, s11, v27, vcc_lo
	v_mov_b32_e32 v8, 0
	s_or_b32 s9, s9, exec_lo
; %bb.124:                              ;   in Loop: Header=BB192_6 Depth=1
	s_or_b32 exec_lo, exec_lo, s18
	s_delay_alu instid0(SALU_CYCLE_1)
	s_and_b32 s24, s9, exec_lo
.LBB192_125:                            ;   in Loop: Header=BB192_6 Depth=1
	s_or_b32 exec_lo, exec_lo, s8
	s_mov_b32 s25, -1
                                        ; implicit-def: $sgpr9
                                        ; implicit-def: $sgpr18
                                        ; implicit-def: $sgpr19
	s_and_saveexec_b32 s8, s24
	s_delay_alu instid0(SALU_CYCLE_1)
	s_xor_b32 s24, exec_lo, s8
	s_cbranch_execz .LBB192_274
; %bb.126:                              ;   in Loop: Header=BB192_6 Depth=1
	v_cmp_eq_u64_e32 vcc_lo, 1, v[2:3]
	s_cmp_eq_u64 s[12:13], 1
                                        ; implicit-def: $sgpr25
                                        ; implicit-def: $sgpr66
                                        ; implicit-def: $sgpr65
	s_cselect_b32 s8, -1, 0
	s_delay_alu instid0(SALU_CYCLE_1)
	s_and_b32 s68, s8, vcc_lo
	s_mov_b32 s8, -1
	s_and_saveexec_b32 s67, s68
	s_cbranch_execz .LBB192_160
; %bb.127:                              ;   in Loop: Header=BB192_6 Depth=1
	ds_load_b64 v[4:5], v13 offset:5120
	s_waitcnt lgkmcnt(0)
	s_barrier
	buffer_gl0_inv
	v_readfirstlane_b32 s18, v4
	v_readfirstlane_b32 s19, v5
	s_and_saveexec_b32 s8, s6
	s_cbranch_execz .LBB192_129
; %bb.128:                              ;   in Loop: Header=BB192_6 Depth=1
	ds_store_b32 v35, v13
.LBB192_129:                            ;   in Loop: Header=BB192_6 Depth=1
	s_or_b32 exec_lo, exec_lo, s8
	s_lshl_b32 s8, 1, s22
	v_or_b32_e32 v31, s20, v31
	v_and_or_b32 v30, v30, s21, s8
	s_cmp_eq_u64 s[18:19], 0
	s_waitcnt lgkmcnt(0)
	s_barrier
	buffer_gl0_inv
	s_cbranch_scc1 .LBB192_143
; %bb.130:                              ;   in Loop: Header=BB192_6 Depth=1
	s_add_u32 s25, s76, s18
	s_addc_u32 s9, s77, s19
	s_mov_b32 s8, s55
	s_delay_alu instid0(SALU_CYCLE_1)
	s_cmp_lg_u64 s[8:9], 0
	s_cbranch_scc0 .LBB192_187
; %bb.131:                              ;   in Loop: Header=BB192_6 Depth=1
	v_cvt_f32_u32_e32 v4, s33
	s_sub_u32 s65, 0, s33
	s_subb_u32 s66, 0, 0
	s_delay_alu instid0(VALU_DEP_1) | instskip(NEXT) | instid1(VALU_DEP_1)
	v_fmac_f32_e64 v4, 0, 0x4f800000
	v_rcp_f32_e32 v4, v4
	s_waitcnt_depctr 0xfff
	v_mul_f32_e32 v4, 0x5f7ffffc, v4
	s_delay_alu instid0(VALU_DEP_1) | instskip(NEXT) | instid1(VALU_DEP_1)
	v_mul_f32_e32 v5, 0x2f800000, v4
	v_trunc_f32_e32 v5, v5
	s_delay_alu instid0(VALU_DEP_1) | instskip(SKIP_1) | instid1(VALU_DEP_2)
	v_fmac_f32_e32 v4, 0xcf800000, v5
	v_cvt_u32_f32_e32 v5, v5
	v_cvt_u32_f32_e32 v4, v4
	s_delay_alu instid0(VALU_DEP_2) | instskip(NEXT) | instid1(VALU_DEP_2)
	v_readfirstlane_b32 s8, v5
	v_readfirstlane_b32 s26, v4
	s_delay_alu instid0(VALU_DEP_2) | instskip(NEXT) | instid1(VALU_DEP_1)
	s_mul_i32 s69, s65, s8
	s_mul_hi_u32 s71, s65, s26
	s_mul_i32 s70, s66, s26
	s_add_i32 s69, s71, s69
	s_mul_i32 s72, s65, s26
	s_add_i32 s69, s69, s70
	s_mul_hi_u32 s71, s26, s72
	s_mul_hi_u32 s73, s8, s72
	s_mul_i32 s70, s8, s72
	s_mul_hi_u32 s72, s26, s69
	s_mul_i32 s26, s26, s69
	s_mul_hi_u32 s98, s8, s69
	s_add_u32 s26, s71, s26
	s_addc_u32 s71, 0, s72
	s_add_u32 s26, s26, s70
	s_mul_i32 s69, s8, s69
	s_addc_u32 s26, s71, s73
	s_addc_u32 s70, s98, 0
	s_add_u32 s26, s26, s69
	s_addc_u32 s69, 0, s70
	v_add_co_u32 v4, s26, v4, s26
	s_delay_alu instid0(VALU_DEP_1) | instskip(SKIP_1) | instid1(VALU_DEP_1)
	s_cmp_lg_u32 s26, 0
	s_addc_u32 s8, s8, s69
	v_readfirstlane_b32 s26, v4
	s_mul_i32 s69, s65, s8
	s_delay_alu instid0(VALU_DEP_1)
	s_mul_hi_u32 s70, s65, s26
	s_mul_i32 s66, s66, s26
	s_add_i32 s69, s70, s69
	s_mul_i32 s65, s65, s26
	s_add_i32 s69, s69, s66
	s_mul_hi_u32 s70, s8, s65
	s_mul_i32 s71, s8, s65
	s_mul_hi_u32 s65, s26, s65
	s_mul_hi_u32 s72, s26, s69
	s_mul_i32 s26, s26, s69
	s_mul_hi_u32 s66, s8, s69
	s_add_u32 s26, s65, s26
	s_addc_u32 s65, 0, s72
	s_add_u32 s26, s26, s71
	s_mul_i32 s69, s8, s69
	s_addc_u32 s26, s65, s70
	s_addc_u32 s65, s66, 0
	s_add_u32 s26, s26, s69
	s_addc_u32 s65, 0, s65
	v_add_co_u32 v4, s26, v4, s26
	s_delay_alu instid0(VALU_DEP_1) | instskip(SKIP_1) | instid1(VALU_DEP_1)
	s_cmp_lg_u32 s26, 0
	s_addc_u32 s8, s8, s65
	v_readfirstlane_b32 s26, v4
	s_mul_i32 s66, s25, s8
	s_mul_hi_u32 s65, s25, s8
	s_mul_hi_u32 s69, s9, s8
	s_mul_i32 s8, s9, s8
	s_mul_hi_u32 s70, s25, s26
	s_mul_hi_u32 s71, s9, s26
	s_mul_i32 s26, s9, s26
	s_add_u32 s66, s70, s66
	s_addc_u32 s65, 0, s65
	s_add_u32 s26, s66, s26
	s_addc_u32 s26, s65, s71
	s_addc_u32 s65, s69, 0
	s_add_u32 s8, s26, s8
	s_addc_u32 s26, 0, s65
	s_mul_hi_u32 s65, s33, s8
	s_mul_i32 s8, s33, s8
	s_mul_i32 s26, s33, s26
	v_sub_co_u32 v4, s8, s25, s8
	s_add_i32 s65, s65, s26
	s_cmp_lg_u32 s8, 0
	s_delay_alu instid0(VALU_DEP_1) | instskip(SKIP_2) | instid1(VALU_DEP_1)
	v_sub_co_u32 v5, s8, v4, s33
	s_subb_u32 s26, s9, s65
	s_cmp_lg_u32 s8, 0
	v_cmp_le_u32_e32 vcc_lo, s33, v5
	v_sub_co_u32 v6, s8, v5, s33
	s_subb_u32 s65, s26, 0
	s_cmp_lg_u32 s8, 0
	v_cndmask_b32_e64 v7, 0, -1, vcc_lo
	s_subb_u32 s8, s65, 0
	s_cmp_eq_u32 s65, 0
	v_mov_b32_e32 v9, s8
	s_cselect_b32 vcc_lo, -1, 0
	s_cmp_eq_u32 s26, 0
	v_cndmask_b32_e32 v7, -1, v7, vcc_lo
	v_cmp_le_u32_e32 vcc_lo, s33, v4
	s_cselect_b32 s8, -1, 0
	v_cndmask_b32_e64 v8, 0, -1, vcc_lo
	s_delay_alu instid0(VALU_DEP_3) | instskip(NEXT) | instid1(VALU_DEP_2)
	v_cmp_ne_u32_e32 vcc_lo, 0, v7
	v_cndmask_b32_e64 v7, -1, v8, s8
	v_cndmask_b32_e32 v8, s65, v9, vcc_lo
	v_cndmask_b32_e32 v6, v5, v6, vcc_lo
	s_delay_alu instid0(VALU_DEP_3) | instskip(NEXT) | instid1(VALU_DEP_3)
	v_cmp_ne_u32_e32 vcc_lo, 0, v7
	v_cndmask_b32_e32 v5, s26, v8, vcc_lo
	s_delay_alu instid0(VALU_DEP_3)
	v_cndmask_b32_e32 v4, v4, v6, vcc_lo
	s_cbranch_execnz .LBB192_133
.LBB192_132:                            ;   in Loop: Header=BB192_6 Depth=1
	v_cvt_f32_u32_e32 v4, s33
	s_sub_i32 s8, 0, s33
	s_delay_alu instid0(VALU_DEP_1) | instskip(SKIP_2) | instid1(VALU_DEP_1)
	v_rcp_iflag_f32_e32 v4, v4
	s_waitcnt_depctr 0xfff
	v_mul_f32_e32 v4, 0x4f7ffffe, v4
	v_cvt_u32_f32_e32 v4, v4
	s_delay_alu instid0(VALU_DEP_1) | instskip(NEXT) | instid1(VALU_DEP_1)
	v_mul_lo_u32 v5, s8, v4
	v_mul_hi_u32 v5, v4, v5
	s_delay_alu instid0(VALU_DEP_1) | instskip(NEXT) | instid1(VALU_DEP_1)
	v_add_nc_u32_e32 v4, v4, v5
	v_mul_hi_u32 v4, s25, v4
	s_delay_alu instid0(VALU_DEP_1) | instskip(NEXT) | instid1(VALU_DEP_1)
	v_mul_lo_u32 v4, v4, s33
	v_sub_nc_u32_e32 v4, s25, v4
	s_delay_alu instid0(VALU_DEP_1) | instskip(SKIP_1) | instid1(VALU_DEP_2)
	v_subrev_nc_u32_e32 v5, s33, v4
	v_cmp_le_u32_e32 vcc_lo, s33, v4
	v_cndmask_b32_e32 v4, v4, v5, vcc_lo
	s_delay_alu instid0(VALU_DEP_1) | instskip(SKIP_1) | instid1(VALU_DEP_2)
	v_subrev_nc_u32_e32 v5, s33, v4
	v_cmp_le_u32_e32 vcc_lo, s33, v4
	v_cndmask_b32_e32 v12, v4, v5, vcc_lo
	s_delay_alu instid0(VALU_DEP_1)
	v_dual_mov_b32 v4, v12 :: v_dual_mov_b32 v5, v13
.LBB192_133:                            ;   in Loop: Header=BB192_6 Depth=1
	s_delay_alu instid0(VALU_DEP_1) | instskip(NEXT) | instid1(VALU_DEP_2)
	v_sub_co_u32 v6, vcc_lo, s25, v4
	v_sub_co_ci_u32_e32 v7, vcc_lo, s9, v5, vcc_lo
	s_mov_b32 s8, 0
	s_mov_b32 s9, exec_lo
                                        ; implicit-def: $vgpr5
	s_delay_alu instid0(VALU_DEP_1)
	v_cmpx_gt_u64_e64 v[6:7], v[0:1]
	s_cbranch_execz .LBB192_145
; %bb.134:                              ;   in Loop: Header=BB192_6 Depth=1
	v_dual_mov_b32 v12, v14 :: v_dual_mov_b32 v9, v1
	v_mov_b32_e32 v8, v0
	s_mov_b32 s25, 0
                                        ; implicit-def: $sgpr26
	s_set_inst_prefetch_distance 0x1
	s_branch .LBB192_136
	.p2align	6
.LBB192_135:                            ;   in Loop: Header=BB192_136 Depth=2
	s_or_b32 exec_lo, exec_lo, s8
	s_waitcnt lgkmcnt(0)
	s_barrier
	buffer_gl0_inv
	ds_load_b64 v[4:5], v13 offset:3072
	v_add_co_u32 v8, vcc_lo, v8, s33
	v_add_co_ci_u32_e32 v9, vcc_lo, 0, v9, vcc_lo
	v_add_nc_u32_e32 v12, s84, v12
	s_waitcnt lgkmcnt(0)
	s_barrier
	s_delay_alu instid0(VALU_DEP_2) | instskip(SKIP_2) | instid1(VALU_DEP_1)
	v_cmp_ge_u64_e32 vcc_lo, v[8:9], v[6:7]
	buffer_gl0_inv
	v_cmp_neq_f32_e64 s8, 0, v4
	s_or_b32 s65, vcc_lo, s8
	s_delay_alu instid0(SALU_CYCLE_1) | instskip(NEXT) | instid1(SALU_CYCLE_1)
	s_and_b32 s65, exec_lo, s65
	s_or_b32 s25, s65, s25
	s_and_not1_b32 s26, s26, exec_lo
	s_and_b32 s8, s8, exec_lo
	s_delay_alu instid0(SALU_CYCLE_1)
	s_or_b32 s26, s26, s8
	s_and_not1_b32 exec_lo, exec_lo, s25
	s_cbranch_execz .LBB192_144
.LBB192_136:                            ;   Parent Loop BB192_6 Depth=1
                                        ; =>  This Inner Loop Header: Depth=2
	s_delay_alu instid0(VALU_DEP_1)
	v_cmp_gt_u64_e32 vcc_lo, s[18:19], v[8:9]
	v_mov_b32_e32 v24, 0
	s_and_saveexec_b32 s8, vcc_lo
	s_cbranch_execz .LBB192_138
; %bb.137:                              ;   in Loop: Header=BB192_136 Depth=2
	ds_load_b32 v24, v12
.LBB192_138:                            ;   in Loop: Header=BB192_136 Depth=2
	s_or_b32 exec_lo, exec_lo, s8
	s_and_saveexec_b32 s8, vcc_lo
	s_cbranch_execz .LBB192_135
; %bb.139:                              ;   in Loop: Header=BB192_136 Depth=2
	s_waitcnt lgkmcnt(0)
	v_cmp_lt_i32_e32 vcc_lo, -1, v24
	v_cndmask_b32_e64 v4, -1, 0x80000000, vcc_lo
	v_cmp_o_f32_e32 vcc_lo, v24, v24
	s_delay_alu instid0(VALU_DEP_2) | instskip(NEXT) | instid1(VALU_DEP_1)
	v_xor_b32_e32 v4, v4, v24
	v_cndmask_b32_e32 v4, -1, v4, vcc_lo
	s_delay_alu instid0(VALU_DEP_1) | instskip(NEXT) | instid1(VALU_DEP_1)
	v_and_b32_e32 v4, v4, v31
	v_cmp_eq_u32_e32 vcc_lo, v4, v30
	s_and_b32 exec_lo, exec_lo, vcc_lo
	s_cbranch_execz .LBB192_135
; %bb.140:                              ;   in Loop: Header=BB192_136 Depth=2
	ds_store_b64 v13, v[23:24] offset:3072
	s_branch .LBB192_135
.LBB192_141:                            ;   in Loop: Header=BB192_6 Depth=1
                                        ; implicit-def: $vgpr2_vgpr3
	s_branch .LBB192_86
.LBB192_142:                            ;   in Loop: Header=BB192_6 Depth=1
                                        ; implicit-def: $vgpr2_vgpr3
	s_branch .LBB192_102
.LBB192_143:                            ;   in Loop: Header=BB192_6 Depth=1
	s_mov_b32 s25, -1
	s_mov_b32 s8, 0
                                        ; implicit-def: $sgpr65
                                        ; implicit-def: $vgpr5
	s_mov_b32 s66, s25
	s_cbranch_execnz .LBB192_146
	s_branch .LBB192_159
.LBB192_144:                            ;   in Loop: Header=BB192_6 Depth=1
	s_set_inst_prefetch_distance 0x2
	s_or_b32 exec_lo, exec_lo, s25
	s_delay_alu instid0(SALU_CYCLE_1)
	s_and_b32 s8, s26, exec_lo
.LBB192_145:                            ;   in Loop: Header=BB192_6 Depth=1
	s_or_b32 exec_lo, exec_lo, s9
	s_mov_b32 s65, -1
	s_mov_b32 s25, 0
	s_delay_alu instid0(SALU_CYCLE_1)
	s_mov_b32 s66, s25
	s_branch .LBB192_159
.LBB192_146:                            ;   in Loop: Header=BB192_6 Depth=1
	s_mov_b32 s26, s55
	s_delay_alu instid0(SALU_CYCLE_1)
	s_cmp_lg_u64 s[26:27], 0
	s_cbranch_scc0 .LBB192_188
; %bb.147:                              ;   in Loop: Header=BB192_6 Depth=1
	v_cvt_f32_u32_e32 v4, s33
	s_sub_u32 s18, 0, s33
	s_subb_u32 s19, 0, 0
	s_delay_alu instid0(VALU_DEP_1) | instskip(NEXT) | instid1(VALU_DEP_1)
	v_fmac_f32_e64 v4, 0, 0x4f800000
	v_rcp_f32_e32 v4, v4
	s_waitcnt_depctr 0xfff
	v_mul_f32_e32 v4, 0x5f7ffffc, v4
	s_delay_alu instid0(VALU_DEP_1) | instskip(NEXT) | instid1(VALU_DEP_1)
	v_mul_f32_e32 v5, 0x2f800000, v4
	v_trunc_f32_e32 v5, v5
	s_delay_alu instid0(VALU_DEP_1) | instskip(SKIP_1) | instid1(VALU_DEP_2)
	v_fmac_f32_e32 v4, 0xcf800000, v5
	v_cvt_u32_f32_e32 v5, v5
	v_cvt_u32_f32_e32 v4, v4
	s_delay_alu instid0(VALU_DEP_2) | instskip(NEXT) | instid1(VALU_DEP_2)
	v_readfirstlane_b32 s8, v5
	v_readfirstlane_b32 s9, v4
	s_delay_alu instid0(VALU_DEP_2) | instskip(NEXT) | instid1(VALU_DEP_1)
	s_mul_i32 s25, s18, s8
	s_mul_hi_u32 s65, s18, s9
	s_mul_i32 s26, s19, s9
	s_add_i32 s25, s65, s25
	s_mul_i32 s66, s18, s9
	s_add_i32 s25, s25, s26
	s_mul_hi_u32 s65, s9, s66
	s_mul_hi_u32 s69, s8, s66
	s_mul_i32 s26, s8, s66
	s_mul_hi_u32 s66, s9, s25
	s_mul_i32 s9, s9, s25
	s_mul_hi_u32 s70, s8, s25
	s_add_u32 s9, s65, s9
	s_addc_u32 s65, 0, s66
	s_add_u32 s9, s9, s26
	s_mul_i32 s25, s8, s25
	s_addc_u32 s9, s65, s69
	s_addc_u32 s26, s70, 0
	s_add_u32 s9, s9, s25
	s_addc_u32 s25, 0, s26
	v_add_co_u32 v4, s9, v4, s9
	s_delay_alu instid0(VALU_DEP_1) | instskip(SKIP_1) | instid1(VALU_DEP_1)
	s_cmp_lg_u32 s9, 0
	s_addc_u32 s8, s8, s25
	v_readfirstlane_b32 s9, v4
	s_mul_i32 s25, s18, s8
	s_delay_alu instid0(VALU_DEP_1)
	s_mul_hi_u32 s26, s18, s9
	s_mul_i32 s19, s19, s9
	s_add_i32 s25, s26, s25
	s_mul_i32 s18, s18, s9
	s_add_i32 s25, s25, s19
	s_mul_hi_u32 s26, s8, s18
	s_mul_i32 s65, s8, s18
	s_mul_hi_u32 s18, s9, s18
	s_mul_hi_u32 s66, s9, s25
	s_mul_i32 s9, s9, s25
	s_mul_hi_u32 s19, s8, s25
	s_add_u32 s9, s18, s9
	s_addc_u32 s18, 0, s66
	s_add_u32 s9, s9, s65
	s_mul_i32 s25, s8, s25
	s_addc_u32 s9, s18, s26
	s_addc_u32 s18, s19, 0
	s_add_u32 s9, s9, s25
	s_addc_u32 s18, 0, s18
	v_add_co_u32 v4, s9, v4, s9
	s_delay_alu instid0(VALU_DEP_1) | instskip(SKIP_1) | instid1(VALU_DEP_1)
	s_cmp_lg_u32 s9, 0
	s_addc_u32 s8, s8, s18
	v_readfirstlane_b32 s9, v4
	s_mul_i32 s19, s78, s8
	s_mul_hi_u32 s18, s78, s8
	s_mul_hi_u32 s25, s27, s8
	s_mul_i32 s8, s27, s8
	s_mul_hi_u32 s26, s78, s9
	s_mul_hi_u32 s65, s27, s9
	s_mul_i32 s9, s27, s9
	s_add_u32 s19, s26, s19
	s_addc_u32 s18, 0, s18
	s_add_u32 s9, s19, s9
	s_addc_u32 s9, s18, s65
	s_addc_u32 s18, s25, 0
	s_add_u32 s8, s9, s8
	s_addc_u32 s9, 0, s18
	s_mul_hi_u32 s18, s33, s8
	s_mul_i32 s8, s33, s8
	s_mul_i32 s9, s33, s9
	v_sub_co_u32 v4, s8, s78, s8
	s_add_i32 s18, s18, s9
	s_cmp_lg_u32 s8, 0
	s_delay_alu instid0(VALU_DEP_1) | instskip(SKIP_2) | instid1(VALU_DEP_1)
	v_sub_co_u32 v5, s8, v4, s33
	s_subb_u32 s9, s27, s18
	s_cmp_lg_u32 s8, 0
	v_cmp_le_u32_e32 vcc_lo, s33, v5
	v_sub_co_u32 v6, s8, v5, s33
	s_subb_u32 s18, s9, 0
	s_cmp_lg_u32 s8, 0
	v_cndmask_b32_e64 v7, 0, -1, vcc_lo
	s_subb_u32 s8, s18, 0
	s_cmp_eq_u32 s18, 0
	v_mov_b32_e32 v9, s8
	s_cselect_b32 vcc_lo, -1, 0
	s_cmp_eq_u32 s9, 0
	v_cndmask_b32_e32 v7, -1, v7, vcc_lo
	v_cmp_le_u32_e32 vcc_lo, s33, v4
	s_cselect_b32 s8, -1, 0
	v_cndmask_b32_e64 v8, 0, -1, vcc_lo
	s_delay_alu instid0(VALU_DEP_3) | instskip(NEXT) | instid1(VALU_DEP_2)
	v_cmp_ne_u32_e32 vcc_lo, 0, v7
	v_cndmask_b32_e64 v7, -1, v8, s8
	v_cndmask_b32_e32 v8, s18, v9, vcc_lo
	v_cndmask_b32_e32 v6, v5, v6, vcc_lo
	s_delay_alu instid0(VALU_DEP_3) | instskip(NEXT) | instid1(VALU_DEP_3)
	v_cmp_ne_u32_e32 vcc_lo, 0, v7
	v_cndmask_b32_e32 v5, s9, v8, vcc_lo
	s_delay_alu instid0(VALU_DEP_3)
	v_cndmask_b32_e32 v4, v4, v6, vcc_lo
	s_cbranch_execnz .LBB192_149
.LBB192_148:                            ;   in Loop: Header=BB192_6 Depth=1
	v_cvt_f32_u32_e32 v4, s33
	s_sub_i32 s8, 0, s33
	s_delay_alu instid0(VALU_DEP_1) | instskip(SKIP_2) | instid1(VALU_DEP_1)
	v_rcp_iflag_f32_e32 v4, v4
	s_waitcnt_depctr 0xfff
	v_mul_f32_e32 v4, 0x4f7ffffe, v4
	v_cvt_u32_f32_e32 v4, v4
	s_delay_alu instid0(VALU_DEP_1) | instskip(NEXT) | instid1(VALU_DEP_1)
	v_mul_lo_u32 v5, s8, v4
	v_mul_hi_u32 v5, v4, v5
	s_delay_alu instid0(VALU_DEP_1) | instskip(NEXT) | instid1(VALU_DEP_1)
	v_add_nc_u32_e32 v4, v4, v5
	v_mul_hi_u32 v4, s78, v4
	s_delay_alu instid0(VALU_DEP_1) | instskip(NEXT) | instid1(VALU_DEP_1)
	v_mul_lo_u32 v4, v4, s33
	v_sub_nc_u32_e32 v4, s78, v4
	s_delay_alu instid0(VALU_DEP_1) | instskip(SKIP_1) | instid1(VALU_DEP_2)
	v_subrev_nc_u32_e32 v5, s33, v4
	v_cmp_le_u32_e32 vcc_lo, s33, v4
	v_cndmask_b32_e32 v4, v4, v5, vcc_lo
	s_delay_alu instid0(VALU_DEP_1) | instskip(SKIP_1) | instid1(VALU_DEP_2)
	v_subrev_nc_u32_e32 v5, s33, v4
	v_cmp_le_u32_e32 vcc_lo, s33, v4
	v_cndmask_b32_e32 v12, v4, v5, vcc_lo
	s_delay_alu instid0(VALU_DEP_1)
	v_dual_mov_b32 v4, v12 :: v_dual_mov_b32 v5, v13
.LBB192_149:                            ;   in Loop: Header=BB192_6 Depth=1
	s_delay_alu instid0(VALU_DEP_1) | instskip(NEXT) | instid1(VALU_DEP_2)
	v_sub_co_u32 v6, vcc_lo, s78, v4
	v_sub_co_ci_u32_e32 v7, vcc_lo, s27, v5, vcc_lo
	s_mov_b32 s8, 0
	s_mov_b32 s9, exec_lo
                                        ; implicit-def: $vgpr5
	s_delay_alu instid0(VALU_DEP_1)
	v_cmpx_gt_u64_e64 v[6:7], v[0:1]
	s_cbranch_execz .LBB192_158
; %bb.150:                              ;   in Loop: Header=BB192_6 Depth=1
	v_dual_mov_b32 v8, v10 :: v_dual_mov_b32 v9, v11
	v_dual_mov_b32 v29, v1 :: v_dual_mov_b32 v28, v0
	s_mov_b32 s18, 0
                                        ; implicit-def: $sgpr19
	s_set_inst_prefetch_distance 0x1
	s_branch .LBB192_152
	.p2align	6
.LBB192_151:                            ;   in Loop: Header=BB192_152 Depth=2
	s_or_b32 exec_lo, exec_lo, s8
	s_waitcnt vmcnt(0) lgkmcnt(0)
	s_barrier
	buffer_gl0_inv
	ds_load_b64 v[4:5], v13 offset:3072
	v_add_co_u32 v28, vcc_lo, v28, s33
	v_add_co_ci_u32_e32 v29, vcc_lo, 0, v29, vcc_lo
	s_waitcnt lgkmcnt(0)
	s_barrier
	buffer_gl0_inv
	v_cmp_ge_u64_e32 vcc_lo, v[28:29], v[6:7]
	v_cmp_neq_f32_e64 s8, 0, v4
	s_delay_alu instid0(VALU_DEP_1)
	s_or_b32 s25, vcc_lo, s8
	v_add_co_u32 v8, vcc_lo, v8, s34
	s_and_b32 s25, exec_lo, s25
	v_add_co_ci_u32_e32 v9, vcc_lo, s35, v9, vcc_lo
	s_or_b32 s18, s25, s18
	s_and_not1_b32 s19, s19, exec_lo
	s_and_b32 s8, s8, exec_lo
	s_delay_alu instid0(SALU_CYCLE_1)
	s_or_b32 s19, s19, s8
	s_and_not1_b32 exec_lo, exec_lo, s18
	s_cbranch_execz .LBB192_157
.LBB192_152:                            ;   Parent Loop BB192_6 Depth=1
                                        ; =>  This Inner Loop Header: Depth=2
	s_delay_alu instid0(VALU_DEP_1)
	v_cmp_gt_u64_e32 vcc_lo, s[28:29], v[28:29]
	v_mov_b32_e32 v24, 0
	s_and_saveexec_b32 s8, vcc_lo
	s_cbranch_execz .LBB192_154
; %bb.153:                              ;   in Loop: Header=BB192_152 Depth=2
	global_load_b32 v24, v[8:9], off
.LBB192_154:                            ;   in Loop: Header=BB192_152 Depth=2
	s_or_b32 exec_lo, exec_lo, s8
	s_and_saveexec_b32 s8, vcc_lo
	s_cbranch_execz .LBB192_151
; %bb.155:                              ;   in Loop: Header=BB192_152 Depth=2
	s_waitcnt vmcnt(0)
	v_cmp_lt_i32_e32 vcc_lo, -1, v24
	v_cndmask_b32_e64 v4, -1, 0x80000000, vcc_lo
	v_cmp_o_f32_e32 vcc_lo, v24, v24
	s_delay_alu instid0(VALU_DEP_2) | instskip(NEXT) | instid1(VALU_DEP_1)
	v_xor_b32_e32 v4, v4, v24
	v_cndmask_b32_e32 v4, -1, v4, vcc_lo
	s_delay_alu instid0(VALU_DEP_1) | instskip(NEXT) | instid1(VALU_DEP_1)
	v_and_b32_e32 v4, v4, v31
	v_cmp_eq_u32_e32 vcc_lo, v4, v30
	s_and_b32 exec_lo, exec_lo, vcc_lo
	s_cbranch_execz .LBB192_151
; %bb.156:                              ;   in Loop: Header=BB192_152 Depth=2
	ds_store_b64 v13, v[23:24] offset:3072
	s_branch .LBB192_151
.LBB192_157:                            ;   in Loop: Header=BB192_6 Depth=1
	s_set_inst_prefetch_distance 0x2
	s_or_b32 exec_lo, exec_lo, s18
	s_delay_alu instid0(SALU_CYCLE_1)
	s_and_b32 s8, s19, exec_lo
.LBB192_158:                            ;   in Loop: Header=BB192_6 Depth=1
	s_or_b32 exec_lo, exec_lo, s9
	s_mov_b32 s66, -1
	s_mov_b32 s25, 0
	s_mov_b32 s65, 0
.LBB192_159:                            ;   in Loop: Header=BB192_6 Depth=1
	s_or_not1_b32 s8, s8, exec_lo
.LBB192_160:                            ;   in Loop: Header=BB192_6 Depth=1
	s_or_b32 exec_lo, exec_lo, s67
	s_mov_b32 s26, 0
                                        ; implicit-def: $vgpr8
	s_and_saveexec_b32 s67, s8
	s_cbranch_execz .LBB192_273
; %bb.161:                              ;   in Loop: Header=BB192_6 Depth=1
	v_mov_b32_e32 v6, 1
	v_dual_mov_b32 v7, 0 :: v_dual_mov_b32 v8, 1
	s_xor_b32 s9, s68, -1
	s_delay_alu instid0(SALU_CYCLE_1)
	s_and_saveexec_b32 s8, s9
	s_cbranch_execz .LBB192_171
; %bb.162:                              ;   in Loop: Header=BB192_6 Depth=1
	s_mov_b32 s18, exec_lo
                                        ; implicit-def: $sgpr19
                                        ; implicit-def: $sgpr9
	v_cmpx_ge_u64_e64 s[12:13], v[2:3]
	s_xor_b32 s18, exec_lo, s18
	s_cbranch_execz .LBB192_168
; %bb.163:                              ;   in Loop: Header=BB192_6 Depth=1
	ds_load_b64 v[6:7], v13 offset:5120
	s_waitcnt lgkmcnt(0)
	v_cmp_ne_u64_e32 vcc_lo, 0, v[6:7]
	s_cbranch_vccnz .LBB192_167
; %bb.164:                              ;   in Loop: Header=BB192_6 Depth=1
	s_and_saveexec_b32 s9, s5
	s_cbranch_execz .LBB192_166
; %bb.165:                              ;   in Loop: Header=BB192_6 Depth=1
	v_dual_mov_b32 v6, s12 :: v_dual_mov_b32 v7, s13
	ds_store_b64 v13, v[6:7] offset:5128
.LBB192_166:                            ;   in Loop: Header=BB192_6 Depth=1
	s_or_b32 exec_lo, exec_lo, s9
	s_waitcnt lgkmcnt(0)
	s_barrier
	buffer_gl0_inv
.LBB192_167:                            ;   in Loop: Header=BB192_6 Depth=1
	s_lshl_b32 s9, 1, s22
	v_or_b32_e32 v31, s20, v31
	v_and_or_b32 v30, v30, s21, s9
	s_mov_b32 s9, 0
	s_mov_b32 s19, 8
.LBB192_168:                            ;   in Loop: Header=BB192_6 Depth=1
	s_or_saveexec_b32 s18, s18
	v_mov_b32_e32 v8, s19
	s_xor_b32 exec_lo, exec_lo, s18
; %bb.169:                              ;   in Loop: Header=BB192_6 Depth=1
	v_sub_co_u32 v2, vcc_lo, v2, s12
	v_subrev_co_ci_u32_e32 v3, vcc_lo, s13, v3, vcc_lo
	v_mov_b32_e32 v8, 0
	s_or_b32 s9, s9, exec_lo
; %bb.170:                              ;   in Loop: Header=BB192_6 Depth=1
	s_or_b32 exec_lo, exec_lo, s18
	s_delay_alu instid0(VALU_DEP_2)
	v_dual_mov_b32 v7, v3 :: v_dual_mov_b32 v6, v2
	s_and_b32 s26, s9, exec_lo
.LBB192_171:                            ;   in Loop: Header=BB192_6 Depth=1
	s_or_b32 exec_lo, exec_lo, s8
	s_mov_b32 s8, -1
                                        ; implicit-def: $sgpr9
                                        ; implicit-def: $sgpr18
                                        ; implicit-def: $sgpr19
	s_and_saveexec_b32 s68, s26
	s_cbranch_execz .LBB192_272
; %bb.172:                              ;   in Loop: Header=BB192_6 Depth=1
	v_cmp_eq_u64_e32 vcc_lo, 1, v[6:7]
	s_cmp_eq_u64 s[14:15], 1
                                        ; implicit-def: $sgpr69
                                        ; implicit-def: $sgpr71
                                        ; implicit-def: $sgpr70
	s_cselect_b32 s8, -1, 0
	s_delay_alu instid0(SALU_CYCLE_1)
	s_and_b32 s73, s8, vcc_lo
	s_mov_b32 s8, -1
	s_and_saveexec_b32 s72, s73
	s_cbranch_execz .LBB192_206
; %bb.173:                              ;   in Loop: Header=BB192_6 Depth=1
	ds_load_b64 v[2:3], v13 offset:5120
	s_waitcnt lgkmcnt(0)
	s_barrier
	buffer_gl0_inv
	v_readfirstlane_b32 s18, v2
	v_readfirstlane_b32 s19, v3
	s_and_saveexec_b32 s8, s6
	s_cbranch_execz .LBB192_175
; %bb.174:                              ;   in Loop: Header=BB192_6 Depth=1
	ds_store_b32 v35, v13
.LBB192_175:                            ;   in Loop: Header=BB192_6 Depth=1
	s_or_b32 exec_lo, exec_lo, s8
	s_lshl_b32 s8, 2, s22
	v_or_b32_e32 v31, s20, v31
	v_and_or_b32 v30, v30, s21, s8
	s_cmp_eq_u64 s[18:19], 0
	s_waitcnt lgkmcnt(0)
	s_barrier
	buffer_gl0_inv
	s_cbranch_scc1 .LBB192_189
; %bb.176:                              ;   in Loop: Header=BB192_6 Depth=1
	s_add_u32 s26, s76, s18
	s_addc_u32 s9, s77, s19
	s_mov_b32 s8, s55
	s_delay_alu instid0(SALU_CYCLE_1)
	s_cmp_lg_u64 s[8:9], 0
	s_cbranch_scc0 .LBB192_224
; %bb.177:                              ;   in Loop: Header=BB192_6 Depth=1
	v_cvt_f32_u32_e32 v2, s33
	s_sub_u32 s70, 0, s33
	s_subb_u32 s71, 0, 0
	s_delay_alu instid0(VALU_DEP_1) | instskip(NEXT) | instid1(VALU_DEP_1)
	v_fmac_f32_e64 v2, 0, 0x4f800000
	v_rcp_f32_e32 v2, v2
	s_waitcnt_depctr 0xfff
	v_mul_f32_e32 v2, 0x5f7ffffc, v2
	s_delay_alu instid0(VALU_DEP_1) | instskip(NEXT) | instid1(VALU_DEP_1)
	v_mul_f32_e32 v3, 0x2f800000, v2
	v_trunc_f32_e32 v3, v3
	s_delay_alu instid0(VALU_DEP_1) | instskip(SKIP_1) | instid1(VALU_DEP_2)
	v_fmac_f32_e32 v2, 0xcf800000, v3
	v_cvt_u32_f32_e32 v3, v3
	v_cvt_u32_f32_e32 v2, v2
	s_delay_alu instid0(VALU_DEP_2) | instskip(NEXT) | instid1(VALU_DEP_2)
	v_readfirstlane_b32 s8, v3
	v_readfirstlane_b32 s69, v2
	s_delay_alu instid0(VALU_DEP_2) | instskip(NEXT) | instid1(VALU_DEP_1)
	s_mul_i32 s98, s70, s8
	s_mul_hi_u32 s100, s70, s69
	s_mul_i32 s99, s71, s69
	s_add_i32 s98, s100, s98
	s_mul_i32 s101, s70, s69
	s_add_i32 s98, s98, s99
	s_mul_hi_u32 s100, s69, s101
	s_mul_hi_u32 s102, s8, s101
	s_mul_i32 s99, s8, s101
	s_mul_hi_u32 s101, s69, s98
	s_mul_i32 s69, s69, s98
	s_mul_hi_u32 s103, s8, s98
	s_add_u32 s69, s100, s69
	s_addc_u32 s100, 0, s101
	s_add_u32 s69, s69, s99
	s_mul_i32 s98, s8, s98
	s_addc_u32 s69, s100, s102
	s_addc_u32 s99, s103, 0
	s_add_u32 s69, s69, s98
	s_addc_u32 s98, 0, s99
	v_add_co_u32 v2, s69, v2, s69
	s_delay_alu instid0(VALU_DEP_1) | instskip(SKIP_1) | instid1(VALU_DEP_1)
	s_cmp_lg_u32 s69, 0
	s_addc_u32 s8, s8, s98
	v_readfirstlane_b32 s69, v2
	s_mul_i32 s98, s70, s8
	s_delay_alu instid0(VALU_DEP_1)
	s_mul_hi_u32 s99, s70, s69
	s_mul_i32 s71, s71, s69
	s_add_i32 s98, s99, s98
	s_mul_i32 s70, s70, s69
	s_add_i32 s98, s98, s71
	s_mul_hi_u32 s99, s8, s70
	s_mul_i32 s100, s8, s70
	s_mul_hi_u32 s70, s69, s70
	s_mul_hi_u32 s101, s69, s98
	s_mul_i32 s69, s69, s98
	s_mul_hi_u32 s71, s8, s98
	s_add_u32 s69, s70, s69
	s_addc_u32 s70, 0, s101
	s_add_u32 s69, s69, s100
	s_mul_i32 s98, s8, s98
	s_addc_u32 s69, s70, s99
	s_addc_u32 s70, s71, 0
	s_add_u32 s69, s69, s98
	s_addc_u32 s70, 0, s70
	v_add_co_u32 v2, s69, v2, s69
	s_delay_alu instid0(VALU_DEP_1) | instskip(SKIP_1) | instid1(VALU_DEP_1)
	s_cmp_lg_u32 s69, 0
	s_addc_u32 s8, s8, s70
	v_readfirstlane_b32 s69, v2
	s_mul_i32 s71, s26, s8
	s_mul_hi_u32 s70, s26, s8
	s_mul_hi_u32 s98, s9, s8
	s_mul_i32 s8, s9, s8
	s_mul_hi_u32 s99, s26, s69
	s_mul_hi_u32 s100, s9, s69
	s_mul_i32 s69, s9, s69
	s_add_u32 s71, s99, s71
	s_addc_u32 s70, 0, s70
	s_add_u32 s69, s71, s69
	s_addc_u32 s69, s70, s100
	s_addc_u32 s70, s98, 0
	s_add_u32 s8, s69, s8
	s_addc_u32 s69, 0, s70
	s_mul_hi_u32 s70, s33, s8
	s_mul_i32 s8, s33, s8
	s_mul_i32 s69, s33, s69
	v_sub_co_u32 v2, s8, s26, s8
	s_add_i32 s70, s70, s69
	s_cmp_lg_u32 s8, 0
	s_delay_alu instid0(VALU_DEP_1) | instskip(SKIP_2) | instid1(VALU_DEP_1)
	v_sub_co_u32 v3, s8, v2, s33
	s_subb_u32 s69, s9, s70
	s_cmp_lg_u32 s8, 0
	v_cmp_le_u32_e32 vcc_lo, s33, v3
	v_sub_co_u32 v4, s8, v3, s33
	s_subb_u32 s70, s69, 0
	s_cmp_lg_u32 s8, 0
	v_cndmask_b32_e64 v5, 0, -1, vcc_lo
	s_subb_u32 s8, s70, 0
	s_cmp_eq_u32 s70, 0
	v_mov_b32_e32 v9, s8
	s_cselect_b32 vcc_lo, -1, 0
	s_cmp_eq_u32 s69, 0
	v_cndmask_b32_e32 v5, -1, v5, vcc_lo
	v_cmp_le_u32_e32 vcc_lo, s33, v2
	s_cselect_b32 s8, -1, 0
	v_cndmask_b32_e64 v8, 0, -1, vcc_lo
	s_delay_alu instid0(VALU_DEP_3) | instskip(NEXT) | instid1(VALU_DEP_2)
	v_cmp_ne_u32_e32 vcc_lo, 0, v5
	v_cndmask_b32_e64 v5, -1, v8, s8
	v_cndmask_b32_e32 v8, s70, v9, vcc_lo
	v_cndmask_b32_e32 v4, v3, v4, vcc_lo
	s_delay_alu instid0(VALU_DEP_3) | instskip(NEXT) | instid1(VALU_DEP_3)
	v_cmp_ne_u32_e32 vcc_lo, 0, v5
	v_cndmask_b32_e32 v3, s69, v8, vcc_lo
	s_delay_alu instid0(VALU_DEP_3)
	v_cndmask_b32_e32 v2, v2, v4, vcc_lo
	s_cbranch_execnz .LBB192_179
.LBB192_178:                            ;   in Loop: Header=BB192_6 Depth=1
	v_cvt_f32_u32_e32 v2, s33
	s_sub_i32 s8, 0, s33
	s_delay_alu instid0(VALU_DEP_1) | instskip(SKIP_2) | instid1(VALU_DEP_1)
	v_rcp_iflag_f32_e32 v2, v2
	s_waitcnt_depctr 0xfff
	v_mul_f32_e32 v2, 0x4f7ffffe, v2
	v_cvt_u32_f32_e32 v2, v2
	s_delay_alu instid0(VALU_DEP_1) | instskip(NEXT) | instid1(VALU_DEP_1)
	v_mul_lo_u32 v3, s8, v2
	v_mul_hi_u32 v3, v2, v3
	s_delay_alu instid0(VALU_DEP_1) | instskip(NEXT) | instid1(VALU_DEP_1)
	v_add_nc_u32_e32 v2, v2, v3
	v_mul_hi_u32 v2, s26, v2
	s_delay_alu instid0(VALU_DEP_1) | instskip(NEXT) | instid1(VALU_DEP_1)
	v_mul_lo_u32 v2, v2, s33
	v_sub_nc_u32_e32 v2, s26, v2
	s_delay_alu instid0(VALU_DEP_1) | instskip(SKIP_1) | instid1(VALU_DEP_2)
	v_subrev_nc_u32_e32 v3, s33, v2
	v_cmp_le_u32_e32 vcc_lo, s33, v2
	v_cndmask_b32_e32 v2, v2, v3, vcc_lo
	s_delay_alu instid0(VALU_DEP_1) | instskip(SKIP_1) | instid1(VALU_DEP_2)
	v_subrev_nc_u32_e32 v3, s33, v2
	v_cmp_le_u32_e32 vcc_lo, s33, v2
	v_cndmask_b32_e32 v12, v2, v3, vcc_lo
	s_delay_alu instid0(VALU_DEP_1)
	v_dual_mov_b32 v2, v12 :: v_dual_mov_b32 v3, v13
.LBB192_179:                            ;   in Loop: Header=BB192_6 Depth=1
	s_delay_alu instid0(VALU_DEP_1) | instskip(NEXT) | instid1(VALU_DEP_2)
	v_sub_co_u32 v2, vcc_lo, s26, v2
	v_sub_co_ci_u32_e32 v3, vcc_lo, s9, v3, vcc_lo
	s_mov_b32 s8, 0
	s_mov_b32 s9, exec_lo
                                        ; implicit-def: $vgpr5
	s_delay_alu instid0(VALU_DEP_1)
	v_cmpx_gt_u64_e64 v[2:3], v[0:1]
	s_cbranch_execz .LBB192_191
; %bb.180:                              ;   in Loop: Header=BB192_6 Depth=1
	v_dual_mov_b32 v12, v14 :: v_dual_mov_b32 v9, v1
	v_mov_b32_e32 v8, v0
	s_mov_b32 s26, 0
                                        ; implicit-def: $sgpr69
	s_set_inst_prefetch_distance 0x1
	s_branch .LBB192_182
	.p2align	6
.LBB192_181:                            ;   in Loop: Header=BB192_182 Depth=2
	s_or_b32 exec_lo, exec_lo, s8
	s_waitcnt lgkmcnt(0)
	s_barrier
	buffer_gl0_inv
	ds_load_b64 v[4:5], v13 offset:3072
	v_add_co_u32 v8, vcc_lo, v8, s33
	v_add_co_ci_u32_e32 v9, vcc_lo, 0, v9, vcc_lo
	v_add_nc_u32_e32 v12, s84, v12
	s_waitcnt lgkmcnt(0)
	s_barrier
	s_delay_alu instid0(VALU_DEP_2) | instskip(SKIP_2) | instid1(VALU_DEP_1)
	v_cmp_ge_u64_e32 vcc_lo, v[8:9], v[2:3]
	buffer_gl0_inv
	v_cmp_neq_f32_e64 s8, 0, v4
	s_or_b32 s70, vcc_lo, s8
	s_delay_alu instid0(SALU_CYCLE_1) | instskip(NEXT) | instid1(SALU_CYCLE_1)
	s_and_b32 s70, exec_lo, s70
	s_or_b32 s26, s70, s26
	s_and_not1_b32 s69, s69, exec_lo
	s_and_b32 s8, s8, exec_lo
	s_delay_alu instid0(SALU_CYCLE_1)
	s_or_b32 s69, s69, s8
	s_and_not1_b32 exec_lo, exec_lo, s26
	s_cbranch_execz .LBB192_190
.LBB192_182:                            ;   Parent Loop BB192_6 Depth=1
                                        ; =>  This Inner Loop Header: Depth=2
	s_delay_alu instid0(VALU_DEP_1)
	v_cmp_gt_u64_e32 vcc_lo, s[18:19], v[8:9]
	v_mov_b32_e32 v24, 0
	s_and_saveexec_b32 s8, vcc_lo
	s_cbranch_execz .LBB192_184
; %bb.183:                              ;   in Loop: Header=BB192_182 Depth=2
	ds_load_b32 v24, v12
.LBB192_184:                            ;   in Loop: Header=BB192_182 Depth=2
	s_or_b32 exec_lo, exec_lo, s8
	s_and_saveexec_b32 s8, vcc_lo
	s_cbranch_execz .LBB192_181
; %bb.185:                              ;   in Loop: Header=BB192_182 Depth=2
	s_waitcnt lgkmcnt(0)
	v_cmp_lt_i32_e32 vcc_lo, -1, v24
	v_cndmask_b32_e64 v4, -1, 0x80000000, vcc_lo
	v_cmp_o_f32_e32 vcc_lo, v24, v24
	s_delay_alu instid0(VALU_DEP_2) | instskip(NEXT) | instid1(VALU_DEP_1)
	v_xor_b32_e32 v4, v4, v24
	v_cndmask_b32_e32 v4, -1, v4, vcc_lo
	s_delay_alu instid0(VALU_DEP_1) | instskip(NEXT) | instid1(VALU_DEP_1)
	v_and_b32_e32 v4, v4, v31
	v_cmp_eq_u32_e32 vcc_lo, v4, v30
	s_and_b32 exec_lo, exec_lo, vcc_lo
	s_cbranch_execz .LBB192_181
; %bb.186:                              ;   in Loop: Header=BB192_182 Depth=2
	ds_store_b64 v13, v[23:24] offset:3072
	s_branch .LBB192_181
.LBB192_187:                            ;   in Loop: Header=BB192_6 Depth=1
                                        ; implicit-def: $vgpr4_vgpr5
	s_branch .LBB192_132
.LBB192_188:                            ;   in Loop: Header=BB192_6 Depth=1
                                        ; implicit-def: $vgpr4_vgpr5
	s_branch .LBB192_148
.LBB192_189:                            ;   in Loop: Header=BB192_6 Depth=1
	s_mov_b32 s69, -1
	s_mov_b32 s8, 0
                                        ; implicit-def: $sgpr70
                                        ; implicit-def: $vgpr5
	s_mov_b32 s71, s69
	s_cbranch_execnz .LBB192_192
	s_branch .LBB192_205
.LBB192_190:                            ;   in Loop: Header=BB192_6 Depth=1
	s_set_inst_prefetch_distance 0x2
	s_or_b32 exec_lo, exec_lo, s26
	s_delay_alu instid0(SALU_CYCLE_1)
	s_and_b32 s8, s69, exec_lo
.LBB192_191:                            ;   in Loop: Header=BB192_6 Depth=1
	s_or_b32 exec_lo, exec_lo, s9
	s_mov_b32 s70, -1
	s_mov_b32 s69, 0
	s_delay_alu instid0(SALU_CYCLE_1)
	s_mov_b32 s71, s69
	s_branch .LBB192_205
.LBB192_192:                            ;   in Loop: Header=BB192_6 Depth=1
	s_mov_b32 s26, s55
	s_delay_alu instid0(SALU_CYCLE_1)
	s_cmp_lg_u64 s[26:27], 0
	s_cbranch_scc0 .LBB192_225
; %bb.193:                              ;   in Loop: Header=BB192_6 Depth=1
	v_cvt_f32_u32_e32 v2, s33
	s_sub_u32 s18, 0, s33
	s_subb_u32 s19, 0, 0
	s_delay_alu instid0(VALU_DEP_1) | instskip(NEXT) | instid1(VALU_DEP_1)
	v_fmac_f32_e64 v2, 0, 0x4f800000
	v_rcp_f32_e32 v2, v2
	s_waitcnt_depctr 0xfff
	v_mul_f32_e32 v2, 0x5f7ffffc, v2
	s_delay_alu instid0(VALU_DEP_1) | instskip(NEXT) | instid1(VALU_DEP_1)
	v_mul_f32_e32 v3, 0x2f800000, v2
	v_trunc_f32_e32 v3, v3
	s_delay_alu instid0(VALU_DEP_1) | instskip(SKIP_1) | instid1(VALU_DEP_2)
	v_fmac_f32_e32 v2, 0xcf800000, v3
	v_cvt_u32_f32_e32 v3, v3
	v_cvt_u32_f32_e32 v2, v2
	s_delay_alu instid0(VALU_DEP_2) | instskip(NEXT) | instid1(VALU_DEP_2)
	v_readfirstlane_b32 s8, v3
	v_readfirstlane_b32 s9, v2
	s_delay_alu instid0(VALU_DEP_2) | instskip(NEXT) | instid1(VALU_DEP_1)
	s_mul_i32 s26, s18, s8
	s_mul_hi_u32 s70, s18, s9
	s_mul_i32 s69, s19, s9
	s_add_i32 s26, s70, s26
	s_mul_i32 s71, s18, s9
	s_add_i32 s26, s26, s69
	s_mul_hi_u32 s70, s9, s71
	s_mul_hi_u32 s98, s8, s71
	s_mul_i32 s69, s8, s71
	s_mul_hi_u32 s71, s9, s26
	s_mul_i32 s9, s9, s26
	s_mul_hi_u32 s99, s8, s26
	s_add_u32 s9, s70, s9
	s_addc_u32 s70, 0, s71
	s_add_u32 s9, s9, s69
	s_mul_i32 s26, s8, s26
	s_addc_u32 s9, s70, s98
	s_addc_u32 s69, s99, 0
	s_add_u32 s9, s9, s26
	s_addc_u32 s26, 0, s69
	v_add_co_u32 v2, s9, v2, s9
	s_delay_alu instid0(VALU_DEP_1) | instskip(SKIP_1) | instid1(VALU_DEP_1)
	s_cmp_lg_u32 s9, 0
	s_addc_u32 s8, s8, s26
	v_readfirstlane_b32 s9, v2
	s_mul_i32 s26, s18, s8
	s_delay_alu instid0(VALU_DEP_1)
	s_mul_hi_u32 s69, s18, s9
	s_mul_i32 s19, s19, s9
	s_add_i32 s26, s69, s26
	s_mul_i32 s18, s18, s9
	s_add_i32 s26, s26, s19
	s_mul_hi_u32 s69, s8, s18
	s_mul_i32 s70, s8, s18
	s_mul_hi_u32 s18, s9, s18
	s_mul_hi_u32 s71, s9, s26
	s_mul_i32 s9, s9, s26
	s_mul_hi_u32 s19, s8, s26
	s_add_u32 s9, s18, s9
	s_addc_u32 s18, 0, s71
	s_add_u32 s9, s9, s70
	s_mul_i32 s26, s8, s26
	s_addc_u32 s9, s18, s69
	s_addc_u32 s18, s19, 0
	s_add_u32 s9, s9, s26
	s_addc_u32 s18, 0, s18
	v_add_co_u32 v2, s9, v2, s9
	s_delay_alu instid0(VALU_DEP_1) | instskip(SKIP_1) | instid1(VALU_DEP_1)
	s_cmp_lg_u32 s9, 0
	s_addc_u32 s8, s8, s18
	v_readfirstlane_b32 s9, v2
	s_mul_i32 s19, s78, s8
	s_mul_hi_u32 s18, s78, s8
	s_mul_hi_u32 s26, s27, s8
	s_mul_i32 s8, s27, s8
	s_mul_hi_u32 s69, s78, s9
	s_mul_hi_u32 s70, s27, s9
	s_mul_i32 s9, s27, s9
	s_add_u32 s19, s69, s19
	s_addc_u32 s18, 0, s18
	s_add_u32 s9, s19, s9
	s_addc_u32 s9, s18, s70
	s_addc_u32 s18, s26, 0
	s_add_u32 s8, s9, s8
	s_addc_u32 s9, 0, s18
	s_mul_hi_u32 s18, s33, s8
	s_mul_i32 s8, s33, s8
	s_mul_i32 s9, s33, s9
	v_sub_co_u32 v2, s8, s78, s8
	s_add_i32 s18, s18, s9
	s_cmp_lg_u32 s8, 0
	s_delay_alu instid0(VALU_DEP_1) | instskip(SKIP_2) | instid1(VALU_DEP_1)
	v_sub_co_u32 v3, s8, v2, s33
	s_subb_u32 s9, s27, s18
	s_cmp_lg_u32 s8, 0
	v_cmp_le_u32_e32 vcc_lo, s33, v3
	v_sub_co_u32 v4, s8, v3, s33
	s_subb_u32 s18, s9, 0
	s_cmp_lg_u32 s8, 0
	v_cndmask_b32_e64 v5, 0, -1, vcc_lo
	s_subb_u32 s8, s18, 0
	s_cmp_eq_u32 s18, 0
	v_mov_b32_e32 v9, s8
	s_cselect_b32 vcc_lo, -1, 0
	s_cmp_eq_u32 s9, 0
	v_cndmask_b32_e32 v5, -1, v5, vcc_lo
	v_cmp_le_u32_e32 vcc_lo, s33, v2
	s_cselect_b32 s8, -1, 0
	v_cndmask_b32_e64 v8, 0, -1, vcc_lo
	s_delay_alu instid0(VALU_DEP_3) | instskip(NEXT) | instid1(VALU_DEP_2)
	v_cmp_ne_u32_e32 vcc_lo, 0, v5
	v_cndmask_b32_e64 v5, -1, v8, s8
	v_cndmask_b32_e32 v8, s18, v9, vcc_lo
	v_cndmask_b32_e32 v4, v3, v4, vcc_lo
	s_delay_alu instid0(VALU_DEP_3) | instskip(NEXT) | instid1(VALU_DEP_3)
	v_cmp_ne_u32_e32 vcc_lo, 0, v5
	v_cndmask_b32_e32 v3, s9, v8, vcc_lo
	s_delay_alu instid0(VALU_DEP_3)
	v_cndmask_b32_e32 v2, v2, v4, vcc_lo
	s_cbranch_execnz .LBB192_195
.LBB192_194:                            ;   in Loop: Header=BB192_6 Depth=1
	v_cvt_f32_u32_e32 v2, s33
	s_sub_i32 s8, 0, s33
	s_delay_alu instid0(VALU_DEP_1) | instskip(SKIP_2) | instid1(VALU_DEP_1)
	v_rcp_iflag_f32_e32 v2, v2
	s_waitcnt_depctr 0xfff
	v_mul_f32_e32 v2, 0x4f7ffffe, v2
	v_cvt_u32_f32_e32 v2, v2
	s_delay_alu instid0(VALU_DEP_1) | instskip(NEXT) | instid1(VALU_DEP_1)
	v_mul_lo_u32 v3, s8, v2
	v_mul_hi_u32 v3, v2, v3
	s_delay_alu instid0(VALU_DEP_1) | instskip(NEXT) | instid1(VALU_DEP_1)
	v_add_nc_u32_e32 v2, v2, v3
	v_mul_hi_u32 v2, s78, v2
	s_delay_alu instid0(VALU_DEP_1) | instskip(NEXT) | instid1(VALU_DEP_1)
	v_mul_lo_u32 v2, v2, s33
	v_sub_nc_u32_e32 v2, s78, v2
	s_delay_alu instid0(VALU_DEP_1) | instskip(SKIP_1) | instid1(VALU_DEP_2)
	v_subrev_nc_u32_e32 v3, s33, v2
	v_cmp_le_u32_e32 vcc_lo, s33, v2
	v_cndmask_b32_e32 v2, v2, v3, vcc_lo
	s_delay_alu instid0(VALU_DEP_1) | instskip(SKIP_1) | instid1(VALU_DEP_2)
	v_subrev_nc_u32_e32 v3, s33, v2
	v_cmp_le_u32_e32 vcc_lo, s33, v2
	v_cndmask_b32_e32 v12, v2, v3, vcc_lo
	s_delay_alu instid0(VALU_DEP_1)
	v_dual_mov_b32 v2, v12 :: v_dual_mov_b32 v3, v13
.LBB192_195:                            ;   in Loop: Header=BB192_6 Depth=1
	s_delay_alu instid0(VALU_DEP_1) | instskip(NEXT) | instid1(VALU_DEP_2)
	v_sub_co_u32 v2, vcc_lo, s78, v2
	v_sub_co_ci_u32_e32 v3, vcc_lo, s27, v3, vcc_lo
	s_mov_b32 s8, 0
	s_mov_b32 s9, exec_lo
                                        ; implicit-def: $vgpr5
	s_delay_alu instid0(VALU_DEP_1)
	v_cmpx_gt_u64_e64 v[2:3], v[0:1]
	s_cbranch_execz .LBB192_204
; %bb.196:                              ;   in Loop: Header=BB192_6 Depth=1
	v_dual_mov_b32 v8, v10 :: v_dual_mov_b32 v9, v11
	v_dual_mov_b32 v29, v1 :: v_dual_mov_b32 v28, v0
	s_mov_b32 s18, 0
                                        ; implicit-def: $sgpr19
	s_set_inst_prefetch_distance 0x1
	s_branch .LBB192_198
	.p2align	6
.LBB192_197:                            ;   in Loop: Header=BB192_198 Depth=2
	s_or_b32 exec_lo, exec_lo, s8
	s_waitcnt vmcnt(0) lgkmcnt(0)
	s_barrier
	buffer_gl0_inv
	ds_load_b64 v[4:5], v13 offset:3072
	v_add_co_u32 v28, vcc_lo, v28, s33
	v_add_co_ci_u32_e32 v29, vcc_lo, 0, v29, vcc_lo
	s_waitcnt lgkmcnt(0)
	s_barrier
	buffer_gl0_inv
	v_cmp_ge_u64_e32 vcc_lo, v[28:29], v[2:3]
	v_cmp_neq_f32_e64 s8, 0, v4
	s_delay_alu instid0(VALU_DEP_1)
	s_or_b32 s26, vcc_lo, s8
	v_add_co_u32 v8, vcc_lo, v8, s34
	s_and_b32 s26, exec_lo, s26
	v_add_co_ci_u32_e32 v9, vcc_lo, s35, v9, vcc_lo
	s_or_b32 s18, s26, s18
	s_and_not1_b32 s19, s19, exec_lo
	s_and_b32 s8, s8, exec_lo
	s_delay_alu instid0(SALU_CYCLE_1)
	s_or_b32 s19, s19, s8
	s_and_not1_b32 exec_lo, exec_lo, s18
	s_cbranch_execz .LBB192_203
.LBB192_198:                            ;   Parent Loop BB192_6 Depth=1
                                        ; =>  This Inner Loop Header: Depth=2
	s_delay_alu instid0(VALU_DEP_1)
	v_cmp_gt_u64_e32 vcc_lo, s[28:29], v[28:29]
	v_mov_b32_e32 v24, 0
	s_and_saveexec_b32 s8, vcc_lo
	s_cbranch_execz .LBB192_200
; %bb.199:                              ;   in Loop: Header=BB192_198 Depth=2
	global_load_b32 v24, v[8:9], off
.LBB192_200:                            ;   in Loop: Header=BB192_198 Depth=2
	s_or_b32 exec_lo, exec_lo, s8
	s_and_saveexec_b32 s8, vcc_lo
	s_cbranch_execz .LBB192_197
; %bb.201:                              ;   in Loop: Header=BB192_198 Depth=2
	s_waitcnt vmcnt(0)
	v_cmp_lt_i32_e32 vcc_lo, -1, v24
	v_cndmask_b32_e64 v4, -1, 0x80000000, vcc_lo
	v_cmp_o_f32_e32 vcc_lo, v24, v24
	s_delay_alu instid0(VALU_DEP_2) | instskip(NEXT) | instid1(VALU_DEP_1)
	v_xor_b32_e32 v4, v4, v24
	v_cndmask_b32_e32 v4, -1, v4, vcc_lo
	s_delay_alu instid0(VALU_DEP_1) | instskip(NEXT) | instid1(VALU_DEP_1)
	v_and_b32_e32 v4, v4, v31
	v_cmp_eq_u32_e32 vcc_lo, v4, v30
	s_and_b32 exec_lo, exec_lo, vcc_lo
	s_cbranch_execz .LBB192_197
; %bb.202:                              ;   in Loop: Header=BB192_198 Depth=2
	ds_store_b64 v13, v[23:24] offset:3072
	s_branch .LBB192_197
.LBB192_203:                            ;   in Loop: Header=BB192_6 Depth=1
	s_set_inst_prefetch_distance 0x2
	s_or_b32 exec_lo, exec_lo, s18
	s_delay_alu instid0(SALU_CYCLE_1)
	s_and_b32 s8, s19, exec_lo
.LBB192_204:                            ;   in Loop: Header=BB192_6 Depth=1
	s_or_b32 exec_lo, exec_lo, s9
	s_mov_b32 s71, -1
	s_mov_b32 s69, 0
	s_mov_b32 s70, 0
.LBB192_205:                            ;   in Loop: Header=BB192_6 Depth=1
	s_or_not1_b32 s8, s8, exec_lo
.LBB192_206:                            ;   in Loop: Header=BB192_6 Depth=1
	s_or_b32 exec_lo, exec_lo, s72
	s_mov_b32 s26, 0
                                        ; implicit-def: $vgpr8
	s_and_saveexec_b32 s72, s8
	s_cbranch_execz .LBB192_271
; %bb.207:                              ;   in Loop: Header=BB192_6 Depth=1
	v_mov_b32_e32 v2, 1
	v_dual_mov_b32 v3, 0 :: v_dual_mov_b32 v8, 1
	s_xor_b32 s9, s73, -1
	s_delay_alu instid0(SALU_CYCLE_1)
	s_and_saveexec_b32 s8, s9
	s_cbranch_execz .LBB192_217
; %bb.208:                              ;   in Loop: Header=BB192_6 Depth=1
	s_mov_b32 s18, exec_lo
                                        ; implicit-def: $sgpr19
                                        ; implicit-def: $sgpr9
	v_cmpx_ge_u64_e64 s[14:15], v[6:7]
	s_xor_b32 s18, exec_lo, s18
	s_cbranch_execz .LBB192_214
; %bb.209:                              ;   in Loop: Header=BB192_6 Depth=1
	ds_load_b64 v[2:3], v13 offset:5120
	s_waitcnt lgkmcnt(0)
	v_cmp_ne_u64_e32 vcc_lo, 0, v[2:3]
	s_cbranch_vccnz .LBB192_213
; %bb.210:                              ;   in Loop: Header=BB192_6 Depth=1
	s_and_saveexec_b32 s9, s5
	s_cbranch_execz .LBB192_212
; %bb.211:                              ;   in Loop: Header=BB192_6 Depth=1
	v_dual_mov_b32 v2, s14 :: v_dual_mov_b32 v3, s15
	ds_store_b64 v13, v[2:3] offset:5128
.LBB192_212:                            ;   in Loop: Header=BB192_6 Depth=1
	s_or_b32 exec_lo, exec_lo, s9
	s_waitcnt lgkmcnt(0)
	s_barrier
	buffer_gl0_inv
.LBB192_213:                            ;   in Loop: Header=BB192_6 Depth=1
	s_lshl_b32 s9, 2, s22
	v_or_b32_e32 v31, s20, v31
	v_and_or_b32 v30, v30, s21, s9
	s_mov_b32 s9, 0
	s_mov_b32 s19, 8
.LBB192_214:                            ;   in Loop: Header=BB192_6 Depth=1
	s_or_saveexec_b32 s18, s18
	v_mov_b32_e32 v8, s19
	s_xor_b32 exec_lo, exec_lo, s18
; %bb.215:                              ;   in Loop: Header=BB192_6 Depth=1
	v_sub_co_u32 v6, vcc_lo, v6, s14
	v_subrev_co_ci_u32_e32 v7, vcc_lo, s15, v7, vcc_lo
	v_mov_b32_e32 v8, 0
	s_or_b32 s9, s9, exec_lo
; %bb.216:                              ;   in Loop: Header=BB192_6 Depth=1
	s_or_b32 exec_lo, exec_lo, s18
	s_delay_alu instid0(VALU_DEP_2)
	v_dual_mov_b32 v2, v6 :: v_dual_mov_b32 v3, v7
	s_and_b32 s26, s9, exec_lo
.LBB192_217:                            ;   in Loop: Header=BB192_6 Depth=1
	s_or_b32 exec_lo, exec_lo, s8
	s_mov_b32 s19, -1
                                        ; implicit-def: $sgpr8
                                        ; implicit-def: $sgpr18
                                        ; implicit-def: $sgpr9
	s_and_saveexec_b32 s73, s26
	s_cbranch_execz .LBB192_270
; %bb.218:                              ;   in Loop: Header=BB192_6 Depth=1
	v_cmp_eq_u64_e32 vcc_lo, 1, v[2:3]
	s_cmp_eq_u64 s[16:17], 1
	s_mov_b32 s26, -1
	s_cselect_b32 s8, -1, 0
                                        ; implicit-def: $sgpr18
                                        ; implicit-def: $sgpr9
	s_delay_alu instid0(SALU_CYCLE_1) | instskip(NEXT) | instid1(SALU_CYCLE_1)
	s_and_b32 s98, s8, vcc_lo
                                        ; implicit-def: $sgpr8
	s_and_saveexec_b32 s99, s98
	s_cbranch_execz .LBB192_257
; %bb.219:                              ;   in Loop: Header=BB192_6 Depth=1
	ds_load_b64 v[4:5], v13 offset:5120
	s_waitcnt lgkmcnt(0)
	s_barrier
	buffer_gl0_inv
	v_readfirstlane_b32 s18, v4
	v_readfirstlane_b32 s19, v5
	s_and_saveexec_b32 s8, s6
	s_cbranch_execz .LBB192_221
; %bb.220:                              ;   in Loop: Header=BB192_6 Depth=1
	ds_store_b32 v35, v13
.LBB192_221:                            ;   in Loop: Header=BB192_6 Depth=1
	s_or_b32 exec_lo, exec_lo, s8
	v_or_b32_e32 v30, s20, v30
	v_or_b32_e32 v31, s20, v31
	s_cmp_eq_u64 s[18:19], 0
	s_waitcnt lgkmcnt(0)
	s_barrier
	buffer_gl0_inv
	s_cbranch_scc1 .LBB192_226
; %bb.222:                              ;   in Loop: Header=BB192_6 Depth=1
	s_add_u32 s26, s76, s18
	s_addc_u32 s9, s77, s19
	s_mov_b32 s8, s55
	s_delay_alu instid0(SALU_CYCLE_1)
	s_cmp_lg_u64 s[8:9], 0
	s_cbranch_scc0 .LBB192_227
; %bb.223:                              ;   in Loop: Header=BB192_6 Depth=1
	v_cvt_f32_u32_e32 v4, s33
	s_sub_u32 s101, 0, s33
	s_subb_u32 s102, 0, 0
	s_delay_alu instid0(VALU_DEP_1) | instskip(NEXT) | instid1(VALU_DEP_1)
	v_fmac_f32_e64 v4, 0, 0x4f800000
	v_rcp_f32_e32 v4, v4
	s_waitcnt_depctr 0xfff
	v_mul_f32_e32 v4, 0x5f7ffffc, v4
	s_delay_alu instid0(VALU_DEP_1) | instskip(NEXT) | instid1(VALU_DEP_1)
	v_mul_f32_e32 v5, 0x2f800000, v4
	v_trunc_f32_e32 v5, v5
	s_delay_alu instid0(VALU_DEP_1) | instskip(SKIP_1) | instid1(VALU_DEP_2)
	v_fmac_f32_e32 v4, 0xcf800000, v5
	v_cvt_u32_f32_e32 v5, v5
	v_cvt_u32_f32_e32 v4, v4
	s_delay_alu instid0(VALU_DEP_2) | instskip(NEXT) | instid1(VALU_DEP_2)
	v_readfirstlane_b32 s8, v5
	v_readfirstlane_b32 s100, v4
	s_delay_alu instid0(VALU_DEP_2) | instskip(NEXT) | instid1(VALU_DEP_1)
	s_mul_i32 s103, s101, s8
	s_mul_hi_u32 vcc_lo, s101, s100
	s_mul_i32 s104, s102, s100
	s_add_i32 s103, vcc_lo, s103
	s_mul_i32 vcc_hi, s101, s100
	s_add_i32 s103, s103, s104
	s_mul_hi_u32 vcc_lo, s100, vcc_hi
	s_mul_hi_u32 s104, s100, s103
	s_mul_i32 s100, s100, s103
	s_mul_i32 s45, s8, vcc_hi
	s_add_u32 s100, vcc_lo, s100
	s_mul_hi_u32 s44, s8, vcc_hi
	s_addc_u32 s104, 0, s104
	s_mul_hi_u32 vcc_hi, s8, s103
	s_add_u32 s45, s100, s45
	s_mul_i32 s103, s8, s103
	s_addc_u32 s44, s104, s44
	s_addc_u32 s45, vcc_hi, 0
	s_add_u32 s44, s44, s103
	s_addc_u32 s45, 0, s45
	v_add_co_u32 v4, s44, v4, s44
	s_delay_alu instid0(VALU_DEP_1) | instskip(SKIP_1) | instid1(VALU_DEP_1)
	s_cmp_lg_u32 s44, 0
	s_addc_u32 s8, s8, s45
	v_readfirstlane_b32 s44, v4
	s_mul_i32 s45, s101, s8
	s_delay_alu instid0(VALU_DEP_1)
	s_mul_hi_u32 s100, s101, s44
	s_mul_i32 s102, s102, s44
	s_add_i32 s45, s100, s45
	s_mul_i32 s101, s101, s44
	s_add_i32 s45, s45, s102
	s_mul_hi_u32 s100, s8, s101
	s_mul_i32 s103, s8, s101
	s_mul_hi_u32 s101, s44, s101
	s_mul_hi_u32 s104, s44, s45
	s_mul_i32 s44, s44, s45
	s_mul_hi_u32 s102, s8, s45
	s_add_u32 s44, s101, s44
	s_addc_u32 s101, 0, s104
	s_add_u32 s44, s44, s103
	s_mul_i32 s45, s8, s45
	s_addc_u32 s44, s101, s100
	s_addc_u32 s100, s102, 0
	s_add_u32 s44, s44, s45
	s_addc_u32 s45, 0, s100
	v_add_co_u32 v4, s44, v4, s44
	s_delay_alu instid0(VALU_DEP_1) | instskip(SKIP_1) | instid1(VALU_DEP_1)
	s_cmp_lg_u32 s44, 0
	s_addc_u32 s8, s8, s45
	v_readfirstlane_b32 s44, v4
	s_mul_i32 s100, s26, s8
	s_mul_hi_u32 s45, s26, s8
	s_mul_hi_u32 s101, s9, s8
	s_mul_i32 s8, s9, s8
	s_mul_hi_u32 s102, s26, s44
	s_mul_hi_u32 s103, s9, s44
	s_mul_i32 s44, s9, s44
	s_add_u32 s100, s102, s100
	s_addc_u32 s45, 0, s45
	s_add_u32 s44, s100, s44
	s_addc_u32 s44, s45, s103
	s_addc_u32 s45, s101, 0
	s_add_u32 s8, s44, s8
	s_addc_u32 s44, 0, s45
	s_mul_hi_u32 s45, s33, s8
	s_mul_i32 s8, s33, s8
	s_mul_i32 s44, s33, s44
	v_sub_co_u32 v4, s8, s26, s8
	s_add_i32 s45, s45, s44
	s_cmp_lg_u32 s8, 0
	s_delay_alu instid0(VALU_DEP_1) | instskip(SKIP_3) | instid1(VALU_DEP_2)
	v_sub_co_u32 v5, s8, v4, s33
	s_subb_u32 s44, s9, s45
	s_cmp_lg_u32 s8, 0
	v_cmp_le_u32_e32 vcc_lo, s33, v4
	v_cmp_le_u32_e64 s8, s33, v5
	v_sub_co_u32 v6, s45, v5, s33
	s_subb_u32 s100, s44, 0
	s_cmp_lg_u32 s45, 0
	s_delay_alu instid0(VALU_DEP_2)
	v_cndmask_b32_e64 v7, 0, -1, s8
	s_subb_u32 s45, s100, 0
	s_cmp_eq_u32 s100, 0
	v_mov_b32_e32 v9, s45
	v_cndmask_b32_e64 v8, 0, -1, vcc_lo
	s_cselect_b32 vcc_lo, -1, 0
	s_cmp_eq_u32 s44, 0
	v_cndmask_b32_e32 v7, -1, v7, vcc_lo
	s_cselect_b32 vcc_lo, -1, 0
	v_cndmask_b32_e32 v8, -1, v8, vcc_lo
	s_delay_alu instid0(VALU_DEP_2) | instskip(NEXT) | instid1(VALU_DEP_2)
	v_cmp_ne_u32_e32 vcc_lo, 0, v7
	v_cmp_ne_u32_e64 s8, 0, v8
	v_cndmask_b32_e32 v7, s100, v9, vcc_lo
	v_cndmask_b32_e32 v6, v5, v6, vcc_lo
	s_delay_alu instid0(VALU_DEP_2) | instskip(NEXT) | instid1(VALU_DEP_2)
	v_cndmask_b32_e64 v5, s44, v7, s8
	v_cndmask_b32_e64 v4, v4, v6, s8
	s_mov_b32 s8, 0
	s_branch .LBB192_228
.LBB192_224:                            ;   in Loop: Header=BB192_6 Depth=1
                                        ; implicit-def: $vgpr2_vgpr3
	s_branch .LBB192_178
.LBB192_225:                            ;   in Loop: Header=BB192_6 Depth=1
                                        ; implicit-def: $vgpr2_vgpr3
	s_branch .LBB192_194
.LBB192_226:                            ;   in Loop: Header=BB192_6 Depth=1
	s_mov_b32 s8, -1
	s_mov_b32 s26, 0
                                        ; implicit-def: $sgpr9
                                        ; implicit-def: $vgpr5
	s_branch .LBB192_240
.LBB192_227:                            ;   in Loop: Header=BB192_6 Depth=1
	s_mov_b32 s8, -1
                                        ; implicit-def: $vgpr4_vgpr5
.LBB192_228:                            ;   in Loop: Header=BB192_6 Depth=1
	s_delay_alu instid0(SALU_CYCLE_1)
	s_and_not1_b32 vcc_lo, exec_lo, s8
	s_cbranch_vccnz .LBB192_230
; %bb.229:                              ;   in Loop: Header=BB192_6 Depth=1
	v_cvt_f32_u32_e32 v4, s33
	s_sub_i32 s8, 0, s33
	s_delay_alu instid0(VALU_DEP_1) | instskip(SKIP_2) | instid1(VALU_DEP_1)
	v_rcp_iflag_f32_e32 v4, v4
	s_waitcnt_depctr 0xfff
	v_mul_f32_e32 v4, 0x4f7ffffe, v4
	v_cvt_u32_f32_e32 v4, v4
	s_delay_alu instid0(VALU_DEP_1) | instskip(NEXT) | instid1(VALU_DEP_1)
	v_mul_lo_u32 v5, s8, v4
	v_mul_hi_u32 v5, v4, v5
	s_delay_alu instid0(VALU_DEP_1) | instskip(NEXT) | instid1(VALU_DEP_1)
	v_add_nc_u32_e32 v4, v4, v5
	v_mul_hi_u32 v4, s26, v4
	s_delay_alu instid0(VALU_DEP_1) | instskip(NEXT) | instid1(VALU_DEP_1)
	v_mul_lo_u32 v4, v4, s33
	v_sub_nc_u32_e32 v4, s26, v4
	s_delay_alu instid0(VALU_DEP_1) | instskip(SKIP_1) | instid1(VALU_DEP_2)
	v_subrev_nc_u32_e32 v5, s33, v4
	v_cmp_le_u32_e32 vcc_lo, s33, v4
	v_cndmask_b32_e32 v4, v4, v5, vcc_lo
	s_delay_alu instid0(VALU_DEP_1) | instskip(SKIP_1) | instid1(VALU_DEP_2)
	v_subrev_nc_u32_e32 v5, s33, v4
	v_cmp_le_u32_e32 vcc_lo, s33, v4
	v_cndmask_b32_e32 v12, v4, v5, vcc_lo
	s_delay_alu instid0(VALU_DEP_1)
	v_dual_mov_b32 v4, v12 :: v_dual_mov_b32 v5, v13
.LBB192_230:                            ;   in Loop: Header=BB192_6 Depth=1
	s_delay_alu instid0(VALU_DEP_1) | instskip(NEXT) | instid1(VALU_DEP_2)
	v_sub_co_u32 v6, vcc_lo, s26, v4
	v_sub_co_ci_u32_e32 v7, vcc_lo, s9, v5, vcc_lo
	s_mov_b32 s26, 0
	s_mov_b32 s9, exec_lo
                                        ; implicit-def: $vgpr5
	s_delay_alu instid0(VALU_DEP_1)
	v_cmpx_gt_u64_e64 v[6:7], v[0:1]
	s_cbranch_execz .LBB192_239
; %bb.231:                              ;   in Loop: Header=BB192_6 Depth=1
	v_dual_mov_b32 v12, v14 :: v_dual_mov_b32 v9, v1
	v_mov_b32_e32 v8, v0
                                        ; implicit-def: $sgpr100
	s_set_inst_prefetch_distance 0x1
	s_branch .LBB192_233
	.p2align	6
.LBB192_232:                            ;   in Loop: Header=BB192_233 Depth=2
	s_or_b32 exec_lo, exec_lo, s8
	s_waitcnt lgkmcnt(0)
	s_barrier
	buffer_gl0_inv
	ds_load_b64 v[4:5], v13 offset:3072
	v_add_co_u32 v8, vcc_lo, v8, s33
	v_add_co_ci_u32_e32 v9, vcc_lo, 0, v9, vcc_lo
	v_add_nc_u32_e32 v12, s84, v12
	s_waitcnt lgkmcnt(0)
	s_barrier
	s_delay_alu instid0(VALU_DEP_2) | instskip(SKIP_2) | instid1(VALU_DEP_1)
	v_cmp_ge_u64_e32 vcc_lo, v[8:9], v[6:7]
	buffer_gl0_inv
	v_cmp_neq_f32_e64 s8, 0, v4
	s_or_b32 s44, vcc_lo, s8
	s_delay_alu instid0(SALU_CYCLE_1) | instskip(NEXT) | instid1(SALU_CYCLE_1)
	s_and_b32 s44, exec_lo, s44
	s_or_b32 s26, s44, s26
	s_and_not1_b32 s44, s100, exec_lo
	s_and_b32 s8, s8, exec_lo
	s_delay_alu instid0(SALU_CYCLE_1)
	s_or_b32 s100, s44, s8
	s_and_not1_b32 exec_lo, exec_lo, s26
	s_cbranch_execz .LBB192_238
.LBB192_233:                            ;   Parent Loop BB192_6 Depth=1
                                        ; =>  This Inner Loop Header: Depth=2
	s_delay_alu instid0(VALU_DEP_1)
	v_cmp_gt_u64_e32 vcc_lo, s[18:19], v[8:9]
	v_mov_b32_e32 v24, 0
	s_and_saveexec_b32 s8, vcc_lo
	s_cbranch_execz .LBB192_235
; %bb.234:                              ;   in Loop: Header=BB192_233 Depth=2
	ds_load_b32 v24, v12
.LBB192_235:                            ;   in Loop: Header=BB192_233 Depth=2
	s_or_b32 exec_lo, exec_lo, s8
	s_and_saveexec_b32 s8, vcc_lo
	s_cbranch_execz .LBB192_232
; %bb.236:                              ;   in Loop: Header=BB192_233 Depth=2
	s_waitcnt lgkmcnt(0)
	v_cmp_lt_i32_e32 vcc_lo, -1, v24
	v_cndmask_b32_e64 v4, -1, 0x80000000, vcc_lo
	v_cmp_o_f32_e32 vcc_lo, v24, v24
	s_delay_alu instid0(VALU_DEP_2) | instskip(NEXT) | instid1(VALU_DEP_1)
	v_xor_b32_e32 v4, v4, v24
	v_cndmask_b32_e32 v4, -1, v4, vcc_lo
	s_delay_alu instid0(VALU_DEP_1) | instskip(NEXT) | instid1(VALU_DEP_1)
	v_and_b32_e32 v4, v4, v31
	v_cmp_eq_u32_e32 vcc_lo, v4, v30
	s_and_b32 exec_lo, exec_lo, vcc_lo
	s_cbranch_execz .LBB192_232
; %bb.237:                              ;   in Loop: Header=BB192_233 Depth=2
	ds_store_b64 v13, v[23:24] offset:3072
	s_branch .LBB192_232
.LBB192_238:                            ;   in Loop: Header=BB192_6 Depth=1
	s_set_inst_prefetch_distance 0x2
	s_or_b32 exec_lo, exec_lo, s26
	s_delay_alu instid0(SALU_CYCLE_1)
	s_and_b32 s26, s100, exec_lo
.LBB192_239:                            ;   in Loop: Header=BB192_6 Depth=1
	s_or_b32 exec_lo, exec_lo, s9
	s_mov_b32 s9, -1
	s_mov_b32 s8, 0
.LBB192_240:                            ;   in Loop: Header=BB192_6 Depth=1
	s_delay_alu instid0(SALU_CYCLE_1)
	s_and_b32 vcc_lo, exec_lo, s8
	s_mov_b32 s18, s8
	s_cbranch_vccz .LBB192_256
; %bb.241:                              ;   in Loop: Header=BB192_6 Depth=1
	s_mov_b32 s26, s55
	s_delay_alu instid0(SALU_CYCLE_1)
	s_cmp_lg_u64 s[26:27], 0
	s_cbranch_scc0 .LBB192_243
; %bb.242:                              ;   in Loop: Header=BB192_6 Depth=1
	v_cvt_f32_u32_e32 v4, s33
	s_sub_u32 s18, 0, s33
	s_subb_u32 s19, 0, 0
	s_delay_alu instid0(VALU_DEP_1) | instskip(NEXT) | instid1(VALU_DEP_1)
	v_fmac_f32_e64 v4, 0, 0x4f800000
	v_rcp_f32_e32 v4, v4
	s_waitcnt_depctr 0xfff
	v_mul_f32_e32 v4, 0x5f7ffffc, v4
	s_delay_alu instid0(VALU_DEP_1) | instskip(NEXT) | instid1(VALU_DEP_1)
	v_mul_f32_e32 v5, 0x2f800000, v4
	v_trunc_f32_e32 v5, v5
	s_delay_alu instid0(VALU_DEP_1) | instskip(SKIP_1) | instid1(VALU_DEP_2)
	v_fmac_f32_e32 v4, 0xcf800000, v5
	v_cvt_u32_f32_e32 v5, v5
	v_cvt_u32_f32_e32 v4, v4
	s_delay_alu instid0(VALU_DEP_2) | instskip(NEXT) | instid1(VALU_DEP_2)
	v_readfirstlane_b32 s8, v5
	v_readfirstlane_b32 s9, v4
	s_delay_alu instid0(VALU_DEP_2) | instskip(NEXT) | instid1(VALU_DEP_1)
	s_mul_i32 s26, s18, s8
	s_mul_hi_u32 s45, s18, s9
	s_mul_i32 s44, s19, s9
	s_add_i32 s26, s45, s26
	s_mul_i32 s100, s18, s9
	s_add_i32 s26, s26, s44
	s_mul_hi_u32 s45, s9, s100
	s_mul_hi_u32 s101, s8, s100
	s_mul_i32 s44, s8, s100
	s_mul_hi_u32 s100, s9, s26
	s_mul_i32 s9, s9, s26
	s_mul_hi_u32 s102, s8, s26
	s_add_u32 s9, s45, s9
	s_addc_u32 s45, 0, s100
	s_add_u32 s9, s9, s44
	s_mul_i32 s26, s8, s26
	s_addc_u32 s9, s45, s101
	s_addc_u32 s44, s102, 0
	s_add_u32 s9, s9, s26
	s_addc_u32 s26, 0, s44
	v_add_co_u32 v4, s9, v4, s9
	s_delay_alu instid0(VALU_DEP_1) | instskip(SKIP_1) | instid1(VALU_DEP_1)
	s_cmp_lg_u32 s9, 0
	s_addc_u32 s8, s8, s26
	v_readfirstlane_b32 s9, v4
	s_mul_i32 s26, s18, s8
	s_delay_alu instid0(VALU_DEP_1)
	s_mul_hi_u32 s44, s18, s9
	s_mul_i32 s19, s19, s9
	s_add_i32 s26, s44, s26
	s_mul_i32 s18, s18, s9
	s_add_i32 s26, s26, s19
	s_mul_hi_u32 s44, s8, s18
	s_mul_i32 s45, s8, s18
	s_mul_hi_u32 s18, s9, s18
	s_mul_hi_u32 s100, s9, s26
	s_mul_i32 s9, s9, s26
	s_mul_hi_u32 s19, s8, s26
	s_add_u32 s9, s18, s9
	s_addc_u32 s18, 0, s100
	s_add_u32 s9, s9, s45
	s_mul_i32 s26, s8, s26
	s_addc_u32 s9, s18, s44
	s_addc_u32 s18, s19, 0
	s_add_u32 s9, s9, s26
	s_addc_u32 s18, 0, s18
	v_add_co_u32 v4, s9, v4, s9
	s_delay_alu instid0(VALU_DEP_1) | instskip(SKIP_1) | instid1(VALU_DEP_1)
	s_cmp_lg_u32 s9, 0
	s_addc_u32 s8, s8, s18
	v_readfirstlane_b32 s9, v4
	s_mul_i32 s19, s78, s8
	s_mul_hi_u32 s18, s78, s8
	s_mul_hi_u32 s26, s27, s8
	s_mul_i32 s8, s27, s8
	s_mul_hi_u32 s44, s78, s9
	s_mul_hi_u32 s45, s27, s9
	s_mul_i32 s9, s27, s9
	s_add_u32 s19, s44, s19
	s_addc_u32 s18, 0, s18
	s_add_u32 s9, s19, s9
	s_addc_u32 s9, s18, s45
	s_addc_u32 s18, s26, 0
	s_add_u32 s8, s9, s8
	s_addc_u32 s9, 0, s18
	s_mul_hi_u32 s18, s33, s8
	s_mul_i32 s8, s33, s8
	s_mul_i32 s9, s33, s9
	v_sub_co_u32 v4, s8, s78, s8
	s_add_i32 s18, s18, s9
	s_cmp_lg_u32 s8, 0
	s_delay_alu instid0(VALU_DEP_1) | instskip(SKIP_2) | instid1(VALU_DEP_1)
	v_sub_co_u32 v5, s8, v4, s33
	s_subb_u32 s9, s27, s18
	s_cmp_lg_u32 s8, 0
	v_cmp_le_u32_e32 vcc_lo, s33, v5
	v_sub_co_u32 v6, s8, v5, s33
	s_subb_u32 s18, s9, 0
	s_cmp_lg_u32 s8, 0
	v_cndmask_b32_e64 v7, 0, -1, vcc_lo
	s_subb_u32 s8, s18, 0
	s_cmp_eq_u32 s18, 0
	v_mov_b32_e32 v9, s8
	s_cselect_b32 vcc_lo, -1, 0
	s_cmp_eq_u32 s9, 0
	v_cndmask_b32_e32 v7, -1, v7, vcc_lo
	v_cmp_le_u32_e32 vcc_lo, s33, v4
	s_cselect_b32 s8, -1, 0
	v_cndmask_b32_e64 v8, 0, -1, vcc_lo
	s_delay_alu instid0(VALU_DEP_3) | instskip(NEXT) | instid1(VALU_DEP_2)
	v_cmp_ne_u32_e32 vcc_lo, 0, v7
	v_cndmask_b32_e64 v7, -1, v8, s8
	v_cndmask_b32_e32 v8, s18, v9, vcc_lo
	v_cndmask_b32_e32 v6, v5, v6, vcc_lo
	s_mov_b32 s8, 0
	s_delay_alu instid0(VALU_DEP_3) | instskip(NEXT) | instid1(VALU_DEP_3)
	v_cmp_ne_u32_e32 vcc_lo, 0, v7
	v_cndmask_b32_e32 v5, s9, v8, vcc_lo
	s_delay_alu instid0(VALU_DEP_3)
	v_cndmask_b32_e32 v4, v4, v6, vcc_lo
	s_branch .LBB192_244
.LBB192_243:                            ;   in Loop: Header=BB192_6 Depth=1
	s_mov_b32 s8, -1
                                        ; implicit-def: $vgpr4_vgpr5
.LBB192_244:                            ;   in Loop: Header=BB192_6 Depth=1
	s_delay_alu instid0(SALU_CYCLE_1)
	s_and_not1_b32 vcc_lo, exec_lo, s8
	s_cbranch_vccnz .LBB192_246
; %bb.245:                              ;   in Loop: Header=BB192_6 Depth=1
	v_cvt_f32_u32_e32 v4, s33
	s_sub_i32 s8, 0, s33
	s_delay_alu instid0(VALU_DEP_1) | instskip(SKIP_2) | instid1(VALU_DEP_1)
	v_rcp_iflag_f32_e32 v4, v4
	s_waitcnt_depctr 0xfff
	v_mul_f32_e32 v4, 0x4f7ffffe, v4
	v_cvt_u32_f32_e32 v4, v4
	s_delay_alu instid0(VALU_DEP_1) | instskip(NEXT) | instid1(VALU_DEP_1)
	v_mul_lo_u32 v5, s8, v4
	v_mul_hi_u32 v5, v4, v5
	s_delay_alu instid0(VALU_DEP_1) | instskip(NEXT) | instid1(VALU_DEP_1)
	v_add_nc_u32_e32 v4, v4, v5
	v_mul_hi_u32 v4, s78, v4
	s_delay_alu instid0(VALU_DEP_1) | instskip(NEXT) | instid1(VALU_DEP_1)
	v_mul_lo_u32 v4, v4, s33
	v_sub_nc_u32_e32 v4, s78, v4
	s_delay_alu instid0(VALU_DEP_1) | instskip(SKIP_1) | instid1(VALU_DEP_2)
	v_subrev_nc_u32_e32 v5, s33, v4
	v_cmp_le_u32_e32 vcc_lo, s33, v4
	v_cndmask_b32_e32 v4, v4, v5, vcc_lo
	s_delay_alu instid0(VALU_DEP_1) | instskip(SKIP_1) | instid1(VALU_DEP_2)
	v_subrev_nc_u32_e32 v5, s33, v4
	v_cmp_le_u32_e32 vcc_lo, s33, v4
	v_cndmask_b32_e32 v12, v4, v5, vcc_lo
	s_delay_alu instid0(VALU_DEP_1)
	v_dual_mov_b32 v4, v12 :: v_dual_mov_b32 v5, v13
.LBB192_246:                            ;   in Loop: Header=BB192_6 Depth=1
	s_delay_alu instid0(VALU_DEP_1) | instskip(NEXT) | instid1(VALU_DEP_2)
	v_sub_co_u32 v6, vcc_lo, s78, v4
	v_sub_co_ci_u32_e32 v7, vcc_lo, s27, v5, vcc_lo
	s_mov_b32 s26, 0
	s_mov_b32 s9, exec_lo
                                        ; implicit-def: $vgpr5
	s_delay_alu instid0(VALU_DEP_1)
	v_cmpx_gt_u64_e64 v[6:7], v[0:1]
	s_cbranch_execz .LBB192_255
; %bb.247:                              ;   in Loop: Header=BB192_6 Depth=1
	v_dual_mov_b32 v8, v10 :: v_dual_mov_b32 v9, v11
	v_dual_mov_b32 v29, v1 :: v_dual_mov_b32 v28, v0
	s_mov_b32 s18, 0
                                        ; implicit-def: $sgpr19
	s_set_inst_prefetch_distance 0x1
	s_branch .LBB192_249
	.p2align	6
.LBB192_248:                            ;   in Loop: Header=BB192_249 Depth=2
	s_or_b32 exec_lo, exec_lo, s8
	s_waitcnt vmcnt(0) lgkmcnt(0)
	s_barrier
	buffer_gl0_inv
	ds_load_b64 v[4:5], v13 offset:3072
	v_add_co_u32 v28, vcc_lo, v28, s33
	v_add_co_ci_u32_e32 v29, vcc_lo, 0, v29, vcc_lo
	s_waitcnt lgkmcnt(0)
	s_barrier
	buffer_gl0_inv
	v_cmp_ge_u64_e32 vcc_lo, v[28:29], v[6:7]
	v_cmp_neq_f32_e64 s8, 0, v4
	s_delay_alu instid0(VALU_DEP_1)
	s_or_b32 s26, vcc_lo, s8
	v_add_co_u32 v8, vcc_lo, v8, s34
	s_and_b32 s26, exec_lo, s26
	v_add_co_ci_u32_e32 v9, vcc_lo, s35, v9, vcc_lo
	s_or_b32 s18, s26, s18
	s_and_not1_b32 s19, s19, exec_lo
	s_and_b32 s8, s8, exec_lo
	s_delay_alu instid0(SALU_CYCLE_1)
	s_or_b32 s19, s19, s8
	s_and_not1_b32 exec_lo, exec_lo, s18
	s_cbranch_execz .LBB192_254
.LBB192_249:                            ;   Parent Loop BB192_6 Depth=1
                                        ; =>  This Inner Loop Header: Depth=2
	s_delay_alu instid0(VALU_DEP_1)
	v_cmp_gt_u64_e32 vcc_lo, s[28:29], v[28:29]
	v_mov_b32_e32 v24, 0
	s_and_saveexec_b32 s8, vcc_lo
	s_cbranch_execz .LBB192_251
; %bb.250:                              ;   in Loop: Header=BB192_249 Depth=2
	global_load_b32 v24, v[8:9], off
.LBB192_251:                            ;   in Loop: Header=BB192_249 Depth=2
	s_or_b32 exec_lo, exec_lo, s8
	s_and_saveexec_b32 s8, vcc_lo
	s_cbranch_execz .LBB192_248
; %bb.252:                              ;   in Loop: Header=BB192_249 Depth=2
	s_waitcnt vmcnt(0)
	v_cmp_lt_i32_e32 vcc_lo, -1, v24
	v_cndmask_b32_e64 v4, -1, 0x80000000, vcc_lo
	v_cmp_o_f32_e32 vcc_lo, v24, v24
	s_delay_alu instid0(VALU_DEP_2) | instskip(NEXT) | instid1(VALU_DEP_1)
	v_xor_b32_e32 v4, v4, v24
	v_cndmask_b32_e32 v4, -1, v4, vcc_lo
	s_delay_alu instid0(VALU_DEP_1) | instskip(NEXT) | instid1(VALU_DEP_1)
	v_and_b32_e32 v4, v4, v31
	v_cmp_eq_u32_e32 vcc_lo, v4, v30
	s_and_b32 exec_lo, exec_lo, vcc_lo
	s_cbranch_execz .LBB192_248
; %bb.253:                              ;   in Loop: Header=BB192_249 Depth=2
	ds_store_b64 v13, v[23:24] offset:3072
	s_branch .LBB192_248
.LBB192_254:                            ;   in Loop: Header=BB192_6 Depth=1
	s_set_inst_prefetch_distance 0x2
	s_or_b32 exec_lo, exec_lo, s18
	s_delay_alu instid0(SALU_CYCLE_1)
	s_and_b32 s26, s19, exec_lo
.LBB192_255:                            ;   in Loop: Header=BB192_6 Depth=1
	s_or_b32 exec_lo, exec_lo, s9
	s_mov_b32 s18, -1
	s_mov_b32 s8, 0
	s_mov_b32 s9, 0
.LBB192_256:                            ;   in Loop: Header=BB192_6 Depth=1
	s_or_not1_b32 s26, s26, exec_lo
.LBB192_257:                            ;   in Loop: Header=BB192_6 Depth=1
	s_or_b32 exec_lo, exec_lo, s99
	s_mov_b32 s99, 0
                                        ; implicit-def: $vgpr8
                                        ; implicit-def: $vgpr6_vgpr7
	s_and_saveexec_b32 s19, s26
	s_cbranch_execz .LBB192_269
; %bb.258:                              ;   in Loop: Header=BB192_6 Depth=1
	v_mov_b32_e32 v6, 1
	v_dual_mov_b32 v7, 0 :: v_dual_mov_b32 v8, 1
	s_xor_b32 s44, s98, -1
	s_delay_alu instid0(SALU_CYCLE_1)
	s_and_saveexec_b32 s26, s44
	s_cbranch_execz .LBB192_268
; %bb.259:                              ;   in Loop: Header=BB192_6 Depth=1
                                        ; implicit-def: $sgpr99
	s_mov_b32 s44, exec_lo
	v_cmpx_ge_u64_e64 s[16:17], v[2:3]
	s_xor_b32 s98, exec_lo, s44
	s_cbranch_execz .LBB192_265
; %bb.260:                              ;   in Loop: Header=BB192_6 Depth=1
	ds_load_b64 v[6:7], v13 offset:5120
	s_waitcnt lgkmcnt(0)
	v_cmp_ne_u64_e32 vcc_lo, 0, v[6:7]
	s_cbranch_vccnz .LBB192_264
; %bb.261:                              ;   in Loop: Header=BB192_6 Depth=1
	s_and_saveexec_b32 s99, s5
	s_cbranch_execz .LBB192_263
; %bb.262:                              ;   in Loop: Header=BB192_6 Depth=1
	v_dual_mov_b32 v6, s16 :: v_dual_mov_b32 v7, s17
	ds_store_b64 v13, v[6:7] offset:5128
.LBB192_263:                            ;   in Loop: Header=BB192_6 Depth=1
	s_or_b32 exec_lo, exec_lo, s99
	s_waitcnt lgkmcnt(0)
	s_barrier
	buffer_gl0_inv
.LBB192_264:                            ;   in Loop: Header=BB192_6 Depth=1
	v_or_b32_e32 v30, s20, v30
	v_or_b32_e32 v31, s20, v31
	s_mov_b32 s99, 8
.LBB192_265:                            ;   in Loop: Header=BB192_6 Depth=1
	s_or_saveexec_b32 s98, s98
	v_mov_b32_e32 v8, s99
	s_xor_b32 exec_lo, exec_lo, s98
; %bb.266:                              ;   in Loop: Header=BB192_6 Depth=1
	v_sub_co_u32 v2, vcc_lo, v2, s16
	v_subrev_co_ci_u32_e32 v3, vcc_lo, s17, v3, vcc_lo
	v_mov_b32_e32 v8, 8
; %bb.267:                              ;   in Loop: Header=BB192_6 Depth=1
	s_or_b32 exec_lo, exec_lo, s98
	s_delay_alu instid0(VALU_DEP_2)
	v_dual_mov_b32 v7, v3 :: v_dual_mov_b32 v6, v2
.LBB192_268:                            ;   in Loop: Header=BB192_6 Depth=1
	s_or_b32 exec_lo, exec_lo, s26
	s_delay_alu instid0(SALU_CYCLE_1)
	s_mov_b32 s99, exec_lo
.LBB192_269:                            ;   in Loop: Header=BB192_6 Depth=1
	s_or_b32 exec_lo, exec_lo, s19
	s_delay_alu instid0(VALU_DEP_1)
	v_dual_mov_b32 v2, v6 :: v_dual_mov_b32 v3, v7
	s_or_not1_b32 s19, s99, exec_lo
.LBB192_270:                            ;   in Loop: Header=BB192_6 Depth=1
	s_or_b32 exec_lo, exec_lo, s73
	s_delay_alu instid0(SALU_CYCLE_1)
	s_and_not1_b32 s26, s69, exec_lo
	s_and_b32 s8, s8, exec_lo
	v_dual_mov_b32 v7, v3 :: v_dual_mov_b32 v6, v2
	s_or_b32 s69, s26, s8
	s_and_not1_b32 s8, s71, exec_lo
	s_and_b32 s18, s18, exec_lo
	s_and_not1_b32 s26, s70, exec_lo
	s_and_b32 s9, s9, exec_lo
	s_or_b32 s71, s8, s18
	s_or_b32 s70, s26, s9
	s_and_b32 s26, s19, exec_lo
.LBB192_271:                            ;   in Loop: Header=BB192_6 Depth=1
	s_or_b32 exec_lo, exec_lo, s72
	s_delay_alu instid0(SALU_CYCLE_1)
	s_and_b32 s19, s69, exec_lo
	s_and_b32 s18, s71, exec_lo
	;; [unrolled: 1-line block ×3, first 2 shown]
	s_or_not1_b32 s8, s26, exec_lo
.LBB192_272:                            ;   in Loop: Header=BB192_6 Depth=1
	s_or_b32 exec_lo, exec_lo, s68
	s_delay_alu instid0(SALU_CYCLE_1)
	s_and_not1_b32 s25, s25, exec_lo
	s_and_b32 s19, s19, exec_lo
	v_dual_mov_b32 v2, v6 :: v_dual_mov_b32 v3, v7
	s_or_b32 s25, s25, s19
	s_and_not1_b32 s19, s66, exec_lo
	s_and_b32 s18, s18, exec_lo
	s_and_not1_b32 s26, s65, exec_lo
	s_and_b32 s9, s9, exec_lo
	s_or_b32 s66, s19, s18
	s_or_b32 s65, s26, s9
	s_and_b32 s26, s8, exec_lo
.LBB192_273:                            ;   in Loop: Header=BB192_6 Depth=1
	s_or_b32 exec_lo, exec_lo, s67
	s_delay_alu instid0(SALU_CYCLE_1)
	s_and_b32 s19, s25, exec_lo
	s_and_b32 s18, s66, exec_lo
	;; [unrolled: 1-line block ×3, first 2 shown]
	s_or_not1_b32 s25, s26, exec_lo
.LBB192_274:                            ;   in Loop: Header=BB192_6 Depth=1
	s_or_b32 exec_lo, exec_lo, s24
	s_mov_b32 s8, 0
	s_mov_b32 s24, 0
	s_and_saveexec_b32 s26, s25
	s_delay_alu instid0(SALU_CYCLE_1)
	s_xor_b32 s25, exec_lo, s26
; %bb.275:                              ;   in Loop: Header=BB192_6 Depth=1
	v_cmp_ne_u32_e32 vcc_lo, 8, v8
	v_cmp_eq_u32_e64 s8, 8, v8
	s_and_not1_b32 s19, s19, exec_lo
	s_and_not1_b32 s18, s18, exec_lo
	;; [unrolled: 1-line block ×3, first 2 shown]
	s_and_b32 s24, vcc_lo, exec_lo
	s_and_b32 s8, s8, exec_lo
; %bb.276:                              ;   in Loop: Header=BB192_6 Depth=1
	s_or_b32 exec_lo, exec_lo, s25
	s_delay_alu instid0(SALU_CYCLE_1)
	s_and_not1_b32 s23, s23, exec_lo
	s_and_b32 s19, s19, exec_lo
	s_and_b32 s18, s18, exec_lo
	s_or_b32 s23, s23, s19
	s_and_not1_b32 s19, s62, exec_lo
	s_and_not1_b32 s25, s54, exec_lo
	s_and_b32 s9, s9, exec_lo
	s_or_b32 s62, s19, s18
	s_or_b32 s54, s25, s9
	s_and_b32 s24, s24, exec_lo
	s_and_b32 s25, s8, exec_lo
.LBB192_277:                            ;   in Loop: Header=BB192_6 Depth=1
	s_or_b32 exec_lo, exec_lo, s64
	s_delay_alu instid0(SALU_CYCLE_1)
	s_and_b32 vcc_lo, exec_lo, s63
	s_cbranch_vccz .LBB192_96
.LBB192_278:                            ;   in Loop: Header=BB192_6 Depth=1
	s_cmp_eq_u64 s[16:17], 1
                                        ; implicit-def: $sgpr18
                                        ; implicit-def: $sgpr19
                                        ; implicit-def: $sgpr23
	s_cselect_b32 s8, -1, 0
	s_delay_alu instid0(SALU_CYCLE_1)
	s_and_b32 s62, s8, s7
	s_mov_b32 s7, -1
	s_and_saveexec_b32 s54, s62
	s_cbranch_execz .LBB192_310
; %bb.279:                              ;   in Loop: Header=BB192_6 Depth=1
	ds_load_b64 v[2:3], v13 offset:5120
	s_waitcnt lgkmcnt(0)
	s_barrier
	buffer_gl0_inv
	v_readfirstlane_b32 s8, v2
	v_readfirstlane_b32 s9, v3
	s_and_saveexec_b32 s7, s6
	s_cbranch_execz .LBB192_281
; %bb.280:                              ;   in Loop: Header=BB192_6 Depth=1
	ds_store_b32 v35, v13
.LBB192_281:                            ;   in Loop: Header=BB192_6 Depth=1
	s_or_b32 exec_lo, exec_lo, s7
	v_or_b32_e32 v40, s20, v40
	v_or_b32_e32 v39, s20, v39
	s_cmp_eq_u64 s[8:9], 0
	s_waitcnt lgkmcnt(0)
	s_barrier
	buffer_gl0_inv
	s_cbranch_scc1 .LBB192_293
; %bb.282:                              ;   in Loop: Header=BB192_6 Depth=1
	s_add_u32 s23, s76, s8
	s_addc_u32 s19, s77, s9
	s_mov_b32 s18, s55
	s_delay_alu instid0(SALU_CYCLE_1)
	s_cmp_lg_u64 s[18:19], 0
	s_cbranch_scc0 .LBB192_337
; %bb.283:                              ;   in Loop: Header=BB192_6 Depth=1
	v_cvt_f32_u32_e32 v2, s33
	s_sub_u32 s26, 0, s33
	s_subb_u32 s63, 0, 0
	s_delay_alu instid0(VALU_DEP_1) | instskip(NEXT) | instid1(VALU_DEP_1)
	v_fmac_f32_e64 v2, 0, 0x4f800000
	v_rcp_f32_e32 v2, v2
	s_waitcnt_depctr 0xfff
	v_mul_f32_e32 v2, 0x5f7ffffc, v2
	s_delay_alu instid0(VALU_DEP_1) | instskip(NEXT) | instid1(VALU_DEP_1)
	v_mul_f32_e32 v3, 0x2f800000, v2
	v_trunc_f32_e32 v3, v3
	s_delay_alu instid0(VALU_DEP_1) | instskip(SKIP_1) | instid1(VALU_DEP_2)
	v_fmac_f32_e32 v2, 0xcf800000, v3
	v_cvt_u32_f32_e32 v3, v3
	v_cvt_u32_f32_e32 v2, v2
	s_delay_alu instid0(VALU_DEP_2) | instskip(NEXT) | instid1(VALU_DEP_2)
	v_readfirstlane_b32 s7, v3
	v_readfirstlane_b32 s18, v2
	s_delay_alu instid0(VALU_DEP_2) | instskip(NEXT) | instid1(VALU_DEP_1)
	s_mul_i32 s64, s26, s7
	s_mul_hi_u32 s66, s26, s18
	s_mul_i32 s65, s63, s18
	s_add_i32 s64, s66, s64
	s_mul_i32 s67, s26, s18
	s_add_i32 s64, s64, s65
	s_mul_hi_u32 s66, s18, s67
	s_mul_hi_u32 s68, s7, s67
	s_mul_i32 s65, s7, s67
	s_mul_hi_u32 s67, s18, s64
	s_mul_i32 s18, s18, s64
	s_mul_hi_u32 s69, s7, s64
	s_add_u32 s18, s66, s18
	s_addc_u32 s66, 0, s67
	s_add_u32 s18, s18, s65
	s_mul_i32 s64, s7, s64
	s_addc_u32 s18, s66, s68
	s_addc_u32 s65, s69, 0
	s_add_u32 s18, s18, s64
	s_addc_u32 s64, 0, s65
	v_add_co_u32 v2, s18, v2, s18
	s_delay_alu instid0(VALU_DEP_1) | instskip(SKIP_1) | instid1(VALU_DEP_1)
	s_cmp_lg_u32 s18, 0
	s_addc_u32 s7, s7, s64
	v_readfirstlane_b32 s18, v2
	s_mul_i32 s64, s26, s7
	s_delay_alu instid0(VALU_DEP_1)
	s_mul_hi_u32 s65, s26, s18
	s_mul_i32 s63, s63, s18
	s_add_i32 s64, s65, s64
	s_mul_i32 s26, s26, s18
	s_add_i32 s64, s64, s63
	s_mul_hi_u32 s65, s7, s26
	s_mul_i32 s66, s7, s26
	s_mul_hi_u32 s26, s18, s26
	s_mul_hi_u32 s67, s18, s64
	s_mul_i32 s18, s18, s64
	s_mul_hi_u32 s63, s7, s64
	s_add_u32 s18, s26, s18
	s_addc_u32 s26, 0, s67
	s_add_u32 s18, s18, s66
	s_mul_i32 s64, s7, s64
	s_addc_u32 s18, s26, s65
	s_addc_u32 s26, s63, 0
	s_add_u32 s18, s18, s64
	s_addc_u32 s26, 0, s26
	v_add_co_u32 v2, s18, v2, s18
	s_delay_alu instid0(VALU_DEP_1) | instskip(SKIP_1) | instid1(VALU_DEP_1)
	s_cmp_lg_u32 s18, 0
	s_addc_u32 s7, s7, s26
	v_readfirstlane_b32 s18, v2
	s_mul_i32 s63, s23, s7
	s_mul_hi_u32 s26, s23, s7
	s_mul_hi_u32 s64, s19, s7
	s_mul_i32 s7, s19, s7
	s_mul_hi_u32 s65, s23, s18
	s_mul_hi_u32 s66, s19, s18
	s_mul_i32 s18, s19, s18
	s_add_u32 s63, s65, s63
	s_addc_u32 s26, 0, s26
	s_add_u32 s18, s63, s18
	s_addc_u32 s18, s26, s66
	s_addc_u32 s26, s64, 0
	s_add_u32 s7, s18, s7
	s_addc_u32 s18, 0, s26
	s_mul_hi_u32 s26, s33, s7
	s_mul_i32 s7, s33, s7
	s_mul_i32 s18, s33, s18
	v_sub_co_u32 v2, s7, s23, s7
	s_add_i32 s26, s26, s18
	s_cmp_lg_u32 s7, 0
	s_delay_alu instid0(VALU_DEP_1) | instskip(SKIP_2) | instid1(VALU_DEP_1)
	v_sub_co_u32 v3, s7, v2, s33
	s_subb_u32 s18, s19, s26
	s_cmp_lg_u32 s7, 0
	v_cmp_le_u32_e32 vcc_lo, s33, v3
	v_sub_co_u32 v4, s7, v3, s33
	s_subb_u32 s26, s18, 0
	s_cmp_lg_u32 s7, 0
	v_cndmask_b32_e64 v5, 0, -1, vcc_lo
	s_subb_u32 s7, s26, 0
	s_cmp_eq_u32 s26, 0
	v_mov_b32_e32 v7, s7
	s_cselect_b32 vcc_lo, -1, 0
	s_cmp_eq_u32 s18, 0
	v_cndmask_b32_e32 v5, -1, v5, vcc_lo
	v_cmp_le_u32_e32 vcc_lo, s33, v2
	s_cselect_b32 s7, -1, 0
	v_cndmask_b32_e64 v6, 0, -1, vcc_lo
	s_delay_alu instid0(VALU_DEP_3) | instskip(NEXT) | instid1(VALU_DEP_2)
	v_cmp_ne_u32_e32 vcc_lo, 0, v5
	v_cndmask_b32_e64 v5, -1, v6, s7
	v_cndmask_b32_e32 v6, s26, v7, vcc_lo
	v_cndmask_b32_e32 v4, v3, v4, vcc_lo
	s_delay_alu instid0(VALU_DEP_3) | instskip(NEXT) | instid1(VALU_DEP_3)
	v_cmp_ne_u32_e32 vcc_lo, 0, v5
	v_cndmask_b32_e32 v3, s18, v6, vcc_lo
	s_delay_alu instid0(VALU_DEP_3)
	v_cndmask_b32_e32 v2, v2, v4, vcc_lo
	s_cbranch_execnz .LBB192_285
.LBB192_284:                            ;   in Loop: Header=BB192_6 Depth=1
	v_cvt_f32_u32_e32 v2, s33
	s_sub_i32 s7, 0, s33
	s_delay_alu instid0(VALU_DEP_1) | instskip(SKIP_2) | instid1(VALU_DEP_1)
	v_rcp_iflag_f32_e32 v2, v2
	s_waitcnt_depctr 0xfff
	v_mul_f32_e32 v2, 0x4f7ffffe, v2
	v_cvt_u32_f32_e32 v2, v2
	s_delay_alu instid0(VALU_DEP_1) | instskip(NEXT) | instid1(VALU_DEP_1)
	v_mul_lo_u32 v3, s7, v2
	v_mul_hi_u32 v3, v2, v3
	s_delay_alu instid0(VALU_DEP_1) | instskip(NEXT) | instid1(VALU_DEP_1)
	v_add_nc_u32_e32 v2, v2, v3
	v_mul_hi_u32 v2, s23, v2
	s_delay_alu instid0(VALU_DEP_1) | instskip(NEXT) | instid1(VALU_DEP_1)
	v_mul_lo_u32 v2, v2, s33
	v_sub_nc_u32_e32 v2, s23, v2
	s_delay_alu instid0(VALU_DEP_1) | instskip(SKIP_1) | instid1(VALU_DEP_2)
	v_subrev_nc_u32_e32 v3, s33, v2
	v_cmp_le_u32_e32 vcc_lo, s33, v2
	v_cndmask_b32_e32 v2, v2, v3, vcc_lo
	s_delay_alu instid0(VALU_DEP_1) | instskip(SKIP_1) | instid1(VALU_DEP_2)
	v_subrev_nc_u32_e32 v3, s33, v2
	v_cmp_le_u32_e32 vcc_lo, s33, v2
	v_cndmask_b32_e32 v12, v2, v3, vcc_lo
	s_delay_alu instid0(VALU_DEP_1)
	v_dual_mov_b32 v2, v12 :: v_dual_mov_b32 v3, v13
.LBB192_285:                            ;   in Loop: Header=BB192_6 Depth=1
	s_delay_alu instid0(VALU_DEP_1) | instskip(NEXT) | instid1(VALU_DEP_2)
	v_sub_co_u32 v2, vcc_lo, s23, v2
	v_sub_co_ci_u32_e32 v3, vcc_lo, s19, v3, vcc_lo
	s_mov_b32 s7, 0
	s_mov_b32 s18, exec_lo
                                        ; implicit-def: $vgpr25
	s_delay_alu instid0(VALU_DEP_1)
	v_cmpx_gt_u64_e64 v[2:3], v[0:1]
	s_cbranch_execz .LBB192_295
; %bb.286:                              ;   in Loop: Header=BB192_6 Depth=1
	v_dual_mov_b32 v6, v14 :: v_dual_mov_b32 v5, v1
	v_mov_b32_e32 v4, v0
	s_mov_b32 s19, 0
                                        ; implicit-def: $sgpr23
	s_set_inst_prefetch_distance 0x1
	s_branch .LBB192_288
	.p2align	6
.LBB192_287:                            ;   in Loop: Header=BB192_288 Depth=2
	s_or_b32 exec_lo, exec_lo, s7
	s_waitcnt lgkmcnt(0)
	s_barrier
	buffer_gl0_inv
	ds_load_b64 v[24:25], v13 offset:3072
	v_add_co_u32 v4, vcc_lo, v4, s33
	v_add_co_ci_u32_e32 v5, vcc_lo, 0, v5, vcc_lo
	v_add_nc_u32_e32 v6, s84, v6
	s_waitcnt lgkmcnt(0)
	s_barrier
	s_delay_alu instid0(VALU_DEP_2) | instskip(SKIP_2) | instid1(VALU_DEP_1)
	v_cmp_ge_u64_e32 vcc_lo, v[4:5], v[2:3]
	buffer_gl0_inv
	v_cmp_neq_f32_e64 s7, 0, v24
	s_or_b32 s26, vcc_lo, s7
	s_delay_alu instid0(SALU_CYCLE_1) | instskip(NEXT) | instid1(SALU_CYCLE_1)
	s_and_b32 s26, exec_lo, s26
	s_or_b32 s19, s26, s19
	s_and_not1_b32 s23, s23, exec_lo
	s_and_b32 s7, s7, exec_lo
	s_delay_alu instid0(SALU_CYCLE_1)
	s_or_b32 s23, s23, s7
	s_and_not1_b32 exec_lo, exec_lo, s19
	s_cbranch_execz .LBB192_294
.LBB192_288:                            ;   Parent Loop BB192_6 Depth=1
                                        ; =>  This Inner Loop Header: Depth=2
	s_delay_alu instid0(VALU_DEP_1)
	v_cmp_gt_u64_e32 vcc_lo, s[8:9], v[4:5]
	v_mov_b32_e32 v24, 0
	s_and_saveexec_b32 s7, vcc_lo
	s_cbranch_execz .LBB192_290
; %bb.289:                              ;   in Loop: Header=BB192_288 Depth=2
	ds_load_b32 v24, v6
.LBB192_290:                            ;   in Loop: Header=BB192_288 Depth=2
	s_or_b32 exec_lo, exec_lo, s7
	s_and_saveexec_b32 s7, vcc_lo
	s_cbranch_execz .LBB192_287
; %bb.291:                              ;   in Loop: Header=BB192_288 Depth=2
	s_waitcnt lgkmcnt(0)
	v_cmp_lt_i32_e32 vcc_lo, -1, v24
	v_cndmask_b32_e64 v7, -1, 0x80000000, vcc_lo
	v_cmp_o_f32_e32 vcc_lo, v24, v24
	s_delay_alu instid0(VALU_DEP_2) | instskip(NEXT) | instid1(VALU_DEP_1)
	v_xor_b32_e32 v7, v7, v24
	v_cndmask_b32_e32 v7, -1, v7, vcc_lo
	s_delay_alu instid0(VALU_DEP_1) | instskip(NEXT) | instid1(VALU_DEP_1)
	v_and_b32_e32 v7, v7, v39
	v_cmp_eq_u32_e32 vcc_lo, v7, v40
	s_and_b32 exec_lo, exec_lo, vcc_lo
	s_cbranch_execz .LBB192_287
; %bb.292:                              ;   in Loop: Header=BB192_288 Depth=2
	ds_store_b64 v13, v[23:24] offset:3072
	s_branch .LBB192_287
.LBB192_293:                            ;   in Loop: Header=BB192_6 Depth=1
	s_mov_b32 s18, -1
	s_mov_b32 s7, 0
                                        ; implicit-def: $sgpr19
                                        ; implicit-def: $vgpr25
	s_mov_b32 s23, s18
	s_cbranch_execnz .LBB192_296
	s_branch .LBB192_309
.LBB192_294:                            ;   in Loop: Header=BB192_6 Depth=1
	s_set_inst_prefetch_distance 0x2
	s_or_b32 exec_lo, exec_lo, s19
	s_delay_alu instid0(SALU_CYCLE_1)
	s_and_b32 s7, s23, exec_lo
.LBB192_295:                            ;   in Loop: Header=BB192_6 Depth=1
	s_or_b32 exec_lo, exec_lo, s18
	s_mov_b32 s18, 0
	s_mov_b32 s19, -1
	s_mov_b32 s23, s18
	s_branch .LBB192_309
.LBB192_296:                            ;   in Loop: Header=BB192_6 Depth=1
	s_mov_b32 s26, s55
	s_delay_alu instid0(SALU_CYCLE_1)
	s_cmp_lg_u64 s[26:27], 0
	s_cbranch_scc0 .LBB192_338
; %bb.297:                              ;   in Loop: Header=BB192_6 Depth=1
	v_cvt_f32_u32_e32 v2, s33
	s_sub_u32 s9, 0, s33
	s_subb_u32 s18, 0, 0
	s_delay_alu instid0(VALU_DEP_1) | instskip(NEXT) | instid1(VALU_DEP_1)
	v_fmac_f32_e64 v2, 0, 0x4f800000
	v_rcp_f32_e32 v2, v2
	s_waitcnt_depctr 0xfff
	v_mul_f32_e32 v2, 0x5f7ffffc, v2
	s_delay_alu instid0(VALU_DEP_1) | instskip(NEXT) | instid1(VALU_DEP_1)
	v_mul_f32_e32 v3, 0x2f800000, v2
	v_trunc_f32_e32 v3, v3
	s_delay_alu instid0(VALU_DEP_1) | instskip(SKIP_1) | instid1(VALU_DEP_2)
	v_fmac_f32_e32 v2, 0xcf800000, v3
	v_cvt_u32_f32_e32 v3, v3
	v_cvt_u32_f32_e32 v2, v2
	s_delay_alu instid0(VALU_DEP_2) | instskip(NEXT) | instid1(VALU_DEP_2)
	v_readfirstlane_b32 s7, v3
	v_readfirstlane_b32 s8, v2
	s_delay_alu instid0(VALU_DEP_2) | instskip(NEXT) | instid1(VALU_DEP_1)
	s_mul_i32 s19, s9, s7
	s_mul_hi_u32 s26, s9, s8
	s_mul_i32 s23, s18, s8
	s_add_i32 s19, s26, s19
	s_mul_i32 s63, s9, s8
	s_add_i32 s19, s19, s23
	s_mul_hi_u32 s26, s8, s63
	s_mul_hi_u32 s64, s7, s63
	s_mul_i32 s23, s7, s63
	s_mul_hi_u32 s63, s8, s19
	s_mul_i32 s8, s8, s19
	s_mul_hi_u32 s65, s7, s19
	s_add_u32 s8, s26, s8
	s_addc_u32 s26, 0, s63
	s_add_u32 s8, s8, s23
	s_mul_i32 s19, s7, s19
	s_addc_u32 s8, s26, s64
	s_addc_u32 s23, s65, 0
	s_add_u32 s8, s8, s19
	s_addc_u32 s19, 0, s23
	v_add_co_u32 v2, s8, v2, s8
	s_delay_alu instid0(VALU_DEP_1) | instskip(SKIP_1) | instid1(VALU_DEP_1)
	s_cmp_lg_u32 s8, 0
	s_addc_u32 s7, s7, s19
	v_readfirstlane_b32 s8, v2
	s_mul_i32 s19, s9, s7
	s_delay_alu instid0(VALU_DEP_1)
	s_mul_hi_u32 s23, s9, s8
	s_mul_i32 s18, s18, s8
	s_add_i32 s19, s23, s19
	s_mul_i32 s9, s9, s8
	s_add_i32 s19, s19, s18
	s_mul_hi_u32 s23, s7, s9
	s_mul_i32 s26, s7, s9
	s_mul_hi_u32 s9, s8, s9
	s_mul_hi_u32 s63, s8, s19
	s_mul_i32 s8, s8, s19
	s_mul_hi_u32 s18, s7, s19
	s_add_u32 s8, s9, s8
	s_addc_u32 s9, 0, s63
	s_add_u32 s8, s8, s26
	s_mul_i32 s19, s7, s19
	s_addc_u32 s8, s9, s23
	s_addc_u32 s9, s18, 0
	s_add_u32 s8, s8, s19
	s_addc_u32 s9, 0, s9
	v_add_co_u32 v2, s8, v2, s8
	s_delay_alu instid0(VALU_DEP_1) | instskip(SKIP_1) | instid1(VALU_DEP_1)
	s_cmp_lg_u32 s8, 0
	s_addc_u32 s7, s7, s9
	v_readfirstlane_b32 s8, v2
	s_mul_i32 s18, s78, s7
	s_mul_hi_u32 s9, s78, s7
	s_mul_hi_u32 s19, s27, s7
	s_mul_i32 s7, s27, s7
	s_mul_hi_u32 s23, s78, s8
	s_mul_hi_u32 s26, s27, s8
	s_mul_i32 s8, s27, s8
	s_add_u32 s18, s23, s18
	s_addc_u32 s9, 0, s9
	s_add_u32 s8, s18, s8
	s_addc_u32 s8, s9, s26
	s_addc_u32 s9, s19, 0
	s_add_u32 s7, s8, s7
	s_addc_u32 s8, 0, s9
	s_mul_hi_u32 s9, s33, s7
	s_mul_i32 s7, s33, s7
	s_mul_i32 s8, s33, s8
	v_sub_co_u32 v2, s7, s78, s7
	s_add_i32 s9, s9, s8
	s_cmp_lg_u32 s7, 0
	s_delay_alu instid0(VALU_DEP_1) | instskip(SKIP_2) | instid1(VALU_DEP_1)
	v_sub_co_u32 v3, s7, v2, s33
	s_subb_u32 s8, s27, s9
	s_cmp_lg_u32 s7, 0
	v_cmp_le_u32_e32 vcc_lo, s33, v3
	v_sub_co_u32 v4, s7, v3, s33
	s_subb_u32 s9, s8, 0
	s_cmp_lg_u32 s7, 0
	v_cndmask_b32_e64 v5, 0, -1, vcc_lo
	s_subb_u32 s7, s9, 0
	s_cmp_eq_u32 s9, 0
	v_mov_b32_e32 v7, s7
	s_cselect_b32 vcc_lo, -1, 0
	s_cmp_eq_u32 s8, 0
	v_cndmask_b32_e32 v5, -1, v5, vcc_lo
	v_cmp_le_u32_e32 vcc_lo, s33, v2
	s_cselect_b32 s7, -1, 0
	v_cndmask_b32_e64 v6, 0, -1, vcc_lo
	s_delay_alu instid0(VALU_DEP_3) | instskip(NEXT) | instid1(VALU_DEP_2)
	v_cmp_ne_u32_e32 vcc_lo, 0, v5
	v_cndmask_b32_e64 v5, -1, v6, s7
	v_cndmask_b32_e32 v6, s9, v7, vcc_lo
	v_cndmask_b32_e32 v4, v3, v4, vcc_lo
	s_delay_alu instid0(VALU_DEP_3) | instskip(NEXT) | instid1(VALU_DEP_3)
	v_cmp_ne_u32_e32 vcc_lo, 0, v5
	v_cndmask_b32_e32 v3, s8, v6, vcc_lo
	s_delay_alu instid0(VALU_DEP_3)
	v_cndmask_b32_e32 v2, v2, v4, vcc_lo
	s_cbranch_execnz .LBB192_299
.LBB192_298:                            ;   in Loop: Header=BB192_6 Depth=1
	v_cvt_f32_u32_e32 v2, s33
	s_sub_i32 s7, 0, s33
	s_delay_alu instid0(VALU_DEP_1) | instskip(SKIP_2) | instid1(VALU_DEP_1)
	v_rcp_iflag_f32_e32 v2, v2
	s_waitcnt_depctr 0xfff
	v_mul_f32_e32 v2, 0x4f7ffffe, v2
	v_cvt_u32_f32_e32 v2, v2
	s_delay_alu instid0(VALU_DEP_1) | instskip(NEXT) | instid1(VALU_DEP_1)
	v_mul_lo_u32 v3, s7, v2
	v_mul_hi_u32 v3, v2, v3
	s_delay_alu instid0(VALU_DEP_1) | instskip(NEXT) | instid1(VALU_DEP_1)
	v_add_nc_u32_e32 v2, v2, v3
	v_mul_hi_u32 v2, s78, v2
	s_delay_alu instid0(VALU_DEP_1) | instskip(NEXT) | instid1(VALU_DEP_1)
	v_mul_lo_u32 v2, v2, s33
	v_sub_nc_u32_e32 v2, s78, v2
	s_delay_alu instid0(VALU_DEP_1) | instskip(SKIP_1) | instid1(VALU_DEP_2)
	v_subrev_nc_u32_e32 v3, s33, v2
	v_cmp_le_u32_e32 vcc_lo, s33, v2
	v_cndmask_b32_e32 v2, v2, v3, vcc_lo
	s_delay_alu instid0(VALU_DEP_1) | instskip(SKIP_1) | instid1(VALU_DEP_2)
	v_subrev_nc_u32_e32 v3, s33, v2
	v_cmp_le_u32_e32 vcc_lo, s33, v2
	v_cndmask_b32_e32 v12, v2, v3, vcc_lo
	s_delay_alu instid0(VALU_DEP_1)
	v_dual_mov_b32 v2, v12 :: v_dual_mov_b32 v3, v13
.LBB192_299:                            ;   in Loop: Header=BB192_6 Depth=1
	s_delay_alu instid0(VALU_DEP_1) | instskip(NEXT) | instid1(VALU_DEP_2)
	v_sub_co_u32 v2, vcc_lo, s78, v2
	v_sub_co_ci_u32_e32 v3, vcc_lo, s27, v3, vcc_lo
	s_mov_b32 s7, 0
	s_mov_b32 s8, exec_lo
                                        ; implicit-def: $vgpr25
	s_delay_alu instid0(VALU_DEP_1)
	v_cmpx_gt_u64_e64 v[2:3], v[0:1]
	s_cbranch_execz .LBB192_308
; %bb.300:                              ;   in Loop: Header=BB192_6 Depth=1
	v_dual_mov_b32 v4, v10 :: v_dual_mov_b32 v5, v11
	v_dual_mov_b32 v7, v1 :: v_dual_mov_b32 v6, v0
	s_mov_b32 s9, 0
                                        ; implicit-def: $sgpr18
	s_set_inst_prefetch_distance 0x1
	s_branch .LBB192_302
	.p2align	6
.LBB192_301:                            ;   in Loop: Header=BB192_302 Depth=2
	s_or_b32 exec_lo, exec_lo, s7
	s_waitcnt vmcnt(0) lgkmcnt(0)
	s_barrier
	buffer_gl0_inv
	ds_load_b64 v[24:25], v13 offset:3072
	v_add_co_u32 v6, vcc_lo, v6, s33
	v_add_co_ci_u32_e32 v7, vcc_lo, 0, v7, vcc_lo
	s_waitcnt lgkmcnt(0)
	s_barrier
	buffer_gl0_inv
	v_cmp_ge_u64_e32 vcc_lo, v[6:7], v[2:3]
	v_cmp_neq_f32_e64 s7, 0, v24
	s_delay_alu instid0(VALU_DEP_1)
	s_or_b32 s19, vcc_lo, s7
	v_add_co_u32 v4, vcc_lo, v4, s34
	s_and_b32 s19, exec_lo, s19
	v_add_co_ci_u32_e32 v5, vcc_lo, s35, v5, vcc_lo
	s_or_b32 s9, s19, s9
	s_and_not1_b32 s18, s18, exec_lo
	s_and_b32 s7, s7, exec_lo
	s_delay_alu instid0(SALU_CYCLE_1)
	s_or_b32 s18, s18, s7
	s_and_not1_b32 exec_lo, exec_lo, s9
	s_cbranch_execz .LBB192_307
.LBB192_302:                            ;   Parent Loop BB192_6 Depth=1
                                        ; =>  This Inner Loop Header: Depth=2
	s_delay_alu instid0(VALU_DEP_1)
	v_cmp_gt_u64_e32 vcc_lo, s[28:29], v[6:7]
	v_mov_b32_e32 v24, 0
	s_and_saveexec_b32 s7, vcc_lo
	s_cbranch_execz .LBB192_304
; %bb.303:                              ;   in Loop: Header=BB192_302 Depth=2
	global_load_b32 v24, v[4:5], off
.LBB192_304:                            ;   in Loop: Header=BB192_302 Depth=2
	s_or_b32 exec_lo, exec_lo, s7
	s_and_saveexec_b32 s7, vcc_lo
	s_cbranch_execz .LBB192_301
; %bb.305:                              ;   in Loop: Header=BB192_302 Depth=2
	s_waitcnt vmcnt(0)
	v_cmp_lt_i32_e32 vcc_lo, -1, v24
	v_cndmask_b32_e64 v8, -1, 0x80000000, vcc_lo
	v_cmp_o_f32_e32 vcc_lo, v24, v24
	s_delay_alu instid0(VALU_DEP_2) | instskip(NEXT) | instid1(VALU_DEP_1)
	v_xor_b32_e32 v8, v8, v24
	v_cndmask_b32_e32 v8, -1, v8, vcc_lo
	s_delay_alu instid0(VALU_DEP_1) | instskip(NEXT) | instid1(VALU_DEP_1)
	v_and_b32_e32 v8, v8, v39
	v_cmp_eq_u32_e32 vcc_lo, v8, v40
	s_and_b32 exec_lo, exec_lo, vcc_lo
	s_cbranch_execz .LBB192_301
; %bb.306:                              ;   in Loop: Header=BB192_302 Depth=2
	ds_store_b64 v13, v[23:24] offset:3072
	s_branch .LBB192_301
.LBB192_307:                            ;   in Loop: Header=BB192_6 Depth=1
	s_set_inst_prefetch_distance 0x2
	s_or_b32 exec_lo, exec_lo, s9
	s_delay_alu instid0(SALU_CYCLE_1)
	s_and_b32 s7, s18, exec_lo
.LBB192_308:                            ;   in Loop: Header=BB192_6 Depth=1
	s_or_b32 exec_lo, exec_lo, s8
	s_mov_b32 s19, 0
	s_mov_b32 s18, -1
	s_mov_b32 s23, 0
.LBB192_309:                            ;   in Loop: Header=BB192_6 Depth=1
	s_or_not1_b32 s7, s7, exec_lo
.LBB192_310:                            ;   in Loop: Header=BB192_6 Depth=1
	s_or_b32 exec_lo, exec_lo, s54
                                        ; implicit-def: $vgpr8
                                        ; implicit-def: $vgpr2_vgpr3
                                        ; implicit-def: $vgpr30
                                        ; implicit-def: $vgpr31
                                        ; implicit-def: $vgpr5
	s_and_saveexec_b32 s54, s7
	s_cbranch_execz .LBB192_473
; %bb.311:                              ;   in Loop: Header=BB192_6 Depth=1
	v_mov_b32_e32 v2, 1
	v_dual_mov_b32 v3, 0 :: v_dual_mov_b32 v8, 1
	s_xor_b32 s8, s62, -1
	s_mov_b32 s26, 0
	s_and_saveexec_b32 s7, s8
	s_cbranch_execz .LBB192_321
; %bb.312:                              ;   in Loop: Header=BB192_6 Depth=1
	s_mov_b32 s9, exec_lo
                                        ; implicit-def: $sgpr26
                                        ; implicit-def: $sgpr8
	v_cmpx_ge_u64_e64 s[16:17], v[26:27]
	s_xor_b32 s9, exec_lo, s9
	s_cbranch_execz .LBB192_318
; %bb.313:                              ;   in Loop: Header=BB192_6 Depth=1
	ds_load_b64 v[2:3], v13 offset:5120
	s_waitcnt lgkmcnt(0)
	v_cmp_ne_u64_e32 vcc_lo, 0, v[2:3]
	s_cbranch_vccnz .LBB192_317
; %bb.314:                              ;   in Loop: Header=BB192_6 Depth=1
	s_and_saveexec_b32 s8, s5
	s_cbranch_execz .LBB192_316
; %bb.315:                              ;   in Loop: Header=BB192_6 Depth=1
	v_dual_mov_b32 v2, s16 :: v_dual_mov_b32 v3, s17
	ds_store_b64 v13, v[2:3] offset:5128
.LBB192_316:                            ;   in Loop: Header=BB192_6 Depth=1
	s_or_b32 exec_lo, exec_lo, s8
	s_waitcnt lgkmcnt(0)
	s_barrier
	buffer_gl0_inv
.LBB192_317:                            ;   in Loop: Header=BB192_6 Depth=1
	v_or_b32_e32 v40, s20, v40
	v_or_b32_e32 v39, s20, v39
	s_mov_b32 s8, 0
	s_mov_b32 s26, 5
.LBB192_318:                            ;   in Loop: Header=BB192_6 Depth=1
	s_or_saveexec_b32 s9, s9
	v_mov_b32_e32 v8, s26
	s_xor_b32 exec_lo, exec_lo, s9
; %bb.319:                              ;   in Loop: Header=BB192_6 Depth=1
	v_sub_co_u32 v26, vcc_lo, v26, s16
	v_subrev_co_ci_u32_e32 v27, vcc_lo, s17, v27, vcc_lo
	v_mov_b32_e32 v8, 0
	s_or_b32 s8, s8, exec_lo
; %bb.320:                              ;   in Loop: Header=BB192_6 Depth=1
	s_or_b32 exec_lo, exec_lo, s9
	s_delay_alu instid0(VALU_DEP_2)
	v_dual_mov_b32 v2, v26 :: v_dual_mov_b32 v3, v27
	s_and_b32 s26, s8, exec_lo
.LBB192_321:                            ;   in Loop: Header=BB192_6 Depth=1
	s_or_b32 exec_lo, exec_lo, s7
	s_mov_b32 s17, -1
                                        ; implicit-def: $sgpr8
                                        ; implicit-def: $sgpr9
                                        ; implicit-def: $sgpr16
	s_and_saveexec_b32 s7, s26
	s_delay_alu instid0(SALU_CYCLE_1)
	s_xor_b32 s62, exec_lo, s7
	s_cbranch_execz .LBB192_470
; %bb.322:                              ;   in Loop: Header=BB192_6 Depth=1
	v_cmp_eq_u64_e32 vcc_lo, 1, v[2:3]
	s_cmp_eq_u64 s[14:15], 1
                                        ; implicit-def: $sgpr16
                                        ; implicit-def: $sgpr17
                                        ; implicit-def: $sgpr63
	s_cselect_b32 s7, -1, 0
	s_delay_alu instid0(SALU_CYCLE_1)
	s_and_b32 s65, s7, vcc_lo
	s_mov_b32 s7, -1
	s_and_saveexec_b32 s64, s65
	s_cbranch_execz .LBB192_356
; %bb.323:                              ;   in Loop: Header=BB192_6 Depth=1
	ds_load_b64 v[4:5], v13 offset:5120
	s_waitcnt lgkmcnt(0)
	s_barrier
	buffer_gl0_inv
	v_readfirstlane_b32 s8, v4
	v_readfirstlane_b32 s9, v5
	s_and_saveexec_b32 s7, s6
	s_cbranch_execz .LBB192_325
; %bb.324:                              ;   in Loop: Header=BB192_6 Depth=1
	ds_store_b32 v35, v13
.LBB192_325:                            ;   in Loop: Header=BB192_6 Depth=1
	s_or_b32 exec_lo, exec_lo, s7
	s_lshl_b32 s7, 2, s22
	v_or_b32_e32 v39, s20, v39
	v_and_or_b32 v40, v40, s21, s7
	s_cmp_eq_u64 s[8:9], 0
	s_waitcnt lgkmcnt(0)
	s_barrier
	buffer_gl0_inv
	s_cbranch_scc1 .LBB192_339
; %bb.326:                              ;   in Loop: Header=BB192_6 Depth=1
	s_add_u32 s26, s76, s8
	s_addc_u32 s17, s77, s9
	s_mov_b32 s16, s55
	s_delay_alu instid0(SALU_CYCLE_1)
	s_cmp_lg_u64 s[16:17], 0
	s_cbranch_scc0 .LBB192_383
; %bb.327:                              ;   in Loop: Header=BB192_6 Depth=1
	v_cvt_f32_u32_e32 v4, s33
	s_sub_u32 s63, 0, s33
	s_subb_u32 s66, 0, 0
	s_delay_alu instid0(VALU_DEP_1) | instskip(NEXT) | instid1(VALU_DEP_1)
	v_fmac_f32_e64 v4, 0, 0x4f800000
	v_rcp_f32_e32 v4, v4
	s_waitcnt_depctr 0xfff
	v_mul_f32_e32 v4, 0x5f7ffffc, v4
	s_delay_alu instid0(VALU_DEP_1) | instskip(NEXT) | instid1(VALU_DEP_1)
	v_mul_f32_e32 v5, 0x2f800000, v4
	v_trunc_f32_e32 v5, v5
	s_delay_alu instid0(VALU_DEP_1) | instskip(SKIP_1) | instid1(VALU_DEP_2)
	v_fmac_f32_e32 v4, 0xcf800000, v5
	v_cvt_u32_f32_e32 v5, v5
	v_cvt_u32_f32_e32 v4, v4
	s_delay_alu instid0(VALU_DEP_2) | instskip(NEXT) | instid1(VALU_DEP_2)
	v_readfirstlane_b32 s7, v5
	v_readfirstlane_b32 s16, v4
	s_delay_alu instid0(VALU_DEP_2) | instskip(NEXT) | instid1(VALU_DEP_1)
	s_mul_i32 s67, s63, s7
	s_mul_hi_u32 s69, s63, s16
	s_mul_i32 s68, s66, s16
	s_add_i32 s67, s69, s67
	s_mul_i32 s70, s63, s16
	s_add_i32 s67, s67, s68
	s_mul_hi_u32 s69, s16, s70
	s_mul_hi_u32 s71, s7, s70
	s_mul_i32 s68, s7, s70
	s_mul_hi_u32 s70, s16, s67
	s_mul_i32 s16, s16, s67
	s_mul_hi_u32 s72, s7, s67
	s_add_u32 s16, s69, s16
	s_addc_u32 s69, 0, s70
	s_add_u32 s16, s16, s68
	s_mul_i32 s67, s7, s67
	s_addc_u32 s16, s69, s71
	s_addc_u32 s68, s72, 0
	s_add_u32 s16, s16, s67
	s_addc_u32 s67, 0, s68
	v_add_co_u32 v4, s16, v4, s16
	s_delay_alu instid0(VALU_DEP_1) | instskip(SKIP_1) | instid1(VALU_DEP_1)
	s_cmp_lg_u32 s16, 0
	s_addc_u32 s7, s7, s67
	v_readfirstlane_b32 s16, v4
	s_mul_i32 s67, s63, s7
	s_delay_alu instid0(VALU_DEP_1)
	s_mul_hi_u32 s68, s63, s16
	s_mul_i32 s66, s66, s16
	s_add_i32 s67, s68, s67
	s_mul_i32 s63, s63, s16
	s_add_i32 s67, s67, s66
	s_mul_hi_u32 s68, s7, s63
	s_mul_i32 s69, s7, s63
	s_mul_hi_u32 s63, s16, s63
	s_mul_hi_u32 s70, s16, s67
	s_mul_i32 s16, s16, s67
	s_mul_hi_u32 s66, s7, s67
	s_add_u32 s16, s63, s16
	s_addc_u32 s63, 0, s70
	s_add_u32 s16, s16, s69
	s_mul_i32 s67, s7, s67
	s_addc_u32 s16, s63, s68
	s_addc_u32 s63, s66, 0
	s_add_u32 s16, s16, s67
	s_addc_u32 s63, 0, s63
	v_add_co_u32 v4, s16, v4, s16
	s_delay_alu instid0(VALU_DEP_1) | instskip(SKIP_1) | instid1(VALU_DEP_1)
	s_cmp_lg_u32 s16, 0
	s_addc_u32 s7, s7, s63
	v_readfirstlane_b32 s16, v4
	s_mul_i32 s66, s26, s7
	s_mul_hi_u32 s63, s26, s7
	s_mul_hi_u32 s67, s17, s7
	s_mul_i32 s7, s17, s7
	s_mul_hi_u32 s68, s26, s16
	s_mul_hi_u32 s69, s17, s16
	s_mul_i32 s16, s17, s16
	s_add_u32 s66, s68, s66
	s_addc_u32 s63, 0, s63
	s_add_u32 s16, s66, s16
	s_addc_u32 s16, s63, s69
	s_addc_u32 s63, s67, 0
	s_add_u32 s7, s16, s7
	s_addc_u32 s16, 0, s63
	s_mul_hi_u32 s63, s33, s7
	s_mul_i32 s7, s33, s7
	s_mul_i32 s16, s33, s16
	v_sub_co_u32 v4, s7, s26, s7
	s_add_i32 s63, s63, s16
	s_cmp_lg_u32 s7, 0
	s_delay_alu instid0(VALU_DEP_1) | instskip(SKIP_2) | instid1(VALU_DEP_1)
	v_sub_co_u32 v5, s7, v4, s33
	s_subb_u32 s16, s17, s63
	s_cmp_lg_u32 s7, 0
	v_cmp_le_u32_e32 vcc_lo, s33, v5
	v_sub_co_u32 v6, s7, v5, s33
	s_subb_u32 s63, s16, 0
	s_cmp_lg_u32 s7, 0
	v_cndmask_b32_e64 v7, 0, -1, vcc_lo
	s_subb_u32 s7, s63, 0
	s_cmp_eq_u32 s63, 0
	v_mov_b32_e32 v9, s7
	s_cselect_b32 vcc_lo, -1, 0
	s_cmp_eq_u32 s16, 0
	v_cndmask_b32_e32 v7, -1, v7, vcc_lo
	v_cmp_le_u32_e32 vcc_lo, s33, v4
	s_cselect_b32 s7, -1, 0
	v_cndmask_b32_e64 v8, 0, -1, vcc_lo
	s_delay_alu instid0(VALU_DEP_3) | instskip(NEXT) | instid1(VALU_DEP_2)
	v_cmp_ne_u32_e32 vcc_lo, 0, v7
	v_cndmask_b32_e64 v7, -1, v8, s7
	v_cndmask_b32_e32 v8, s63, v9, vcc_lo
	v_cndmask_b32_e32 v6, v5, v6, vcc_lo
	s_delay_alu instid0(VALU_DEP_3) | instskip(NEXT) | instid1(VALU_DEP_3)
	v_cmp_ne_u32_e32 vcc_lo, 0, v7
	v_cndmask_b32_e32 v5, s16, v8, vcc_lo
	s_delay_alu instid0(VALU_DEP_3)
	v_cndmask_b32_e32 v4, v4, v6, vcc_lo
	s_cbranch_execnz .LBB192_329
.LBB192_328:                            ;   in Loop: Header=BB192_6 Depth=1
	v_cvt_f32_u32_e32 v4, s33
	s_sub_i32 s7, 0, s33
	s_delay_alu instid0(VALU_DEP_1) | instskip(SKIP_2) | instid1(VALU_DEP_1)
	v_rcp_iflag_f32_e32 v4, v4
	s_waitcnt_depctr 0xfff
	v_mul_f32_e32 v4, 0x4f7ffffe, v4
	v_cvt_u32_f32_e32 v4, v4
	s_delay_alu instid0(VALU_DEP_1) | instskip(NEXT) | instid1(VALU_DEP_1)
	v_mul_lo_u32 v5, s7, v4
	v_mul_hi_u32 v5, v4, v5
	s_delay_alu instid0(VALU_DEP_1) | instskip(NEXT) | instid1(VALU_DEP_1)
	v_add_nc_u32_e32 v4, v4, v5
	v_mul_hi_u32 v4, s26, v4
	s_delay_alu instid0(VALU_DEP_1) | instskip(NEXT) | instid1(VALU_DEP_1)
	v_mul_lo_u32 v4, v4, s33
	v_sub_nc_u32_e32 v4, s26, v4
	s_delay_alu instid0(VALU_DEP_1) | instskip(SKIP_1) | instid1(VALU_DEP_2)
	v_subrev_nc_u32_e32 v5, s33, v4
	v_cmp_le_u32_e32 vcc_lo, s33, v4
	v_cndmask_b32_e32 v4, v4, v5, vcc_lo
	s_delay_alu instid0(VALU_DEP_1) | instskip(SKIP_1) | instid1(VALU_DEP_2)
	v_subrev_nc_u32_e32 v5, s33, v4
	v_cmp_le_u32_e32 vcc_lo, s33, v4
	v_cndmask_b32_e32 v12, v4, v5, vcc_lo
	s_delay_alu instid0(VALU_DEP_1)
	v_dual_mov_b32 v4, v12 :: v_dual_mov_b32 v5, v13
.LBB192_329:                            ;   in Loop: Header=BB192_6 Depth=1
	s_delay_alu instid0(VALU_DEP_1) | instskip(NEXT) | instid1(VALU_DEP_2)
	v_sub_co_u32 v4, vcc_lo, s26, v4
	v_sub_co_ci_u32_e32 v5, vcc_lo, s17, v5, vcc_lo
	s_mov_b32 s7, 0
	s_mov_b32 s16, exec_lo
                                        ; implicit-def: $vgpr25
	s_delay_alu instid0(VALU_DEP_1)
	v_cmpx_gt_u64_e64 v[4:5], v[0:1]
	s_cbranch_execz .LBB192_341
; %bb.330:                              ;   in Loop: Header=BB192_6 Depth=1
	v_dual_mov_b32 v8, v14 :: v_dual_mov_b32 v7, v1
	v_mov_b32_e32 v6, v0
	s_mov_b32 s17, 0
                                        ; implicit-def: $sgpr26
	s_set_inst_prefetch_distance 0x1
	s_branch .LBB192_332
	.p2align	6
.LBB192_331:                            ;   in Loop: Header=BB192_332 Depth=2
	s_or_b32 exec_lo, exec_lo, s7
	s_waitcnt lgkmcnt(0)
	s_barrier
	buffer_gl0_inv
	ds_load_b64 v[24:25], v13 offset:3072
	v_add_co_u32 v6, vcc_lo, v6, s33
	v_add_co_ci_u32_e32 v7, vcc_lo, 0, v7, vcc_lo
	v_add_nc_u32_e32 v8, s84, v8
	s_waitcnt lgkmcnt(0)
	s_barrier
	s_delay_alu instid0(VALU_DEP_2) | instskip(SKIP_2) | instid1(VALU_DEP_1)
	v_cmp_ge_u64_e32 vcc_lo, v[6:7], v[4:5]
	buffer_gl0_inv
	v_cmp_neq_f32_e64 s7, 0, v24
	s_or_b32 s63, vcc_lo, s7
	s_delay_alu instid0(SALU_CYCLE_1) | instskip(NEXT) | instid1(SALU_CYCLE_1)
	s_and_b32 s63, exec_lo, s63
	s_or_b32 s17, s63, s17
	s_and_not1_b32 s26, s26, exec_lo
	s_and_b32 s7, s7, exec_lo
	s_delay_alu instid0(SALU_CYCLE_1)
	s_or_b32 s26, s26, s7
	s_and_not1_b32 exec_lo, exec_lo, s17
	s_cbranch_execz .LBB192_340
.LBB192_332:                            ;   Parent Loop BB192_6 Depth=1
                                        ; =>  This Inner Loop Header: Depth=2
	s_delay_alu instid0(VALU_DEP_1)
	v_cmp_gt_u64_e32 vcc_lo, s[8:9], v[6:7]
	v_mov_b32_e32 v24, 0
	s_and_saveexec_b32 s7, vcc_lo
	s_cbranch_execz .LBB192_334
; %bb.333:                              ;   in Loop: Header=BB192_332 Depth=2
	ds_load_b32 v24, v8
.LBB192_334:                            ;   in Loop: Header=BB192_332 Depth=2
	s_or_b32 exec_lo, exec_lo, s7
	s_and_saveexec_b32 s7, vcc_lo
	s_cbranch_execz .LBB192_331
; %bb.335:                              ;   in Loop: Header=BB192_332 Depth=2
	s_waitcnt lgkmcnt(0)
	v_cmp_lt_i32_e32 vcc_lo, -1, v24
	v_cndmask_b32_e64 v9, -1, 0x80000000, vcc_lo
	v_cmp_o_f32_e32 vcc_lo, v24, v24
	s_delay_alu instid0(VALU_DEP_2) | instskip(NEXT) | instid1(VALU_DEP_1)
	v_xor_b32_e32 v9, v9, v24
	v_cndmask_b32_e32 v9, -1, v9, vcc_lo
	s_delay_alu instid0(VALU_DEP_1) | instskip(NEXT) | instid1(VALU_DEP_1)
	v_and_b32_e32 v9, v9, v39
	v_cmp_eq_u32_e32 vcc_lo, v9, v40
	s_and_b32 exec_lo, exec_lo, vcc_lo
	s_cbranch_execz .LBB192_331
; %bb.336:                              ;   in Loop: Header=BB192_332 Depth=2
	ds_store_b64 v13, v[23:24] offset:3072
	s_branch .LBB192_331
.LBB192_337:                            ;   in Loop: Header=BB192_6 Depth=1
                                        ; implicit-def: $vgpr2_vgpr3
	s_branch .LBB192_284
.LBB192_338:                            ;   in Loop: Header=BB192_6 Depth=1
                                        ; implicit-def: $vgpr2_vgpr3
	s_branch .LBB192_298
.LBB192_339:                            ;   in Loop: Header=BB192_6 Depth=1
	s_mov_b32 s16, -1
	s_mov_b32 s7, 0
                                        ; implicit-def: $sgpr17
                                        ; implicit-def: $vgpr25
	s_mov_b32 s63, s16
	s_cbranch_execnz .LBB192_342
	s_branch .LBB192_355
.LBB192_340:                            ;   in Loop: Header=BB192_6 Depth=1
	s_set_inst_prefetch_distance 0x2
	s_or_b32 exec_lo, exec_lo, s17
	s_delay_alu instid0(SALU_CYCLE_1)
	s_and_b32 s7, s26, exec_lo
.LBB192_341:                            ;   in Loop: Header=BB192_6 Depth=1
	s_or_b32 exec_lo, exec_lo, s16
	s_mov_b32 s16, 0
	s_mov_b32 s17, -1
	s_mov_b32 s63, s16
	s_branch .LBB192_355
.LBB192_342:                            ;   in Loop: Header=BB192_6 Depth=1
	s_mov_b32 s26, s55
	s_delay_alu instid0(SALU_CYCLE_1)
	s_cmp_lg_u64 s[26:27], 0
	s_cbranch_scc0 .LBB192_384
; %bb.343:                              ;   in Loop: Header=BB192_6 Depth=1
	v_cvt_f32_u32_e32 v4, s33
	s_sub_u32 s9, 0, s33
	s_subb_u32 s16, 0, 0
	s_delay_alu instid0(VALU_DEP_1) | instskip(NEXT) | instid1(VALU_DEP_1)
	v_fmac_f32_e64 v4, 0, 0x4f800000
	v_rcp_f32_e32 v4, v4
	s_waitcnt_depctr 0xfff
	v_mul_f32_e32 v4, 0x5f7ffffc, v4
	s_delay_alu instid0(VALU_DEP_1) | instskip(NEXT) | instid1(VALU_DEP_1)
	v_mul_f32_e32 v5, 0x2f800000, v4
	v_trunc_f32_e32 v5, v5
	s_delay_alu instid0(VALU_DEP_1) | instskip(SKIP_1) | instid1(VALU_DEP_2)
	v_fmac_f32_e32 v4, 0xcf800000, v5
	v_cvt_u32_f32_e32 v5, v5
	v_cvt_u32_f32_e32 v4, v4
	s_delay_alu instid0(VALU_DEP_2) | instskip(NEXT) | instid1(VALU_DEP_2)
	v_readfirstlane_b32 s7, v5
	v_readfirstlane_b32 s8, v4
	s_delay_alu instid0(VALU_DEP_2) | instskip(NEXT) | instid1(VALU_DEP_1)
	s_mul_i32 s17, s9, s7
	s_mul_hi_u32 s63, s9, s8
	s_mul_i32 s26, s16, s8
	s_add_i32 s17, s63, s17
	s_mul_i32 s66, s9, s8
	s_add_i32 s17, s17, s26
	s_mul_hi_u32 s63, s8, s66
	s_mul_hi_u32 s67, s7, s66
	s_mul_i32 s26, s7, s66
	s_mul_hi_u32 s66, s8, s17
	s_mul_i32 s8, s8, s17
	s_mul_hi_u32 s68, s7, s17
	s_add_u32 s8, s63, s8
	s_addc_u32 s63, 0, s66
	s_add_u32 s8, s8, s26
	s_mul_i32 s17, s7, s17
	s_addc_u32 s8, s63, s67
	s_addc_u32 s26, s68, 0
	s_add_u32 s8, s8, s17
	s_addc_u32 s17, 0, s26
	v_add_co_u32 v4, s8, v4, s8
	s_delay_alu instid0(VALU_DEP_1) | instskip(SKIP_1) | instid1(VALU_DEP_1)
	s_cmp_lg_u32 s8, 0
	s_addc_u32 s7, s7, s17
	v_readfirstlane_b32 s8, v4
	s_mul_i32 s17, s9, s7
	s_delay_alu instid0(VALU_DEP_1)
	s_mul_hi_u32 s26, s9, s8
	s_mul_i32 s16, s16, s8
	s_add_i32 s17, s26, s17
	s_mul_i32 s9, s9, s8
	s_add_i32 s17, s17, s16
	s_mul_hi_u32 s26, s7, s9
	s_mul_i32 s63, s7, s9
	s_mul_hi_u32 s9, s8, s9
	s_mul_hi_u32 s66, s8, s17
	s_mul_i32 s8, s8, s17
	s_mul_hi_u32 s16, s7, s17
	s_add_u32 s8, s9, s8
	s_addc_u32 s9, 0, s66
	s_add_u32 s8, s8, s63
	s_mul_i32 s17, s7, s17
	s_addc_u32 s8, s9, s26
	s_addc_u32 s9, s16, 0
	s_add_u32 s8, s8, s17
	s_addc_u32 s9, 0, s9
	v_add_co_u32 v4, s8, v4, s8
	s_delay_alu instid0(VALU_DEP_1) | instskip(SKIP_1) | instid1(VALU_DEP_1)
	s_cmp_lg_u32 s8, 0
	s_addc_u32 s7, s7, s9
	v_readfirstlane_b32 s8, v4
	s_mul_i32 s16, s78, s7
	s_mul_hi_u32 s9, s78, s7
	s_mul_hi_u32 s17, s27, s7
	s_mul_i32 s7, s27, s7
	s_mul_hi_u32 s26, s78, s8
	s_mul_hi_u32 s63, s27, s8
	s_mul_i32 s8, s27, s8
	s_add_u32 s16, s26, s16
	s_addc_u32 s9, 0, s9
	s_add_u32 s8, s16, s8
	s_addc_u32 s8, s9, s63
	s_addc_u32 s9, s17, 0
	s_add_u32 s7, s8, s7
	s_addc_u32 s8, 0, s9
	s_mul_hi_u32 s9, s33, s7
	s_mul_i32 s7, s33, s7
	s_mul_i32 s8, s33, s8
	v_sub_co_u32 v4, s7, s78, s7
	s_add_i32 s9, s9, s8
	s_cmp_lg_u32 s7, 0
	s_delay_alu instid0(VALU_DEP_1) | instskip(SKIP_2) | instid1(VALU_DEP_1)
	v_sub_co_u32 v5, s7, v4, s33
	s_subb_u32 s8, s27, s9
	s_cmp_lg_u32 s7, 0
	v_cmp_le_u32_e32 vcc_lo, s33, v5
	v_sub_co_u32 v6, s7, v5, s33
	s_subb_u32 s9, s8, 0
	s_cmp_lg_u32 s7, 0
	v_cndmask_b32_e64 v7, 0, -1, vcc_lo
	s_subb_u32 s7, s9, 0
	s_cmp_eq_u32 s9, 0
	v_mov_b32_e32 v9, s7
	s_cselect_b32 vcc_lo, -1, 0
	s_cmp_eq_u32 s8, 0
	v_cndmask_b32_e32 v7, -1, v7, vcc_lo
	v_cmp_le_u32_e32 vcc_lo, s33, v4
	s_cselect_b32 s7, -1, 0
	v_cndmask_b32_e64 v8, 0, -1, vcc_lo
	s_delay_alu instid0(VALU_DEP_3) | instskip(NEXT) | instid1(VALU_DEP_2)
	v_cmp_ne_u32_e32 vcc_lo, 0, v7
	v_cndmask_b32_e64 v7, -1, v8, s7
	v_cndmask_b32_e32 v8, s9, v9, vcc_lo
	v_cndmask_b32_e32 v6, v5, v6, vcc_lo
	s_delay_alu instid0(VALU_DEP_3) | instskip(NEXT) | instid1(VALU_DEP_3)
	v_cmp_ne_u32_e32 vcc_lo, 0, v7
	v_cndmask_b32_e32 v5, s8, v8, vcc_lo
	s_delay_alu instid0(VALU_DEP_3)
	v_cndmask_b32_e32 v4, v4, v6, vcc_lo
	s_cbranch_execnz .LBB192_345
.LBB192_344:                            ;   in Loop: Header=BB192_6 Depth=1
	v_cvt_f32_u32_e32 v4, s33
	s_sub_i32 s7, 0, s33
	s_delay_alu instid0(VALU_DEP_1) | instskip(SKIP_2) | instid1(VALU_DEP_1)
	v_rcp_iflag_f32_e32 v4, v4
	s_waitcnt_depctr 0xfff
	v_mul_f32_e32 v4, 0x4f7ffffe, v4
	v_cvt_u32_f32_e32 v4, v4
	s_delay_alu instid0(VALU_DEP_1) | instskip(NEXT) | instid1(VALU_DEP_1)
	v_mul_lo_u32 v5, s7, v4
	v_mul_hi_u32 v5, v4, v5
	s_delay_alu instid0(VALU_DEP_1) | instskip(NEXT) | instid1(VALU_DEP_1)
	v_add_nc_u32_e32 v4, v4, v5
	v_mul_hi_u32 v4, s78, v4
	s_delay_alu instid0(VALU_DEP_1) | instskip(NEXT) | instid1(VALU_DEP_1)
	v_mul_lo_u32 v4, v4, s33
	v_sub_nc_u32_e32 v4, s78, v4
	s_delay_alu instid0(VALU_DEP_1) | instskip(SKIP_1) | instid1(VALU_DEP_2)
	v_subrev_nc_u32_e32 v5, s33, v4
	v_cmp_le_u32_e32 vcc_lo, s33, v4
	v_cndmask_b32_e32 v4, v4, v5, vcc_lo
	s_delay_alu instid0(VALU_DEP_1) | instskip(SKIP_1) | instid1(VALU_DEP_2)
	v_subrev_nc_u32_e32 v5, s33, v4
	v_cmp_le_u32_e32 vcc_lo, s33, v4
	v_cndmask_b32_e32 v12, v4, v5, vcc_lo
	s_delay_alu instid0(VALU_DEP_1)
	v_dual_mov_b32 v4, v12 :: v_dual_mov_b32 v5, v13
.LBB192_345:                            ;   in Loop: Header=BB192_6 Depth=1
	s_delay_alu instid0(VALU_DEP_1) | instskip(NEXT) | instid1(VALU_DEP_2)
	v_sub_co_u32 v4, vcc_lo, s78, v4
	v_sub_co_ci_u32_e32 v5, vcc_lo, s27, v5, vcc_lo
	s_mov_b32 s7, 0
	s_mov_b32 s8, exec_lo
                                        ; implicit-def: $vgpr25
	s_delay_alu instid0(VALU_DEP_1)
	v_cmpx_gt_u64_e64 v[4:5], v[0:1]
	s_cbranch_execz .LBB192_354
; %bb.346:                              ;   in Loop: Header=BB192_6 Depth=1
	v_dual_mov_b32 v6, v10 :: v_dual_mov_b32 v7, v11
	v_dual_mov_b32 v9, v1 :: v_dual_mov_b32 v8, v0
	s_mov_b32 s9, 0
                                        ; implicit-def: $sgpr16
	s_set_inst_prefetch_distance 0x1
	s_branch .LBB192_348
	.p2align	6
.LBB192_347:                            ;   in Loop: Header=BB192_348 Depth=2
	s_or_b32 exec_lo, exec_lo, s7
	s_waitcnt vmcnt(0) lgkmcnt(0)
	s_barrier
	buffer_gl0_inv
	ds_load_b64 v[24:25], v13 offset:3072
	v_add_co_u32 v8, vcc_lo, v8, s33
	v_add_co_ci_u32_e32 v9, vcc_lo, 0, v9, vcc_lo
	s_waitcnt lgkmcnt(0)
	s_barrier
	buffer_gl0_inv
	v_cmp_ge_u64_e32 vcc_lo, v[8:9], v[4:5]
	v_cmp_neq_f32_e64 s7, 0, v24
	s_delay_alu instid0(VALU_DEP_1)
	s_or_b32 s17, vcc_lo, s7
	v_add_co_u32 v6, vcc_lo, v6, s34
	s_and_b32 s17, exec_lo, s17
	v_add_co_ci_u32_e32 v7, vcc_lo, s35, v7, vcc_lo
	s_or_b32 s9, s17, s9
	s_and_not1_b32 s16, s16, exec_lo
	s_and_b32 s7, s7, exec_lo
	s_delay_alu instid0(SALU_CYCLE_1)
	s_or_b32 s16, s16, s7
	s_and_not1_b32 exec_lo, exec_lo, s9
	s_cbranch_execz .LBB192_353
.LBB192_348:                            ;   Parent Loop BB192_6 Depth=1
                                        ; =>  This Inner Loop Header: Depth=2
	s_delay_alu instid0(VALU_DEP_1)
	v_cmp_gt_u64_e32 vcc_lo, s[28:29], v[8:9]
	v_mov_b32_e32 v24, 0
	s_and_saveexec_b32 s7, vcc_lo
	s_cbranch_execz .LBB192_350
; %bb.349:                              ;   in Loop: Header=BB192_348 Depth=2
	global_load_b32 v24, v[6:7], off
.LBB192_350:                            ;   in Loop: Header=BB192_348 Depth=2
	s_or_b32 exec_lo, exec_lo, s7
	s_and_saveexec_b32 s7, vcc_lo
	s_cbranch_execz .LBB192_347
; %bb.351:                              ;   in Loop: Header=BB192_348 Depth=2
	s_waitcnt vmcnt(0)
	v_cmp_lt_i32_e32 vcc_lo, -1, v24
	v_cndmask_b32_e64 v12, -1, 0x80000000, vcc_lo
	v_cmp_o_f32_e32 vcc_lo, v24, v24
	s_delay_alu instid0(VALU_DEP_2) | instskip(NEXT) | instid1(VALU_DEP_1)
	v_xor_b32_e32 v12, v12, v24
	v_cndmask_b32_e32 v12, -1, v12, vcc_lo
	s_delay_alu instid0(VALU_DEP_1) | instskip(NEXT) | instid1(VALU_DEP_1)
	v_and_b32_e32 v12, v12, v39
	v_cmp_eq_u32_e32 vcc_lo, v12, v40
	s_and_b32 exec_lo, exec_lo, vcc_lo
	s_cbranch_execz .LBB192_347
; %bb.352:                              ;   in Loop: Header=BB192_348 Depth=2
	ds_store_b64 v13, v[23:24] offset:3072
	s_branch .LBB192_347
.LBB192_353:                            ;   in Loop: Header=BB192_6 Depth=1
	s_set_inst_prefetch_distance 0x2
	s_or_b32 exec_lo, exec_lo, s9
	s_delay_alu instid0(SALU_CYCLE_1)
	s_and_b32 s7, s16, exec_lo
.LBB192_354:                            ;   in Loop: Header=BB192_6 Depth=1
	s_or_b32 exec_lo, exec_lo, s8
	s_mov_b32 s17, 0
	s_mov_b32 s16, -1
	s_mov_b32 s63, 0
.LBB192_355:                            ;   in Loop: Header=BB192_6 Depth=1
	s_or_not1_b32 s7, s7, exec_lo
.LBB192_356:                            ;   in Loop: Header=BB192_6 Depth=1
	s_or_b32 exec_lo, exec_lo, s64
	s_mov_b32 s26, 0
                                        ; implicit-def: $vgpr8
	s_and_saveexec_b32 s64, s7
	s_cbranch_execz .LBB192_469
; %bb.357:                              ;   in Loop: Header=BB192_6 Depth=1
	v_mov_b32_e32 v4, 1
	v_dual_mov_b32 v5, 0 :: v_dual_mov_b32 v8, 1
	s_xor_b32 s8, s65, -1
	s_delay_alu instid0(SALU_CYCLE_1)
	s_and_saveexec_b32 s7, s8
	s_cbranch_execz .LBB192_367
; %bb.358:                              ;   in Loop: Header=BB192_6 Depth=1
	s_mov_b32 s9, exec_lo
                                        ; implicit-def: $sgpr26
                                        ; implicit-def: $sgpr8
	v_cmpx_ge_u64_e64 s[14:15], v[2:3]
	s_xor_b32 s9, exec_lo, s9
	s_cbranch_execz .LBB192_364
; %bb.359:                              ;   in Loop: Header=BB192_6 Depth=1
	ds_load_b64 v[4:5], v13 offset:5120
	s_waitcnt lgkmcnt(0)
	v_cmp_ne_u64_e32 vcc_lo, 0, v[4:5]
	s_cbranch_vccnz .LBB192_363
; %bb.360:                              ;   in Loop: Header=BB192_6 Depth=1
	s_and_saveexec_b32 s8, s5
	s_cbranch_execz .LBB192_362
; %bb.361:                              ;   in Loop: Header=BB192_6 Depth=1
	v_dual_mov_b32 v4, s14 :: v_dual_mov_b32 v5, s15
	ds_store_b64 v13, v[4:5] offset:5128
.LBB192_362:                            ;   in Loop: Header=BB192_6 Depth=1
	s_or_b32 exec_lo, exec_lo, s8
	s_waitcnt lgkmcnt(0)
	s_barrier
	buffer_gl0_inv
.LBB192_363:                            ;   in Loop: Header=BB192_6 Depth=1
	s_lshl_b32 s8, 2, s22
	v_or_b32_e32 v39, s20, v39
	v_and_or_b32 v40, v40, s21, s8
	s_mov_b32 s8, 0
	s_mov_b32 s26, 5
.LBB192_364:                            ;   in Loop: Header=BB192_6 Depth=1
	s_or_saveexec_b32 s9, s9
	v_mov_b32_e32 v8, s26
	s_xor_b32 exec_lo, exec_lo, s9
; %bb.365:                              ;   in Loop: Header=BB192_6 Depth=1
	v_sub_co_u32 v2, vcc_lo, v2, s14
	v_subrev_co_ci_u32_e32 v3, vcc_lo, s15, v3, vcc_lo
	v_mov_b32_e32 v8, 0
	s_or_b32 s8, s8, exec_lo
; %bb.366:                              ;   in Loop: Header=BB192_6 Depth=1
	s_or_b32 exec_lo, exec_lo, s9
	s_delay_alu instid0(VALU_DEP_2)
	v_dual_mov_b32 v5, v3 :: v_dual_mov_b32 v4, v2
	s_and_b32 s26, s8, exec_lo
.LBB192_367:                            ;   in Loop: Header=BB192_6 Depth=1
	s_or_b32 exec_lo, exec_lo, s7
	s_mov_b32 s7, -1
                                        ; implicit-def: $sgpr8
                                        ; implicit-def: $sgpr9
                                        ; implicit-def: $sgpr14
	s_and_saveexec_b32 s65, s26
	s_cbranch_execz .LBB192_468
; %bb.368:                              ;   in Loop: Header=BB192_6 Depth=1
	v_cmp_eq_u64_e32 vcc_lo, 1, v[4:5]
	s_cmp_eq_u64 s[12:13], 1
                                        ; implicit-def: $sgpr14
                                        ; implicit-def: $sgpr15
                                        ; implicit-def: $sgpr66
	s_cselect_b32 s7, -1, 0
	s_delay_alu instid0(SALU_CYCLE_1)
	s_and_b32 s68, s7, vcc_lo
	s_mov_b32 s7, -1
	s_and_saveexec_b32 s67, s68
	s_cbranch_execz .LBB192_402
; %bb.369:                              ;   in Loop: Header=BB192_6 Depth=1
	ds_load_b64 v[2:3], v13 offset:5120
	s_waitcnt lgkmcnt(0)
	s_barrier
	buffer_gl0_inv
	v_readfirstlane_b32 s8, v2
	v_readfirstlane_b32 s9, v3
	s_and_saveexec_b32 s7, s6
	s_cbranch_execz .LBB192_371
; %bb.370:                              ;   in Loop: Header=BB192_6 Depth=1
	ds_store_b32 v35, v13
.LBB192_371:                            ;   in Loop: Header=BB192_6 Depth=1
	s_or_b32 exec_lo, exec_lo, s7
	s_lshl_b32 s7, 1, s22
	v_or_b32_e32 v39, s20, v39
	v_and_or_b32 v40, v40, s21, s7
	s_cmp_eq_u64 s[8:9], 0
	s_waitcnt lgkmcnt(0)
	s_barrier
	buffer_gl0_inv
	s_cbranch_scc1 .LBB192_385
; %bb.372:                              ;   in Loop: Header=BB192_6 Depth=1
	s_add_u32 s26, s76, s8
	s_addc_u32 s15, s77, s9
	s_mov_b32 s14, s55
	s_delay_alu instid0(SALU_CYCLE_1)
	s_cmp_lg_u64 s[14:15], 0
	s_cbranch_scc0 .LBB192_420
; %bb.373:                              ;   in Loop: Header=BB192_6 Depth=1
	v_cvt_f32_u32_e32 v2, s33
	s_sub_u32 s66, 0, s33
	s_subb_u32 s69, 0, 0
	s_delay_alu instid0(VALU_DEP_1) | instskip(NEXT) | instid1(VALU_DEP_1)
	v_fmac_f32_e64 v2, 0, 0x4f800000
	v_rcp_f32_e32 v2, v2
	s_waitcnt_depctr 0xfff
	v_mul_f32_e32 v2, 0x5f7ffffc, v2
	s_delay_alu instid0(VALU_DEP_1) | instskip(NEXT) | instid1(VALU_DEP_1)
	v_mul_f32_e32 v3, 0x2f800000, v2
	v_trunc_f32_e32 v3, v3
	s_delay_alu instid0(VALU_DEP_1) | instskip(SKIP_1) | instid1(VALU_DEP_2)
	v_fmac_f32_e32 v2, 0xcf800000, v3
	v_cvt_u32_f32_e32 v3, v3
	v_cvt_u32_f32_e32 v2, v2
	s_delay_alu instid0(VALU_DEP_2) | instskip(NEXT) | instid1(VALU_DEP_2)
	v_readfirstlane_b32 s7, v3
	v_readfirstlane_b32 s14, v2
	s_delay_alu instid0(VALU_DEP_2) | instskip(NEXT) | instid1(VALU_DEP_1)
	s_mul_i32 s70, s66, s7
	s_mul_hi_u32 s72, s66, s14
	s_mul_i32 s71, s69, s14
	s_add_i32 s70, s72, s70
	s_mul_i32 s73, s66, s14
	s_add_i32 s70, s70, s71
	s_mul_hi_u32 s72, s14, s73
	s_mul_hi_u32 s98, s7, s73
	s_mul_i32 s71, s7, s73
	s_mul_hi_u32 s73, s14, s70
	s_mul_i32 s14, s14, s70
	s_mul_hi_u32 s99, s7, s70
	s_add_u32 s14, s72, s14
	s_addc_u32 s72, 0, s73
	s_add_u32 s14, s14, s71
	s_mul_i32 s70, s7, s70
	s_addc_u32 s14, s72, s98
	s_addc_u32 s71, s99, 0
	s_add_u32 s14, s14, s70
	s_addc_u32 s70, 0, s71
	v_add_co_u32 v2, s14, v2, s14
	s_delay_alu instid0(VALU_DEP_1) | instskip(SKIP_1) | instid1(VALU_DEP_1)
	s_cmp_lg_u32 s14, 0
	s_addc_u32 s7, s7, s70
	v_readfirstlane_b32 s14, v2
	s_mul_i32 s70, s66, s7
	s_delay_alu instid0(VALU_DEP_1)
	s_mul_hi_u32 s71, s66, s14
	s_mul_i32 s69, s69, s14
	s_add_i32 s70, s71, s70
	s_mul_i32 s66, s66, s14
	s_add_i32 s70, s70, s69
	s_mul_hi_u32 s71, s7, s66
	s_mul_i32 s72, s7, s66
	s_mul_hi_u32 s66, s14, s66
	s_mul_hi_u32 s73, s14, s70
	s_mul_i32 s14, s14, s70
	s_mul_hi_u32 s69, s7, s70
	s_add_u32 s14, s66, s14
	s_addc_u32 s66, 0, s73
	s_add_u32 s14, s14, s72
	s_mul_i32 s70, s7, s70
	s_addc_u32 s14, s66, s71
	s_addc_u32 s66, s69, 0
	s_add_u32 s14, s14, s70
	s_addc_u32 s66, 0, s66
	v_add_co_u32 v2, s14, v2, s14
	s_delay_alu instid0(VALU_DEP_1) | instskip(SKIP_1) | instid1(VALU_DEP_1)
	s_cmp_lg_u32 s14, 0
	s_addc_u32 s7, s7, s66
	v_readfirstlane_b32 s14, v2
	s_mul_i32 s69, s26, s7
	s_mul_hi_u32 s66, s26, s7
	s_mul_hi_u32 s70, s15, s7
	s_mul_i32 s7, s15, s7
	s_mul_hi_u32 s71, s26, s14
	s_mul_hi_u32 s72, s15, s14
	s_mul_i32 s14, s15, s14
	s_add_u32 s69, s71, s69
	s_addc_u32 s66, 0, s66
	s_add_u32 s14, s69, s14
	s_addc_u32 s14, s66, s72
	s_addc_u32 s66, s70, 0
	s_add_u32 s7, s14, s7
	s_addc_u32 s14, 0, s66
	s_mul_hi_u32 s66, s33, s7
	s_mul_i32 s7, s33, s7
	s_mul_i32 s14, s33, s14
	v_sub_co_u32 v2, s7, s26, s7
	s_add_i32 s66, s66, s14
	s_cmp_lg_u32 s7, 0
	s_delay_alu instid0(VALU_DEP_1) | instskip(SKIP_2) | instid1(VALU_DEP_1)
	v_sub_co_u32 v3, s7, v2, s33
	s_subb_u32 s14, s15, s66
	s_cmp_lg_u32 s7, 0
	v_cmp_le_u32_e32 vcc_lo, s33, v3
	v_sub_co_u32 v6, s7, v3, s33
	s_subb_u32 s66, s14, 0
	s_cmp_lg_u32 s7, 0
	v_cndmask_b32_e64 v7, 0, -1, vcc_lo
	s_subb_u32 s7, s66, 0
	s_cmp_eq_u32 s66, 0
	v_mov_b32_e32 v9, s7
	s_cselect_b32 vcc_lo, -1, 0
	s_cmp_eq_u32 s14, 0
	v_cndmask_b32_e32 v7, -1, v7, vcc_lo
	v_cmp_le_u32_e32 vcc_lo, s33, v2
	s_cselect_b32 s7, -1, 0
	v_cndmask_b32_e64 v8, 0, -1, vcc_lo
	s_delay_alu instid0(VALU_DEP_3) | instskip(NEXT) | instid1(VALU_DEP_2)
	v_cmp_ne_u32_e32 vcc_lo, 0, v7
	v_cndmask_b32_e64 v7, -1, v8, s7
	v_cndmask_b32_e32 v8, s66, v9, vcc_lo
	v_cndmask_b32_e32 v6, v3, v6, vcc_lo
	s_delay_alu instid0(VALU_DEP_3) | instskip(NEXT) | instid1(VALU_DEP_3)
	v_cmp_ne_u32_e32 vcc_lo, 0, v7
	v_cndmask_b32_e32 v3, s14, v8, vcc_lo
	s_delay_alu instid0(VALU_DEP_3)
	v_cndmask_b32_e32 v2, v2, v6, vcc_lo
	s_cbranch_execnz .LBB192_375
.LBB192_374:                            ;   in Loop: Header=BB192_6 Depth=1
	v_cvt_f32_u32_e32 v2, s33
	s_sub_i32 s7, 0, s33
	s_delay_alu instid0(VALU_DEP_1) | instskip(SKIP_2) | instid1(VALU_DEP_1)
	v_rcp_iflag_f32_e32 v2, v2
	s_waitcnt_depctr 0xfff
	v_mul_f32_e32 v2, 0x4f7ffffe, v2
	v_cvt_u32_f32_e32 v2, v2
	s_delay_alu instid0(VALU_DEP_1) | instskip(NEXT) | instid1(VALU_DEP_1)
	v_mul_lo_u32 v3, s7, v2
	v_mul_hi_u32 v3, v2, v3
	s_delay_alu instid0(VALU_DEP_1) | instskip(NEXT) | instid1(VALU_DEP_1)
	v_add_nc_u32_e32 v2, v2, v3
	v_mul_hi_u32 v2, s26, v2
	s_delay_alu instid0(VALU_DEP_1) | instskip(NEXT) | instid1(VALU_DEP_1)
	v_mul_lo_u32 v2, v2, s33
	v_sub_nc_u32_e32 v2, s26, v2
	s_delay_alu instid0(VALU_DEP_1) | instskip(SKIP_1) | instid1(VALU_DEP_2)
	v_subrev_nc_u32_e32 v3, s33, v2
	v_cmp_le_u32_e32 vcc_lo, s33, v2
	v_cndmask_b32_e32 v2, v2, v3, vcc_lo
	s_delay_alu instid0(VALU_DEP_1) | instskip(SKIP_1) | instid1(VALU_DEP_2)
	v_subrev_nc_u32_e32 v3, s33, v2
	v_cmp_le_u32_e32 vcc_lo, s33, v2
	v_cndmask_b32_e32 v12, v2, v3, vcc_lo
	s_delay_alu instid0(VALU_DEP_1)
	v_dual_mov_b32 v2, v12 :: v_dual_mov_b32 v3, v13
.LBB192_375:                            ;   in Loop: Header=BB192_6 Depth=1
	s_delay_alu instid0(VALU_DEP_1) | instskip(NEXT) | instid1(VALU_DEP_2)
	v_sub_co_u32 v2, vcc_lo, s26, v2
	v_sub_co_ci_u32_e32 v3, vcc_lo, s15, v3, vcc_lo
	s_mov_b32 s7, 0
	s_mov_b32 s14, exec_lo
                                        ; implicit-def: $vgpr25
	s_delay_alu instid0(VALU_DEP_1)
	v_cmpx_gt_u64_e64 v[2:3], v[0:1]
	s_cbranch_execz .LBB192_387
; %bb.376:                              ;   in Loop: Header=BB192_6 Depth=1
	v_dual_mov_b32 v8, v14 :: v_dual_mov_b32 v7, v1
	v_mov_b32_e32 v6, v0
	s_mov_b32 s15, 0
                                        ; implicit-def: $sgpr26
	s_set_inst_prefetch_distance 0x1
	s_branch .LBB192_378
	.p2align	6
.LBB192_377:                            ;   in Loop: Header=BB192_378 Depth=2
	s_or_b32 exec_lo, exec_lo, s7
	s_waitcnt lgkmcnt(0)
	s_barrier
	buffer_gl0_inv
	ds_load_b64 v[24:25], v13 offset:3072
	v_add_co_u32 v6, vcc_lo, v6, s33
	v_add_co_ci_u32_e32 v7, vcc_lo, 0, v7, vcc_lo
	v_add_nc_u32_e32 v8, s84, v8
	s_waitcnt lgkmcnt(0)
	s_barrier
	s_delay_alu instid0(VALU_DEP_2) | instskip(SKIP_2) | instid1(VALU_DEP_1)
	v_cmp_ge_u64_e32 vcc_lo, v[6:7], v[2:3]
	buffer_gl0_inv
	v_cmp_neq_f32_e64 s7, 0, v24
	s_or_b32 s66, vcc_lo, s7
	s_delay_alu instid0(SALU_CYCLE_1) | instskip(NEXT) | instid1(SALU_CYCLE_1)
	s_and_b32 s66, exec_lo, s66
	s_or_b32 s15, s66, s15
	s_and_not1_b32 s26, s26, exec_lo
	s_and_b32 s7, s7, exec_lo
	s_delay_alu instid0(SALU_CYCLE_1)
	s_or_b32 s26, s26, s7
	s_and_not1_b32 exec_lo, exec_lo, s15
	s_cbranch_execz .LBB192_386
.LBB192_378:                            ;   Parent Loop BB192_6 Depth=1
                                        ; =>  This Inner Loop Header: Depth=2
	s_delay_alu instid0(VALU_DEP_1)
	v_cmp_gt_u64_e32 vcc_lo, s[8:9], v[6:7]
	v_mov_b32_e32 v24, 0
	s_and_saveexec_b32 s7, vcc_lo
	s_cbranch_execz .LBB192_380
; %bb.379:                              ;   in Loop: Header=BB192_378 Depth=2
	ds_load_b32 v24, v8
.LBB192_380:                            ;   in Loop: Header=BB192_378 Depth=2
	s_or_b32 exec_lo, exec_lo, s7
	s_and_saveexec_b32 s7, vcc_lo
	s_cbranch_execz .LBB192_377
; %bb.381:                              ;   in Loop: Header=BB192_378 Depth=2
	s_waitcnt lgkmcnt(0)
	v_cmp_lt_i32_e32 vcc_lo, -1, v24
	v_cndmask_b32_e64 v9, -1, 0x80000000, vcc_lo
	v_cmp_o_f32_e32 vcc_lo, v24, v24
	s_delay_alu instid0(VALU_DEP_2) | instskip(NEXT) | instid1(VALU_DEP_1)
	v_xor_b32_e32 v9, v9, v24
	v_cndmask_b32_e32 v9, -1, v9, vcc_lo
	s_delay_alu instid0(VALU_DEP_1) | instskip(NEXT) | instid1(VALU_DEP_1)
	v_and_b32_e32 v9, v9, v39
	v_cmp_eq_u32_e32 vcc_lo, v9, v40
	s_and_b32 exec_lo, exec_lo, vcc_lo
	s_cbranch_execz .LBB192_377
; %bb.382:                              ;   in Loop: Header=BB192_378 Depth=2
	ds_store_b64 v13, v[23:24] offset:3072
	s_branch .LBB192_377
.LBB192_383:                            ;   in Loop: Header=BB192_6 Depth=1
                                        ; implicit-def: $vgpr4_vgpr5
	s_branch .LBB192_328
.LBB192_384:                            ;   in Loop: Header=BB192_6 Depth=1
                                        ; implicit-def: $vgpr4_vgpr5
	s_branch .LBB192_344
.LBB192_385:                            ;   in Loop: Header=BB192_6 Depth=1
	s_mov_b32 s14, -1
	s_mov_b32 s7, 0
                                        ; implicit-def: $sgpr15
                                        ; implicit-def: $vgpr25
	s_mov_b32 s66, s14
	s_cbranch_execnz .LBB192_388
	s_branch .LBB192_401
.LBB192_386:                            ;   in Loop: Header=BB192_6 Depth=1
	s_set_inst_prefetch_distance 0x2
	s_or_b32 exec_lo, exec_lo, s15
	s_delay_alu instid0(SALU_CYCLE_1)
	s_and_b32 s7, s26, exec_lo
.LBB192_387:                            ;   in Loop: Header=BB192_6 Depth=1
	s_or_b32 exec_lo, exec_lo, s14
	s_mov_b32 s14, 0
	s_mov_b32 s15, -1
	s_mov_b32 s66, s14
	s_branch .LBB192_401
.LBB192_388:                            ;   in Loop: Header=BB192_6 Depth=1
	s_mov_b32 s26, s55
	s_delay_alu instid0(SALU_CYCLE_1)
	s_cmp_lg_u64 s[26:27], 0
	s_cbranch_scc0 .LBB192_421
; %bb.389:                              ;   in Loop: Header=BB192_6 Depth=1
	v_cvt_f32_u32_e32 v2, s33
	s_sub_u32 s9, 0, s33
	s_subb_u32 s14, 0, 0
	s_delay_alu instid0(VALU_DEP_1) | instskip(NEXT) | instid1(VALU_DEP_1)
	v_fmac_f32_e64 v2, 0, 0x4f800000
	v_rcp_f32_e32 v2, v2
	s_waitcnt_depctr 0xfff
	v_mul_f32_e32 v2, 0x5f7ffffc, v2
	s_delay_alu instid0(VALU_DEP_1) | instskip(NEXT) | instid1(VALU_DEP_1)
	v_mul_f32_e32 v3, 0x2f800000, v2
	v_trunc_f32_e32 v3, v3
	s_delay_alu instid0(VALU_DEP_1) | instskip(SKIP_1) | instid1(VALU_DEP_2)
	v_fmac_f32_e32 v2, 0xcf800000, v3
	v_cvt_u32_f32_e32 v3, v3
	v_cvt_u32_f32_e32 v2, v2
	s_delay_alu instid0(VALU_DEP_2) | instskip(NEXT) | instid1(VALU_DEP_2)
	v_readfirstlane_b32 s7, v3
	v_readfirstlane_b32 s8, v2
	s_delay_alu instid0(VALU_DEP_2) | instskip(NEXT) | instid1(VALU_DEP_1)
	s_mul_i32 s15, s9, s7
	s_mul_hi_u32 s66, s9, s8
	s_mul_i32 s26, s14, s8
	s_add_i32 s15, s66, s15
	s_mul_i32 s69, s9, s8
	s_add_i32 s15, s15, s26
	s_mul_hi_u32 s66, s8, s69
	s_mul_hi_u32 s70, s7, s69
	s_mul_i32 s26, s7, s69
	s_mul_hi_u32 s69, s8, s15
	s_mul_i32 s8, s8, s15
	s_mul_hi_u32 s71, s7, s15
	s_add_u32 s8, s66, s8
	s_addc_u32 s66, 0, s69
	s_add_u32 s8, s8, s26
	s_mul_i32 s15, s7, s15
	s_addc_u32 s8, s66, s70
	s_addc_u32 s26, s71, 0
	s_add_u32 s8, s8, s15
	s_addc_u32 s15, 0, s26
	v_add_co_u32 v2, s8, v2, s8
	s_delay_alu instid0(VALU_DEP_1) | instskip(SKIP_1) | instid1(VALU_DEP_1)
	s_cmp_lg_u32 s8, 0
	s_addc_u32 s7, s7, s15
	v_readfirstlane_b32 s8, v2
	s_mul_i32 s15, s9, s7
	s_delay_alu instid0(VALU_DEP_1)
	s_mul_hi_u32 s26, s9, s8
	s_mul_i32 s14, s14, s8
	s_add_i32 s15, s26, s15
	s_mul_i32 s9, s9, s8
	s_add_i32 s15, s15, s14
	s_mul_hi_u32 s26, s7, s9
	s_mul_i32 s66, s7, s9
	s_mul_hi_u32 s9, s8, s9
	s_mul_hi_u32 s69, s8, s15
	s_mul_i32 s8, s8, s15
	s_mul_hi_u32 s14, s7, s15
	s_add_u32 s8, s9, s8
	s_addc_u32 s9, 0, s69
	s_add_u32 s8, s8, s66
	s_mul_i32 s15, s7, s15
	s_addc_u32 s8, s9, s26
	s_addc_u32 s9, s14, 0
	s_add_u32 s8, s8, s15
	s_addc_u32 s9, 0, s9
	v_add_co_u32 v2, s8, v2, s8
	s_delay_alu instid0(VALU_DEP_1) | instskip(SKIP_1) | instid1(VALU_DEP_1)
	s_cmp_lg_u32 s8, 0
	s_addc_u32 s7, s7, s9
	v_readfirstlane_b32 s8, v2
	s_mul_i32 s14, s78, s7
	s_mul_hi_u32 s9, s78, s7
	s_mul_hi_u32 s15, s27, s7
	s_mul_i32 s7, s27, s7
	s_mul_hi_u32 s26, s78, s8
	s_mul_hi_u32 s66, s27, s8
	s_mul_i32 s8, s27, s8
	s_add_u32 s14, s26, s14
	s_addc_u32 s9, 0, s9
	s_add_u32 s8, s14, s8
	s_addc_u32 s8, s9, s66
	s_addc_u32 s9, s15, 0
	s_add_u32 s7, s8, s7
	s_addc_u32 s8, 0, s9
	s_mul_hi_u32 s9, s33, s7
	s_mul_i32 s7, s33, s7
	s_mul_i32 s8, s33, s8
	v_sub_co_u32 v2, s7, s78, s7
	s_add_i32 s9, s9, s8
	s_cmp_lg_u32 s7, 0
	s_delay_alu instid0(VALU_DEP_1) | instskip(SKIP_2) | instid1(VALU_DEP_1)
	v_sub_co_u32 v3, s7, v2, s33
	s_subb_u32 s8, s27, s9
	s_cmp_lg_u32 s7, 0
	v_cmp_le_u32_e32 vcc_lo, s33, v3
	v_sub_co_u32 v6, s7, v3, s33
	s_subb_u32 s9, s8, 0
	s_cmp_lg_u32 s7, 0
	v_cndmask_b32_e64 v7, 0, -1, vcc_lo
	s_subb_u32 s7, s9, 0
	s_cmp_eq_u32 s9, 0
	v_mov_b32_e32 v9, s7
	s_cselect_b32 vcc_lo, -1, 0
	s_cmp_eq_u32 s8, 0
	v_cndmask_b32_e32 v7, -1, v7, vcc_lo
	v_cmp_le_u32_e32 vcc_lo, s33, v2
	s_cselect_b32 s7, -1, 0
	v_cndmask_b32_e64 v8, 0, -1, vcc_lo
	s_delay_alu instid0(VALU_DEP_3) | instskip(NEXT) | instid1(VALU_DEP_2)
	v_cmp_ne_u32_e32 vcc_lo, 0, v7
	v_cndmask_b32_e64 v7, -1, v8, s7
	v_cndmask_b32_e32 v8, s9, v9, vcc_lo
	v_cndmask_b32_e32 v6, v3, v6, vcc_lo
	s_delay_alu instid0(VALU_DEP_3) | instskip(NEXT) | instid1(VALU_DEP_3)
	v_cmp_ne_u32_e32 vcc_lo, 0, v7
	v_cndmask_b32_e32 v3, s8, v8, vcc_lo
	s_delay_alu instid0(VALU_DEP_3)
	v_cndmask_b32_e32 v2, v2, v6, vcc_lo
	s_cbranch_execnz .LBB192_391
.LBB192_390:                            ;   in Loop: Header=BB192_6 Depth=1
	v_cvt_f32_u32_e32 v2, s33
	s_sub_i32 s7, 0, s33
	s_delay_alu instid0(VALU_DEP_1) | instskip(SKIP_2) | instid1(VALU_DEP_1)
	v_rcp_iflag_f32_e32 v2, v2
	s_waitcnt_depctr 0xfff
	v_mul_f32_e32 v2, 0x4f7ffffe, v2
	v_cvt_u32_f32_e32 v2, v2
	s_delay_alu instid0(VALU_DEP_1) | instskip(NEXT) | instid1(VALU_DEP_1)
	v_mul_lo_u32 v3, s7, v2
	v_mul_hi_u32 v3, v2, v3
	s_delay_alu instid0(VALU_DEP_1) | instskip(NEXT) | instid1(VALU_DEP_1)
	v_add_nc_u32_e32 v2, v2, v3
	v_mul_hi_u32 v2, s78, v2
	s_delay_alu instid0(VALU_DEP_1) | instskip(NEXT) | instid1(VALU_DEP_1)
	v_mul_lo_u32 v2, v2, s33
	v_sub_nc_u32_e32 v2, s78, v2
	s_delay_alu instid0(VALU_DEP_1) | instskip(SKIP_1) | instid1(VALU_DEP_2)
	v_subrev_nc_u32_e32 v3, s33, v2
	v_cmp_le_u32_e32 vcc_lo, s33, v2
	v_cndmask_b32_e32 v2, v2, v3, vcc_lo
	s_delay_alu instid0(VALU_DEP_1) | instskip(SKIP_1) | instid1(VALU_DEP_2)
	v_subrev_nc_u32_e32 v3, s33, v2
	v_cmp_le_u32_e32 vcc_lo, s33, v2
	v_cndmask_b32_e32 v12, v2, v3, vcc_lo
	s_delay_alu instid0(VALU_DEP_1)
	v_dual_mov_b32 v2, v12 :: v_dual_mov_b32 v3, v13
.LBB192_391:                            ;   in Loop: Header=BB192_6 Depth=1
	s_delay_alu instid0(VALU_DEP_1) | instskip(NEXT) | instid1(VALU_DEP_2)
	v_sub_co_u32 v2, vcc_lo, s78, v2
	v_sub_co_ci_u32_e32 v3, vcc_lo, s27, v3, vcc_lo
	s_mov_b32 s7, 0
	s_mov_b32 s8, exec_lo
                                        ; implicit-def: $vgpr25
	s_delay_alu instid0(VALU_DEP_1)
	v_cmpx_gt_u64_e64 v[2:3], v[0:1]
	s_cbranch_execz .LBB192_400
; %bb.392:                              ;   in Loop: Header=BB192_6 Depth=1
	v_dual_mov_b32 v6, v10 :: v_dual_mov_b32 v7, v11
	v_dual_mov_b32 v9, v1 :: v_dual_mov_b32 v8, v0
	s_mov_b32 s9, 0
                                        ; implicit-def: $sgpr14
	s_set_inst_prefetch_distance 0x1
	s_branch .LBB192_394
	.p2align	6
.LBB192_393:                            ;   in Loop: Header=BB192_394 Depth=2
	s_or_b32 exec_lo, exec_lo, s7
	s_waitcnt vmcnt(0) lgkmcnt(0)
	s_barrier
	buffer_gl0_inv
	ds_load_b64 v[24:25], v13 offset:3072
	v_add_co_u32 v8, vcc_lo, v8, s33
	v_add_co_ci_u32_e32 v9, vcc_lo, 0, v9, vcc_lo
	s_waitcnt lgkmcnt(0)
	s_barrier
	buffer_gl0_inv
	v_cmp_ge_u64_e32 vcc_lo, v[8:9], v[2:3]
	v_cmp_neq_f32_e64 s7, 0, v24
	s_delay_alu instid0(VALU_DEP_1)
	s_or_b32 s15, vcc_lo, s7
	v_add_co_u32 v6, vcc_lo, v6, s34
	s_and_b32 s15, exec_lo, s15
	v_add_co_ci_u32_e32 v7, vcc_lo, s35, v7, vcc_lo
	s_or_b32 s9, s15, s9
	s_and_not1_b32 s14, s14, exec_lo
	s_and_b32 s7, s7, exec_lo
	s_delay_alu instid0(SALU_CYCLE_1)
	s_or_b32 s14, s14, s7
	s_and_not1_b32 exec_lo, exec_lo, s9
	s_cbranch_execz .LBB192_399
.LBB192_394:                            ;   Parent Loop BB192_6 Depth=1
                                        ; =>  This Inner Loop Header: Depth=2
	s_delay_alu instid0(VALU_DEP_1)
	v_cmp_gt_u64_e32 vcc_lo, s[28:29], v[8:9]
	v_mov_b32_e32 v24, 0
	s_and_saveexec_b32 s7, vcc_lo
	s_cbranch_execz .LBB192_396
; %bb.395:                              ;   in Loop: Header=BB192_394 Depth=2
	global_load_b32 v24, v[6:7], off
.LBB192_396:                            ;   in Loop: Header=BB192_394 Depth=2
	s_or_b32 exec_lo, exec_lo, s7
	s_and_saveexec_b32 s7, vcc_lo
	s_cbranch_execz .LBB192_393
; %bb.397:                              ;   in Loop: Header=BB192_394 Depth=2
	s_waitcnt vmcnt(0)
	v_cmp_lt_i32_e32 vcc_lo, -1, v24
	v_cndmask_b32_e64 v12, -1, 0x80000000, vcc_lo
	v_cmp_o_f32_e32 vcc_lo, v24, v24
	s_delay_alu instid0(VALU_DEP_2) | instskip(NEXT) | instid1(VALU_DEP_1)
	v_xor_b32_e32 v12, v12, v24
	v_cndmask_b32_e32 v12, -1, v12, vcc_lo
	s_delay_alu instid0(VALU_DEP_1) | instskip(NEXT) | instid1(VALU_DEP_1)
	v_and_b32_e32 v12, v12, v39
	v_cmp_eq_u32_e32 vcc_lo, v12, v40
	s_and_b32 exec_lo, exec_lo, vcc_lo
	s_cbranch_execz .LBB192_393
; %bb.398:                              ;   in Loop: Header=BB192_394 Depth=2
	ds_store_b64 v13, v[23:24] offset:3072
	s_branch .LBB192_393
.LBB192_399:                            ;   in Loop: Header=BB192_6 Depth=1
	s_set_inst_prefetch_distance 0x2
	s_or_b32 exec_lo, exec_lo, s9
	s_delay_alu instid0(SALU_CYCLE_1)
	s_and_b32 s7, s14, exec_lo
.LBB192_400:                            ;   in Loop: Header=BB192_6 Depth=1
	s_or_b32 exec_lo, exec_lo, s8
	s_mov_b32 s15, 0
	s_mov_b32 s14, -1
	s_mov_b32 s66, 0
.LBB192_401:                            ;   in Loop: Header=BB192_6 Depth=1
	s_or_not1_b32 s7, s7, exec_lo
.LBB192_402:                            ;   in Loop: Header=BB192_6 Depth=1
	s_or_b32 exec_lo, exec_lo, s67
	s_mov_b32 s26, 0
                                        ; implicit-def: $vgpr8
	s_and_saveexec_b32 s67, s7
	s_cbranch_execz .LBB192_467
; %bb.403:                              ;   in Loop: Header=BB192_6 Depth=1
	v_mov_b32_e32 v2, 1
	v_dual_mov_b32 v3, 0 :: v_dual_mov_b32 v8, 1
	s_xor_b32 s8, s68, -1
	s_delay_alu instid0(SALU_CYCLE_1)
	s_and_saveexec_b32 s7, s8
	s_cbranch_execz .LBB192_413
; %bb.404:                              ;   in Loop: Header=BB192_6 Depth=1
	s_mov_b32 s9, exec_lo
                                        ; implicit-def: $sgpr26
                                        ; implicit-def: $sgpr8
	v_cmpx_ge_u64_e64 s[12:13], v[4:5]
	s_xor_b32 s9, exec_lo, s9
	s_cbranch_execz .LBB192_410
; %bb.405:                              ;   in Loop: Header=BB192_6 Depth=1
	ds_load_b64 v[2:3], v13 offset:5120
	s_waitcnt lgkmcnt(0)
	v_cmp_ne_u64_e32 vcc_lo, 0, v[2:3]
	s_cbranch_vccnz .LBB192_409
; %bb.406:                              ;   in Loop: Header=BB192_6 Depth=1
	s_and_saveexec_b32 s8, s5
	s_cbranch_execz .LBB192_408
; %bb.407:                              ;   in Loop: Header=BB192_6 Depth=1
	v_dual_mov_b32 v2, s12 :: v_dual_mov_b32 v3, s13
	ds_store_b64 v13, v[2:3] offset:5128
.LBB192_408:                            ;   in Loop: Header=BB192_6 Depth=1
	s_or_b32 exec_lo, exec_lo, s8
	s_waitcnt lgkmcnt(0)
	s_barrier
	buffer_gl0_inv
.LBB192_409:                            ;   in Loop: Header=BB192_6 Depth=1
	s_lshl_b32 s8, 1, s22
	v_or_b32_e32 v39, s20, v39
	v_and_or_b32 v40, v40, s21, s8
	s_mov_b32 s8, 0
	s_mov_b32 s26, 5
.LBB192_410:                            ;   in Loop: Header=BB192_6 Depth=1
	s_or_saveexec_b32 s9, s9
	v_mov_b32_e32 v8, s26
	s_xor_b32 exec_lo, exec_lo, s9
; %bb.411:                              ;   in Loop: Header=BB192_6 Depth=1
	v_sub_co_u32 v4, vcc_lo, v4, s12
	v_subrev_co_ci_u32_e32 v5, vcc_lo, s13, v5, vcc_lo
	v_mov_b32_e32 v8, 0
	s_or_b32 s8, s8, exec_lo
; %bb.412:                              ;   in Loop: Header=BB192_6 Depth=1
	s_or_b32 exec_lo, exec_lo, s9
	s_delay_alu instid0(VALU_DEP_2)
	v_dual_mov_b32 v2, v4 :: v_dual_mov_b32 v3, v5
	s_and_b32 s26, s8, exec_lo
.LBB192_413:                            ;   in Loop: Header=BB192_6 Depth=1
	s_or_b32 exec_lo, exec_lo, s7
	s_mov_b32 s12, -1
                                        ; implicit-def: $sgpr7
                                        ; implicit-def: $sgpr8
                                        ; implicit-def: $sgpr9
	s_and_saveexec_b32 s22, s26
	s_cbranch_execz .LBB192_466
; %bb.414:                              ;   in Loop: Header=BB192_6 Depth=1
	v_cmp_eq_u64_e32 vcc_lo, 1, v[2:3]
	s_cmp_eq_u64 s[10:11], 1
	s_mov_b32 s13, -1
	s_cselect_b32 s7, -1, 0
                                        ; implicit-def: $sgpr8
                                        ; implicit-def: $sgpr9
	s_delay_alu instid0(SALU_CYCLE_1) | instskip(NEXT) | instid1(SALU_CYCLE_1)
	s_and_b32 s68, s7, vcc_lo
                                        ; implicit-def: $sgpr7
	s_and_saveexec_b32 s69, s68
	s_cbranch_execz .LBB192_453
; %bb.415:                              ;   in Loop: Header=BB192_6 Depth=1
	ds_load_b64 v[4:5], v13 offset:5120
	s_waitcnt lgkmcnt(0)
	s_barrier
	buffer_gl0_inv
	v_readfirstlane_b32 s8, v4
	v_readfirstlane_b32 s9, v5
	s_and_saveexec_b32 s7, s6
	s_cbranch_execz .LBB192_417
; %bb.416:                              ;   in Loop: Header=BB192_6 Depth=1
	ds_store_b32 v35, v13
.LBB192_417:                            ;   in Loop: Header=BB192_6 Depth=1
	s_or_b32 exec_lo, exec_lo, s7
	v_and_b32_e32 v40, s21, v40
	v_or_b32_e32 v39, s20, v39
	s_cmp_eq_u64 s[8:9], 0
	s_waitcnt lgkmcnt(0)
	s_barrier
	buffer_gl0_inv
	s_cbranch_scc1 .LBB192_422
; %bb.418:                              ;   in Loop: Header=BB192_6 Depth=1
	s_add_u32 s26, s76, s8
	s_addc_u32 s13, s77, s9
	s_mov_b32 s12, s55
	s_delay_alu instid0(SALU_CYCLE_1)
	s_cmp_lg_u64 s[12:13], 0
	s_cbranch_scc0 .LBB192_423
; %bb.419:                              ;   in Loop: Header=BB192_6 Depth=1
	v_cvt_f32_u32_e32 v4, s33
	s_sub_u32 s70, 0, s33
	s_subb_u32 s71, 0, 0
	s_delay_alu instid0(VALU_DEP_1) | instskip(NEXT) | instid1(VALU_DEP_1)
	v_fmac_f32_e64 v4, 0, 0x4f800000
	v_rcp_f32_e32 v4, v4
	s_waitcnt_depctr 0xfff
	v_mul_f32_e32 v4, 0x5f7ffffc, v4
	s_delay_alu instid0(VALU_DEP_1) | instskip(NEXT) | instid1(VALU_DEP_1)
	v_mul_f32_e32 v5, 0x2f800000, v4
	v_trunc_f32_e32 v5, v5
	s_delay_alu instid0(VALU_DEP_1) | instskip(SKIP_1) | instid1(VALU_DEP_2)
	v_fmac_f32_e32 v4, 0xcf800000, v5
	v_cvt_u32_f32_e32 v5, v5
	v_cvt_u32_f32_e32 v4, v4
	s_delay_alu instid0(VALU_DEP_2) | instskip(NEXT) | instid1(VALU_DEP_2)
	v_readfirstlane_b32 s7, v5
	v_readfirstlane_b32 s12, v4
	s_delay_alu instid0(VALU_DEP_2) | instskip(NEXT) | instid1(VALU_DEP_1)
	s_mul_i32 s72, s70, s7
	s_mul_hi_u32 s98, s70, s12
	s_mul_i32 s73, s71, s12
	s_add_i32 s72, s98, s72
	s_mul_i32 s99, s70, s12
	s_add_i32 s72, s72, s73
	s_mul_hi_u32 s98, s12, s99
	s_mul_hi_u32 s100, s7, s99
	s_mul_i32 s73, s7, s99
	s_mul_hi_u32 s99, s12, s72
	s_mul_i32 s12, s12, s72
	s_mul_hi_u32 s101, s7, s72
	s_add_u32 s12, s98, s12
	s_addc_u32 s98, 0, s99
	s_add_u32 s12, s12, s73
	s_mul_i32 s72, s7, s72
	s_addc_u32 s12, s98, s100
	s_addc_u32 s73, s101, 0
	s_add_u32 s12, s12, s72
	s_addc_u32 s72, 0, s73
	v_add_co_u32 v4, s12, v4, s12
	s_delay_alu instid0(VALU_DEP_1) | instskip(SKIP_1) | instid1(VALU_DEP_1)
	s_cmp_lg_u32 s12, 0
	s_addc_u32 s7, s7, s72
	v_readfirstlane_b32 s12, v4
	s_mul_i32 s72, s70, s7
	s_delay_alu instid0(VALU_DEP_1)
	s_mul_hi_u32 s73, s70, s12
	s_mul_i32 s71, s71, s12
	s_add_i32 s72, s73, s72
	s_mul_i32 s70, s70, s12
	s_add_i32 s72, s72, s71
	s_mul_hi_u32 s73, s7, s70
	s_mul_i32 s98, s7, s70
	s_mul_hi_u32 s70, s12, s70
	s_mul_hi_u32 s99, s12, s72
	s_mul_i32 s12, s12, s72
	s_mul_hi_u32 s71, s7, s72
	s_add_u32 s12, s70, s12
	s_addc_u32 s70, 0, s99
	s_add_u32 s12, s12, s98
	s_mul_i32 s72, s7, s72
	s_addc_u32 s12, s70, s73
	s_addc_u32 s70, s71, 0
	s_add_u32 s12, s12, s72
	s_addc_u32 s70, 0, s70
	v_add_co_u32 v4, s12, v4, s12
	s_delay_alu instid0(VALU_DEP_1) | instskip(SKIP_1) | instid1(VALU_DEP_1)
	s_cmp_lg_u32 s12, 0
	s_addc_u32 s7, s7, s70
	v_readfirstlane_b32 s12, v4
	s_mul_i32 s71, s26, s7
	s_mul_hi_u32 s70, s26, s7
	s_mul_hi_u32 s72, s13, s7
	s_mul_i32 s7, s13, s7
	s_mul_hi_u32 s73, s26, s12
	s_mul_hi_u32 s98, s13, s12
	s_mul_i32 s12, s13, s12
	s_add_u32 s71, s73, s71
	s_addc_u32 s70, 0, s70
	s_add_u32 s12, s71, s12
	s_addc_u32 s12, s70, s98
	s_addc_u32 s70, s72, 0
	s_add_u32 s7, s12, s7
	s_addc_u32 s12, 0, s70
	s_mul_hi_u32 s70, s33, s7
	s_mul_i32 s7, s33, s7
	s_mul_i32 s12, s33, s12
	v_sub_co_u32 v4, s7, s26, s7
	s_add_i32 s70, s70, s12
	s_cmp_lg_u32 s7, 0
	s_delay_alu instid0(VALU_DEP_1) | instskip(SKIP_2) | instid1(VALU_DEP_1)
	v_sub_co_u32 v5, s7, v4, s33
	s_subb_u32 s12, s13, s70
	s_cmp_lg_u32 s7, 0
	v_cmp_le_u32_e32 vcc_lo, s33, v5
	v_sub_co_u32 v6, s7, v5, s33
	s_subb_u32 s70, s12, 0
	s_cmp_lg_u32 s7, 0
	v_cndmask_b32_e64 v7, 0, -1, vcc_lo
	s_subb_u32 s7, s70, 0
	s_cmp_eq_u32 s70, 0
	v_mov_b32_e32 v9, s7
	s_cselect_b32 vcc_lo, -1, 0
	s_cmp_eq_u32 s12, 0
	v_cndmask_b32_e32 v7, -1, v7, vcc_lo
	v_cmp_le_u32_e32 vcc_lo, s33, v4
	s_cselect_b32 s7, -1, 0
	v_cndmask_b32_e64 v8, 0, -1, vcc_lo
	s_delay_alu instid0(VALU_DEP_3) | instskip(NEXT) | instid1(VALU_DEP_2)
	v_cmp_ne_u32_e32 vcc_lo, 0, v7
	v_cndmask_b32_e64 v7, -1, v8, s7
	v_cndmask_b32_e32 v8, s70, v9, vcc_lo
	v_cndmask_b32_e32 v6, v5, v6, vcc_lo
	s_mov_b32 s7, 0
	s_delay_alu instid0(VALU_DEP_3) | instskip(NEXT) | instid1(VALU_DEP_3)
	v_cmp_ne_u32_e32 vcc_lo, 0, v7
	v_cndmask_b32_e32 v5, s12, v8, vcc_lo
	s_delay_alu instid0(VALU_DEP_3)
	v_cndmask_b32_e32 v4, v4, v6, vcc_lo
	s_branch .LBB192_424
.LBB192_420:                            ;   in Loop: Header=BB192_6 Depth=1
                                        ; implicit-def: $vgpr2_vgpr3
	s_branch .LBB192_374
.LBB192_421:                            ;   in Loop: Header=BB192_6 Depth=1
                                        ; implicit-def: $vgpr2_vgpr3
	s_branch .LBB192_390
.LBB192_422:                            ;   in Loop: Header=BB192_6 Depth=1
	s_mov_b32 s7, -1
	s_mov_b32 s13, 0
                                        ; implicit-def: $sgpr8
                                        ; implicit-def: $vgpr25
	s_branch .LBB192_436
.LBB192_423:                            ;   in Loop: Header=BB192_6 Depth=1
	s_mov_b32 s7, -1
                                        ; implicit-def: $vgpr4_vgpr5
.LBB192_424:                            ;   in Loop: Header=BB192_6 Depth=1
	s_delay_alu instid0(SALU_CYCLE_1)
	s_and_not1_b32 vcc_lo, exec_lo, s7
	s_cbranch_vccnz .LBB192_426
; %bb.425:                              ;   in Loop: Header=BB192_6 Depth=1
	v_cvt_f32_u32_e32 v4, s33
	s_sub_i32 s7, 0, s33
	s_delay_alu instid0(VALU_DEP_1) | instskip(SKIP_2) | instid1(VALU_DEP_1)
	v_rcp_iflag_f32_e32 v4, v4
	s_waitcnt_depctr 0xfff
	v_mul_f32_e32 v4, 0x4f7ffffe, v4
	v_cvt_u32_f32_e32 v4, v4
	s_delay_alu instid0(VALU_DEP_1) | instskip(NEXT) | instid1(VALU_DEP_1)
	v_mul_lo_u32 v5, s7, v4
	v_mul_hi_u32 v5, v4, v5
	s_delay_alu instid0(VALU_DEP_1) | instskip(NEXT) | instid1(VALU_DEP_1)
	v_add_nc_u32_e32 v4, v4, v5
	v_mul_hi_u32 v4, s26, v4
	s_delay_alu instid0(VALU_DEP_1) | instskip(NEXT) | instid1(VALU_DEP_1)
	v_mul_lo_u32 v4, v4, s33
	v_sub_nc_u32_e32 v4, s26, v4
	s_delay_alu instid0(VALU_DEP_1) | instskip(SKIP_1) | instid1(VALU_DEP_2)
	v_subrev_nc_u32_e32 v5, s33, v4
	v_cmp_le_u32_e32 vcc_lo, s33, v4
	v_cndmask_b32_e32 v4, v4, v5, vcc_lo
	s_delay_alu instid0(VALU_DEP_1) | instskip(SKIP_1) | instid1(VALU_DEP_2)
	v_subrev_nc_u32_e32 v5, s33, v4
	v_cmp_le_u32_e32 vcc_lo, s33, v4
	v_cndmask_b32_e32 v12, v4, v5, vcc_lo
	s_delay_alu instid0(VALU_DEP_1)
	v_dual_mov_b32 v4, v12 :: v_dual_mov_b32 v5, v13
.LBB192_426:                            ;   in Loop: Header=BB192_6 Depth=1
	s_delay_alu instid0(VALU_DEP_1) | instskip(NEXT) | instid1(VALU_DEP_2)
	v_sub_co_u32 v4, vcc_lo, s26, v4
	v_sub_co_ci_u32_e32 v5, vcc_lo, s13, v5, vcc_lo
	s_mov_b32 s13, 0
	s_mov_b32 s12, exec_lo
                                        ; implicit-def: $vgpr25
	s_delay_alu instid0(VALU_DEP_1)
	v_cmpx_gt_u64_e64 v[4:5], v[0:1]
	s_cbranch_execz .LBB192_435
; %bb.427:                              ;   in Loop: Header=BB192_6 Depth=1
	v_dual_mov_b32 v8, v14 :: v_dual_mov_b32 v7, v1
	v_mov_b32_e32 v6, v0
                                        ; implicit-def: $sgpr26
	s_set_inst_prefetch_distance 0x1
	s_branch .LBB192_429
	.p2align	6
.LBB192_428:                            ;   in Loop: Header=BB192_429 Depth=2
	s_or_b32 exec_lo, exec_lo, s7
	s_waitcnt lgkmcnt(0)
	s_barrier
	buffer_gl0_inv
	ds_load_b64 v[24:25], v13 offset:3072
	v_add_co_u32 v6, vcc_lo, v6, s33
	v_add_co_ci_u32_e32 v7, vcc_lo, 0, v7, vcc_lo
	v_add_nc_u32_e32 v8, s84, v8
	s_waitcnt lgkmcnt(0)
	s_barrier
	s_delay_alu instid0(VALU_DEP_2) | instskip(SKIP_2) | instid1(VALU_DEP_1)
	v_cmp_ge_u64_e32 vcc_lo, v[6:7], v[4:5]
	buffer_gl0_inv
	v_cmp_neq_f32_e64 s7, 0, v24
	s_or_b32 s70, vcc_lo, s7
	s_delay_alu instid0(SALU_CYCLE_1) | instskip(NEXT) | instid1(SALU_CYCLE_1)
	s_and_b32 s70, exec_lo, s70
	s_or_b32 s13, s70, s13
	s_and_not1_b32 s26, s26, exec_lo
	s_and_b32 s7, s7, exec_lo
	s_delay_alu instid0(SALU_CYCLE_1)
	s_or_b32 s26, s26, s7
	s_and_not1_b32 exec_lo, exec_lo, s13
	s_cbranch_execz .LBB192_434
.LBB192_429:                            ;   Parent Loop BB192_6 Depth=1
                                        ; =>  This Inner Loop Header: Depth=2
	s_delay_alu instid0(VALU_DEP_1)
	v_cmp_gt_u64_e32 vcc_lo, s[8:9], v[6:7]
	v_mov_b32_e32 v24, 0
	s_and_saveexec_b32 s7, vcc_lo
	s_cbranch_execz .LBB192_431
; %bb.430:                              ;   in Loop: Header=BB192_429 Depth=2
	ds_load_b32 v24, v8
.LBB192_431:                            ;   in Loop: Header=BB192_429 Depth=2
	s_or_b32 exec_lo, exec_lo, s7
	s_and_saveexec_b32 s7, vcc_lo
	s_cbranch_execz .LBB192_428
; %bb.432:                              ;   in Loop: Header=BB192_429 Depth=2
	s_waitcnt lgkmcnt(0)
	v_cmp_lt_i32_e32 vcc_lo, -1, v24
	v_cndmask_b32_e64 v9, -1, 0x80000000, vcc_lo
	v_cmp_o_f32_e32 vcc_lo, v24, v24
	s_delay_alu instid0(VALU_DEP_2) | instskip(NEXT) | instid1(VALU_DEP_1)
	v_xor_b32_e32 v9, v9, v24
	v_cndmask_b32_e32 v9, -1, v9, vcc_lo
	s_delay_alu instid0(VALU_DEP_1) | instskip(NEXT) | instid1(VALU_DEP_1)
	v_and_b32_e32 v9, v9, v39
	v_cmp_eq_u32_e32 vcc_lo, v9, v40
	s_and_b32 exec_lo, exec_lo, vcc_lo
	s_cbranch_execz .LBB192_428
; %bb.433:                              ;   in Loop: Header=BB192_429 Depth=2
	ds_store_b64 v13, v[23:24] offset:3072
	s_branch .LBB192_428
.LBB192_434:                            ;   in Loop: Header=BB192_6 Depth=1
	s_set_inst_prefetch_distance 0x2
	s_or_b32 exec_lo, exec_lo, s13
	s_delay_alu instid0(SALU_CYCLE_1)
	s_and_b32 s13, s26, exec_lo
.LBB192_435:                            ;   in Loop: Header=BB192_6 Depth=1
	s_or_b32 exec_lo, exec_lo, s12
	s_mov_b32 s7, 0
	s_mov_b32 s8, -1
.LBB192_436:                            ;   in Loop: Header=BB192_6 Depth=1
	s_and_b32 vcc_lo, exec_lo, s7
	s_mov_b32 s9, s7
	s_cbranch_vccz .LBB192_452
; %bb.437:                              ;   in Loop: Header=BB192_6 Depth=1
	s_mov_b32 s26, s55
	s_delay_alu instid0(SALU_CYCLE_1)
	s_cmp_lg_u64 s[26:27], 0
	s_cbranch_scc0 .LBB192_439
; %bb.438:                              ;   in Loop: Header=BB192_6 Depth=1
	v_cvt_f32_u32_e32 v4, s33
	s_sub_u32 s9, 0, s33
	s_subb_u32 s12, 0, 0
	s_delay_alu instid0(VALU_DEP_1) | instskip(NEXT) | instid1(VALU_DEP_1)
	v_fmac_f32_e64 v4, 0, 0x4f800000
	v_rcp_f32_e32 v4, v4
	s_waitcnt_depctr 0xfff
	v_mul_f32_e32 v4, 0x5f7ffffc, v4
	s_delay_alu instid0(VALU_DEP_1) | instskip(NEXT) | instid1(VALU_DEP_1)
	v_mul_f32_e32 v5, 0x2f800000, v4
	v_trunc_f32_e32 v5, v5
	s_delay_alu instid0(VALU_DEP_1) | instskip(SKIP_1) | instid1(VALU_DEP_2)
	v_fmac_f32_e32 v4, 0xcf800000, v5
	v_cvt_u32_f32_e32 v5, v5
	v_cvt_u32_f32_e32 v4, v4
	s_delay_alu instid0(VALU_DEP_2) | instskip(NEXT) | instid1(VALU_DEP_2)
	v_readfirstlane_b32 s7, v5
	v_readfirstlane_b32 s8, v4
	s_delay_alu instid0(VALU_DEP_2) | instskip(NEXT) | instid1(VALU_DEP_1)
	s_mul_i32 s13, s9, s7
	s_mul_hi_u32 s70, s9, s8
	s_mul_i32 s26, s12, s8
	s_add_i32 s13, s70, s13
	s_mul_i32 s71, s9, s8
	s_add_i32 s13, s13, s26
	s_mul_hi_u32 s70, s8, s71
	s_mul_hi_u32 s72, s7, s71
	s_mul_i32 s26, s7, s71
	s_mul_hi_u32 s71, s8, s13
	s_mul_i32 s8, s8, s13
	s_mul_hi_u32 s73, s7, s13
	s_add_u32 s8, s70, s8
	s_addc_u32 s70, 0, s71
	s_add_u32 s8, s8, s26
	s_mul_i32 s13, s7, s13
	s_addc_u32 s8, s70, s72
	s_addc_u32 s26, s73, 0
	s_add_u32 s8, s8, s13
	s_addc_u32 s13, 0, s26
	v_add_co_u32 v4, s8, v4, s8
	s_delay_alu instid0(VALU_DEP_1) | instskip(SKIP_1) | instid1(VALU_DEP_1)
	s_cmp_lg_u32 s8, 0
	s_addc_u32 s7, s7, s13
	v_readfirstlane_b32 s8, v4
	s_mul_i32 s13, s9, s7
	s_delay_alu instid0(VALU_DEP_1)
	s_mul_hi_u32 s26, s9, s8
	s_mul_i32 s12, s12, s8
	s_add_i32 s13, s26, s13
	s_mul_i32 s9, s9, s8
	s_add_i32 s13, s13, s12
	s_mul_hi_u32 s26, s7, s9
	s_mul_i32 s70, s7, s9
	s_mul_hi_u32 s9, s8, s9
	s_mul_hi_u32 s71, s8, s13
	s_mul_i32 s8, s8, s13
	s_mul_hi_u32 s12, s7, s13
	s_add_u32 s8, s9, s8
	s_addc_u32 s9, 0, s71
	s_add_u32 s8, s8, s70
	s_mul_i32 s13, s7, s13
	s_addc_u32 s8, s9, s26
	s_addc_u32 s9, s12, 0
	s_add_u32 s8, s8, s13
	s_addc_u32 s9, 0, s9
	v_add_co_u32 v4, s8, v4, s8
	s_delay_alu instid0(VALU_DEP_1) | instskip(SKIP_1) | instid1(VALU_DEP_1)
	s_cmp_lg_u32 s8, 0
	s_addc_u32 s7, s7, s9
	v_readfirstlane_b32 s8, v4
	s_mul_i32 s12, s78, s7
	s_mul_hi_u32 s9, s78, s7
	s_mul_hi_u32 s13, s27, s7
	s_mul_i32 s7, s27, s7
	s_mul_hi_u32 s26, s78, s8
	s_mul_hi_u32 s70, s27, s8
	s_mul_i32 s8, s27, s8
	s_add_u32 s12, s26, s12
	s_addc_u32 s9, 0, s9
	s_add_u32 s8, s12, s8
	s_addc_u32 s8, s9, s70
	s_addc_u32 s9, s13, 0
	s_add_u32 s7, s8, s7
	s_addc_u32 s8, 0, s9
	s_mul_hi_u32 s9, s33, s7
	s_mul_i32 s7, s33, s7
	s_mul_i32 s8, s33, s8
	v_sub_co_u32 v4, s7, s78, s7
	s_add_i32 s9, s9, s8
	s_cmp_lg_u32 s7, 0
	s_delay_alu instid0(VALU_DEP_1) | instskip(SKIP_2) | instid1(VALU_DEP_1)
	v_sub_co_u32 v5, s7, v4, s33
	s_subb_u32 s8, s27, s9
	s_cmp_lg_u32 s7, 0
	v_cmp_le_u32_e32 vcc_lo, s33, v5
	v_sub_co_u32 v6, s7, v5, s33
	s_subb_u32 s9, s8, 0
	s_cmp_lg_u32 s7, 0
	v_cndmask_b32_e64 v7, 0, -1, vcc_lo
	s_subb_u32 s7, s9, 0
	s_cmp_eq_u32 s9, 0
	v_mov_b32_e32 v9, s7
	s_cselect_b32 vcc_lo, -1, 0
	s_cmp_eq_u32 s8, 0
	v_cndmask_b32_e32 v7, -1, v7, vcc_lo
	v_cmp_le_u32_e32 vcc_lo, s33, v4
	s_cselect_b32 s7, -1, 0
	v_cndmask_b32_e64 v8, 0, -1, vcc_lo
	s_delay_alu instid0(VALU_DEP_3) | instskip(NEXT) | instid1(VALU_DEP_2)
	v_cmp_ne_u32_e32 vcc_lo, 0, v7
	v_cndmask_b32_e64 v7, -1, v8, s7
	v_cndmask_b32_e32 v8, s9, v9, vcc_lo
	v_cndmask_b32_e32 v6, v5, v6, vcc_lo
	s_mov_b32 s7, 0
	s_delay_alu instid0(VALU_DEP_3) | instskip(NEXT) | instid1(VALU_DEP_3)
	v_cmp_ne_u32_e32 vcc_lo, 0, v7
	v_cndmask_b32_e32 v5, s8, v8, vcc_lo
	s_delay_alu instid0(VALU_DEP_3)
	v_cndmask_b32_e32 v4, v4, v6, vcc_lo
	s_branch .LBB192_440
.LBB192_439:                            ;   in Loop: Header=BB192_6 Depth=1
	s_mov_b32 s7, -1
                                        ; implicit-def: $vgpr4_vgpr5
.LBB192_440:                            ;   in Loop: Header=BB192_6 Depth=1
	s_delay_alu instid0(SALU_CYCLE_1)
	s_and_not1_b32 vcc_lo, exec_lo, s7
	s_cbranch_vccnz .LBB192_442
; %bb.441:                              ;   in Loop: Header=BB192_6 Depth=1
	v_cvt_f32_u32_e32 v4, s33
	s_sub_i32 s7, 0, s33
	s_delay_alu instid0(VALU_DEP_1) | instskip(SKIP_2) | instid1(VALU_DEP_1)
	v_rcp_iflag_f32_e32 v4, v4
	s_waitcnt_depctr 0xfff
	v_mul_f32_e32 v4, 0x4f7ffffe, v4
	v_cvt_u32_f32_e32 v4, v4
	s_delay_alu instid0(VALU_DEP_1) | instskip(NEXT) | instid1(VALU_DEP_1)
	v_mul_lo_u32 v5, s7, v4
	v_mul_hi_u32 v5, v4, v5
	s_delay_alu instid0(VALU_DEP_1) | instskip(NEXT) | instid1(VALU_DEP_1)
	v_add_nc_u32_e32 v4, v4, v5
	v_mul_hi_u32 v4, s78, v4
	s_delay_alu instid0(VALU_DEP_1) | instskip(NEXT) | instid1(VALU_DEP_1)
	v_mul_lo_u32 v4, v4, s33
	v_sub_nc_u32_e32 v4, s78, v4
	s_delay_alu instid0(VALU_DEP_1) | instskip(SKIP_1) | instid1(VALU_DEP_2)
	v_subrev_nc_u32_e32 v5, s33, v4
	v_cmp_le_u32_e32 vcc_lo, s33, v4
	v_cndmask_b32_e32 v4, v4, v5, vcc_lo
	s_delay_alu instid0(VALU_DEP_1) | instskip(SKIP_1) | instid1(VALU_DEP_2)
	v_subrev_nc_u32_e32 v5, s33, v4
	v_cmp_le_u32_e32 vcc_lo, s33, v4
	v_cndmask_b32_e32 v12, v4, v5, vcc_lo
	s_delay_alu instid0(VALU_DEP_1)
	v_dual_mov_b32 v4, v12 :: v_dual_mov_b32 v5, v13
.LBB192_442:                            ;   in Loop: Header=BB192_6 Depth=1
	s_delay_alu instid0(VALU_DEP_1) | instskip(NEXT) | instid1(VALU_DEP_2)
	v_sub_co_u32 v4, vcc_lo, s78, v4
	v_sub_co_ci_u32_e32 v5, vcc_lo, s27, v5, vcc_lo
	s_mov_b32 s13, 0
	s_mov_b32 s8, exec_lo
                                        ; implicit-def: $vgpr25
	s_delay_alu instid0(VALU_DEP_1)
	v_cmpx_gt_u64_e64 v[4:5], v[0:1]
	s_cbranch_execz .LBB192_451
; %bb.443:                              ;   in Loop: Header=BB192_6 Depth=1
	v_dual_mov_b32 v6, v10 :: v_dual_mov_b32 v7, v11
	v_dual_mov_b32 v9, v1 :: v_dual_mov_b32 v8, v0
	s_mov_b32 s9, 0
                                        ; implicit-def: $sgpr12
	s_set_inst_prefetch_distance 0x1
	s_branch .LBB192_445
	.p2align	6
.LBB192_444:                            ;   in Loop: Header=BB192_445 Depth=2
	s_or_b32 exec_lo, exec_lo, s7
	s_waitcnt vmcnt(0) lgkmcnt(0)
	s_barrier
	buffer_gl0_inv
	ds_load_b64 v[24:25], v13 offset:3072
	v_add_co_u32 v8, vcc_lo, v8, s33
	v_add_co_ci_u32_e32 v9, vcc_lo, 0, v9, vcc_lo
	s_waitcnt lgkmcnt(0)
	s_barrier
	buffer_gl0_inv
	v_cmp_ge_u64_e32 vcc_lo, v[8:9], v[4:5]
	v_cmp_neq_f32_e64 s7, 0, v24
	s_delay_alu instid0(VALU_DEP_1)
	s_or_b32 s13, vcc_lo, s7
	v_add_co_u32 v6, vcc_lo, v6, s34
	s_and_b32 s13, exec_lo, s13
	v_add_co_ci_u32_e32 v7, vcc_lo, s35, v7, vcc_lo
	s_or_b32 s9, s13, s9
	s_and_not1_b32 s12, s12, exec_lo
	s_and_b32 s7, s7, exec_lo
	s_delay_alu instid0(SALU_CYCLE_1)
	s_or_b32 s12, s12, s7
	s_and_not1_b32 exec_lo, exec_lo, s9
	s_cbranch_execz .LBB192_450
.LBB192_445:                            ;   Parent Loop BB192_6 Depth=1
                                        ; =>  This Inner Loop Header: Depth=2
	s_delay_alu instid0(VALU_DEP_1)
	v_cmp_gt_u64_e32 vcc_lo, s[28:29], v[8:9]
	v_mov_b32_e32 v24, 0
	s_and_saveexec_b32 s7, vcc_lo
	s_cbranch_execz .LBB192_447
; %bb.446:                              ;   in Loop: Header=BB192_445 Depth=2
	global_load_b32 v24, v[6:7], off
.LBB192_447:                            ;   in Loop: Header=BB192_445 Depth=2
	s_or_b32 exec_lo, exec_lo, s7
	s_and_saveexec_b32 s7, vcc_lo
	s_cbranch_execz .LBB192_444
; %bb.448:                              ;   in Loop: Header=BB192_445 Depth=2
	s_waitcnt vmcnt(0)
	v_cmp_lt_i32_e32 vcc_lo, -1, v24
	v_cndmask_b32_e64 v12, -1, 0x80000000, vcc_lo
	v_cmp_o_f32_e32 vcc_lo, v24, v24
	s_delay_alu instid0(VALU_DEP_2) | instskip(NEXT) | instid1(VALU_DEP_1)
	v_xor_b32_e32 v12, v12, v24
	v_cndmask_b32_e32 v12, -1, v12, vcc_lo
	s_delay_alu instid0(VALU_DEP_1) | instskip(NEXT) | instid1(VALU_DEP_1)
	v_and_b32_e32 v12, v12, v39
	v_cmp_eq_u32_e32 vcc_lo, v12, v40
	s_and_b32 exec_lo, exec_lo, vcc_lo
	s_cbranch_execz .LBB192_444
; %bb.449:                              ;   in Loop: Header=BB192_445 Depth=2
	ds_store_b64 v13, v[23:24] offset:3072
	s_branch .LBB192_444
.LBB192_450:                            ;   in Loop: Header=BB192_6 Depth=1
	s_set_inst_prefetch_distance 0x2
	s_or_b32 exec_lo, exec_lo, s9
	s_delay_alu instid0(SALU_CYCLE_1)
	s_and_b32 s13, s12, exec_lo
.LBB192_451:                            ;   in Loop: Header=BB192_6 Depth=1
	s_or_b32 exec_lo, exec_lo, s8
	s_mov_b32 s8, 0
	s_mov_b32 s7, -1
	s_mov_b32 s9, 0
.LBB192_452:                            ;   in Loop: Header=BB192_6 Depth=1
	s_or_not1_b32 s13, s13, exec_lo
.LBB192_453:                            ;   in Loop: Header=BB192_6 Depth=1
	s_or_b32 exec_lo, exec_lo, s69
	s_mov_b32 s26, 0
                                        ; implicit-def: $vgpr8
                                        ; implicit-def: $vgpr4_vgpr5
	s_and_saveexec_b32 s12, s13
	s_cbranch_execz .LBB192_465
; %bb.454:                              ;   in Loop: Header=BB192_6 Depth=1
	v_mov_b32_e32 v4, 1
	v_dual_mov_b32 v5, 0 :: v_dual_mov_b32 v8, 1
	s_xor_b32 s26, s68, -1
	s_delay_alu instid0(SALU_CYCLE_1)
	s_and_saveexec_b32 s13, s26
	s_cbranch_execz .LBB192_464
; %bb.455:                              ;   in Loop: Header=BB192_6 Depth=1
	s_mov_b32 s26, exec_lo
                                        ; implicit-def: $sgpr68
	v_cmpx_ge_u64_e64 s[10:11], v[2:3]
	s_xor_b32 s26, exec_lo, s26
	s_cbranch_execz .LBB192_461
; %bb.456:                              ;   in Loop: Header=BB192_6 Depth=1
	ds_load_b64 v[4:5], v13 offset:5120
	s_waitcnt lgkmcnt(0)
	v_cmp_ne_u64_e32 vcc_lo, 0, v[4:5]
	s_cbranch_vccnz .LBB192_460
; %bb.457:                              ;   in Loop: Header=BB192_6 Depth=1
	s_and_saveexec_b32 s68, s5
	s_cbranch_execz .LBB192_459
; %bb.458:                              ;   in Loop: Header=BB192_6 Depth=1
	v_dual_mov_b32 v4, s10 :: v_dual_mov_b32 v5, s11
	ds_store_b64 v13, v[4:5] offset:5128
.LBB192_459:                            ;   in Loop: Header=BB192_6 Depth=1
	s_or_b32 exec_lo, exec_lo, s68
	s_waitcnt lgkmcnt(0)
	s_barrier
	buffer_gl0_inv
.LBB192_460:                            ;   in Loop: Header=BB192_6 Depth=1
	v_and_b32_e32 v40, s21, v40
	v_or_b32_e32 v39, s20, v39
	s_mov_b32 s68, 5
.LBB192_461:                            ;   in Loop: Header=BB192_6 Depth=1
	s_or_saveexec_b32 s20, s26
	v_mov_b32_e32 v8, s68
	s_xor_b32 exec_lo, exec_lo, s20
; %bb.462:                              ;   in Loop: Header=BB192_6 Depth=1
	v_sub_co_u32 v2, vcc_lo, v2, s10
	v_subrev_co_ci_u32_e32 v3, vcc_lo, s11, v3, vcc_lo
	v_mov_b32_e32 v8, 5
; %bb.463:                              ;   in Loop: Header=BB192_6 Depth=1
	s_or_b32 exec_lo, exec_lo, s20
	s_delay_alu instid0(VALU_DEP_2)
	v_dual_mov_b32 v5, v3 :: v_dual_mov_b32 v4, v2
.LBB192_464:                            ;   in Loop: Header=BB192_6 Depth=1
	s_or_b32 exec_lo, exec_lo, s13
	s_delay_alu instid0(SALU_CYCLE_1)
	s_mov_b32 s26, exec_lo
.LBB192_465:                            ;   in Loop: Header=BB192_6 Depth=1
	s_or_b32 exec_lo, exec_lo, s12
	s_delay_alu instid0(VALU_DEP_1)
	v_dual_mov_b32 v2, v4 :: v_dual_mov_b32 v3, v5
	s_or_not1_b32 s12, s26, exec_lo
.LBB192_466:                            ;   in Loop: Header=BB192_6 Depth=1
	s_or_b32 exec_lo, exec_lo, s22
	s_delay_alu instid0(SALU_CYCLE_1)
	s_and_not1_b32 s10, s14, exec_lo
	s_and_b32 s7, s7, exec_lo
	s_and_b32 s8, s8, exec_lo
	s_or_b32 s14, s10, s7
	s_and_not1_b32 s7, s15, exec_lo
	s_and_not1_b32 s10, s66, exec_lo
	s_and_b32 s9, s9, exec_lo
	v_dual_mov_b32 v5, v3 :: v_dual_mov_b32 v4, v2
	s_or_b32 s15, s7, s8
	s_or_b32 s66, s10, s9
	s_and_b32 s26, s12, exec_lo
.LBB192_467:                            ;   in Loop: Header=BB192_6 Depth=1
	s_or_b32 exec_lo, exec_lo, s67
	s_delay_alu instid0(SALU_CYCLE_1)
	s_and_b32 s14, s14, exec_lo
	s_and_b32 s9, s15, exec_lo
	;; [unrolled: 1-line block ×3, first 2 shown]
	s_or_not1_b32 s7, s26, exec_lo
.LBB192_468:                            ;   in Loop: Header=BB192_6 Depth=1
	s_or_b32 exec_lo, exec_lo, s65
	s_delay_alu instid0(SALU_CYCLE_1)
	s_and_not1_b32 s10, s16, exec_lo
	s_and_b32 s11, s14, exec_lo
	s_and_b32 s9, s9, exec_lo
	s_or_b32 s16, s10, s11
	s_and_not1_b32 s10, s17, exec_lo
	s_and_not1_b32 s11, s63, exec_lo
	s_and_b32 s8, s8, exec_lo
	v_dual_mov_b32 v2, v4 :: v_dual_mov_b32 v3, v5
	s_or_b32 s17, s10, s9
	s_or_b32 s63, s11, s8
	s_and_b32 s26, s7, exec_lo
.LBB192_469:                            ;   in Loop: Header=BB192_6 Depth=1
	s_or_b32 exec_lo, exec_lo, s64
	s_delay_alu instid0(SALU_CYCLE_1)
	s_and_b32 s16, s16, exec_lo
	s_and_b32 s9, s17, exec_lo
	;; [unrolled: 1-line block ×3, first 2 shown]
	s_or_not1_b32 s17, s26, exec_lo
.LBB192_470:                            ;   in Loop: Header=BB192_6 Depth=1
	s_or_b32 exec_lo, exec_lo, s62
	s_mov_b32 s7, s25
	s_mov_b32 s10, s24
	s_and_saveexec_b32 s11, s17
; %bb.471:                              ;   in Loop: Header=BB192_6 Depth=1
	v_cmp_eq_u32_e32 vcc_lo, 5, v8
	v_cmp_ne_u32_e64 s7, 5, v8
	s_and_not1_b32 s10, s24, exec_lo
	s_and_not1_b32 s12, s25, exec_lo
	s_and_not1_b32 s16, s16, exec_lo
	s_and_b32 s13, vcc_lo, exec_lo
	s_and_b32 s7, s7, exec_lo
	s_and_not1_b32 s9, s9, exec_lo
	s_and_not1_b32 s8, s8, exec_lo
	s_or_b32 s10, s10, s7
	s_or_b32 s7, s12, s13
; %bb.472:                              ;   in Loop: Header=BB192_6 Depth=1
	s_or_b32 exec_lo, exec_lo, s11
	s_delay_alu instid0(SALU_CYCLE_1)
	s_and_not1_b32 s11, s18, exec_lo
	s_and_b32 s12, s16, exec_lo
	s_and_b32 s9, s9, exec_lo
	s_or_b32 s18, s11, s12
	s_and_not1_b32 s11, s19, exec_lo
	s_and_not1_b32 s12, s23, exec_lo
	s_and_b32 s8, s8, exec_lo
	v_dual_mov_b32 v30, v40 :: v_dual_mov_b32 v31, v39
	v_mov_b32_e32 v5, v25
	s_or_b32 s19, s11, s9
	s_or_b32 s23, s12, s8
	s_and_not1_b32 s8, s24, exec_lo
	s_and_b32 s9, s10, exec_lo
	s_and_not1_b32 s10, s25, exec_lo
	s_and_b32 s7, s7, exec_lo
	s_or_b32 s24, s8, s9
	s_or_b32 s25, s10, s7
.LBB192_473:                            ;   in Loop: Header=BB192_6 Depth=1
	s_or_b32 exec_lo, exec_lo, s54
	s_mov_b32 s62, s23
	s_mov_b32 s54, s23
	s_and_saveexec_b32 s7, s25
.LBB192_474:                            ;   in Loop: Header=BB192_6 Depth=1
	v_mov_b32_e32 v8, 0
	s_and_not1_b32 s23, s23, exec_lo
	s_and_not1_b32 s18, s18, exec_lo
	;; [unrolled: 1-line block ×5, first 2 shown]
	s_or_b32 s24, s24, exec_lo
.LBB192_475:                            ;   in Loop: Header=BB192_6 Depth=1
	s_or_b32 exec_lo, exec_lo, s7
	s_delay_alu instid0(SALU_CYCLE_1)
	s_and_not1_b32 s7, s97, exec_lo
	s_and_b32 s9, s23, exec_lo
	s_and_not1_b32 s10, s94, exec_lo
	s_or_b32 s97, s7, s9
	s_and_not1_b32 s7, s96, exec_lo
	s_and_b32 s9, s18, exec_lo
	s_and_b32 s11, s19, exec_lo
	s_or_b32 s96, s7, s9
	s_or_b32 s94, s10, s11
	s_and_not1_b32 s7, s95, exec_lo
	s_and_b32 s9, s62, exec_lo
	s_and_not1_b32 s10, s93, exec_lo
	s_and_b32 s11, s54, exec_lo
	s_mov_b32 s8, -1
	s_or_b32 s95, s7, s9
	s_or_b32 s93, s10, s11
                                        ; implicit-def: $vgpr39
                                        ; implicit-def: $vgpr40
                                        ; implicit-def: $vgpr26_vgpr27
                                        ; implicit-def: $vgpr25
	s_and_saveexec_b32 s7, s24
	s_delay_alu instid0(SALU_CYCLE_1)
	s_xor_b32 s7, exec_lo, s7
	s_cbranch_execz .LBB192_5
; %bb.476:                              ;   in Loop: Header=BB192_6 Depth=1
	s_mov_b32 s9, -1
	s_mov_b32 s10, exec_lo
	v_cmpx_eq_u32_e32 0, v8
	s_cbranch_execz .LBB192_4
; %bb.477:                              ;   in Loop: Header=BB192_6 Depth=1
	s_xor_b32 s87, s87, 1
	s_add_i32 s11, s91, -2
	s_cmp_eq_u32 s91, 0
	s_mov_b32 s91, s11
	s_cselect_b32 s8, -1, 0
	s_xor_b32 s9, exec_lo, -1
	s_or_not1_b32 s8, s8, exec_lo
	s_branch .LBB192_4
.LBB192_478:
	s_or_b32 exec_lo, exec_lo, s85
	s_xor_b32 s7, s92, -1
	s_xor_b32 s9, s89, -1
	s_xor_b32 s10, s90, -1
	s_xor_b32 s11, s86, -1
	s_xor_b32 s6, s88, -1
	s_mov_b32 s8, 0
	s_and_saveexec_b32 s12, s11
	s_delay_alu instid0(SALU_CYCLE_1)
	s_xor_b32 s12, exec_lo, s12
	s_cbranch_execz .LBB192_537
; %bb.479:
	s_and_saveexec_b32 s11, s10
	s_delay_alu instid0(SALU_CYCLE_1)
	s_xor_b32 s13, exec_lo, s11
	s_cbranch_execz .LBB192_535
; %bb.480:
	;; [unrolled: 5-line block ×4, first 2 shown]
	s_and_saveexec_b32 s7, s6
	s_delay_alu instid0(SALU_CYCLE_1)
	s_xor_b32 s6, exec_lo, s7
; %bb.483:
	v_cmp_lt_i32_e32 vcc_lo, -1, v30
	v_cndmask_b32_e64 v2, 0x80000000, -1, vcc_lo
	s_delay_alu instid0(VALU_DEP_1)
	v_xor_b32_e32 v5, v2, v30
; %bb.484:
	s_or_b32 exec_lo, exec_lo, s6
	s_and_saveexec_b32 s6, s5
	s_cbranch_execz .LBB192_486
; %bb.485:
	v_mov_b32_e32 v2, 0
	s_delay_alu instid0(VALU_DEP_1)
	v_mov_b32_e32 v3, v2
	ds_store_b64 v2, v[2:3] offset:5136
.LBB192_486:
	s_or_b32 exec_lo, exec_lo, s6
	v_mov_b32_e32 v18, 0
	s_waitcnt lgkmcnt(0)
	s_barrier
	buffer_gl0_inv
	s_and_saveexec_b32 s5, s3
	s_cbranch_execz .LBB192_488
; %bb.487:
	global_load_b32 v18, v[10:11], off
.LBB192_488:
	s_or_b32 exec_lo, exec_lo, s5
	v_cmp_lt_i32_e32 vcc_lo, -1, v5
	s_clause 0x1
	s_load_b64 s[8:9], s[0:1], 0x368
	s_load_b64 s[10:11], s[0:1], 0x510
	s_add_u32 s5, s28, 31
	s_addc_u32 s7, s29, 0
	s_and_b32 s6, s5, 0xffffffe0
	v_cndmask_b32_e64 v2, -1, 0x80000000, vcc_lo
	s_mul_i32 s5, s51, s42
	s_mul_hi_u32 s16, s50, s42
	s_mul_i32 s0, s50, s42
	s_add_i32 s1, s16, s5
	s_mul_i32 s5, s47, s42
	s_mul_hi_u32 s16, s46, s42
	s_lshl_b64 s[18:19], s[0:1], 2
	v_xor_b32_e32 v2, v2, v5
	s_add_i32 s17, s16, s5
	v_cmp_o_f32_e32 vcc_lo, v5, v5
	s_add_u32 s1, s48, s18
	s_addc_u32 s5, s49, s19
	v_readlane_b32 s18, v45, 0
	s_mul_i32 s16, s46, s42
	v_readlane_b32 s19, v45, 1
	s_lshl_b64 s[16:17], s[16:17], 3
	v_dual_cndmask_b32 v16, -1, v2 :: v_dual_add_nc_u32 v17, s33, v0
	s_add_u32 s16, s18, s16
	s_mov_b32 s21, -1
	s_addc_u32 s17, s19, s17
	s_mov_b32 s19, 0
	s_mov_b32 s18, 0
	s_mov_b32 s20, exec_lo
	v_cmpx_gt_u64_e64 s[6:7], v[0:1]
	s_cbranch_execz .LBB192_506
; %bb.489:
	v_mad_u64_u32 v[2:3], null, s38, v17, 0
	s_add_u32 s0, s36, s40
	s_addc_u32 s18, s37, s41
	v_mov_b32_e32 v13, v1
                                        ; implicit-def: $sgpr21
                                        ; implicit-def: $vgpr8_vgpr9
	v_mov_b32_e32 v12, v0
	s_delay_alu instid0(VALU_DEP_3) | instskip(NEXT) | instid1(VALU_DEP_1)
	v_mad_u64_u32 v[4:5], null, s39, v17, v[3:4]
	v_mov_b32_e32 v3, v4
	s_delay_alu instid0(VALU_DEP_1) | instskip(SKIP_1) | instid1(VALU_DEP_2)
	v_lshlrev_b64 v[4:5], 2, v[2:3]
	v_mov_b32_e32 v3, 0
	v_add_co_u32 v4, vcc_lo, s0, v4
	s_delay_alu instid0(VALU_DEP_3)
	v_add_co_ci_u32_e32 v5, vcc_lo, s18, v5, vcc_lo
	s_mov_b32 s18, 0
	s_branch .LBB192_491
.LBB192_490:                            ;   in Loop: Header=BB192_491 Depth=1
	s_or_b32 exec_lo, exec_lo, s22
	s_xor_b32 s22, s24, -1
	s_and_b32 s0, exec_lo, s0
	s_waitcnt vmcnt(0)
	v_mov_b32_e32 v18, v19
	s_or_b32 s18, s0, s18
	v_dual_mov_b32 v13, v7 :: v_dual_mov_b32 v12, v6
	s_and_not1_b32 s0, s21, exec_lo
	s_and_b32 s21, s22, exec_lo
	s_delay_alu instid0(SALU_CYCLE_1)
	s_or_b32 s21, s0, s21
	s_and_not1_b32 exec_lo, exec_lo, s18
	s_cbranch_execz .LBB192_505
.LBB192_491:                            ; =>This Inner Loop Header: Depth=1
	v_add_co_u32 v6, vcc_lo, v12, s33
	v_add_co_ci_u32_e32 v7, vcc_lo, 0, v13, vcc_lo
	v_mov_b32_e32 v19, 0
	s_mov_b32 s0, exec_lo
	s_delay_alu instid0(VALU_DEP_2)
	v_cmpx_gt_u64_e64 s[28:29], v[6:7]
	s_cbranch_execz .LBB192_493
; %bb.492:                              ;   in Loop: Header=BB192_491 Depth=1
	global_load_b32 v19, v[4:5], off
.LBB192_493:                            ;   in Loop: Header=BB192_491 Depth=1
	s_or_b32 exec_lo, exec_lo, s0
	s_mov_b32 s22, 0
	s_mov_b32 s0, exec_lo
	v_cmpx_gt_u64_e64 s[28:29], v[12:13]
	s_cbranch_execz .LBB192_495
; %bb.494:                              ;   in Loop: Header=BB192_491 Depth=1
	s_waitcnt vmcnt(0)
	v_cmp_lt_i32_e32 vcc_lo, -1, v18
	v_cndmask_b32_e64 v2, -1, 0x80000000, vcc_lo
	v_cmp_o_f32_e32 vcc_lo, v18, v18
	s_delay_alu instid0(VALU_DEP_2) | instskip(NEXT) | instid1(VALU_DEP_1)
	v_xor_b32_e32 v2, v2, v18
	v_cndmask_b32_e32 v2, -1, v2, vcc_lo
	s_delay_alu instid0(VALU_DEP_1) | instskip(SKIP_3) | instid1(VALU_DEP_1)
	v_cmp_gt_u32_e32 vcc_lo, v2, v16
	v_cndmask_b32_e64 v14, 0, 1, vcc_lo
	v_cmp_lt_u32_e32 vcc_lo, v2, v16
	v_cndmask_b32_e64 v2, 0, 1, vcc_lo
	v_cndmask_b32_e64 v2, v2, v14, s4
	s_delay_alu instid0(VALU_DEP_1) | instskip(NEXT) | instid1(VALU_DEP_1)
	v_and_b32_e32 v2, 1, v2
	v_cmp_eq_u32_e32 vcc_lo, 1, v2
	s_and_b32 s22, vcc_lo, exec_lo
.LBB192_495:                            ;   in Loop: Header=BB192_491 Depth=1
	s_or_b32 exec_lo, exec_lo, s0
	v_cndmask_b32_e64 v2, 0, 1, s22
	s_delay_alu instid0(VALU_DEP_1) | instskip(SKIP_2) | instid1(SALU_CYCLE_1)
	v_cmp_ne_u32_e32 vcc_lo, 0, v2
	s_cmp_lg_u32 vcc_lo, 0
	s_cselect_b32 s0, -1, 0
	s_and_b32 s0, s2, s0
	s_delay_alu instid0(SALU_CYCLE_1)
	s_and_saveexec_b32 s23, s0
	s_cbranch_execz .LBB192_499
; %bb.496:                              ;   in Loop: Header=BB192_491 Depth=1
	s_mov_b32 s26, exec_lo
	s_bcnt1_i32_b32 s24, vcc_lo
	v_mbcnt_lo_u32_b32 v14, s26, 0
	s_mov_b32 s25, exec_lo
                                        ; implicit-def: $vgpr8_vgpr9
	s_delay_alu instid0(VALU_DEP_1)
	v_cmpx_eq_u32_e32 0, v14
	s_cbranch_execz .LBB192_498
; %bb.497:                              ;   in Loop: Header=BB192_491 Depth=1
	s_bcnt1_i32_b32 s0, s26
	s_delay_alu instid0(SALU_CYCLE_1) | instskip(NEXT) | instid1(SALU_CYCLE_1)
	s_mul_i32 s0, s24, s0
	v_mov_b32_e32 v2, s0
	s_waitcnt lgkmcnt(0)
	ds_add_rtn_u64 v[8:9], v3, v[2:3] offset:5136
.LBB192_498:                            ;   in Loop: Header=BB192_491 Depth=1
	s_or_b32 exec_lo, exec_lo, s25
	s_waitcnt lgkmcnt(0)
	v_readfirstlane_b32 s27, v9
	v_readfirstlane_b32 s26, v8
	s_delay_alu instid0(VALU_DEP_1)
	v_mad_u64_u32 v[8:9], null, s24, v14, s[26:27]
.LBB192_499:                            ;   in Loop: Header=BB192_491 Depth=1
	s_or_b32 exec_lo, exec_lo, s23
	s_waitcnt lgkmcnt(0)
	ds_bpermute_b32 v8, v3, v8
	ds_bpermute_b32 v9, v3, v9
	s_mov_b32 s0, -1
	s_mov_b32 s25, -1
                                        ; implicit-def: $sgpr24
	s_and_saveexec_b32 s23, s22
	s_cbranch_execz .LBB192_503
; %bb.500:                              ;   in Loop: Header=BB192_491 Depth=1
	v_and_b32_e32 v2, vcc_lo, v32
	s_mov_b32 s22, 0
	s_mov_b32 s24, exec_lo
	s_delay_alu instid0(VALU_DEP_1) | instskip(SKIP_1) | instid1(VALU_DEP_1)
	v_bcnt_u32_b32 v2, v2, 0
	s_waitcnt lgkmcnt(0)
	v_add_co_u32 v14, vcc_lo, v8, v2
	v_add_co_ci_u32_e32 v15, vcc_lo, 0, v9, vcc_lo
	s_delay_alu instid0(VALU_DEP_1)
	v_cmpx_gt_u64_e64 s[30:31], v[14:15]
	s_cbranch_execz .LBB192_502
; %bb.501:                              ;   in Loop: Header=BB192_491 Depth=1
	v_mul_lo_u32 v2, v15, s8
	v_mul_lo_u32 v24, v14, s9
	v_mad_u64_u32 v[20:21], null, v14, s8, 0
	v_mul_lo_u32 v15, v15, s10
	v_mul_lo_u32 v25, v14, s11
	v_mad_u64_u32 v[22:23], null, v14, s10, 0
	s_mov_b32 s22, exec_lo
	s_delay_alu instid0(VALU_DEP_4) | instskip(NEXT) | instid1(VALU_DEP_2)
	v_add3_u32 v21, v21, v24, v2
	v_add3_u32 v23, v23, v25, v15
	s_delay_alu instid0(VALU_DEP_2) | instskip(NEXT) | instid1(VALU_DEP_2)
	v_lshlrev_b64 v[14:15], 2, v[20:21]
	v_lshlrev_b64 v[20:21], 3, v[22:23]
	s_delay_alu instid0(VALU_DEP_2) | instskip(NEXT) | instid1(VALU_DEP_3)
	v_add_co_u32 v14, vcc_lo, s1, v14
	v_add_co_ci_u32_e32 v15, vcc_lo, s5, v15, vcc_lo
	s_delay_alu instid0(VALU_DEP_3) | instskip(NEXT) | instid1(VALU_DEP_4)
	v_add_co_u32 v20, vcc_lo, s16, v20
	v_add_co_ci_u32_e32 v21, vcc_lo, s17, v21, vcc_lo
	s_waitcnt vmcnt(0)
	global_store_b32 v[14:15], v18, off
	global_store_b64 v[20:21], v[12:13], off
.LBB192_502:                            ;   in Loop: Header=BB192_491 Depth=1
	s_or_b32 exec_lo, exec_lo, s24
	s_mov_b32 s24, -1
	s_or_not1_b32 s25, s22, exec_lo
.LBB192_503:                            ;   in Loop: Header=BB192_491 Depth=1
	s_or_b32 exec_lo, exec_lo, s23
	s_and_saveexec_b32 s22, s25
	s_cbranch_execz .LBB192_490
; %bb.504:                              ;   in Loop: Header=BB192_491 Depth=1
	v_cmp_le_u64_e32 vcc_lo, s[6:7], v[6:7]
	v_add_co_u32 v4, s0, v4, s34
	s_delay_alu instid0(VALU_DEP_1)
	v_add_co_ci_u32_e64 v5, s0, s35, v5, s0
	s_and_not1_b32 s24, s24, exec_lo
	s_or_not1_b32 s0, vcc_lo, exec_lo
	s_branch .LBB192_490
.LBB192_505:
	s_or_b32 exec_lo, exec_lo, s18
	s_delay_alu instid0(SALU_CYCLE_1)
	s_mov_b32 s18, exec_lo
	s_or_not1_b32 s21, s21, exec_lo
.LBB192_506:
	s_or_b32 exec_lo, exec_lo, s20
	s_and_saveexec_b32 s4, s21
	s_cbranch_execz .LBB192_529
; %bb.507:
	v_dual_mov_b32 v3, 0 :: v_dual_mov_b32 v12, 0
	s_waitcnt vmcnt(0) lgkmcnt(0)
	s_waitcnt_vscnt null, 0x0
	s_barrier
	buffer_gl0_inv
	s_and_saveexec_b32 s0, s3
	s_cbranch_execz .LBB192_509
; %bb.508:
	global_load_b32 v12, v[10:11], off
.LBB192_509:
	s_or_b32 exec_lo, exec_lo, s0
	v_mad_u64_u32 v[4:5], null, s38, v17, 0
	s_add_u32 s0, s36, s40
	s_addc_u32 s3, s37, s41
	s_mov_b32 s19, 0
                                        ; implicit-def: $sgpr20
                                        ; implicit-def: $sgpr21
	s_delay_alu instid0(VALU_DEP_1) | instskip(NEXT) | instid1(VALU_DEP_1)
	v_mov_b32_e32 v2, v5
	v_mad_u64_u32 v[5:6], null, s39, v17, v[2:3]
                                        ; implicit-def: $vgpr6_vgpr7
	s_delay_alu instid0(VALU_DEP_1) | instskip(NEXT) | instid1(VALU_DEP_1)
	v_lshlrev_b64 v[4:5], 2, v[4:5]
	v_add_co_u32 v4, vcc_lo, s0, v4
	s_delay_alu instid0(VALU_DEP_2)
	v_add_co_ci_u32_e32 v5, vcc_lo, s3, v5, vcc_lo
                                        ; implicit-def: $sgpr3
	s_branch .LBB192_512
.LBB192_510:                            ;   in Loop: Header=BB192_512 Depth=1
	s_or_b32 exec_lo, exec_lo, s24
	v_dual_mov_b32 v0, v8 :: v_dual_mov_b32 v1, v9
	v_mov_b32_e32 v12, v2
	s_and_not1_b32 s0, s21, exec_lo
	s_and_b32 s21, s26, exec_lo
	s_and_not1_b32 s20, s20, exec_lo
	s_and_b32 s23, s23, exec_lo
	s_or_b32 s21, s0, s21
	s_or_b32 s20, s20, s23
.LBB192_511:                            ;   in Loop: Header=BB192_512 Depth=1
	s_or_b32 exec_lo, exec_lo, s22
	s_xor_b32 s0, s21, -1
	s_and_b32 s22, exec_lo, s20
	s_delay_alu instid0(SALU_CYCLE_1) | instskip(SKIP_2) | instid1(SALU_CYCLE_1)
	s_or_b32 s19, s22, s19
	s_and_not1_b32 s3, s3, exec_lo
	s_and_b32 s0, s0, exec_lo
	s_or_b32 s3, s3, s0
	s_and_not1_b32 exec_lo, exec_lo, s19
	s_cbranch_execz .LBB192_527
.LBB192_512:                            ; =>This Inner Loop Header: Depth=1
	s_or_b32 s21, s21, exec_lo
	s_or_b32 s20, s20, exec_lo
	s_mov_b32 s22, exec_lo
	v_cmpx_gt_u64_e64 s[6:7], v[0:1]
	s_cbranch_execz .LBB192_511
; %bb.513:                              ;   in Loop: Header=BB192_512 Depth=1
	v_add_co_u32 v8, vcc_lo, v0, s33
	v_add_co_ci_u32_e32 v9, vcc_lo, 0, v1, vcc_lo
	v_mov_b32_e32 v13, 0
	s_mov_b32 s0, exec_lo
	s_delay_alu instid0(VALU_DEP_2)
	v_cmpx_gt_u64_e64 s[28:29], v[8:9]
	s_cbranch_execz .LBB192_515
; %bb.514:                              ;   in Loop: Header=BB192_512 Depth=1
	global_load_b32 v13, v[4:5], off
.LBB192_515:                            ;   in Loop: Header=BB192_512 Depth=1
	s_or_b32 exec_lo, exec_lo, s0
	s_waitcnt vmcnt(0)
	v_cmp_lt_i32_e32 vcc_lo, -1, v12
	v_cndmask_b32_e64 v2, -1, 0x80000000, vcc_lo
	v_cmp_o_f32_e32 vcc_lo, v12, v12
	s_delay_alu instid0(VALU_DEP_2) | instskip(NEXT) | instid1(VALU_DEP_1)
	v_xor_b32_e32 v2, v2, v12
	v_cndmask_b32_e32 v2, -1, v2, vcc_lo
	v_cmp_gt_u64_e32 vcc_lo, s[28:29], v[0:1]
	s_delay_alu instid0(VALU_DEP_2) | instskip(NEXT) | instid1(VALU_DEP_1)
	v_cmp_eq_u32_e64 s0, v2, v16
	s_and_b32 s24, vcc_lo, s0
	s_delay_alu instid0(SALU_CYCLE_1) | instskip(NEXT) | instid1(VALU_DEP_1)
	v_cndmask_b32_e64 v2, 0, 1, s24
	v_cmp_ne_u32_e32 vcc_lo, 0, v2
	s_cmp_lg_u32 vcc_lo, 0
	s_cselect_b32 s0, -1, 0
	s_delay_alu instid0(SALU_CYCLE_1) | instskip(NEXT) | instid1(SALU_CYCLE_1)
	s_and_b32 s0, s2, s0
	s_and_saveexec_b32 s23, s0
	s_cbranch_execz .LBB192_519
; %bb.516:                              ;   in Loop: Header=BB192_512 Depth=1
	s_mov_b32 s27, exec_lo
	s_bcnt1_i32_b32 s25, vcc_lo
	v_mbcnt_lo_u32_b32 v10, s27, 0
	s_mov_b32 s26, exec_lo
                                        ; implicit-def: $vgpr6_vgpr7
	s_delay_alu instid0(VALU_DEP_1)
	v_cmpx_eq_u32_e32 0, v10
	s_cbranch_execz .LBB192_518
; %bb.517:                              ;   in Loop: Header=BB192_512 Depth=1
	s_bcnt1_i32_b32 s0, s27
	s_delay_alu instid0(SALU_CYCLE_1) | instskip(NEXT) | instid1(SALU_CYCLE_1)
	s_mul_i32 s0, s25, s0
	v_mov_b32_e32 v2, s0
	ds_add_rtn_u64 v[6:7], v3, v[2:3] offset:5136
.LBB192_518:                            ;   in Loop: Header=BB192_512 Depth=1
	s_or_b32 exec_lo, exec_lo, s26
	s_waitcnt lgkmcnt(0)
	v_readfirstlane_b32 s27, v7
	v_readfirstlane_b32 s26, v6
	s_delay_alu instid0(VALU_DEP_1)
	v_mad_u64_u32 v[6:7], null, s25, v10, s[26:27]
.LBB192_519:                            ;   in Loop: Header=BB192_512 Depth=1
	s_or_b32 exec_lo, exec_lo, s23
	ds_bpermute_b32 v6, v3, v6
	ds_bpermute_b32 v7, v3, v7
	s_cmp_eq_u32 vcc_lo, 0
	s_mov_b32 s23, -1
	s_cselect_b32 s25, -1, 0
	s_mov_b32 s26, -1
	s_waitcnt lgkmcnt(0)
	v_cmp_gt_u64_e64 s0, s[30:31], v[6:7]
	s_delay_alu instid0(VALU_DEP_1) | instskip(SKIP_3) | instid1(SALU_CYCLE_1)
	s_or_b32 s0, s25, s0
	s_mov_b32 s25, -1
	v_cndmask_b32_e64 v2, v12, v13, s0
	s_and_b32 s27, s24, s0
	s_and_saveexec_b32 s24, s27
	s_cbranch_execz .LBB192_525
; %bb.520:                              ;   in Loop: Header=BB192_512 Depth=1
	v_and_b32_e32 v2, vcc_lo, v32
	v_sub_co_u32 v10, vcc_lo, s30, v6
	v_sub_co_ci_u32_e32 v11, vcc_lo, s31, v7, vcc_lo
	s_delay_alu instid0(VALU_DEP_3) | instskip(SKIP_2) | instid1(VALU_DEP_1)
	v_bcnt_u32_b32 v2, v2, 0
	s_mov_b32 s27, -1
	s_mov_b32 s26, exec_lo
	v_cmp_le_u64_e64 s25, v[10:11], v[2:3]
	v_cmpx_gt_u64_e64 v[10:11], v[2:3]
	s_cbranch_execz .LBB192_524
; %bb.521:                              ;   in Loop: Header=BB192_512 Depth=1
	v_add_co_u32 v10, vcc_lo, v6, v2
	v_add_co_ci_u32_e32 v11, vcc_lo, 0, v7, vcc_lo
	s_delay_alu instid0(VALU_DEP_4) | instskip(SKIP_1) | instid1(VALU_DEP_1)
	s_mov_b32 s36, s25
	s_mov_b32 s27, exec_lo
	v_cmpx_gt_u64_e64 s[30:31], v[10:11]
	s_cbranch_execz .LBB192_523
; %bb.522:                              ;   in Loop: Header=BB192_512 Depth=1
	v_mul_lo_u32 v2, v11, s8
	v_mul_lo_u32 v19, v10, s9
	v_mad_u64_u32 v[14:15], null, v10, s8, 0
	v_mul_lo_u32 v11, v11, s10
	v_mul_lo_u32 v20, v10, s11
	v_mad_u64_u32 v[17:18], null, v10, s10, 0
	s_or_b32 s36, s25, exec_lo
	s_delay_alu instid0(VALU_DEP_4) | instskip(NEXT) | instid1(VALU_DEP_2)
	v_add3_u32 v15, v15, v19, v2
	v_add3_u32 v18, v18, v20, v11
	s_delay_alu instid0(VALU_DEP_2) | instskip(NEXT) | instid1(VALU_DEP_2)
	v_lshlrev_b64 v[10:11], 2, v[14:15]
	v_lshlrev_b64 v[14:15], 3, v[17:18]
	s_delay_alu instid0(VALU_DEP_2) | instskip(NEXT) | instid1(VALU_DEP_3)
	v_add_co_u32 v10, vcc_lo, s1, v10
	v_add_co_ci_u32_e32 v11, vcc_lo, s5, v11, vcc_lo
	s_delay_alu instid0(VALU_DEP_3) | instskip(NEXT) | instid1(VALU_DEP_4)
	v_add_co_u32 v14, vcc_lo, s16, v14
	v_add_co_ci_u32_e32 v15, vcc_lo, s17, v15, vcc_lo
	global_store_b32 v[10:11], v12, off
	global_store_b64 v[14:15], v[0:1], off
.LBB192_523:                            ;   in Loop: Header=BB192_512 Depth=1
	s_or_b32 exec_lo, exec_lo, s27
	s_delay_alu instid0(SALU_CYCLE_1)
	s_and_not1_b32 s25, s25, exec_lo
	s_and_b32 s36, s36, exec_lo
	s_xor_b32 s27, exec_lo, -1
	s_or_b32 s25, s25, s36
.LBB192_524:                            ;   in Loop: Header=BB192_512 Depth=1
	s_or_b32 exec_lo, exec_lo, s26
	v_mov_b32_e32 v2, v13
	s_or_not1_b32 s26, s27, exec_lo
	s_or_b32 s0, s0, exec_lo
	s_or_not1_b32 s25, s25, exec_lo
.LBB192_525:                            ;   in Loop: Header=BB192_512 Depth=1
	s_or_b32 exec_lo, exec_lo, s24
	s_and_saveexec_b32 s24, s25
	s_cbranch_execz .LBB192_510
; %bb.526:                              ;   in Loop: Header=BB192_512 Depth=1
	v_add_co_u32 v4, vcc_lo, v4, s34
	v_add_co_ci_u32_e32 v5, vcc_lo, s35, v5, vcc_lo
	s_xor_b32 s0, s0, -1
	s_or_b32 s26, s26, exec_lo
	s_or_not1_b32 s23, s0, exec_lo
	s_branch .LBB192_510
.LBB192_527:
	s_or_b32 exec_lo, exec_lo, s19
	s_mov_b32 s0, 0
	s_and_saveexec_b32 s1, s3
	s_delay_alu instid0(SALU_CYCLE_1)
	s_xor_b32 s1, exec_lo, s1
	s_cbranch_execnz .LBB192_559
.LBB192_528:
	s_or_b32 exec_lo, exec_lo, s1
	s_delay_alu instid0(SALU_CYCLE_1)
	s_and_b32 s19, s0, exec_lo
	s_and_not1_b32 s18, s18, exec_lo
.LBB192_529:
	s_or_b32 exec_lo, exec_lo, s4
	s_and_saveexec_b32 s0, s18
	s_delay_alu instid0(SALU_CYCLE_1)
	s_xor_b32 s0, exec_lo, s0
	s_cbranch_execnz .LBB192_555
.LBB192_530:
	s_or_b32 exec_lo, exec_lo, s0
	s_waitcnt lgkmcnt(0)
	s_and_b32 s8, s19, exec_lo
.LBB192_531:
	s_and_not1_saveexec_b32 s0, s15
	s_cbranch_execnz .LBB192_551
.LBB192_532:
	s_or_b32 exec_lo, exec_lo, s0
	s_delay_alu instid0(SALU_CYCLE_1)
	s_and_b32 s8, s8, exec_lo
.LBB192_533:
	s_and_not1_saveexec_b32 s0, s14
	s_cbranch_execnz .LBB192_547
.LBB192_534:
	s_or_b32 exec_lo, exec_lo, s0
	s_delay_alu instid0(SALU_CYCLE_1)
	s_and_b32 s8, s8, exec_lo
.LBB192_535:
	s_and_not1_saveexec_b32 s0, s13
	s_cbranch_execnz .LBB192_543
.LBB192_536:
	s_or_b32 exec_lo, exec_lo, s0
	s_delay_alu instid0(SALU_CYCLE_1)
	s_and_b32 s8, s8, exec_lo
.LBB192_537:
	s_and_not1_saveexec_b32 s0, s12
	s_cbranch_execnz .LBB192_541
; %bb.538:
	s_or_b32 exec_lo, exec_lo, s0
	s_and_saveexec_b32 s0, s8
.LBB192_539:
	; divergent unreachable
.LBB192_540:
	s_nop 0
	s_sendmsg sendmsg(MSG_DEALLOC_VGPRS)
	s_endpgm
.LBB192_541:
	s_cbranch_execnz .LBB192_545
; %bb.542:
	s_or_b32 s8, s8, exec_lo
	s_or_b32 exec_lo, exec_lo, s0
	s_and_saveexec_b32 s0, s8
	s_cbranch_execnz .LBB192_539
	s_branch .LBB192_540
.LBB192_543:
	s_cbranch_execnz .LBB192_549
; %bb.544:
	s_or_b32 s8, s8, exec_lo
	s_branch .LBB192_536
.LBB192_545:
	s_trap 2
	s_sendmsg_rtn_b32 s0, sendmsg(MSG_RTN_GET_DOORBELL)
	s_mov_b32 ttmp2, m0
	s_waitcnt lgkmcnt(0)
	s_and_b32 s0, s0, 0x3ff
	s_delay_alu instid0(SALU_CYCLE_1) | instskip(NEXT) | instid1(SALU_CYCLE_1)
	s_bitset1_b32 s0, 10
	s_mov_b32 m0, s0
	s_sendmsg sendmsg(MSG_INTERRUPT)
	s_mov_b32 m0, ttmp2
.LBB192_546:                            ; =>This Inner Loop Header: Depth=1
	s_sethalt 5
	s_branch .LBB192_546
.LBB192_547:
	s_cbranch_execnz .LBB192_553
; %bb.548:
	s_or_b32 s8, s8, exec_lo
	s_branch .LBB192_534
.LBB192_549:
	s_trap 2
	s_sendmsg_rtn_b32 s0, sendmsg(MSG_RTN_GET_DOORBELL)
	s_mov_b32 ttmp2, m0
	s_waitcnt lgkmcnt(0)
	s_and_b32 s0, s0, 0x3ff
	s_delay_alu instid0(SALU_CYCLE_1) | instskip(NEXT) | instid1(SALU_CYCLE_1)
	s_bitset1_b32 s0, 10
	s_mov_b32 m0, s0
	s_sendmsg sendmsg(MSG_INTERRUPT)
	s_mov_b32 m0, ttmp2
.LBB192_550:                            ; =>This Inner Loop Header: Depth=1
	s_sethalt 5
	s_branch .LBB192_550
.LBB192_551:
	s_cbranch_execnz .LBB192_557
; %bb.552:
	s_or_b32 s8, s8, exec_lo
	s_branch .LBB192_532
.LBB192_553:
	s_trap 2
	s_sendmsg_rtn_b32 s0, sendmsg(MSG_RTN_GET_DOORBELL)
	s_mov_b32 ttmp2, m0
	s_waitcnt lgkmcnt(0)
	s_and_b32 s0, s0, 0x3ff
	s_delay_alu instid0(SALU_CYCLE_1) | instskip(NEXT) | instid1(SALU_CYCLE_1)
	s_bitset1_b32 s0, 10
	s_mov_b32 m0, s0
	s_sendmsg sendmsg(MSG_INTERRUPT)
	s_mov_b32 m0, ttmp2
.LBB192_554:                            ; =>This Inner Loop Header: Depth=1
	s_sethalt 5
	s_branch .LBB192_554
.LBB192_555:
	s_cbranch_execnz .LBB192_561
; %bb.556:
	s_or_b32 s19, s19, exec_lo
	s_branch .LBB192_530
.LBB192_557:
	s_trap 2
	s_sendmsg_rtn_b32 s0, sendmsg(MSG_RTN_GET_DOORBELL)
	s_mov_b32 ttmp2, m0
	s_waitcnt lgkmcnt(0)
	s_and_b32 s0, s0, 0x3ff
	s_delay_alu instid0(SALU_CYCLE_1) | instskip(NEXT) | instid1(SALU_CYCLE_1)
	s_bitset1_b32 s0, 10
	s_mov_b32 m0, s0
	s_sendmsg sendmsg(MSG_INTERRUPT)
	s_mov_b32 m0, ttmp2
.LBB192_558:                            ; =>This Inner Loop Header: Depth=1
	s_sethalt 5
	s_branch .LBB192_558
.LBB192_559:
	s_cbranch_execnz .LBB192_563
; %bb.560:
	s_mov_b32 s0, exec_lo
	s_branch .LBB192_528
.LBB192_561:
	s_trap 2
	s_sendmsg_rtn_b32 s0, sendmsg(MSG_RTN_GET_DOORBELL)
	s_mov_b32 ttmp2, m0
	s_waitcnt lgkmcnt(0)
	s_and_b32 s0, s0, 0x3ff
	s_delay_alu instid0(SALU_CYCLE_1) | instskip(NEXT) | instid1(SALU_CYCLE_1)
	s_bitset1_b32 s0, 10
	s_mov_b32 m0, s0
	s_sendmsg sendmsg(MSG_INTERRUPT)
	s_mov_b32 m0, ttmp2
.LBB192_562:                            ; =>This Inner Loop Header: Depth=1
	s_sethalt 5
	s_branch .LBB192_562
.LBB192_563:
	s_trap 2
	s_sendmsg_rtn_b32 s0, sendmsg(MSG_RTN_GET_DOORBELL)
	s_mov_b32 ttmp2, m0
	s_waitcnt lgkmcnt(0)
	s_and_b32 s0, s0, 0x3ff
	s_delay_alu instid0(SALU_CYCLE_1) | instskip(NEXT) | instid1(SALU_CYCLE_1)
	s_bitset1_b32 s0, 10
	s_mov_b32 m0, s0
	s_sendmsg sendmsg(MSG_INTERRUPT)
	s_mov_b32 m0, ttmp2
.LBB192_564:                            ; =>This Inner Loop Header: Depth=1
	s_sethalt 5
	s_branch .LBB192_564
	.section	.rodata,"a",@progbits
	.p2align	6, 0x0
	.amdhsa_kernel _ZN2at6native6sbtopk10gatherTopKIfmLi1ELb0EEEvNS_4cuda6detail10TensorInfoIKT_T0_EES8_S8_bS8_S8_NS5_IS6_S8_EES8_NS5_IlS8_EES8_PS6_
		.amdhsa_group_segment_fixed_size 5152
		.amdhsa_private_segment_fixed_size 0
		.amdhsa_kernarg_size 1568
		.amdhsa_user_sgpr_count 13
		.amdhsa_user_sgpr_dispatch_ptr 0
		.amdhsa_user_sgpr_queue_ptr 0
		.amdhsa_user_sgpr_kernarg_segment_ptr 1
		.amdhsa_user_sgpr_dispatch_id 0
		.amdhsa_user_sgpr_private_segment_size 0
		.amdhsa_wavefront_size32 1
		.amdhsa_uses_dynamic_stack 0
		.amdhsa_enable_private_segment 0
		.amdhsa_system_sgpr_workgroup_id_x 1
		.amdhsa_system_sgpr_workgroup_id_y 1
		.amdhsa_system_sgpr_workgroup_id_z 1
		.amdhsa_system_sgpr_workgroup_info 0
		.amdhsa_system_vgpr_workitem_id 0
		.amdhsa_next_free_vgpr 46
		.amdhsa_next_free_sgpr 105
		.amdhsa_reserve_vcc 1
		.amdhsa_float_round_mode_32 0
		.amdhsa_float_round_mode_16_64 0
		.amdhsa_float_denorm_mode_32 3
		.amdhsa_float_denorm_mode_16_64 3
		.amdhsa_dx10_clamp 1
		.amdhsa_ieee_mode 1
		.amdhsa_fp16_overflow 0
		.amdhsa_workgroup_processor_mode 1
		.amdhsa_memory_ordered 1
		.amdhsa_forward_progress 0
		.amdhsa_shared_vgpr_count 0
		.amdhsa_exception_fp_ieee_invalid_op 0
		.amdhsa_exception_fp_denorm_src 0
		.amdhsa_exception_fp_ieee_div_zero 0
		.amdhsa_exception_fp_ieee_overflow 0
		.amdhsa_exception_fp_ieee_underflow 0
		.amdhsa_exception_fp_ieee_inexact 0
		.amdhsa_exception_int_div_zero 0
	.end_amdhsa_kernel
	.section	.text._ZN2at6native6sbtopk10gatherTopKIfmLi1ELb0EEEvNS_4cuda6detail10TensorInfoIKT_T0_EES8_S8_bS8_S8_NS5_IS6_S8_EES8_NS5_IlS8_EES8_PS6_,"axG",@progbits,_ZN2at6native6sbtopk10gatherTopKIfmLi1ELb0EEEvNS_4cuda6detail10TensorInfoIKT_T0_EES8_S8_bS8_S8_NS5_IS6_S8_EES8_NS5_IlS8_EES8_PS6_,comdat
.Lfunc_end192:
	.size	_ZN2at6native6sbtopk10gatherTopKIfmLi1ELb0EEEvNS_4cuda6detail10TensorInfoIKT_T0_EES8_S8_bS8_S8_NS5_IS6_S8_EES8_NS5_IlS8_EES8_PS6_, .Lfunc_end192-_ZN2at6native6sbtopk10gatherTopKIfmLi1ELb0EEEvNS_4cuda6detail10TensorInfoIKT_T0_EES8_S8_bS8_S8_NS5_IS6_S8_EES8_NS5_IlS8_EES8_PS6_
                                        ; -- End function
	.section	.AMDGPU.csdata,"",@progbits
; Kernel info:
; codeLenInByte = 28952
; NumSgprs: 107
; NumVgprs: 46
; ScratchSize: 0
; MemoryBound: 0
; FloatMode: 240
; IeeeMode: 1
; LDSByteSize: 5152 bytes/workgroup (compile time only)
; SGPRBlocks: 13
; VGPRBlocks: 5
; NumSGPRsForWavesPerEU: 107
; NumVGPRsForWavesPerEU: 46
; Occupancy: 16
; WaveLimiterHint : 1
; COMPUTE_PGM_RSRC2:SCRATCH_EN: 0
; COMPUTE_PGM_RSRC2:USER_SGPR: 13
; COMPUTE_PGM_RSRC2:TRAP_HANDLER: 0
; COMPUTE_PGM_RSRC2:TGID_X_EN: 1
; COMPUTE_PGM_RSRC2:TGID_Y_EN: 1
; COMPUTE_PGM_RSRC2:TGID_Z_EN: 1
; COMPUTE_PGM_RSRC2:TIDIG_COMP_CNT: 0
	.section	.text._ZN2at6native6mbtopk23computeBlockDigitCountsIfmjLi2EEEvNS_4cuda6detail10TensorInfoIKT_T0_EEjPjjS8_iijT1_PSB_Ps,"axG",@progbits,_ZN2at6native6mbtopk23computeBlockDigitCountsIfmjLi2EEEvNS_4cuda6detail10TensorInfoIKT_T0_EEjPjjS8_iijT1_PSB_Ps,comdat
	.protected	_ZN2at6native6mbtopk23computeBlockDigitCountsIfmjLi2EEEvNS_4cuda6detail10TensorInfoIKT_T0_EEjPjjS8_iijT1_PSB_Ps ; -- Begin function _ZN2at6native6mbtopk23computeBlockDigitCountsIfmjLi2EEEvNS_4cuda6detail10TensorInfoIKT_T0_EEjPjjS8_iijT1_PSB_Ps
	.globl	_ZN2at6native6mbtopk23computeBlockDigitCountsIfmjLi2EEEvNS_4cuda6detail10TensorInfoIKT_T0_EEjPjjS8_iijT1_PSB_Ps
	.p2align	8
	.type	_ZN2at6native6mbtopk23computeBlockDigitCountsIfmjLi2EEEvNS_4cuda6detail10TensorInfoIKT_T0_EEjPjjS8_iijT1_PSB_Ps,@function
_ZN2at6native6mbtopk23computeBlockDigitCountsIfmjLi2EEEvNS_4cuda6detail10TensorInfoIKT_T0_EEjPjjS8_iijT1_PSB_Ps: ; @_ZN2at6native6mbtopk23computeBlockDigitCountsIfmjLi2EEEvNS_4cuda6detail10TensorInfoIKT_T0_EEjPjjS8_iijT1_PSB_Ps
; %bb.0:
	s_clause 0x2
	s_load_b128 s[8:11], s[0:1], 0x1c0
	s_load_b32 s5, s[0:1], 0x1b0
	s_load_b64 s[2:3], s[0:1], 0x1e0
	s_waitcnt lgkmcnt(0)
	v_cvt_f32_u32_e32 v1, s10
	s_sub_i32 s6, 0, s10
	s_mul_i32 s3, s3, s15
	s_delay_alu instid0(SALU_CYCLE_1) | instskip(NEXT) | instid1(VALU_DEP_1)
	s_add_i32 s3, s3, s14
	v_rcp_iflag_f32_e32 v1, v1
	s_mul_i32 s16, s3, s2
	s_delay_alu instid0(SALU_CYCLE_1) | instskip(SKIP_3) | instid1(VALU_DEP_1)
	s_add_i32 s16, s16, s13
	s_mov_b32 s13, 0
	s_waitcnt_depctr 0xfff
	v_mul_f32_e32 v1, 0x4f7ffffe, v1
	v_cvt_u32_f32_e32 v1, v1
	s_delay_alu instid0(VALU_DEP_1) | instskip(NEXT) | instid1(VALU_DEP_1)
	v_readfirstlane_b32 s4, v1
	s_mul_i32 s6, s6, s4
	s_delay_alu instid0(SALU_CYCLE_1) | instskip(NEXT) | instid1(SALU_CYCLE_1)
	s_mul_hi_u32 s2, s4, s6
	s_add_i32 s4, s4, s2
	s_delay_alu instid0(SALU_CYCLE_1) | instskip(NEXT) | instid1(SALU_CYCLE_1)
	s_mul_hi_u32 s2, s16, s4
	s_mul_i32 s3, s2, s10
	s_add_i32 s4, s2, 1
	s_sub_i32 s3, s16, s3
	s_delay_alu instid0(SALU_CYCLE_1)
	s_sub_i32 s6, s3, s10
	s_cmp_ge_u32 s3, s10
	s_cselect_b32 s2, s4, s2
	s_cselect_b32 s3, s6, s3
	s_add_i32 s4, s2, 1
	s_cmp_ge_u32 s3, s10
	s_cselect_b32 s12, s4, s2
	s_delay_alu instid0(SALU_CYCLE_1)
	s_cmp_ge_u32 s12, s5
	s_cbranch_scc1 .LBB193_25
; %bb.1:
	s_clause 0x1
	s_load_b64 s[2:3], s[0:1], 0x10
	s_load_b128 s[4:7], s[0:1], 0x1d0
	s_lshl_b64 s[14:15], s[12:13], 2
	s_waitcnt lgkmcnt(0)
	v_cmp_lt_u64_e64 s17, s[12:13], s[2:3]
	s_add_u32 s14, s4, s14
	s_addc_u32 s15, s5, s15
	s_mov_b64 s[4:5], 0
	s_delay_alu instid0(VALU_DEP_1)
	s_and_b32 vcc_lo, exec_lo, s17
	s_cbranch_vccnz .LBB193_3
; %bb.2:
	v_cvt_f32_u32_e32 v1, s2
	s_sub_i32 s5, 0, s2
	s_delay_alu instid0(VALU_DEP_1) | instskip(SKIP_2) | instid1(VALU_DEP_1)
	v_rcp_iflag_f32_e32 v1, v1
	s_waitcnt_depctr 0xfff
	v_mul_f32_e32 v1, 0x4f7ffffe, v1
	v_cvt_u32_f32_e32 v1, v1
	s_delay_alu instid0(VALU_DEP_1) | instskip(NEXT) | instid1(VALU_DEP_1)
	v_readfirstlane_b32 s4, v1
	s_mul_i32 s5, s5, s4
	s_delay_alu instid0(SALU_CYCLE_1) | instskip(NEXT) | instid1(SALU_CYCLE_1)
	s_mul_hi_u32 s5, s4, s5
	s_add_i32 s4, s4, s5
	s_delay_alu instid0(SALU_CYCLE_1) | instskip(NEXT) | instid1(SALU_CYCLE_1)
	s_mul_hi_u32 s4, s12, s4
	s_mul_i32 s5, s4, s2
	s_add_i32 s13, s4, 1
	s_sub_i32 s5, s12, s5
	s_delay_alu instid0(SALU_CYCLE_1)
	s_sub_i32 s17, s5, s2
	s_cmp_ge_u32 s5, s2
	s_cselect_b32 s4, s13, s4
	s_cselect_b32 s5, s17, s5
	s_add_i32 s13, s4, 1
	s_cmp_ge_u32 s5, s2
	s_cselect_b32 s4, s13, s4
.LBB193_3:
	v_cmp_gt_u32_e32 vcc_lo, 0x100, v0
	v_lshlrev_b32_e32 v1, 2, v0
	s_and_saveexec_b32 s5, vcc_lo
	s_cbranch_execz .LBB193_5
; %bb.4:
	v_mov_b32_e32 v2, 0
	ds_store_b32 v1, v2
.LBB193_5:
	s_or_b32 exec_lo, exec_lo, s5
	s_load_b32 s5, s[0:1], 0x1a0
	s_mul_i32 s13, s12, s10
	s_waitcnt lgkmcnt(0)
	s_sub_i32 s13, s16, s13
	s_barrier
	s_mul_i32 s17, s9, s13
	s_add_i32 s13, s13, 1
	s_lshl_b32 s17, s17, 8
	buffer_gl0_inv
	s_sub_i32 s18, s5, s17
	s_delay_alu instid0(SALU_CYCLE_1) | instskip(SKIP_4) | instid1(VALU_DEP_1)
	s_add_u32 s18, s18, 0xff
	s_addc_u32 s19, 0, 0
	s_cmp_lt_u32 s13, s10
	v_alignbit_b32 v2, s19, s18, 8
	s_mov_b32 s13, 0
	v_readfirstlane_b32 s18, v2
	s_delay_alu instid0(VALU_DEP_1) | instskip(NEXT) | instid1(SALU_CYCLE_1)
	s_cselect_b32 s10, s9, s18
	s_cmp_lt_i32 s10, 1
	s_cbranch_scc1 .LBB193_21
; %bb.6:
	s_clause 0x1
	s_load_b128 s[20:23], s[0:1], 0xd0
	s_load_b64 s[18:19], s[0:1], 0x0
	s_load_b32 s9, s[14:15], 0x0
	s_mul_i32 s14, s4, s3
	s_mul_hi_u32 s15, s4, s2
	s_mul_i32 s24, s4, s2
	s_load_b64 s[2:3], s[0:1], 0x1b8
	s_add_i32 s15, s15, s14
	s_sub_u32 s0, s12, s24
	s_subb_u32 s1, 0, s15
	v_add_nc_u32_e32 v2, s17, v0
	s_waitcnt lgkmcnt(0)
	s_mul_i32 s15, s4, s21
	s_mul_hi_u32 s21, s4, s20
	s_mul_i32 s12, s0, s23
	s_mul_hi_u32 s23, s0, s22
	s_mul_i32 s14, s4, s20
	s_add_i32 s15, s21, s15
	s_mul_i32 s1, s1, s22
	s_add_i32 s4, s23, s12
	s_lshl_b64 s[14:15], s[14:15], 2
	s_mul_i32 s0, s0, s22
	s_add_i32 s1, s4, s1
	s_add_u32 s4, s18, s14
	s_addc_u32 s12, s19, s15
	s_lshl_b64 s[0:1], s[0:1], 2
	s_delay_alu instid0(SALU_CYCLE_1)
	s_add_u32 s4, s4, s0
	s_addc_u32 s12, s12, s1
	s_and_b32 s1, s8, 0xff
	s_cmp_eq_u32 s10, 1
	s_cbranch_scc1 .LBB193_16
; %bb.7:
	v_dual_mov_b32 v3, 1 :: v_dual_mov_b32 v4, v2
	s_and_b32 s8, s10, 0x7ffffffe
	s_branch .LBB193_9
.LBB193_8:                              ;   in Loop: Header=BB193_9 Depth=1
	s_or_b32 exec_lo, exec_lo, s14
	v_add_nc_u32_e32 v4, 0x200, v4
	s_add_i32 s13, s13, 2
	s_delay_alu instid0(SALU_CYCLE_1)
	s_cmp_eq_u32 s8, s13
	s_cbranch_scc1 .LBB193_15
.LBB193_9:                              ; =>This Inner Loop Header: Depth=1
	s_mov_b32 s14, exec_lo
	s_delay_alu instid0(VALU_DEP_1)
	v_cmpx_gt_u32_e64 s5, v4
	s_cbranch_execz .LBB193_12
; %bb.10:                               ;   in Loop: Header=BB193_9 Depth=1
	v_mad_u64_u32 v[5:6], null, v4, s2, 0
	s_delay_alu instid0(VALU_DEP_1) | instskip(NEXT) | instid1(VALU_DEP_1)
	v_mad_u64_u32 v[7:8], null, v4, s3, v[6:7]
	v_mov_b32_e32 v6, v7
	s_delay_alu instid0(VALU_DEP_1) | instskip(NEXT) | instid1(VALU_DEP_1)
	v_lshlrev_b64 v[5:6], 2, v[5:6]
	v_add_co_u32 v5, s0, s4, v5
	s_delay_alu instid0(VALU_DEP_1) | instskip(SKIP_3) | instid1(VALU_DEP_1)
	v_add_co_ci_u32_e64 v6, s0, s12, v6, s0
	global_load_b32 v5, v[5:6], off
	s_waitcnt vmcnt(0)
	v_cmp_lt_i32_e64 s0, -1, v5
	v_cndmask_b32_e64 v6, -1, 0x80000000, s0
	v_cmp_o_f32_e64 s0, v5, v5
	s_delay_alu instid0(VALU_DEP_2) | instskip(NEXT) | instid1(VALU_DEP_1)
	v_xor_b32_e32 v6, v6, v5
	v_cndmask_b32_e64 v5, -1, v6, s0
	s_delay_alu instid0(VALU_DEP_1) | instskip(NEXT) | instid1(VALU_DEP_1)
	v_xor_b32_e32 v6, s9, v5
	v_and_b32_e32 v6, s11, v6
	s_delay_alu instid0(VALU_DEP_1) | instskip(NEXT) | instid1(VALU_DEP_1)
	v_cmp_eq_u32_e64 s0, 0, v6
	s_and_b32 exec_lo, exec_lo, s0
	s_cbranch_execz .LBB193_12
; %bb.11:                               ;   in Loop: Header=BB193_9 Depth=1
	v_bfe_u32 v5, v5, s1, 8
	s_delay_alu instid0(VALU_DEP_1)
	v_lshlrev_b32_e32 v5, 2, v5
	ds_add_u32 v5, v3
.LBB193_12:                             ;   in Loop: Header=BB193_9 Depth=1
	s_or_b32 exec_lo, exec_lo, s14
	v_add_nc_u32_e32 v5, 0x100, v4
	s_mov_b32 s14, exec_lo
	s_delay_alu instid0(VALU_DEP_1)
	v_cmpx_gt_u32_e64 s5, v5
	s_cbranch_execz .LBB193_8
; %bb.13:                               ;   in Loop: Header=BB193_9 Depth=1
	v_mad_u64_u32 v[6:7], null, v5, s2, 0
	s_delay_alu instid0(VALU_DEP_1) | instskip(NEXT) | instid1(VALU_DEP_1)
	v_mad_u64_u32 v[8:9], null, v5, s3, v[7:8]
	v_mov_b32_e32 v7, v8
	s_delay_alu instid0(VALU_DEP_1) | instskip(NEXT) | instid1(VALU_DEP_1)
	v_lshlrev_b64 v[5:6], 2, v[6:7]
	v_add_co_u32 v5, s0, s4, v5
	s_delay_alu instid0(VALU_DEP_1) | instskip(SKIP_3) | instid1(VALU_DEP_1)
	v_add_co_ci_u32_e64 v6, s0, s12, v6, s0
	global_load_b32 v5, v[5:6], off
	s_waitcnt vmcnt(0)
	v_cmp_lt_i32_e64 s0, -1, v5
	v_cndmask_b32_e64 v6, -1, 0x80000000, s0
	v_cmp_o_f32_e64 s0, v5, v5
	s_delay_alu instid0(VALU_DEP_2) | instskip(NEXT) | instid1(VALU_DEP_1)
	v_xor_b32_e32 v6, v6, v5
	v_cndmask_b32_e64 v5, -1, v6, s0
	s_delay_alu instid0(VALU_DEP_1) | instskip(NEXT) | instid1(VALU_DEP_1)
	v_xor_b32_e32 v6, s9, v5
	v_and_b32_e32 v6, s11, v6
	s_delay_alu instid0(VALU_DEP_1) | instskip(NEXT) | instid1(VALU_DEP_1)
	v_cmp_eq_u32_e64 s0, 0, v6
	s_and_b32 exec_lo, exec_lo, s0
	s_cbranch_execz .LBB193_8
; %bb.14:                               ;   in Loop: Header=BB193_9 Depth=1
	v_bfe_u32 v5, v5, s1, 8
	s_delay_alu instid0(VALU_DEP_1)
	v_lshlrev_b32_e32 v5, 2, v5
	ds_add_u32 v5, v3
	s_branch .LBB193_8
.LBB193_15:
	s_lshl_b32 s13, s8, 8
.LBB193_16:
	s_bitcmp0_b32 s10, 0
	s_cbranch_scc1 .LBB193_21
; %bb.17:
	v_add_nc_u32_e32 v2, s13, v2
	s_delay_alu instid0(VALU_DEP_1) | instskip(NEXT) | instid1(VALU_DEP_1)
	v_cmp_gt_u32_e64 s0, s5, v2
	s_and_saveexec_b32 s5, s0
	s_cbranch_execz .LBB193_20
; %bb.18:
	v_mad_u64_u32 v[3:4], null, v2, s2, 0
	s_delay_alu instid0(VALU_DEP_1) | instskip(NEXT) | instid1(VALU_DEP_1)
	v_mad_u64_u32 v[5:6], null, v2, s3, v[4:5]
	v_mov_b32_e32 v4, v5
	s_delay_alu instid0(VALU_DEP_1) | instskip(NEXT) | instid1(VALU_DEP_1)
	v_lshlrev_b64 v[2:3], 2, v[3:4]
	v_add_co_u32 v2, s0, s4, v2
	s_delay_alu instid0(VALU_DEP_1) | instskip(SKIP_3) | instid1(VALU_DEP_1)
	v_add_co_ci_u32_e64 v3, s0, s12, v3, s0
	global_load_b32 v2, v[2:3], off
	s_waitcnt vmcnt(0)
	v_cmp_lt_i32_e64 s0, -1, v2
	v_cndmask_b32_e64 v3, -1, 0x80000000, s0
	v_cmp_o_f32_e64 s0, v2, v2
	s_delay_alu instid0(VALU_DEP_2) | instskip(NEXT) | instid1(VALU_DEP_1)
	v_xor_b32_e32 v3, v3, v2
	v_cndmask_b32_e64 v2, -1, v3, s0
	s_delay_alu instid0(VALU_DEP_1) | instskip(NEXT) | instid1(VALU_DEP_1)
	v_xor_b32_e32 v3, s9, v2
	v_and_b32_e32 v3, s11, v3
	s_delay_alu instid0(VALU_DEP_1) | instskip(NEXT) | instid1(VALU_DEP_1)
	v_cmp_eq_u32_e64 s0, 0, v3
	s_and_b32 exec_lo, exec_lo, s0
	s_cbranch_execz .LBB193_20
; %bb.19:
	v_bfe_u32 v2, v2, s1, 8
	s_delay_alu instid0(VALU_DEP_1)
	v_dual_mov_b32 v3, 1 :: v_dual_lshlrev_b32 v2, 2, v2
	ds_add_u32 v2, v3
.LBB193_20:
	s_or_b32 exec_lo, exec_lo, s5
.LBB193_21:
	v_mov_b32_e32 v2, 0
	s_waitcnt lgkmcnt(0)
	s_barrier
	buffer_gl0_inv
	s_and_saveexec_b32 s0, vcc_lo
	s_cbranch_execz .LBB193_23
; %bb.22:
	ds_load_b32 v2, v1
.LBB193_23:
	s_or_b32 exec_lo, exec_lo, s0
	s_and_saveexec_b32 s0, vcc_lo
	s_cbranch_execz .LBB193_25
; %bb.24:
	v_lshl_or_b32 v0, s16, 8, v0
	v_mov_b32_e32 v1, 0
	s_delay_alu instid0(VALU_DEP_1) | instskip(NEXT) | instid1(VALU_DEP_1)
	v_lshlrev_b64 v[0:1], 1, v[0:1]
	v_add_co_u32 v0, vcc_lo, s6, v0
	s_delay_alu instid0(VALU_DEP_2)
	v_add_co_ci_u32_e32 v1, vcc_lo, s7, v1, vcc_lo
	s_waitcnt lgkmcnt(0)
	global_store_b16 v[0:1], v2, off
.LBB193_25:
	s_nop 0
	s_sendmsg sendmsg(MSG_DEALLOC_VGPRS)
	s_endpgm
	.section	.rodata,"a",@progbits
	.p2align	6, 0x0
	.amdhsa_kernel _ZN2at6native6mbtopk23computeBlockDigitCountsIfmjLi2EEEvNS_4cuda6detail10TensorInfoIKT_T0_EEjPjjS8_iijT1_PSB_Ps
		.amdhsa_group_segment_fixed_size 1024
		.amdhsa_private_segment_fixed_size 0
		.amdhsa_kernarg_size 736
		.amdhsa_user_sgpr_count 13
		.amdhsa_user_sgpr_dispatch_ptr 0
		.amdhsa_user_sgpr_queue_ptr 0
		.amdhsa_user_sgpr_kernarg_segment_ptr 1
		.amdhsa_user_sgpr_dispatch_id 0
		.amdhsa_user_sgpr_private_segment_size 0
		.amdhsa_wavefront_size32 1
		.amdhsa_uses_dynamic_stack 0
		.amdhsa_enable_private_segment 0
		.amdhsa_system_sgpr_workgroup_id_x 1
		.amdhsa_system_sgpr_workgroup_id_y 1
		.amdhsa_system_sgpr_workgroup_id_z 1
		.amdhsa_system_sgpr_workgroup_info 0
		.amdhsa_system_vgpr_workitem_id 0
		.amdhsa_next_free_vgpr 10
		.amdhsa_next_free_sgpr 25
		.amdhsa_reserve_vcc 1
		.amdhsa_float_round_mode_32 0
		.amdhsa_float_round_mode_16_64 0
		.amdhsa_float_denorm_mode_32 3
		.amdhsa_float_denorm_mode_16_64 3
		.amdhsa_dx10_clamp 1
		.amdhsa_ieee_mode 1
		.amdhsa_fp16_overflow 0
		.amdhsa_workgroup_processor_mode 1
		.amdhsa_memory_ordered 1
		.amdhsa_forward_progress 0
		.amdhsa_shared_vgpr_count 0
		.amdhsa_exception_fp_ieee_invalid_op 0
		.amdhsa_exception_fp_denorm_src 0
		.amdhsa_exception_fp_ieee_div_zero 0
		.amdhsa_exception_fp_ieee_overflow 0
		.amdhsa_exception_fp_ieee_underflow 0
		.amdhsa_exception_fp_ieee_inexact 0
		.amdhsa_exception_int_div_zero 0
	.end_amdhsa_kernel
	.section	.text._ZN2at6native6mbtopk23computeBlockDigitCountsIfmjLi2EEEvNS_4cuda6detail10TensorInfoIKT_T0_EEjPjjS8_iijT1_PSB_Ps,"axG",@progbits,_ZN2at6native6mbtopk23computeBlockDigitCountsIfmjLi2EEEvNS_4cuda6detail10TensorInfoIKT_T0_EEjPjjS8_iijT1_PSB_Ps,comdat
.Lfunc_end193:
	.size	_ZN2at6native6mbtopk23computeBlockDigitCountsIfmjLi2EEEvNS_4cuda6detail10TensorInfoIKT_T0_EEjPjjS8_iijT1_PSB_Ps, .Lfunc_end193-_ZN2at6native6mbtopk23computeBlockDigitCountsIfmjLi2EEEvNS_4cuda6detail10TensorInfoIKT_T0_EEjPjjS8_iijT1_PSB_Ps
                                        ; -- End function
	.section	.AMDGPU.csdata,"",@progbits
; Kernel info:
; codeLenInByte = 1396
; NumSgprs: 27
; NumVgprs: 10
; ScratchSize: 0
; MemoryBound: 0
; FloatMode: 240
; IeeeMode: 1
; LDSByteSize: 1024 bytes/workgroup (compile time only)
; SGPRBlocks: 3
; VGPRBlocks: 1
; NumSGPRsForWavesPerEU: 27
; NumVGPRsForWavesPerEU: 10
; Occupancy: 16
; WaveLimiterHint : 1
; COMPUTE_PGM_RSRC2:SCRATCH_EN: 0
; COMPUTE_PGM_RSRC2:USER_SGPR: 13
; COMPUTE_PGM_RSRC2:TRAP_HANDLER: 0
; COMPUTE_PGM_RSRC2:TGID_X_EN: 1
; COMPUTE_PGM_RSRC2:TGID_Y_EN: 1
; COMPUTE_PGM_RSRC2:TGID_Z_EN: 1
; COMPUTE_PGM_RSRC2:TIDIG_COMP_CNT: 0
	.section	.text._ZN2at6native6mbtopk10gatherTopKIfmLi2EEEvNS_4cuda6detail10TensorInfoIKT_T0_EES8_S8_bjS8_NS5_IS6_S8_EES8_NS5_IlS8_EES8_jjPS6_PjSD_j,"axG",@progbits,_ZN2at6native6mbtopk10gatherTopKIfmLi2EEEvNS_4cuda6detail10TensorInfoIKT_T0_EES8_S8_bjS8_NS5_IS6_S8_EES8_NS5_IlS8_EES8_jjPS6_PjSD_j,comdat
	.protected	_ZN2at6native6mbtopk10gatherTopKIfmLi2EEEvNS_4cuda6detail10TensorInfoIKT_T0_EES8_S8_bjS8_NS5_IS6_S8_EES8_NS5_IlS8_EES8_jjPS6_PjSD_j ; -- Begin function _ZN2at6native6mbtopk10gatherTopKIfmLi2EEEvNS_4cuda6detail10TensorInfoIKT_T0_EES8_S8_bjS8_NS5_IS6_S8_EES8_NS5_IlS8_EES8_jjPS6_PjSD_j
	.globl	_ZN2at6native6mbtopk10gatherTopKIfmLi2EEEvNS_4cuda6detail10TensorInfoIKT_T0_EES8_S8_bjS8_NS5_IS6_S8_EES8_NS5_IlS8_EES8_jjPS6_PjSD_j
	.p2align	8
	.type	_ZN2at6native6mbtopk10gatherTopKIfmLi2EEEvNS_4cuda6detail10TensorInfoIKT_T0_EES8_S8_bjS8_NS5_IS6_S8_EES8_NS5_IlS8_EES8_jjPS6_PjSD_j,@function
_ZN2at6native6mbtopk10gatherTopKIfmLi2EEEvNS_4cuda6detail10TensorInfoIKT_T0_EES8_S8_bjS8_NS5_IS6_S8_EES8_NS5_IlS8_EES8_jjPS6_PjSD_j: ; @_ZN2at6native6mbtopk10gatherTopKIfmLi2EEEvNS_4cuda6detail10TensorInfoIKT_T0_EES8_S8_bjS8_NS5_IS6_S8_EES8_NS5_IlS8_EES8_jjPS6_PjSD_j
; %bb.0:
	s_clause 0x1
	s_load_b64 s[2:3], s[0:1], 0x538
	s_load_b32 s4, s[0:1], 0x530
	s_waitcnt lgkmcnt(0)
	s_mul_i32 s3, s3, s15
	s_delay_alu instid0(SALU_CYCLE_1) | instskip(NEXT) | instid1(SALU_CYCLE_1)
	s_add_i32 s3, s3, s14
	s_mul_i32 s2, s3, s2
	s_delay_alu instid0(SALU_CYCLE_1) | instskip(NEXT) | instid1(SALU_CYCLE_1)
	s_add_i32 s2, s2, s13
	s_cmp_ge_u32 s2, s4
	s_cbranch_scc1 .LBB194_48
; %bb.1:
	s_clause 0x1
	s_load_b64 s[28:29], s[0:1], 0x510
	s_load_b64 s[36:37], s[0:1], 0x1d0
	s_mov_b32 s31, 0
	s_waitcnt lgkmcnt(0)
	v_cvt_f32_u32_e32 v1, s29
	s_sub_i32 s4, 0, s29
	s_lshl_b32 s33, s28, 8
	s_delay_alu instid0(VALU_DEP_1) | instskip(SKIP_2) | instid1(VALU_DEP_1)
	v_rcp_iflag_f32_e32 v1, v1
	s_waitcnt_depctr 0xfff
	v_mul_f32_e32 v1, 0x4f7ffffe, v1
	v_cvt_u32_f32_e32 v1, v1
	s_delay_alu instid0(VALU_DEP_1) | instskip(NEXT) | instid1(VALU_DEP_1)
	v_readfirstlane_b32 s3, v1
	s_mul_i32 s4, s4, s3
	s_delay_alu instid0(SALU_CYCLE_1) | instskip(NEXT) | instid1(SALU_CYCLE_1)
	s_mul_hi_u32 s4, s3, s4
	s_add_i32 s3, s3, s4
	s_clause 0x1
	s_load_b128 s[4:7], s[0:1], 0x1a0
	s_load_b64 s[34:35], s[0:1], 0x10
	s_mul_hi_u32 s3, s2, s3
	s_delay_alu instid0(SALU_CYCLE_1) | instskip(SKIP_2) | instid1(SALU_CYCLE_1)
	s_mul_i32 s8, s3, s29
	s_add_i32 s9, s3, 1
	s_sub_i32 s8, s2, s8
	s_sub_i32 s10, s8, s29
	s_cmp_ge_u32 s8, s29
	s_cselect_b32 s3, s9, s3
	s_cselect_b32 s8, s10, s8
	s_add_i32 s9, s3, 1
	s_cmp_ge_u32 s8, s29
	s_cselect_b32 s30, s9, s3
	s_delay_alu instid0(SALU_CYCLE_1) | instskip(NEXT) | instid1(SALU_CYCLE_1)
	s_mul_i32 s16, s30, s29
	s_sub_i32 s48, s2, s16
	s_delay_alu instid0(SALU_CYCLE_1) | instskip(NEXT) | instid1(SALU_CYCLE_1)
	s_add_i32 s2, s48, 1
	s_cmp_lt_u32 s2, s29
	s_cbranch_scc1 .LBB194_3
; %bb.2:
	s_mul_i32 s2, s48, s33
	s_waitcnt lgkmcnt(0)
	s_sub_u32 s2, s4, s2
	s_subb_u32 s3, s5, 0
	s_add_u32 s2, s2, 0xff
	s_addc_u32 s3, s3, 0
	s_delay_alu instid0(SALU_CYCLE_1) | instskip(NEXT) | instid1(SALU_CYCLE_1)
	s_ashr_i32 s8, s3, 31
	s_lshr_b32 s8, s8, 24
	s_delay_alu instid0(SALU_CYCLE_1) | instskip(SKIP_1) | instid1(SALU_CYCLE_1)
	s_add_u32 s2, s2, s8
	s_addc_u32 s3, s3, 0
	v_alignbit_b32 v1, s3, s2, 8
	s_delay_alu instid0(VALU_DEP_1)
	v_readfirstlane_b32 s28, v1
.LBB194_3:
	s_load_b64 s[38:39], s[0:1], 0x378
	s_waitcnt lgkmcnt(0)
	v_cmp_lt_u64_e64 s2, s[30:31], s[34:35]
	s_mov_b64 s[40:41], 0
	s_mov_b64 s[42:43], 0
	s_delay_alu instid0(VALU_DEP_1)
	s_and_b32 vcc_lo, exec_lo, s2
	s_cbranch_vccz .LBB194_20
; %bb.4:
	v_cmp_lt_u64_e64 s2, s[30:31], s[36:37]
	s_delay_alu instid0(VALU_DEP_1)
	s_and_b32 vcc_lo, exec_lo, s2
	s_cbranch_vccz .LBB194_21
.LBB194_5:
	v_cmp_lt_u64_e64 s2, s[30:31], s[38:39]
	s_mov_b64 s[44:45], 0
	s_delay_alu instid0(VALU_DEP_1)
	s_and_b32 vcc_lo, exec_lo, s2
	s_cbranch_vccnz .LBB194_7
.LBB194_6:
	v_cvt_f32_u32_e32 v1, s38
	s_sub_i32 s3, 0, s38
	s_waitcnt_depctr 0xfff
	v_rcp_iflag_f32_e32 v1, v1
	s_waitcnt_depctr 0xfff
	v_mul_f32_e32 v1, 0x4f7ffffe, v1
	s_delay_alu instid0(VALU_DEP_1) | instskip(NEXT) | instid1(VALU_DEP_1)
	v_cvt_u32_f32_e32 v1, v1
	v_readfirstlane_b32 s2, v1
	s_delay_alu instid0(VALU_DEP_1) | instskip(NEXT) | instid1(SALU_CYCLE_1)
	s_mul_i32 s3, s3, s2
	s_mul_hi_u32 s3, s2, s3
	s_delay_alu instid0(SALU_CYCLE_1) | instskip(NEXT) | instid1(SALU_CYCLE_1)
	s_add_i32 s2, s2, s3
	s_mul_hi_u32 s2, s30, s2
	s_delay_alu instid0(SALU_CYCLE_1) | instskip(SKIP_2) | instid1(SALU_CYCLE_1)
	s_mul_i32 s3, s2, s38
	s_add_i32 s8, s2, 1
	s_sub_i32 s3, s30, s3
	s_sub_i32 s9, s3, s38
	s_cmp_ge_u32 s3, s38
	s_cselect_b32 s2, s8, s2
	s_cselect_b32 s3, s9, s3
	s_add_i32 s8, s2, 1
	s_cmp_ge_u32 s3, s38
	s_cselect_b32 s44, s8, s2
.LBB194_7:
	s_load_b128 s[8:11], s[0:1], 0x518
	s_lshl_b64 s[2:3], s[30:31], 2
	s_mov_b32 s17, 0
	s_waitcnt lgkmcnt(0)
	s_add_u32 s2, s8, s2
	s_addc_u32 s3, s9, s3
	s_load_b64 s[46:47], s[0:1], 0x0
	s_load_b32 s31, s[2:3], 0x0
	v_cmp_ne_u32_e64 s2, 0, v0
	v_cmp_eq_u32_e64 s3, 0, v0
	s_delay_alu instid0(VALU_DEP_1)
	s_and_saveexec_b32 s22, s3
	s_cbranch_execz .LBB194_25
; %bb.8:
	s_load_b64 s[8:9], s[0:1], 0x528
	s_lshl_b64 s[18:19], s[16:17], 2
	s_mov_b32 s16, 0
	s_add_u32 s12, s10, s18
	s_addc_u32 s13, s11, s19
	s_mov_b32 s23, 0
	s_waitcnt lgkmcnt(0)
	s_add_u32 s14, s8, s18
	s_addc_u32 s15, s9, s19
	s_cmp_lt_u32 s29, 4
	s_cbranch_scc1 .LBB194_22
; %bb.9:
	s_mov_b32 s24, 0
.LBB194_10:                             ; =>This Inner Loop Header: Depth=1
	s_add_u32 s12, s10, s18
	s_addc_u32 s13, s11, s19
	s_add_u32 s20, s8, s18
	s_load_b128 s[12:15], s[12:13], 0x0
	s_addc_u32 s21, s9, s19
	s_cmp_ge_u32 s24, s48
	s_cbranch_scc0 .LBB194_17
; %bb.11:                               ;   in Loop: Header=BB194_10 Depth=1
	s_add_i32 s25, s24, 1
	s_delay_alu instid0(SALU_CYCLE_1)
	s_cmp_ge_u32 s25, s48
	s_cbranch_scc0 .LBB194_18
.LBB194_12:                             ;   in Loop: Header=BB194_10 Depth=1
	s_add_i32 s25, s25, 1
	s_delay_alu instid0(SALU_CYCLE_1)
	s_cmp_ge_u32 s25, s48
	s_cbranch_scc0 .LBB194_19
.LBB194_13:                             ;   in Loop: Header=BB194_10 Depth=1
	s_add_i32 s25, s25, 1
	s_delay_alu instid0(SALU_CYCLE_1)
	s_cmp_ge_u32 s25, s48
	s_cbranch_scc1 .LBB194_15
.LBB194_14:                             ;   in Loop: Header=BB194_10 Depth=1
	s_load_b32 s20, s[20:21], 0xc
	s_waitcnt lgkmcnt(0)
	s_add_i32 s17, s17, s15
	s_add_i32 s16, s20, s16
.LBB194_15:                             ;   in Loop: Header=BB194_10 Depth=1
	s_waitcnt lgkmcnt(0)
	s_add_i32 s12, s12, s23
	s_delay_alu instid0(SALU_CYCLE_1) | instskip(NEXT) | instid1(SALU_CYCLE_1)
	s_add_i32 s12, s12, s13
	s_add_i32 s12, s12, s14
	s_delay_alu instid0(SALU_CYCLE_1)
	s_add_i32 s23, s12, s15
	s_add_u32 s10, s10, 16
	s_addc_u32 s11, s11, 0
	s_add_u32 s8, s8, 16
	s_addc_u32 s9, s9, 0
	s_add_i32 s21, s25, 4
	s_add_u32 s14, s8, s18
	s_addc_u32 s15, s9, s19
	s_add_u32 s12, s10, s18
	s_addc_u32 s13, s11, s19
	s_add_i32 s20, s25, 1
	s_cmp_ge_u32 s21, s29
	s_cbranch_scc1 .LBB194_23
; %bb.16:                               ;   in Loop: Header=BB194_10 Depth=1
	s_mov_b32 s24, s20
	s_branch .LBB194_10
.LBB194_17:                             ;   in Loop: Header=BB194_10 Depth=1
	s_load_b32 s25, s[20:21], 0x0
	s_waitcnt lgkmcnt(0)
	s_add_i32 s17, s12, s17
	s_add_i32 s16, s25, s16
	;; [unrolled: 1-line block ×3, first 2 shown]
	s_delay_alu instid0(SALU_CYCLE_1)
	s_cmp_ge_u32 s25, s48
	s_cbranch_scc1 .LBB194_12
.LBB194_18:                             ;   in Loop: Header=BB194_10 Depth=1
	s_load_b32 s26, s[20:21], 0x4
	s_waitcnt lgkmcnt(0)
	s_add_i32 s17, s17, s13
	s_add_i32 s16, s26, s16
	;; [unrolled: 1-line block ×3, first 2 shown]
	s_delay_alu instid0(SALU_CYCLE_1)
	s_cmp_ge_u32 s25, s48
	s_cbranch_scc1 .LBB194_13
.LBB194_19:                             ;   in Loop: Header=BB194_10 Depth=1
	s_load_b32 s26, s[20:21], 0x8
	s_waitcnt lgkmcnt(0)
	s_add_i32 s17, s17, s14
	s_add_i32 s16, s26, s16
	;; [unrolled: 1-line block ×3, first 2 shown]
	s_delay_alu instid0(SALU_CYCLE_1)
	s_cmp_ge_u32 s25, s48
	s_cbranch_scc0 .LBB194_14
	s_branch .LBB194_15
.LBB194_20:
	v_cvt_f32_u32_e32 v1, s34
	s_sub_i32 s3, 0, s34
	s_delay_alu instid0(VALU_DEP_1) | instskip(SKIP_2) | instid1(VALU_DEP_1)
	v_rcp_iflag_f32_e32 v1, v1
	s_waitcnt_depctr 0xfff
	v_mul_f32_e32 v1, 0x4f7ffffe, v1
	v_cvt_u32_f32_e32 v1, v1
	s_delay_alu instid0(VALU_DEP_1) | instskip(NEXT) | instid1(VALU_DEP_1)
	v_readfirstlane_b32 s2, v1
	s_mul_i32 s3, s3, s2
	s_delay_alu instid0(SALU_CYCLE_1) | instskip(NEXT) | instid1(SALU_CYCLE_1)
	s_mul_hi_u32 s3, s2, s3
	s_add_i32 s2, s2, s3
	s_delay_alu instid0(SALU_CYCLE_1) | instskip(NEXT) | instid1(SALU_CYCLE_1)
	s_mul_hi_u32 s2, s30, s2
	s_mul_i32 s3, s2, s34
	s_add_i32 s8, s2, 1
	s_sub_i32 s3, s30, s3
	s_delay_alu instid0(SALU_CYCLE_1)
	s_sub_i32 s9, s3, s34
	s_cmp_ge_u32 s3, s34
	s_cselect_b32 s2, s8, s2
	s_cselect_b32 s3, s9, s3
	s_add_i32 s8, s2, 1
	s_cmp_ge_u32 s3, s34
	s_cselect_b32 s42, s8, s2
	v_cmp_lt_u64_e64 s2, s[30:31], s[36:37]
	s_delay_alu instid0(VALU_DEP_1)
	s_and_b32 vcc_lo, exec_lo, s2
	s_cbranch_vccnz .LBB194_5
.LBB194_21:
	v_cvt_f32_u32_e32 v1, s36
	s_sub_i32 s3, 0, s36
	s_delay_alu instid0(VALU_DEP_1) | instskip(SKIP_2) | instid1(VALU_DEP_1)
	v_rcp_iflag_f32_e32 v1, v1
	s_waitcnt_depctr 0xfff
	v_mul_f32_e32 v1, 0x4f7ffffe, v1
	v_cvt_u32_f32_e32 v1, v1
	s_delay_alu instid0(VALU_DEP_1) | instskip(NEXT) | instid1(VALU_DEP_1)
	v_readfirstlane_b32 s2, v1
	s_mul_i32 s3, s3, s2
	s_delay_alu instid0(SALU_CYCLE_1) | instskip(NEXT) | instid1(SALU_CYCLE_1)
	s_mul_hi_u32 s3, s2, s3
	s_add_i32 s2, s2, s3
	s_delay_alu instid0(SALU_CYCLE_1) | instskip(NEXT) | instid1(SALU_CYCLE_1)
	s_mul_hi_u32 s2, s30, s2
	s_mul_i32 s3, s2, s36
	s_add_i32 s8, s2, 1
	s_sub_i32 s3, s30, s3
	s_delay_alu instid0(SALU_CYCLE_1)
	s_sub_i32 s9, s3, s36
	s_cmp_ge_u32 s3, s36
	s_cselect_b32 s2, s8, s2
	s_cselect_b32 s3, s9, s3
	s_add_i32 s8, s2, 1
	s_cmp_ge_u32 s3, s36
	s_cselect_b32 s40, s8, s2
	v_cmp_lt_u64_e64 s2, s[30:31], s[38:39]
	s_mov_b64 s[44:45], 0
	s_delay_alu instid0(VALU_DEP_1)
	s_and_b32 vcc_lo, exec_lo, s2
	s_cbranch_vccz .LBB194_6
	s_branch .LBB194_7
.LBB194_22:
	s_mov_b32 s8, 0
	s_delay_alu instid0(SALU_CYCLE_1)
	s_cmp_ge_u32 s8, s29
	s_cbranch_scc0 .LBB194_46
	s_branch .LBB194_24
.LBB194_23:
	s_add_i32 s8, s24, 4
	s_delay_alu instid0(SALU_CYCLE_1)
	s_cmp_ge_u32 s8, s29
	s_cbranch_scc0 .LBB194_46
.LBB194_24:
	v_dual_mov_b32 v1, s16 :: v_dual_mov_b32 v2, s23
	v_dual_mov_b32 v3, s17 :: v_dual_mov_b32 v4, 0
	ds_store_b96 v4, v[1:3] offset:1056
.LBB194_25:
	s_or_b32 exec_lo, exec_lo, s22
	s_clause 0x4
	s_load_b128 s[8:11], s[0:1], 0x1b8
	s_load_b128 s[24:27], s[0:1], 0xd0
	s_load_b128 s[12:15], s[0:1], 0x360
	s_load_b128 s[20:23], s[0:1], 0x290
	s_load_b128 s[16:19], s[0:1], 0x438
	s_cmp_eq_u32 s28, 0
	s_waitcnt lgkmcnt(0)
	s_barrier
	buffer_gl0_inv
	s_cbranch_scc1 .LBB194_48
; %bb.26:
	s_mul_i32 s29, s40, s37
	s_mul_hi_u32 s37, s40, s36
	s_mul_i32 s36, s40, s36
	s_add_i32 s37, s37, s29
	s_sub_u32 s29, s30, s36
	s_subb_u32 s37, 0, s37
	s_mul_i32 s23, s29, s23
	s_mul_hi_u32 s36, s29, s22
	s_mul_i32 s37, s37, s22
	s_add_i32 s23, s36, s23
	s_mul_i32 s36, s40, s21
	s_mul_hi_u32 s41, s40, s20
	s_add_i32 s21, s23, s37
	s_mul_i32 s23, s42, s35
	s_mul_hi_u32 s35, s42, s34
	s_mul_i32 s34, s42, s34
	s_add_i32 s37, s41, s36
	s_add_i32 s35, s35, s23
	s_sub_u32 s23, s30, s34
	s_subb_u32 s35, 0, s35
	s_mul_i32 s27, s23, s27
	s_mul_hi_u32 s34, s23, s26
	s_mul_i32 s35, s35, s26
	s_add_i32 s27, s34, s27
	s_mul_i32 s25, s42, s25
	s_mul_hi_u32 s34, s42, s24
	s_add_i32 s27, s27, s35
	s_add_i32 s25, s34, s25
	s_mul_i32 s34, s44, s39
	s_mul_hi_u32 s35, s44, s38
	s_mul_i32 s36, s44, s38
	s_add_i32 s35, s35, s34
	s_sub_u32 s30, s30, s36
	s_mul_i32 s26, s23, s26
	s_mul_i32 s19, s30, s19
	s_mul_hi_u32 s23, s30, s18
	s_subb_u32 s34, 0, s35
	s_add_i32 s19, s23, s19
	s_mul_i32 s34, s34, s18
	s_mul_i32 s24, s42, s24
	s_add_i32 s23, s19, s34
	s_mul_i32 s17, s44, s17
	s_mul_hi_u32 s19, s44, s16
	s_lshl_b64 s[24:25], s[24:25], 2
	s_add_i32 s35, s19, s17
	s_add_u32 s17, s46, s24
	v_dual_mov_b32 v5, 0 :: v_dual_add_nc_u32 v4, -1, v0
	s_addc_u32 s19, s47, s25
	s_lshl_b64 s[24:25], s[26:27], 2
	s_mul_i32 s36, s40, s20
	s_add_u32 s17, s17, s24
	s_addc_u32 s19, s19, s25
	s_lshl_b64 s[24:25], s[36:37], 2
	s_mul_i32 s20, s29, s22
	ds_load_b96 v[1:3], v5 offset:1056
	s_add_u32 s22, s10, s24
	s_addc_u32 s24, s11, s25
	s_lshl_b64 s[10:11], s[20:21], 2
	s_mul_i32 s34, s44, s16
	s_add_u32 s16, s22, s10
	s_addc_u32 s20, s24, s11
	s_lshl_b64 s[10:11], s[34:35], 3
	s_mul_i32 s22, s30, s18
	s_add_u32 s14, s14, s10
	s_addc_u32 s15, s15, s11
	s_lshl_b64 s[10:11], s[22:23], 3
	s_load_b32 s21, s[0:1], 0x1b0
	s_add_u32 s14, s14, s10
	s_addc_u32 s15, s15, s11
	s_cmp_gt_i32 s31, -1
	v_cmp_o_f32_e64 s10, s31, s31
	s_cselect_b32 s11, 0x80000000, -1
	v_lshlrev_b32_e32 v10, 3, v0
	s_xor_b32 s11, s11, s31
	s_waitcnt lgkmcnt(0)
	v_add_nc_u32_e32 v1, v1, v2
	s_and_b32 s10, s10, exec_lo
	s_cselect_b32 s18, s11, -1
	s_load_b64 s[10:11], s[0:1], 0x508
	v_lshrrev_b32_e32 v2, 5, v0
	v_mad_u64_u32 v[6:7], null, s48, s33, v[0:1]
	v_lshrrev_b32_e32 v11, 2, v0
	v_lshrrev_b32_e32 v12, 5, v4
	v_mbcnt_lo_u32_b32 v8, -1, 0
	v_add_lshl_u32 v9, v2, v0, 2
	v_cmp_gt_u32_e64 s0, 32, v0
	v_add_lshl_u32 v0, v11, v10, 2
	v_add_lshl_u32 v10, v12, v4, 2
	v_dual_mov_b32 v4, v6 :: v_dual_and_b32 v11, 15, v8
	v_bfe_i32 v12, v8, 4, 1
	v_add_nc_u32_e32 v13, -1, v8
	s_bitcmp1_b32 s21, 0
                                        ; implicit-def: $vgpr14
	s_cselect_b32 s1, -1, 0
	s_branch .LBB194_29
.LBB194_27:                             ;   in Loop: Header=BB194_29 Depth=1
	s_or_b32 exec_lo, exec_lo, s21
	v_add_nc_u32_e32 v1, v2, v1
.LBB194_28:                             ;   in Loop: Header=BB194_29 Depth=1
	v_add_nc_u32_e32 v3, v15, v3
	v_add_nc_u32_e32 v4, 0x100, v4
	s_add_i32 s28, s28, -1
	s_delay_alu instid0(SALU_CYCLE_1)
	s_cmp_lg_u32 s28, 0
	s_cbranch_scc0 .LBB194_48
.LBB194_29:                             ; =>This Inner Loop Header: Depth=1
	v_mov_b32_e32 v2, v5
	v_mov_b32_e32 v6, v5
	s_mov_b32 s21, exec_lo
	v_cmpx_gt_u64_e64 s[4:5], v[4:5]
	s_cbranch_execz .LBB194_31
; %bb.30:                               ;   in Loop: Header=BB194_29 Depth=1
	v_mad_u64_u32 v[6:7], null, v4, s8, 0
	s_delay_alu instid0(VALU_DEP_1) | instskip(NEXT) | instid1(VALU_DEP_1)
	v_mov_b32_e32 v2, v7
	v_mad_u64_u32 v[14:15], null, v4, s9, v[2:3]
	s_delay_alu instid0(VALU_DEP_1) | instskip(NEXT) | instid1(VALU_DEP_1)
	v_mov_b32_e32 v7, v14
	v_lshlrev_b64 v[6:7], 2, v[6:7]
	s_delay_alu instid0(VALU_DEP_1) | instskip(NEXT) | instid1(VALU_DEP_2)
	v_add_co_u32 v6, vcc_lo, s17, v6
	v_add_co_ci_u32_e32 v7, vcc_lo, s19, v7, vcc_lo
	global_load_b32 v14, v[6:7], off
	s_waitcnt vmcnt(0)
	v_cmp_lt_i32_e32 vcc_lo, -1, v14
	v_cndmask_b32_e64 v2, -1, 0x80000000, vcc_lo
	v_cmp_o_f32_e32 vcc_lo, v14, v14
	s_delay_alu instid0(VALU_DEP_2) | instskip(NEXT) | instid1(VALU_DEP_1)
	v_xor_b32_e32 v2, v2, v14
	v_cndmask_b32_e32 v6, -1, v2, vcc_lo
	s_delay_alu instid0(VALU_DEP_1) | instskip(SKIP_4) | instid1(VALU_DEP_2)
	v_cmp_lt_u32_e32 vcc_lo, s18, v6
	v_cndmask_b32_e64 v2, 0, 1, vcc_lo
	v_cmp_gt_u32_e32 vcc_lo, s18, v6
	v_cndmask_b32_e64 v7, 0, 1, vcc_lo
	v_cmp_eq_u32_e32 vcc_lo, s18, v6
	v_cndmask_b32_e64 v2, v7, v2, s1
	v_cndmask_b32_e64 v6, 0, 1, vcc_lo
	s_delay_alu instid0(VALU_DEP_2)
	v_and_b32_e32 v2, 1, v2
.LBB194_31:                             ;   in Loop: Header=BB194_29 Depth=1
	s_or_b32 exec_lo, exec_lo, s21
	ds_store_b32 v9, v2
	s_waitcnt lgkmcnt(0)
	s_waitcnt_vscnt null, 0x0
	s_barrier
	buffer_gl0_inv
	s_and_saveexec_b32 s21, s0
	s_cbranch_execz .LBB194_33
; %bb.32:                               ;   in Loop: Header=BB194_29 Depth=1
	ds_load_2addr_b32 v[15:16], v0 offset1:1
	ds_load_2addr_b32 v[17:18], v0 offset0:2 offset1:3
	ds_load_2addr_b32 v[19:20], v0 offset0:4 offset1:5
	;; [unrolled: 1-line block ×3, first 2 shown]
	v_cmp_ne_u32_e32 vcc_lo, 0, v11
	; wave barrier
	s_waitcnt lgkmcnt(3)
	v_add_nc_u32_e32 v7, v16, v15
	s_waitcnt lgkmcnt(2)
	s_delay_alu instid0(VALU_DEP_1) | instskip(SKIP_1) | instid1(VALU_DEP_1)
	v_add3_u32 v7, v7, v17, v18
	s_waitcnt lgkmcnt(1)
	v_add3_u32 v7, v7, v19, v20
	s_waitcnt lgkmcnt(0)
	s_delay_alu instid0(VALU_DEP_1) | instskip(NEXT) | instid1(VALU_DEP_1)
	v_add3_u32 v7, v7, v21, v22
	v_mov_b32_dpp v16, v7 row_shr:1 row_mask:0xf bank_mask:0xf
	s_delay_alu instid0(VALU_DEP_1) | instskip(SKIP_1) | instid1(VALU_DEP_2)
	v_cndmask_b32_e32 v16, 0, v16, vcc_lo
	v_cmp_lt_u32_e32 vcc_lo, 1, v11
	v_add_nc_u32_e32 v7, v16, v7
	s_delay_alu instid0(VALU_DEP_1) | instskip(NEXT) | instid1(VALU_DEP_1)
	v_mov_b32_dpp v16, v7 row_shr:2 row_mask:0xf bank_mask:0xf
	v_cndmask_b32_e32 v16, 0, v16, vcc_lo
	v_cmp_lt_u32_e32 vcc_lo, 3, v11
	s_delay_alu instid0(VALU_DEP_2) | instskip(NEXT) | instid1(VALU_DEP_1)
	v_add_nc_u32_e32 v7, v7, v16
	v_mov_b32_dpp v16, v7 row_shr:4 row_mask:0xf bank_mask:0xf
	s_delay_alu instid0(VALU_DEP_1) | instskip(SKIP_1) | instid1(VALU_DEP_2)
	v_cndmask_b32_e32 v16, 0, v16, vcc_lo
	v_cmp_lt_u32_e32 vcc_lo, 7, v11
	v_add_nc_u32_e32 v7, v7, v16
	s_delay_alu instid0(VALU_DEP_1) | instskip(NEXT) | instid1(VALU_DEP_1)
	v_mov_b32_dpp v16, v7 row_shr:8 row_mask:0xf bank_mask:0xf
	v_cndmask_b32_e32 v16, 0, v16, vcc_lo
	v_cmp_gt_i32_e32 vcc_lo, 0, v13
	s_delay_alu instid0(VALU_DEP_2)
	v_add_nc_u32_e32 v7, v7, v16
	v_cndmask_b32_e32 v17, v13, v8, vcc_lo
	ds_swizzle_b32 v16, v7 offset:swizzle(BROADCAST,32,15)
	v_lshlrev_b32_e32 v17, 2, v17
	s_waitcnt lgkmcnt(0)
	v_and_b32_e32 v16, v12, v16
	s_delay_alu instid0(VALU_DEP_1) | instskip(SKIP_3) | instid1(VALU_DEP_1)
	v_add_nc_u32_e32 v7, v7, v16
	ds_bpermute_b32 v7, v17, v7
	s_waitcnt lgkmcnt(0)
	v_add_nc_u32_e32 v7, v7, v15
	v_cndmask_b32_e64 v7, v7, v2, s3
	ds_store_b32 v0, v7
	; wave barrier
	ds_load_2addr_b32 v[15:16], v0 offset0:1 offset1:2
	ds_load_2addr_b32 v[17:18], v0 offset0:3 offset1:4
	ds_load_2addr_b32 v[19:20], v0 offset0:5 offset1:6
	ds_load_b32 v21, v0 offset:28
	s_waitcnt lgkmcnt(3)
	v_add_nc_u32_e32 v7, v15, v7
	s_delay_alu instid0(VALU_DEP_1) | instskip(SKIP_1) | instid1(VALU_DEP_1)
	v_add_nc_u32_e32 v15, v16, v7
	s_waitcnt lgkmcnt(2)
	v_add_nc_u32_e32 v16, v17, v15
	s_delay_alu instid0(VALU_DEP_1) | instskip(SKIP_1) | instid1(VALU_DEP_1)
	v_add_nc_u32_e32 v17, v18, v16
	;; [unrolled: 4-line block ×3, first 2 shown]
	s_waitcnt lgkmcnt(0)
	v_add_nc_u32_e32 v20, v21, v19
	ds_store_2addr_b32 v0, v7, v15 offset0:1 offset1:2
	ds_store_2addr_b32 v0, v16, v17 offset0:3 offset1:4
	ds_store_2addr_b32 v0, v18, v19 offset0:5 offset1:6
	ds_store_b32 v0, v20 offset:28
.LBB194_33:                             ;   in Loop: Header=BB194_29 Depth=1
	s_or_b32 exec_lo, exec_lo, s21
	v_mov_b32_e32 v7, 0
	s_waitcnt lgkmcnt(0)
	s_barrier
	buffer_gl0_inv
	s_and_saveexec_b32 s21, s2
	s_cbranch_execz .LBB194_35
; %bb.34:                               ;   in Loop: Header=BB194_29 Depth=1
	ds_load_b32 v7, v10
.LBB194_35:                             ;   in Loop: Header=BB194_29 Depth=1
	s_or_b32 exec_lo, exec_lo, s21
	ds_load_b32 v15, v5 offset:1048
	s_mov_b32 s21, exec_lo
	s_waitcnt lgkmcnt(0)
	s_barrier
	buffer_gl0_inv
	v_cmpx_ne_u32_e32 0, v2
	s_cbranch_execz .LBB194_37
; %bb.36:                               ;   in Loop: Header=BB194_29 Depth=1
	v_add_nc_u32_e32 v22, v7, v3
	s_delay_alu instid0(VALU_DEP_1) | instskip(SKIP_1) | instid1(VALU_DEP_1)
	v_mad_u64_u32 v[16:17], null, v22, s12, 0
	v_mad_u64_u32 v[18:19], null, v22, s10, 0
	v_dual_mov_b32 v2, v17 :: v_dual_mov_b32 v7, v19
	s_delay_alu instid0(VALU_DEP_1) | instskip(NEXT) | instid1(VALU_DEP_2)
	v_mad_u64_u32 v[19:20], null, v22, s13, v[2:3]
	v_mad_u64_u32 v[20:21], null, v22, s11, v[7:8]
	s_delay_alu instid0(VALU_DEP_2) | instskip(NEXT) | instid1(VALU_DEP_2)
	v_mov_b32_e32 v17, v19
	v_mov_b32_e32 v19, v20
	s_delay_alu instid0(VALU_DEP_2) | instskip(NEXT) | instid1(VALU_DEP_2)
	v_lshlrev_b64 v[16:17], 2, v[16:17]
	v_lshlrev_b64 v[18:19], 3, v[18:19]
	s_delay_alu instid0(VALU_DEP_2) | instskip(NEXT) | instid1(VALU_DEP_3)
	v_add_co_u32 v16, vcc_lo, s16, v16
	v_add_co_ci_u32_e32 v17, vcc_lo, s20, v17, vcc_lo
	s_delay_alu instid0(VALU_DEP_3) | instskip(NEXT) | instid1(VALU_DEP_4)
	v_add_co_u32 v18, vcc_lo, s14, v18
	v_add_co_ci_u32_e32 v19, vcc_lo, s15, v19, vcc_lo
	global_store_b32 v[16:17], v14, off
	global_store_b64 v[18:19], v[4:5], off
.LBB194_37:                             ;   in Loop: Header=BB194_29 Depth=1
	s_or_b32 exec_lo, exec_lo, s21
	v_mov_b32_e32 v2, v5
	s_delay_alu instid0(VALU_DEP_1)
	v_cmp_le_u64_e32 vcc_lo, s[6:7], v[1:2]
	s_cbranch_vccnz .LBB194_28
; %bb.38:                               ;   in Loop: Header=BB194_29 Depth=1
	ds_store_b32 v9, v6
	s_waitcnt lgkmcnt(0)
	s_waitcnt_vscnt null, 0x0
	s_barrier
	buffer_gl0_inv
	s_and_saveexec_b32 s21, s0
	s_cbranch_execz .LBB194_40
; %bb.39:                               ;   in Loop: Header=BB194_29 Depth=1
	ds_load_2addr_b32 v[16:17], v0 offset1:1
	ds_load_2addr_b32 v[18:19], v0 offset0:2 offset1:3
	ds_load_2addr_b32 v[20:21], v0 offset0:4 offset1:5
	ds_load_2addr_b32 v[22:23], v0 offset0:6 offset1:7
	v_cmp_ne_u32_e32 vcc_lo, 0, v11
	; wave barrier
	s_waitcnt lgkmcnt(3)
	v_add_nc_u32_e32 v2, v17, v16
	s_waitcnt lgkmcnt(2)
	s_delay_alu instid0(VALU_DEP_1) | instskip(SKIP_1) | instid1(VALU_DEP_1)
	v_add3_u32 v2, v2, v18, v19
	s_waitcnt lgkmcnt(1)
	v_add3_u32 v2, v2, v20, v21
	s_waitcnt lgkmcnt(0)
	s_delay_alu instid0(VALU_DEP_1) | instskip(NEXT) | instid1(VALU_DEP_1)
	v_add3_u32 v2, v2, v22, v23
	v_mov_b32_dpp v7, v2 row_shr:1 row_mask:0xf bank_mask:0xf
	s_delay_alu instid0(VALU_DEP_1) | instskip(SKIP_1) | instid1(VALU_DEP_2)
	v_cndmask_b32_e32 v7, 0, v7, vcc_lo
	v_cmp_lt_u32_e32 vcc_lo, 1, v11
	v_add_nc_u32_e32 v2, v7, v2
	s_delay_alu instid0(VALU_DEP_1) | instskip(NEXT) | instid1(VALU_DEP_1)
	v_mov_b32_dpp v7, v2 row_shr:2 row_mask:0xf bank_mask:0xf
	v_cndmask_b32_e32 v7, 0, v7, vcc_lo
	v_cmp_lt_u32_e32 vcc_lo, 3, v11
	s_delay_alu instid0(VALU_DEP_2) | instskip(NEXT) | instid1(VALU_DEP_1)
	v_add_nc_u32_e32 v2, v2, v7
	v_mov_b32_dpp v7, v2 row_shr:4 row_mask:0xf bank_mask:0xf
	s_delay_alu instid0(VALU_DEP_1) | instskip(SKIP_1) | instid1(VALU_DEP_2)
	v_cndmask_b32_e32 v7, 0, v7, vcc_lo
	v_cmp_lt_u32_e32 vcc_lo, 7, v11
	v_add_nc_u32_e32 v2, v2, v7
	s_delay_alu instid0(VALU_DEP_1) | instskip(NEXT) | instid1(VALU_DEP_1)
	v_mov_b32_dpp v7, v2 row_shr:8 row_mask:0xf bank_mask:0xf
	v_cndmask_b32_e32 v7, 0, v7, vcc_lo
	v_cmp_gt_i32_e32 vcc_lo, 0, v13
	s_delay_alu instid0(VALU_DEP_2) | instskip(SKIP_4) | instid1(VALU_DEP_1)
	v_dual_cndmask_b32 v17, v13, v8 :: v_dual_add_nc_u32 v2, v2, v7
	ds_swizzle_b32 v7, v2 offset:swizzle(BROADCAST,32,15)
	v_lshlrev_b32_e32 v17, 2, v17
	s_waitcnt lgkmcnt(0)
	v_and_b32_e32 v7, v12, v7
	v_add_nc_u32_e32 v2, v2, v7
	ds_bpermute_b32 v2, v17, v2
	s_waitcnt lgkmcnt(0)
	v_add_nc_u32_e32 v2, v2, v16
	s_delay_alu instid0(VALU_DEP_1)
	v_cndmask_b32_e64 v2, v2, v6, s3
	ds_store_b32 v0, v2
	; wave barrier
	ds_load_2addr_b32 v[16:17], v0 offset0:1 offset1:2
	ds_load_2addr_b32 v[18:19], v0 offset0:3 offset1:4
	;; [unrolled: 1-line block ×3, first 2 shown]
	ds_load_b32 v7, v0 offset:28
	s_waitcnt lgkmcnt(3)
	v_add_nc_u32_e32 v2, v16, v2
	s_delay_alu instid0(VALU_DEP_1) | instskip(SKIP_1) | instid1(VALU_DEP_1)
	v_add_nc_u32_e32 v16, v17, v2
	s_waitcnt lgkmcnt(2)
	v_add_nc_u32_e32 v17, v18, v16
	s_delay_alu instid0(VALU_DEP_1) | instskip(SKIP_1) | instid1(VALU_DEP_1)
	v_add_nc_u32_e32 v18, v19, v17
	s_waitcnt lgkmcnt(1)
	v_add_nc_u32_e32 v19, v20, v18
	s_delay_alu instid0(VALU_DEP_1) | instskip(SKIP_1) | instid1(VALU_DEP_1)
	v_add_nc_u32_e32 v20, v21, v19
	s_waitcnt lgkmcnt(0)
	v_add_nc_u32_e32 v7, v7, v20
	ds_store_2addr_b32 v0, v2, v16 offset0:1 offset1:2
	ds_store_2addr_b32 v0, v17, v18 offset0:3 offset1:4
	ds_store_2addr_b32 v0, v19, v20 offset0:5 offset1:6
	ds_store_b32 v0, v7 offset:28
.LBB194_40:                             ;   in Loop: Header=BB194_29 Depth=1
	s_or_b32 exec_lo, exec_lo, s21
	v_mov_b32_e32 v7, 0
	s_waitcnt lgkmcnt(0)
	s_barrier
	buffer_gl0_inv
	s_and_saveexec_b32 s21, s2
	s_cbranch_execz .LBB194_42
; %bb.41:                               ;   in Loop: Header=BB194_29 Depth=1
	ds_load_b32 v7, v10
.LBB194_42:                             ;   in Loop: Header=BB194_29 Depth=1
	s_or_b32 exec_lo, exec_lo, s21
	ds_load_b32 v2, v5 offset:1048
	s_mov_b32 s21, exec_lo
	s_waitcnt lgkmcnt(0)
	s_barrier
	buffer_gl0_inv
	v_cmpx_ne_u32_e32 0, v6
	s_cbranch_execz .LBB194_27
; %bb.43:                               ;   in Loop: Header=BB194_29 Depth=1
	v_dual_mov_b32 v7, v5 :: v_dual_add_nc_u32 v6, v7, v1
	s_delay_alu instid0(VALU_DEP_1)
	v_cmp_gt_u64_e32 vcc_lo, s[6:7], v[6:7]
	s_and_b32 exec_lo, exec_lo, vcc_lo
	s_cbranch_execz .LBB194_27
; %bb.44:                               ;   in Loop: Header=BB194_29 Depth=1
	v_mad_u64_u32 v[16:17], null, v6, s12, 0
	v_mad_u64_u32 v[18:19], null, v6, s10, 0
	s_delay_alu instid0(VALU_DEP_2) | instskip(NEXT) | instid1(VALU_DEP_2)
	v_mov_b32_e32 v7, v17
	v_mov_b32_e32 v17, v19
	s_delay_alu instid0(VALU_DEP_2) | instskip(NEXT) | instid1(VALU_DEP_2)
	v_mad_u64_u32 v[19:20], null, v6, s13, v[7:8]
	v_mad_u64_u32 v[20:21], null, v6, s11, v[17:18]
	s_delay_alu instid0(VALU_DEP_2) | instskip(NEXT) | instid1(VALU_DEP_2)
	v_mov_b32_e32 v17, v19
	v_mov_b32_e32 v19, v20
	s_delay_alu instid0(VALU_DEP_2) | instskip(NEXT) | instid1(VALU_DEP_2)
	v_lshlrev_b64 v[6:7], 2, v[16:17]
	v_lshlrev_b64 v[16:17], 3, v[18:19]
	s_delay_alu instid0(VALU_DEP_2) | instskip(NEXT) | instid1(VALU_DEP_3)
	v_add_co_u32 v6, vcc_lo, s16, v6
	v_add_co_ci_u32_e32 v7, vcc_lo, s20, v7, vcc_lo
	s_delay_alu instid0(VALU_DEP_3) | instskip(NEXT) | instid1(VALU_DEP_4)
	v_add_co_u32 v16, vcc_lo, s14, v16
	v_add_co_ci_u32_e32 v17, vcc_lo, s15, v17, vcc_lo
	global_store_b32 v[6:7], v14, off
	global_store_b64 v[16:17], v[4:5], off
	s_branch .LBB194_27
	.p2align	6
.LBB194_45:                             ;   in Loop: Header=BB194_46 Depth=1
	s_add_u32 s12, s12, 4
	s_addc_u32 s13, s13, 0
	s_waitcnt lgkmcnt(0)
	s_add_i32 s23, s9, s23
	s_add_u32 s14, s14, 4
	s_addc_u32 s15, s15, 0
	s_add_i32 s8, s8, 1
	s_delay_alu instid0(SALU_CYCLE_1)
	s_cmp_lt_u32 s8, s29
	s_cbranch_scc0 .LBB194_24
.LBB194_46:                             ; =>This Inner Loop Header: Depth=1
	s_load_b32 s9, s[12:13], 0x0
	s_cmp_ge_u32 s8, s48
	s_cbranch_scc1 .LBB194_45
; %bb.47:                               ;   in Loop: Header=BB194_46 Depth=1
	s_load_b32 s10, s[14:15], 0x0
	s_waitcnt lgkmcnt(0)
	s_add_i32 s17, s9, s17
	s_add_i32 s16, s10, s16
	s_branch .LBB194_45
.LBB194_48:
	s_nop 0
	s_sendmsg sendmsg(MSG_DEALLOC_VGPRS)
	s_endpgm
	.section	.rodata,"a",@progbits
	.p2align	6, 0x0
	.amdhsa_kernel _ZN2at6native6mbtopk10gatherTopKIfmLi2EEEvNS_4cuda6detail10TensorInfoIKT_T0_EES8_S8_bjS8_NS5_IS6_S8_EES8_NS5_IlS8_EES8_jjPS6_PjSD_j
		.amdhsa_group_segment_fixed_size 1068
		.amdhsa_private_segment_fixed_size 0
		.amdhsa_kernarg_size 1592
		.amdhsa_user_sgpr_count 13
		.amdhsa_user_sgpr_dispatch_ptr 0
		.amdhsa_user_sgpr_queue_ptr 0
		.amdhsa_user_sgpr_kernarg_segment_ptr 1
		.amdhsa_user_sgpr_dispatch_id 0
		.amdhsa_user_sgpr_private_segment_size 0
		.amdhsa_wavefront_size32 1
		.amdhsa_uses_dynamic_stack 0
		.amdhsa_enable_private_segment 0
		.amdhsa_system_sgpr_workgroup_id_x 1
		.amdhsa_system_sgpr_workgroup_id_y 1
		.amdhsa_system_sgpr_workgroup_id_z 1
		.amdhsa_system_sgpr_workgroup_info 0
		.amdhsa_system_vgpr_workitem_id 0
		.amdhsa_next_free_vgpr 24
		.amdhsa_next_free_sgpr 49
		.amdhsa_reserve_vcc 1
		.amdhsa_float_round_mode_32 0
		.amdhsa_float_round_mode_16_64 0
		.amdhsa_float_denorm_mode_32 3
		.amdhsa_float_denorm_mode_16_64 3
		.amdhsa_dx10_clamp 1
		.amdhsa_ieee_mode 1
		.amdhsa_fp16_overflow 0
		.amdhsa_workgroup_processor_mode 1
		.amdhsa_memory_ordered 1
		.amdhsa_forward_progress 0
		.amdhsa_shared_vgpr_count 0
		.amdhsa_exception_fp_ieee_invalid_op 0
		.amdhsa_exception_fp_denorm_src 0
		.amdhsa_exception_fp_ieee_div_zero 0
		.amdhsa_exception_fp_ieee_overflow 0
		.amdhsa_exception_fp_ieee_underflow 0
		.amdhsa_exception_fp_ieee_inexact 0
		.amdhsa_exception_int_div_zero 0
	.end_amdhsa_kernel
	.section	.text._ZN2at6native6mbtopk10gatherTopKIfmLi2EEEvNS_4cuda6detail10TensorInfoIKT_T0_EES8_S8_bjS8_NS5_IS6_S8_EES8_NS5_IlS8_EES8_jjPS6_PjSD_j,"axG",@progbits,_ZN2at6native6mbtopk10gatherTopKIfmLi2EEEvNS_4cuda6detail10TensorInfoIKT_T0_EES8_S8_bjS8_NS5_IS6_S8_EES8_NS5_IlS8_EES8_jjPS6_PjSD_j,comdat
.Lfunc_end194:
	.size	_ZN2at6native6mbtopk10gatherTopKIfmLi2EEEvNS_4cuda6detail10TensorInfoIKT_T0_EES8_S8_bjS8_NS5_IS6_S8_EES8_NS5_IlS8_EES8_jjPS6_PjSD_j, .Lfunc_end194-_ZN2at6native6mbtopk10gatherTopKIfmLi2EEEvNS_4cuda6detail10TensorInfoIKT_T0_EES8_S8_bjS8_NS5_IS6_S8_EES8_NS5_IlS8_EES8_jjPS6_PjSD_j
                                        ; -- End function
	.section	.AMDGPU.csdata,"",@progbits
; Kernel info:
; codeLenInByte = 3352
; NumSgprs: 51
; NumVgprs: 24
; ScratchSize: 0
; MemoryBound: 0
; FloatMode: 240
; IeeeMode: 1
; LDSByteSize: 1068 bytes/workgroup (compile time only)
; SGPRBlocks: 6
; VGPRBlocks: 2
; NumSGPRsForWavesPerEU: 51
; NumVGPRsForWavesPerEU: 24
; Occupancy: 16
; WaveLimiterHint : 1
; COMPUTE_PGM_RSRC2:SCRATCH_EN: 0
; COMPUTE_PGM_RSRC2:USER_SGPR: 13
; COMPUTE_PGM_RSRC2:TRAP_HANDLER: 0
; COMPUTE_PGM_RSRC2:TGID_X_EN: 1
; COMPUTE_PGM_RSRC2:TGID_Y_EN: 1
; COMPUTE_PGM_RSRC2:TGID_Z_EN: 1
; COMPUTE_PGM_RSRC2:TIDIG_COMP_CNT: 0
	.section	.text._ZN2at6native6sbtopk10gatherTopKIfmLi2ELb0EEEvNS_4cuda6detail10TensorInfoIKT_T0_EES8_S8_bS8_S8_NS5_IS6_S8_EES8_NS5_IlS8_EES8_PS6_,"axG",@progbits,_ZN2at6native6sbtopk10gatherTopKIfmLi2ELb0EEEvNS_4cuda6detail10TensorInfoIKT_T0_EES8_S8_bS8_S8_NS5_IS6_S8_EES8_NS5_IlS8_EES8_PS6_,comdat
	.protected	_ZN2at6native6sbtopk10gatherTopKIfmLi2ELb0EEEvNS_4cuda6detail10TensorInfoIKT_T0_EES8_S8_bS8_S8_NS5_IS6_S8_EES8_NS5_IlS8_EES8_PS6_ ; -- Begin function _ZN2at6native6sbtopk10gatherTopKIfmLi2ELb0EEEvNS_4cuda6detail10TensorInfoIKT_T0_EES8_S8_bS8_S8_NS5_IS6_S8_EES8_NS5_IlS8_EES8_PS6_
	.globl	_ZN2at6native6sbtopk10gatherTopKIfmLi2ELb0EEEvNS_4cuda6detail10TensorInfoIKT_T0_EES8_S8_bS8_S8_NS5_IS6_S8_EES8_NS5_IlS8_EES8_PS6_
	.p2align	8
	.type	_ZN2at6native6sbtopk10gatherTopKIfmLi2ELb0EEEvNS_4cuda6detail10TensorInfoIKT_T0_EES8_S8_bS8_S8_NS5_IS6_S8_EES8_NS5_IlS8_EES8_PS6_,@function
_ZN2at6native6sbtopk10gatherTopKIfmLi2ELb0EEEvNS_4cuda6detail10TensorInfoIKT_T0_EES8_S8_bS8_S8_NS5_IS6_S8_EES8_NS5_IlS8_EES8_PS6_: ; @_ZN2at6native6sbtopk10gatherTopKIfmLi2ELb0EEEvNS_4cuda6detail10TensorInfoIKT_T0_EES8_S8_bS8_S8_NS5_IS6_S8_EES8_NS5_IlS8_EES8_PS6_
; %bb.0:
	s_clause 0x1
	s_load_b64 s[18:19], s[0:1], 0x520
	s_load_b128 s[28:31], s[0:1], 0x1b8
	s_add_u32 s16, s0, 0x520
	s_addc_u32 s17, s1, 0
	s_mov_b32 s35, 0
	s_waitcnt lgkmcnt(0)
	s_mul_i32 s2, s19, s15
	s_delay_alu instid0(SALU_CYCLE_1) | instskip(NEXT) | instid1(SALU_CYCLE_1)
	s_add_i32 s2, s2, s14
	s_mul_i32 s2, s2, s18
	s_delay_alu instid0(SALU_CYCLE_1) | instskip(NEXT) | instid1(SALU_CYCLE_1)
	s_add_i32 s34, s2, s13
	v_cmp_ge_u64_e64 s2, s[34:35], s[28:29]
	s_delay_alu instid0(VALU_DEP_1)
	s_and_b32 vcc_lo, exec_lo, s2
	s_cbranch_vccnz .LBB195_546
; %bb.1:
	s_clause 0x2
	s_load_b64 s[6:7], s[0:1], 0x10
	s_load_b64 s[28:29], s[0:1], 0x380
	;; [unrolled: 1-line block ×3, first 2 shown]
	s_mov_b64 s[48:49], 0
	s_waitcnt lgkmcnt(0)
	v_cmp_lt_u64_e64 s2, s[34:35], s[6:7]
	s_delay_alu instid0(VALU_DEP_1)
	s_and_b32 vcc_lo, exec_lo, s2
	s_mov_b64 s[2:3], 0
	s_cbranch_vccnz .LBB195_3
; %bb.2:
	v_cvt_f32_u32_e32 v1, s6
	s_sub_i32 s3, 0, s6
	s_delay_alu instid0(VALU_DEP_1) | instskip(SKIP_2) | instid1(VALU_DEP_1)
	v_rcp_iflag_f32_e32 v1, v1
	s_waitcnt_depctr 0xfff
	v_mul_f32_e32 v1, 0x4f7ffffe, v1
	v_cvt_u32_f32_e32 v1, v1
	s_delay_alu instid0(VALU_DEP_1) | instskip(NEXT) | instid1(VALU_DEP_1)
	v_readfirstlane_b32 s2, v1
	s_mul_i32 s3, s3, s2
	s_delay_alu instid0(SALU_CYCLE_1) | instskip(NEXT) | instid1(SALU_CYCLE_1)
	s_mul_hi_u32 s3, s2, s3
	s_add_i32 s2, s2, s3
	s_delay_alu instid0(SALU_CYCLE_1) | instskip(NEXT) | instid1(SALU_CYCLE_1)
	s_mul_hi_u32 s2, s34, s2
	s_mul_i32 s3, s2, s6
	s_add_i32 s4, s2, 1
	s_sub_i32 s3, s34, s3
	s_delay_alu instid0(SALU_CYCLE_1)
	s_sub_i32 s5, s3, s6
	s_cmp_ge_u32 s3, s6
	s_cselect_b32 s2, s4, s2
	s_cselect_b32 s3, s5, s3
	s_add_i32 s4, s2, 1
	s_cmp_ge_u32 s3, s6
	s_cselect_b32 s2, s4, s2
.LBB195_3:
	v_cmp_lt_u64_e64 s3, s[34:35], s[50:51]
	s_delay_alu instid0(VALU_DEP_1)
	s_and_b32 vcc_lo, exec_lo, s3
	s_cbranch_vccnz .LBB195_5
; %bb.4:
	v_cvt_f32_u32_e32 v1, s50
	s_sub_i32 s4, 0, s50
	s_delay_alu instid0(VALU_DEP_1) | instskip(SKIP_2) | instid1(VALU_DEP_1)
	v_rcp_iflag_f32_e32 v1, v1
	s_waitcnt_depctr 0xfff
	v_mul_f32_e32 v1, 0x4f7ffffe, v1
	v_cvt_u32_f32_e32 v1, v1
	s_delay_alu instid0(VALU_DEP_1) | instskip(NEXT) | instid1(VALU_DEP_1)
	v_readfirstlane_b32 s3, v1
	s_mul_i32 s4, s4, s3
	s_delay_alu instid0(SALU_CYCLE_1) | instskip(NEXT) | instid1(SALU_CYCLE_1)
	s_mul_hi_u32 s4, s3, s4
	s_add_i32 s3, s3, s4
	s_delay_alu instid0(SALU_CYCLE_1) | instskip(NEXT) | instid1(SALU_CYCLE_1)
	s_mul_hi_u32 s3, s34, s3
	s_mul_i32 s4, s3, s50
	s_add_i32 s5, s3, 1
	s_sub_i32 s4, s34, s4
	s_delay_alu instid0(SALU_CYCLE_1)
	s_sub_i32 s8, s4, s50
	s_cmp_ge_u32 s4, s50
	s_cselect_b32 s3, s5, s3
	s_cselect_b32 s4, s8, s4
	s_add_i32 s5, s3, 1
	s_cmp_ge_u32 s4, s50
	s_cselect_b32 s48, s5, s3
.LBB195_5:
	s_load_b64 s[14:15], s[0:1], 0x0
	v_cmp_lt_u64_e64 s3, s[34:35], s[28:29]
	s_mov_b64 s[52:53], 0
	s_delay_alu instid0(VALU_DEP_1)
	s_and_b32 vcc_lo, exec_lo, s3
	s_cbranch_vccnz .LBB195_7
; %bb.6:
	v_cvt_f32_u32_e32 v1, s28
	s_sub_i32 s4, 0, s28
	s_delay_alu instid0(VALU_DEP_1) | instskip(SKIP_2) | instid1(VALU_DEP_1)
	v_rcp_iflag_f32_e32 v1, v1
	s_waitcnt_depctr 0xfff
	v_mul_f32_e32 v1, 0x4f7ffffe, v1
	v_cvt_u32_f32_e32 v1, v1
	s_delay_alu instid0(VALU_DEP_1) | instskip(NEXT) | instid1(VALU_DEP_1)
	v_readfirstlane_b32 s3, v1
	s_mul_i32 s4, s4, s3
	s_delay_alu instid0(SALU_CYCLE_1) | instskip(NEXT) | instid1(SALU_CYCLE_1)
	s_mul_hi_u32 s4, s3, s4
	s_add_i32 s3, s3, s4
	s_delay_alu instid0(SALU_CYCLE_1) | instskip(NEXT) | instid1(SALU_CYCLE_1)
	s_mul_hi_u32 s3, s34, s3
	s_mul_i32 s4, s3, s28
	s_add_i32 s5, s3, 1
	s_sub_i32 s4, s34, s4
	s_delay_alu instid0(SALU_CYCLE_1)
	s_sub_i32 s8, s4, s28
	s_cmp_ge_u32 s4, s28
	s_cselect_b32 s3, s5, s3
	s_cselect_b32 s4, s8, s4
	s_add_i32 s5, s3, 1
	s_cmp_ge_u32 s4, s28
	s_cselect_b32 s52, s5, s3
.LBB195_7:
	s_clause 0x3
	s_load_b64 s[102:103], s[0:1], 0x370
	s_load_b64 s[56:57], s[0:1], 0x1c8
	s_load_b128 s[8:11], s[0:1], 0xd0
	s_load_b128 s[36:39], s[0:1], 0x1a0
	v_cmp_eq_u32_e64 s5, 0, v0
	s_mov_b32 s59, 0
	s_delay_alu instid0(VALU_DEP_1)
	s_and_saveexec_b32 s3, s5
	s_cbranch_execz .LBB195_9
; %bb.8:
	s_waitcnt lgkmcnt(0)
	v_dual_mov_b32 v1, 0 :: v_dual_mov_b32 v4, s37
	s_delay_alu instid0(VALU_DEP_1)
	v_dual_mov_b32 v3, s36 :: v_dual_mov_b32 v2, v1
	ds_store_b32 v1, v1 offset:5144
	ds_store_b128 v1, v[1:4] offset:5120
.LBB195_9:
	s_or_b32 exec_lo, exec_lo, s3
	s_mul_i32 s3, s2, s7
	s_mul_hi_u32 s4, s2, s6
	s_mul_i32 s6, s2, s6
	s_add_i32 s4, s4, s3
	s_sub_u32 s6, s34, s6
	s_subb_u32 s4, 0, s4
	s_waitcnt lgkmcnt(0)
	s_mul_i32 s3, s6, s11
	s_mul_hi_u32 s7, s6, s10
	s_mul_i32 s4, s4, s10
	s_add_i32 s7, s7, s3
	s_mul_i32 s3, s2, s9
	s_mul_hi_u32 s9, s2, s8
	s_mul_i32 s2, s2, s8
	s_add_i32 s3, s9, s3
	s_clause 0x1
	s_load_b32 s11, s[0:1], 0x1b0
	s_load_b128 s[44:47], s[0:1], 0x298
	s_lshl_b64 s[2:3], s[2:3], 2
	s_add_i32 s7, s7, s4
	s_mul_i32 s6, s6, s10
	s_add_u32 s4, s14, s2
	v_mad_u64_u32 v[2:3], null, v0, s30, 0
	s_addc_u32 s8, s15, s3
	s_lshl_b64 s[2:3], s[6:7], 2
	s_waitcnt lgkmcnt(0)
	s_barrier
	buffer_gl0_inv
	s_load_b32 s7, s[16:17], 0xc
	v_dual_mov_b32 v1, v3 :: v_dual_lshlrev_b32 v14, 2, v0
	v_mbcnt_lo_u32_b32 v26, -1, 0
	s_add_u32 s33, s4, s2
	s_addc_u32 s35, s8, s3
	s_delay_alu instid0(VALU_DEP_2)
	v_mad_u64_u32 v[3:4], null, v0, s31, v[1:2]
	v_cmp_gt_u32_e32 vcc_lo, 32, v0
	v_cmp_gt_i32_e64 s4, 4, v26
	s_bitcmp1_b32 s11, 0
	s_load_b128 s[40:43], s[0:1], 0x440
	s_cselect_b32 s3, -1, 0
	v_dual_mov_b32 v13, 0 :: v_dual_add_nc_u32 v28, 0xc00, v14
	s_xor_b32 s53, s3, -1
	v_lshlrev_b64 v[2:3], 2, v[2:3]
	s_and_b32 s72, vcc_lo, s4
	s_delay_alu instid0(VALU_DEP_2)
	v_mov_b32_e32 v1, v13
	v_lshrrev_b32_e32 v4, 3, v0
	s_waitcnt lgkmcnt(0)
	s_and_b32 s49, s7, 0xffff
	s_bfe_u32 s8, s7, 0xb0005
	s_add_u32 s74, s49, -1
	s_addc_u32 s75, 0, -1
	s_add_u32 s76, s74, s36
	s_addc_u32 s27, s75, s37
	s_cmp_lt_u32 s13, s18
	v_add_co_u32 v10, vcc_lo, s33, v2
	s_cselect_b32 s9, 12, 18
	v_add_co_ci_u32_e32 v11, vcc_lo, s35, v3, vcc_lo
	v_lshlrev_b64 v[2:3], v26, -1
	s_add_u32 s60, s16, s9
	s_addc_u32 s61, s17, 0
	s_add_i32 s9, s8, -1
	s_bfe_u32 s77, s49, 0x30005
	s_cmp_gt_u32 s9, 6
	v_dual_mov_b32 v19, s38 :: v_dual_mov_b32 v20, s39
	v_cmp_lt_u64_e64 s73, 0x300, s[36:37]
	v_cmp_gt_u64_e64 s4, s[36:37], v[0:1]
	v_cmp_eq_u32_e64 s2, 0, v26
	v_dual_mov_b32 v15, v13 :: v_dual_mov_b32 v16, 1.0
	v_dual_mov_b32 v18, 0 :: v_dual_and_b32 v27, 0x7c, v4
	v_cmp_gt_u32_e64 s6, 2, v0
	v_not_b32_e32 v25, v2
	s_cselect_b32 s78, -1, 0
	s_and_b32 s79, s8, 0x7f8
	v_cmp_gt_u16_e64 s80, s7, 31
	v_dual_mov_b32 v32, 0 :: v_dual_lshlrev_b32 v29, 4, v0
	v_lshl_or_b32 v30, v26, 3, 0xc00
	v_mov_b32_e32 v31, 0
	s_cmp_lg_u32 s77, 0
	s_mov_b32 s89, 30
	s_cselect_b32 s81, -1, 0
	s_lshl_b32 s82, s49, 2
	s_mov_b32 s83, 0
	s_mov_b32 s85, 0
                                        ; implicit-def: $sgpr84
                                        ; implicit-def: $sgpr88
                                        ; implicit-def: $sgpr87
                                        ; implicit-def: $sgpr90
                                        ; implicit-def: $sgpr86
                                        ; implicit-def: $sgpr91
                                        ; implicit-def: $sgpr93
                                        ; implicit-def: $sgpr92
                                        ; implicit-def: $sgpr94
                                        ; implicit-def: $sgpr95
	s_branch .LBB195_12
.LBB195_10:                             ;   in Loop: Header=BB195_12 Depth=1
	s_or_b32 exec_lo, exec_lo, s10
	v_dual_mov_b32 v31, v22 :: v_dual_mov_b32 v32, v21
	v_dual_mov_b32 v20, v3 :: v_dual_mov_b32 v19, v2
	v_mov_b32_e32 v18, v5
	s_and_not1_b32 s10, s95, exec_lo
	s_and_b32 s9, s9, exec_lo
	s_and_not1_b32 s94, s94, exec_lo
	s_or_b32 s95, s10, s9
	s_and_not1_b32 s92, s92, exec_lo
	s_and_not1_b32 s93, s93, exec_lo
	;; [unrolled: 1-line block ×3, first 2 shown]
	s_or_not1_b32 s8, s8, exec_lo
.LBB195_11:                             ;   in Loop: Header=BB195_12 Depth=1
	s_or_b32 exec_lo, exec_lo, s7
	s_delay_alu instid0(SALU_CYCLE_1) | instskip(NEXT) | instid1(SALU_CYCLE_1)
	s_and_b32 s7, exec_lo, s8
	s_or_b32 s83, s7, s83
	s_and_not1_b32 s7, s86, exec_lo
	s_and_b32 s8, s95, exec_lo
	s_and_not1_b32 s9, s90, exec_lo
	s_or_b32 s86, s7, s8
	s_and_b32 s7, s94, exec_lo
	s_and_not1_b32 s8, s87, exec_lo
	s_and_b32 s10, s92, exec_lo
	s_or_b32 s90, s9, s7
	s_or_b32 s87, s8, s10
	s_and_not1_b32 s7, s88, exec_lo
	s_and_b32 s8, s93, exec_lo
	s_and_not1_b32 s9, s84, exec_lo
	s_and_b32 s10, s91, exec_lo
	s_or_b32 s88, s7, s8
	s_or_b32 s84, s9, s10
	s_and_not1_b32 exec_lo, exec_lo, s83
	s_cbranch_execz .LBB195_484
.LBB195_12:                             ; =>This Loop Header: Depth=1
                                        ;     Child Loop BB195_20 Depth 2
                                        ;     Child Loop BB195_38 Depth 2
	;; [unrolled: 1-line block ×24, first 2 shown]
	ds_load_b128 v[2:5], v13 offset:5120
	s_waitcnt lgkmcnt(0)
	v_readfirstlane_b32 s63, v3
	v_readfirstlane_b32 s62, v2
	s_delay_alu instid0(VALU_DEP_1)
	s_cmp_lg_u64 s[62:63], 0
	s_cbranch_scc1 .LBB195_45
; %bb.13:                               ;   in Loop: Header=BB195_12 Depth=1
	s_and_b32 vcc_lo, exec_lo, s73
	s_cbranch_vccz .LBB195_28
; %bb.14:                               ;   in Loop: Header=BB195_12 Depth=1
	v_cmp_gt_u64_e32 vcc_lo, 0x301, v[4:5]
	s_mov_b32 s9, 0
	s_mov_b32 s7, 0
	s_cbranch_vccz .LBB195_29
; %bb.15:                               ;   in Loop: Header=BB195_12 Depth=1
	v_mov_b32_e32 v4, 0
	s_and_saveexec_b32 s7, s4
	s_cbranch_execz .LBB195_17
; %bb.16:                               ;   in Loop: Header=BB195_12 Depth=1
	global_load_b32 v4, v[10:11], off
.LBB195_17:                             ;   in Loop: Header=BB195_12 Depth=1
	s_or_b32 exec_lo, exec_lo, s7
	s_and_saveexec_b32 s10, s4
	s_cbranch_execz .LBB195_30
; %bb.18:                               ;   in Loop: Header=BB195_12 Depth=1
	global_load_u16 v2, v13, s[60:61]
	s_mov_b32 s11, 0
	s_waitcnt vmcnt(0)
	v_and_b32_e32 v5, 0xffff, v2
	v_dual_mov_b32 v3, v1 :: v_dual_mov_b32 v2, v0
	s_branch .LBB195_20
.LBB195_19:                             ;   in Loop: Header=BB195_20 Depth=2
	s_or_b32 exec_lo, exec_lo, s8
	s_waitcnt vmcnt(0)
	v_mov_b32_e32 v4, v6
	s_and_not1_b32 exec_lo, exec_lo, s11
	s_cbranch_execz .LBB195_30
.LBB195_20:                             ;   Parent Loop BB195_12 Depth=1
                                        ; =>  This Inner Loop Header: Depth=2
	s_delay_alu instid0(VALU_DEP_1) | instskip(NEXT) | instid1(VALU_DEP_2)
	v_add_co_u32 v2, vcc_lo, v2, v5
	v_add_co_ci_u32_e32 v3, vcc_lo, 0, v3, vcc_lo
	s_waitcnt lgkmcnt(0)
	v_dual_mov_b32 v7, 0 :: v_dual_mov_b32 v6, 0
	s_mov_b32 s8, exec_lo
	s_delay_alu instid0(VALU_DEP_2)
	v_cmp_le_u64_e32 vcc_lo, s[36:37], v[2:3]
	v_cmpx_gt_u64_e64 s[36:37], v[2:3]
	s_cbranch_execz .LBB195_22
; %bb.21:                               ;   in Loop: Header=BB195_20 Depth=2
	v_mul_lo_u32 v6, v3, s30
	v_mul_lo_u32 v12, v2, s31
	v_mad_u64_u32 v[8:9], null, v2, s30, 0
	s_delay_alu instid0(VALU_DEP_1) | instskip(NEXT) | instid1(VALU_DEP_1)
	v_add3_u32 v9, v9, v12, v6
	v_lshlrev_b64 v[8:9], 2, v[8:9]
	s_delay_alu instid0(VALU_DEP_1) | instskip(NEXT) | instid1(VALU_DEP_1)
	v_add_co_u32 v8, s7, s33, v8
	v_add_co_ci_u32_e64 v9, s7, s35, v9, s7
	global_load_b32 v6, v[8:9], off
.LBB195_22:                             ;   in Loop: Header=BB195_20 Depth=2
	s_or_b32 exec_lo, exec_lo, s8
	v_cmp_lt_i32_e64 s7, -1, v4
	s_delay_alu instid0(VALU_DEP_1) | instskip(SKIP_1) | instid1(VALU_DEP_2)
	v_cndmask_b32_e64 v8, -1, 0x80000000, s7
	v_cmp_o_f32_e64 s7, v4, v4
	v_xor_b32_e32 v8, v8, v4
	s_delay_alu instid0(VALU_DEP_1) | instskip(NEXT) | instid1(VALU_DEP_1)
	v_cndmask_b32_e64 v8, -1, v8, s7
	v_and_b32_e32 v8, v8, v31
	s_delay_alu instid0(VALU_DEP_1) | instskip(NEXT) | instid1(VALU_DEP_1)
	v_cmp_eq_u32_e64 s7, v8, v32
	s_cmp_lg_u32 s7, 0
	s_cselect_b32 s8, -1, 0
	s_delay_alu instid0(SALU_CYCLE_1) | instskip(NEXT) | instid1(SALU_CYCLE_1)
	s_and_b32 s8, s2, s8
	s_and_saveexec_b32 s12, s8
	s_cbranch_execz .LBB195_26
; %bb.23:                               ;   in Loop: Header=BB195_20 Depth=2
	s_mov_b32 s15, exec_lo
	s_bcnt1_i32_b32 s13, s7
	v_mbcnt_lo_u32_b32 v7, s15, 0
	s_mov_b32 s14, exec_lo
                                        ; implicit-def: $vgpr8
	s_delay_alu instid0(VALU_DEP_1)
	v_cmpx_eq_u32_e32 0, v7
	s_cbranch_execz .LBB195_25
; %bb.24:                               ;   in Loop: Header=BB195_20 Depth=2
	s_bcnt1_i32_b32 s8, s15
	s_delay_alu instid0(SALU_CYCLE_1) | instskip(NEXT) | instid1(SALU_CYCLE_1)
	s_mul_i32 s8, s13, s8
	v_mov_b32_e32 v8, s8
	ds_add_rtn_u32 v8, v13, v8 offset:5144
.LBB195_25:                             ;   in Loop: Header=BB195_20 Depth=2
	s_or_b32 exec_lo, exec_lo, s14
	s_waitcnt lgkmcnt(0)
	v_readfirstlane_b32 s8, v8
	s_delay_alu instid0(VALU_DEP_1)
	v_mad_u32_u24 v7, s13, v7, s8
.LBB195_26:                             ;   in Loop: Header=BB195_20 Depth=2
	s_or_b32 exec_lo, exec_lo, s12
	ds_bpermute_b32 v7, v13, v7
	s_and_b32 s8, exec_lo, vcc_lo
	s_delay_alu instid0(SALU_CYCLE_1)
	s_or_b32 s11, s8, s11
	s_and_saveexec_b32 s8, s7
	s_cbranch_execz .LBB195_19
; %bb.27:                               ;   in Loop: Header=BB195_20 Depth=2
	v_and_b32_e32 v8, s7, v25
	s_delay_alu instid0(VALU_DEP_1) | instskip(NEXT) | instid1(VALU_DEP_1)
	v_bcnt_u32_b32 v8, v8, 0
	v_lshlrev_b32_e32 v8, 2, v8
	s_waitcnt lgkmcnt(0)
	s_delay_alu instid0(VALU_DEP_1)
	v_lshl_add_u32 v7, v7, 2, v8
	ds_store_b32 v7, v4
	s_branch .LBB195_19
.LBB195_28:                             ;   in Loop: Header=BB195_12 Depth=1
	s_mov_b32 s7, 0
                                        ; implicit-def: $sgpr62_sgpr63
	s_cbranch_execnz .LBB195_33
	s_branch .LBB195_43
.LBB195_29:                             ;   in Loop: Header=BB195_12 Depth=1
	s_mov_b64 s[62:63], 0
	s_and_b32 vcc_lo, exec_lo, s9
	s_cbranch_vccnz .LBB195_33
	s_branch .LBB195_43
.LBB195_30:                             ;   in Loop: Header=BB195_12 Depth=1
	s_or_b32 exec_lo, exec_lo, s10
	s_waitcnt vmcnt(0) lgkmcnt(0)
	s_barrier
	buffer_gl0_inv
	s_and_saveexec_b32 s7, s5
	s_cbranch_execz .LBB195_32
; %bb.31:                               ;   in Loop: Header=BB195_12 Depth=1
	ds_load_b32 v2, v13 offset:5144
	s_waitcnt lgkmcnt(0)
	v_ashrrev_i32_e32 v3, 31, v2
	ds_store_b64 v13, v[2:3] offset:5120
.LBB195_32:                             ;   in Loop: Header=BB195_12 Depth=1
	s_or_b32 exec_lo, exec_lo, s7
	s_waitcnt lgkmcnt(0)
	s_mov_b32 s7, -1
	s_barrier
	s_mov_b64 s[62:63], 0
	s_and_b32 vcc_lo, exec_lo, s9
	s_cbranch_vccz .LBB195_43
.LBB195_33:                             ;   in Loop: Header=BB195_12 Depth=1
	v_mov_b32_e32 v4, 0
	s_and_saveexec_b32 s7, s4
	s_cbranch_execz .LBB195_35
; %bb.34:                               ;   in Loop: Header=BB195_12 Depth=1
	global_load_b32 v4, v[10:11], off
.LBB195_35:                             ;   in Loop: Header=BB195_12 Depth=1
	s_or_b32 exec_lo, exec_lo, s7
	s_and_saveexec_b32 s8, s4
	s_cbranch_execz .LBB195_40
; %bb.36:                               ;   in Loop: Header=BB195_12 Depth=1
	global_load_u16 v2, v13, s[60:61]
	s_mov_b32 s9, 0
	s_waitcnt vmcnt(0)
	v_dual_mov_b32 v6, v14 :: v_dual_and_b32 v5, 0xffff, v2
	v_dual_mov_b32 v3, v1 :: v_dual_mov_b32 v2, v0
	s_delay_alu instid0(VALU_DEP_2)
	v_lshlrev_b32_e32 v7, 2, v5
	s_set_inst_prefetch_distance 0x1
	s_branch .LBB195_38
	.p2align	6
.LBB195_37:                             ;   in Loop: Header=BB195_38 Depth=2
	s_or_b32 exec_lo, exec_lo, s10
	ds_store_b32 v6, v4
	v_add_nc_u32_e32 v6, v6, v7
	s_waitcnt vmcnt(0)
	v_mov_b32_e32 v4, v8
	s_and_b32 s7, exec_lo, vcc_lo
	s_delay_alu instid0(SALU_CYCLE_1) | instskip(NEXT) | instid1(SALU_CYCLE_1)
	s_or_b32 s9, s7, s9
	s_and_not1_b32 exec_lo, exec_lo, s9
	s_cbranch_execz .LBB195_40
.LBB195_38:                             ;   Parent Loop BB195_12 Depth=1
                                        ; =>  This Inner Loop Header: Depth=2
	s_delay_alu instid0(VALU_DEP_2) | instskip(SKIP_3) | instid1(VALU_DEP_2)
	v_add_co_u32 v2, vcc_lo, v2, v5
	v_add_co_ci_u32_e32 v3, vcc_lo, 0, v3, vcc_lo
	v_mov_b32_e32 v8, 0
	s_mov_b32 s10, exec_lo
	v_cmp_le_u64_e32 vcc_lo, s[36:37], v[2:3]
	v_cmpx_gt_u64_e64 s[36:37], v[2:3]
	s_cbranch_execz .LBB195_37
; %bb.39:                               ;   in Loop: Header=BB195_38 Depth=2
	v_mul_lo_u32 v12, v3, s30
	v_mul_lo_u32 v17, v2, s31
	v_mad_u64_u32 v[8:9], null, v2, s30, 0
	s_delay_alu instid0(VALU_DEP_1) | instskip(NEXT) | instid1(VALU_DEP_1)
	v_add3_u32 v9, v9, v17, v12
	v_lshlrev_b64 v[8:9], 2, v[8:9]
	s_delay_alu instid0(VALU_DEP_1) | instskip(NEXT) | instid1(VALU_DEP_1)
	v_add_co_u32 v8, s7, s33, v8
	v_add_co_ci_u32_e64 v9, s7, s35, v9, s7
	global_load_b32 v8, v[8:9], off
	s_branch .LBB195_37
.LBB195_40:                             ;   in Loop: Header=BB195_12 Depth=1
	s_set_inst_prefetch_distance 0x2
	s_or_b32 exec_lo, exec_lo, s8
	s_waitcnt vmcnt(0) lgkmcnt(0)
	s_barrier
	buffer_gl0_inv
	s_and_saveexec_b32 s7, s5
	s_cbranch_execz .LBB195_42
; %bb.41:                               ;   in Loop: Header=BB195_12 Depth=1
	v_dual_mov_b32 v2, s36 :: v_dual_mov_b32 v3, s37
	ds_store_b64 v13, v[2:3] offset:5120
.LBB195_42:                             ;   in Loop: Header=BB195_12 Depth=1
	s_or_b32 exec_lo, exec_lo, s7
	s_mov_b32 s7, -1
	s_waitcnt lgkmcnt(0)
	s_barrier
                                        ; implicit-def: $sgpr62_sgpr63
.LBB195_43:                             ;   in Loop: Header=BB195_12 Depth=1
	s_and_b32 vcc_lo, exec_lo, s7
	s_cbranch_vccz .LBB195_45
; %bb.44:                               ;   in Loop: Header=BB195_12 Depth=1
	buffer_gl0_inv
	ds_load_b64 v[2:3], v13 offset:5120
	s_waitcnt lgkmcnt(0)
	v_readfirstlane_b32 s62, v2
.LBB195_45:                             ;   in Loop: Header=BB195_12 Depth=1
	s_delay_alu instid0(VALU_DEP_1)
	s_cmp_lt_i32 s62, 1
	s_cbranch_scc0 .LBB195_60
; %bb.46:                               ;   in Loop: Header=BB195_12 Depth=1
	global_load_u16 v17, v13, s[60:61]
	s_mov_b32 s8, s59
	s_mov_b32 s9, s37
	s_waitcnt vmcnt(0)
	v_readfirstlane_b32 s7, v17
	s_delay_alu instid0(VALU_DEP_1) | instskip(NEXT) | instid1(SALU_CYCLE_1)
	s_and_b32 s7, 0xffff, s7
	s_lshl_b32 s25, s7, 2
	s_cmp_lg_u64 s[8:9], 0
	s_cbranch_scc0 .LBB195_80
; %bb.47:                               ;   in Loop: Header=BB195_12 Depth=1
	v_cvt_f32_u32_e32 v2, s25
	s_sub_u32 s9, 0, s25
	s_subb_u32 s10, 0, 0
	s_delay_alu instid0(VALU_DEP_1) | instskip(NEXT) | instid1(VALU_DEP_1)
	v_fmac_f32_e64 v2, 0, 0x4f800000
	v_rcp_f32_e32 v2, v2
	s_waitcnt_depctr 0xfff
	v_mul_f32_e32 v2, 0x5f7ffffc, v2
	s_delay_alu instid0(VALU_DEP_1) | instskip(NEXT) | instid1(VALU_DEP_1)
	v_mul_f32_e32 v3, 0x2f800000, v2
	v_trunc_f32_e32 v3, v3
	s_delay_alu instid0(VALU_DEP_1) | instskip(SKIP_1) | instid1(VALU_DEP_2)
	v_fmac_f32_e32 v2, 0xcf800000, v3
	v_cvt_u32_f32_e32 v3, v3
	v_cvt_u32_f32_e32 v2, v2
	s_delay_alu instid0(VALU_DEP_2) | instskip(NEXT) | instid1(VALU_DEP_2)
	v_readfirstlane_b32 s7, v3
	v_readfirstlane_b32 s8, v2
	s_delay_alu instid0(VALU_DEP_2) | instskip(NEXT) | instid1(VALU_DEP_1)
	s_mul_i32 s11, s9, s7
	s_mul_hi_u32 s13, s9, s8
	s_mul_i32 s12, s10, s8
	s_add_i32 s11, s13, s11
	s_mul_i32 s14, s9, s8
	s_add_i32 s11, s11, s12
	s_mul_hi_u32 s13, s8, s14
	s_mul_hi_u32 s15, s7, s14
	s_mul_i32 s12, s7, s14
	s_mul_hi_u32 s14, s8, s11
	s_mul_i32 s8, s8, s11
	s_mul_hi_u32 s16, s7, s11
	s_add_u32 s8, s13, s8
	s_addc_u32 s13, 0, s14
	s_add_u32 s8, s8, s12
	s_mul_i32 s11, s7, s11
	s_addc_u32 s8, s13, s15
	s_addc_u32 s12, s16, 0
	s_add_u32 s8, s8, s11
	s_addc_u32 s11, 0, s12
	v_add_co_u32 v2, s8, v2, s8
	s_delay_alu instid0(VALU_DEP_1) | instskip(SKIP_1) | instid1(VALU_DEP_1)
	s_cmp_lg_u32 s8, 0
	s_addc_u32 s7, s7, s11
	v_readfirstlane_b32 s8, v2
	s_mul_i32 s11, s9, s7
	s_delay_alu instid0(VALU_DEP_1)
	s_mul_hi_u32 s12, s9, s8
	s_mul_i32 s10, s10, s8
	s_add_i32 s11, s12, s11
	s_mul_i32 s9, s9, s8
	s_add_i32 s11, s11, s10
	s_mul_hi_u32 s12, s7, s9
	s_mul_i32 s13, s7, s9
	s_mul_hi_u32 s9, s8, s9
	s_mul_hi_u32 s14, s8, s11
	s_mul_i32 s8, s8, s11
	s_mul_hi_u32 s10, s7, s11
	s_add_u32 s8, s9, s8
	s_addc_u32 s9, 0, s14
	s_add_u32 s8, s8, s13
	s_mul_i32 s11, s7, s11
	s_addc_u32 s8, s9, s12
	s_addc_u32 s9, s10, 0
	s_add_u32 s8, s8, s11
	s_addc_u32 s9, 0, s9
	v_add_co_u32 v2, s8, v2, s8
	s_delay_alu instid0(VALU_DEP_1) | instskip(SKIP_1) | instid1(VALU_DEP_1)
	s_cmp_lg_u32 s8, 0
	s_addc_u32 s7, s7, s9
	v_readfirstlane_b32 s8, v2
	s_mul_i32 s10, s36, s7
	s_mul_hi_u32 s9, s36, s7
	s_mul_hi_u32 s11, s37, s7
	s_mul_i32 s7, s37, s7
	s_mul_hi_u32 s12, s36, s8
	s_mul_hi_u32 s13, s37, s8
	s_mul_i32 s8, s37, s8
	s_add_u32 s10, s12, s10
	s_addc_u32 s9, 0, s9
	s_add_u32 s8, s10, s8
	s_addc_u32 s8, s9, s13
	s_addc_u32 s9, s11, 0
	s_add_u32 s7, s8, s7
	s_addc_u32 s8, 0, s9
	s_mul_hi_u32 s9, s25, s7
	s_mul_i32 s7, s25, s7
	s_mul_i32 s8, s25, s8
	v_sub_co_u32 v2, s7, s36, s7
	s_add_i32 s9, s9, s8
	s_cmp_lg_u32 s7, 0
	s_delay_alu instid0(VALU_DEP_1) | instskip(SKIP_2) | instid1(VALU_DEP_1)
	v_sub_co_u32 v3, s7, v2, s25
	s_subb_u32 s8, s37, s9
	s_cmp_lg_u32 s7, 0
	v_cmp_le_u32_e32 vcc_lo, s25, v3
	v_sub_co_u32 v4, s7, v3, s25
	s_subb_u32 s9, s8, 0
	s_cmp_lg_u32 s7, 0
	v_cndmask_b32_e64 v5, 0, -1, vcc_lo
	s_subb_u32 s7, s9, 0
	s_cmp_eq_u32 s9, 0
	v_mov_b32_e32 v7, s7
	s_cselect_b32 vcc_lo, -1, 0
	s_cmp_eq_u32 s8, 0
	v_cndmask_b32_e32 v5, -1, v5, vcc_lo
	v_cmp_le_u32_e32 vcc_lo, s25, v2
	s_cselect_b32 s7, -1, 0
	v_cndmask_b32_e64 v6, 0, -1, vcc_lo
	s_delay_alu instid0(VALU_DEP_3) | instskip(NEXT) | instid1(VALU_DEP_2)
	v_cmp_ne_u32_e32 vcc_lo, 0, v5
	v_cndmask_b32_e64 v5, -1, v6, s7
	v_cndmask_b32_e32 v6, s9, v7, vcc_lo
	v_cndmask_b32_e32 v4, v3, v4, vcc_lo
	s_delay_alu instid0(VALU_DEP_3) | instskip(NEXT) | instid1(VALU_DEP_3)
	v_cmp_ne_u32_e32 vcc_lo, 0, v5
	v_cndmask_b32_e32 v3, s8, v6, vcc_lo
	s_delay_alu instid0(VALU_DEP_3)
	v_cndmask_b32_e32 v2, v2, v4, vcc_lo
	s_cbranch_execnz .LBB195_49
.LBB195_48:                             ;   in Loop: Header=BB195_12 Depth=1
	v_cvt_f32_u32_e32 v2, s25
	s_sub_i32 s7, 0, s25
	s_delay_alu instid0(VALU_DEP_1) | instskip(SKIP_2) | instid1(VALU_DEP_1)
	v_rcp_iflag_f32_e32 v2, v2
	s_waitcnt_depctr 0xfff
	v_mul_f32_e32 v2, 0x4f7ffffe, v2
	v_cvt_u32_f32_e32 v2, v2
	s_delay_alu instid0(VALU_DEP_1) | instskip(NEXT) | instid1(VALU_DEP_1)
	v_mul_lo_u32 v3, s7, v2
	v_mul_hi_u32 v3, v2, v3
	s_delay_alu instid0(VALU_DEP_1) | instskip(NEXT) | instid1(VALU_DEP_1)
	v_add_nc_u32_e32 v2, v2, v3
	v_mul_hi_u32 v2, s36, v2
	s_delay_alu instid0(VALU_DEP_1) | instskip(NEXT) | instid1(VALU_DEP_1)
	v_mul_lo_u32 v2, v2, s25
	v_sub_nc_u32_e32 v2, s36, v2
	s_delay_alu instid0(VALU_DEP_1) | instskip(SKIP_1) | instid1(VALU_DEP_2)
	v_subrev_nc_u32_e32 v3, s25, v2
	v_cmp_le_u32_e32 vcc_lo, s25, v2
	v_cndmask_b32_e32 v2, v2, v3, vcc_lo
	s_delay_alu instid0(VALU_DEP_1) | instskip(SKIP_1) | instid1(VALU_DEP_2)
	v_subrev_nc_u32_e32 v3, s25, v2
	v_cmp_le_u32_e32 vcc_lo, s25, v2
	v_cndmask_b32_e32 v12, v2, v3, vcc_lo
	s_delay_alu instid0(VALU_DEP_1)
	v_dual_mov_b32 v2, v12 :: v_dual_mov_b32 v3, v13
.LBB195_49:                             ;   in Loop: Header=BB195_12 Depth=1
	s_delay_alu instid0(VALU_DEP_1) | instskip(NEXT) | instid1(VALU_DEP_2)
	v_sub_co_u32 v21, vcc_lo, s36, v2
	v_sub_co_ci_u32_e32 v22, vcc_lo, s37, v3, vcc_lo
	v_mov_b32_e32 v2, 0
	v_mov_b32_e32 v3, 0
	s_mov_b64 s[64:65], 0
	s_mov_b32 s26, exec_lo
	s_delay_alu instid0(VALU_DEP_1)
	v_dual_mov_b32 v5, v3 :: v_dual_mov_b32 v4, v2
	v_dual_mov_b32 v7, v3 :: v_dual_mov_b32 v6, v2
	;; [unrolled: 1-line block ×3, first 2 shown]
	v_cmpx_gt_u64_e64 v[21:22], v[14:15]
	s_cbranch_execz .LBB195_53
; %bb.50:                               ;   in Loop: Header=BB195_12 Depth=1
	v_dual_mov_b32 v24, v15 :: v_dual_mov_b32 v23, v14
	s_and_b32 s63, s89, 0xfe
	s_mov_b32 s58, 0
	s_mov_b64 s[66:67], 0
	s_mov_b64 s[68:69], 0
	;; [unrolled: 1-line block ×3, first 2 shown]
.LBB195_51:                             ;   Parent Loop BB195_12 Depth=1
                                        ; =>  This Inner Loop Header: Depth=2
	v_mul_lo_u32 v4, v24, s30
	v_mul_lo_u32 v5, v23, s31
	v_mad_u64_u32 v[2:3], null, v23, s30, 0
	s_lshl_b64 s[8:9], s[30:31], 2
	s_delay_alu instid0(VALU_DEP_1) | instskip(NEXT) | instid1(VALU_DEP_1)
	v_add3_u32 v3, v3, v5, v4
	v_lshlrev_b64 v[2:3], 2, v[2:3]
	s_delay_alu instid0(VALU_DEP_1) | instskip(NEXT) | instid1(VALU_DEP_2)
	v_add_co_u32 v2, vcc_lo, s33, v2
	v_add_co_ci_u32_e32 v3, vcc_lo, s35, v3, vcc_lo
	s_delay_alu instid0(VALU_DEP_2) | instskip(NEXT) | instid1(VALU_DEP_2)
	v_add_co_u32 v4, vcc_lo, v2, s8
	v_add_co_ci_u32_e32 v5, vcc_lo, s9, v3, vcc_lo
	global_load_b32 v6, v[2:3], off
	v_add_co_u32 v2, vcc_lo, v4, s8
	v_add_co_ci_u32_e32 v3, vcc_lo, s9, v5, vcc_lo
	s_clause 0x1
	global_load_b32 v4, v[4:5], off
	global_load_b32 v5, v[2:3], off
	v_add_co_u32 v2, vcc_lo, v2, s8
	v_add_co_ci_u32_e32 v3, vcc_lo, s9, v3, vcc_lo
	v_add_co_u32 v23, vcc_lo, v23, s25
	v_add_co_ci_u32_e32 v24, vcc_lo, 0, v24, vcc_lo
	global_load_b32 v2, v[2:3], off
	v_cmp_ge_u64_e32 vcc_lo, v[23:24], v[21:22]
	s_waitcnt vmcnt(3)
	v_cmp_lt_i32_e64 s7, -1, v6
	s_delay_alu instid0(VALU_DEP_1)
	v_cndmask_b32_e64 v3, -1, 0x80000000, s7
	s_waitcnt vmcnt(2)
	v_cmp_lt_i32_e64 s7, -1, v4
	s_waitcnt vmcnt(1)
	v_cmp_lt_i32_e64 s8, -1, v5
	v_xor_b32_e32 v3, v3, v6
	s_delay_alu instid0(VALU_DEP_3) | instskip(SKIP_3) | instid1(VALU_DEP_3)
	v_cndmask_b32_e64 v7, -1, 0x80000000, s7
	v_cmp_o_f32_e64 s7, v6, v6
	s_waitcnt vmcnt(0)
	v_cmp_o_f32_e64 s12, v2, v2
	v_xor_b32_e32 v6, v7, v4
	s_delay_alu instid0(VALU_DEP_3) | instskip(SKIP_2) | instid1(VALU_DEP_3)
	v_cndmask_b32_e64 v3, -1, v3, s7
	v_cmp_o_f32_e64 s7, v4, v4
	v_cndmask_b32_e64 v7, -1, 0x80000000, s8
	v_and_b32_e32 v8, v3, v31
	s_delay_alu instid0(VALU_DEP_3) | instskip(SKIP_1) | instid1(VALU_DEP_4)
	v_cndmask_b32_e64 v4, -1, v6, s7
	v_cmp_lt_i32_e64 s7, -1, v2
	v_xor_b32_e32 v6, v7, v5
	v_bfe_u32 v3, v3, s63, 2
	s_delay_alu instid0(VALU_DEP_3) | instskip(SKIP_1) | instid1(VALU_DEP_3)
	v_cndmask_b32_e64 v7, -1, 0x80000000, s7
	v_cmp_o_f32_e64 s7, v5, v5
	v_cmp_eq_u32_e64 s8, 0, v3
	v_cmp_eq_u32_e64 s9, 1, v3
	;; [unrolled: 1-line block ×4, first 2 shown]
	v_cndmask_b32_e64 v5, -1, v6, s7
	v_xor_b32_e32 v6, v7, v2
	v_cmp_eq_u32_e64 s7, v8, v32
	v_and_b32_e32 v7, v4, v31
	v_bfe_u32 v4, v4, s63, 2
	v_and_b32_e32 v3, v5, v31
	v_cndmask_b32_e64 v2, -1, v6, s12
	v_bfe_u32 v5, v5, s63, 2
	v_cmp_eq_u32_e64 s12, v7, v32
	v_cmp_eq_u32_e64 s13, 0, v4
	s_and_b32 s8, s7, s8
	v_cmp_eq_u32_e64 s16, v3, v32
	v_cndmask_b32_e64 v6, 0, 1, s8
	v_and_b32_e32 v3, v2, v31
	v_bfe_u32 v2, v2, s63, 2
	v_cmp_eq_u32_e64 s17, 0, v5
	s_and_b32 s13, s12, s13
	v_cmp_eq_u32_e64 s8, 1, v4
	v_cmp_eq_u32_e64 s14, 2, v4
	;; [unrolled: 1-line block ×3, first 2 shown]
	v_cmp_ne_u32_e64 s18, 0, v6
	v_cndmask_b32_e64 v4, 0, 1, s13
	v_cmp_eq_u32_e64 s21, v3, v32
	v_cmp_eq_u32_e64 s22, 0, v2
	s_and_b32 s17, s16, s17
	s_bcnt1_i32_b32 s96, s18
	v_cmp_ne_u32_e64 s18, 0, v4
	v_cndmask_b32_e64 v3, 0, 1, s17
	s_and_b32 s22, s21, s22
	v_cmp_eq_u32_e64 s17, 1, v2
	v_cmp_eq_u32_e64 s23, 2, v2
	;; [unrolled: 1-line block ×3, first 2 shown]
	v_cndmask_b32_e64 v2, 0, 1, s22
	s_bcnt1_i32_b32 s22, s18
	v_cmp_ne_u32_e64 s18, 0, v3
	s_add_i32 s96, s22, s96
	v_cmp_eq_u32_e64 s13, 1, v5
	v_cmp_ne_u32_e64 s22, 0, v2
	v_cmp_eq_u32_e64 s19, 2, v5
	s_bcnt1_i32_b32 s18, s18
	v_cmp_eq_u32_e64 s20, 3, v5
	s_add_i32 s18, s96, s18
	s_bcnt1_i32_b32 s22, s22
	s_delay_alu instid0(SALU_CYCLE_1) | instskip(NEXT) | instid1(SALU_CYCLE_1)
	s_add_i32 s18, s18, s22
	s_add_u32 s70, s70, s18
	s_addc_u32 s71, s71, 0
	s_and_b32 s9, s7, s9
	s_and_b32 s8, s12, s8
	v_cndmask_b32_e64 v2, 0, 1, s9
	v_cndmask_b32_e64 v3, 0, 1, s8
	s_and_b32 s8, s16, s13
	s_delay_alu instid0(SALU_CYCLE_1) | instskip(SKIP_1) | instid1(VALU_DEP_2)
	v_cndmask_b32_e64 v4, 0, 1, s8
	s_and_b32 s8, s21, s17
	v_cmp_ne_u32_e64 s9, 0, v3
	v_cndmask_b32_e64 v5, 0, 1, s8
	v_cmp_ne_u32_e64 s8, 0, v2
	v_cmp_ne_u32_e64 s13, 0, v4
	s_delay_alu instid0(VALU_DEP_4) | instskip(NEXT) | instid1(VALU_DEP_3)
	s_bcnt1_i32_b32 s9, s9
	v_cmp_ne_u32_e64 s17, 0, v5
	s_delay_alu instid0(VALU_DEP_3) | instskip(NEXT) | instid1(VALU_DEP_2)
	s_bcnt1_i32_b32 s8, s8
	s_bcnt1_i32_b32 s13, s13
	s_add_i32 s8, s9, s8
	s_delay_alu instid0(VALU_DEP_1) | instskip(SKIP_1) | instid1(SALU_CYCLE_1)
	s_bcnt1_i32_b32 s17, s17
	s_add_i32 s8, s8, s13
	s_add_i32 s8, s8, s17
	s_delay_alu instid0(SALU_CYCLE_1) | instskip(SKIP_2) | instid1(SALU_CYCLE_1)
	s_add_u32 s68, s68, s8
	s_addc_u32 s69, s69, 0
	s_and_b32 s8, s7, s10
	v_cndmask_b32_e64 v2, 0, 1, s8
	s_and_b32 s8, s12, s14
	s_delay_alu instid0(SALU_CYCLE_1) | instskip(SKIP_1) | instid1(SALU_CYCLE_1)
	v_cndmask_b32_e64 v3, 0, 1, s8
	s_and_b32 s8, s16, s19
	v_cndmask_b32_e64 v4, 0, 1, s8
	s_and_b32 s8, s21, s23
	s_delay_alu instid0(VALU_DEP_2) | instskip(SKIP_3) | instid1(VALU_DEP_4)
	v_cmp_ne_u32_e64 s9, 0, v3
	v_cndmask_b32_e64 v5, 0, 1, s8
	v_cmp_ne_u32_e64 s8, 0, v2
	v_cmp_ne_u32_e64 s10, 0, v4
	s_bcnt1_i32_b32 s9, s9
	s_delay_alu instid0(VALU_DEP_3) | instskip(NEXT) | instid1(VALU_DEP_3)
	v_cmp_ne_u32_e64 s13, 0, v5
	s_bcnt1_i32_b32 s8, s8
	s_delay_alu instid0(VALU_DEP_2) | instskip(SKIP_1) | instid1(VALU_DEP_1)
	s_bcnt1_i32_b32 s10, s10
	s_add_i32 s8, s9, s8
	s_bcnt1_i32_b32 s13, s13
	s_add_i32 s8, s8, s10
	s_delay_alu instid0(SALU_CYCLE_1) | instskip(NEXT) | instid1(SALU_CYCLE_1)
	s_add_i32 s8, s8, s13
	s_add_u32 s66, s66, s8
	s_addc_u32 s67, s67, 0
	v_mov_b32_e32 v6, s66
	s_and_b32 s7, s7, s11
	v_mov_b32_e32 v7, s67
	v_cndmask_b32_e64 v2, 0, 1, s7
	s_and_b32 s7, s12, s15
	s_delay_alu instid0(SALU_CYCLE_1) | instskip(SKIP_1) | instid1(SALU_CYCLE_1)
	v_cndmask_b32_e64 v3, 0, 1, s7
	s_and_b32 s7, s16, s20
	v_cndmask_b32_e64 v4, 0, 1, s7
	s_and_b32 s7, s21, s24
	s_delay_alu instid0(VALU_DEP_2)
	v_cmp_ne_u32_e64 s8, 0, v3
	v_cndmask_b32_e64 v5, 0, 1, s7
	v_cmp_ne_u32_e64 s7, 0, v2
	v_cmp_ne_u32_e64 s9, 0, v4
	v_mov_b32_e32 v2, s70
	s_bcnt1_i32_b32 s8, s8
	v_cmp_ne_u32_e64 s10, 0, v5
	s_bcnt1_i32_b32 s7, s7
	s_bcnt1_i32_b32 s9, s9
	s_add_i32 s7, s8, s7
	v_mov_b32_e32 v4, s68
	s_bcnt1_i32_b32 s8, s10
	s_add_i32 s7, s7, s9
	v_mov_b32_e32 v3, s71
	s_add_i32 s7, s7, s8
	s_delay_alu instid0(SALU_CYCLE_1) | instskip(SKIP_4) | instid1(SALU_CYCLE_1)
	s_add_u32 s64, s64, s7
	s_addc_u32 s65, s65, 0
	v_dual_mov_b32 v5, s69 :: v_dual_mov_b32 v8, s64
	v_mov_b32_e32 v9, s65
	s_or_b32 s58, vcc_lo, s58
	s_and_not1_b32 exec_lo, exec_lo, s58
	s_cbranch_execnz .LBB195_51
; %bb.52:                               ;   in Loop: Header=BB195_12 Depth=1
	s_or_b32 exec_lo, exec_lo, s58
.LBB195_53:                             ;   in Loop: Header=BB195_12 Depth=1
	s_delay_alu instid0(SALU_CYCLE_1) | instskip(SKIP_3) | instid1(VALU_DEP_2)
	s_or_b32 exec_lo, exec_lo, s26
	v_add_co_u32 v21, vcc_lo, v21, v0
	v_add_co_ci_u32_e32 v22, vcc_lo, 0, v22, vcc_lo
	v_dual_mov_b32 v23, 0 :: v_dual_and_b32 v12, 0xffff, v17
	v_cmp_gt_u64_e32 vcc_lo, s[36:37], v[21:22]
	s_and_saveexec_b32 s8, vcc_lo
	s_cbranch_execz .LBB195_55
; %bb.54:                               ;   in Loop: Header=BB195_12 Depth=1
	v_mul_lo_u32 v17, v22, s30
	v_mul_lo_u32 v33, v21, s31
	v_mad_u64_u32 v[23:24], null, v21, s30, 0
	s_delay_alu instid0(VALU_DEP_1) | instskip(NEXT) | instid1(VALU_DEP_1)
	v_add3_u32 v24, v24, v33, v17
	v_lshlrev_b64 v[23:24], 2, v[23:24]
	s_delay_alu instid0(VALU_DEP_1) | instskip(NEXT) | instid1(VALU_DEP_1)
	v_add_co_u32 v23, s7, s33, v23
	v_add_co_ci_u32_e64 v24, s7, s35, v24, s7
	global_load_b32 v23, v[23:24], off
.LBB195_55:                             ;   in Loop: Header=BB195_12 Depth=1
	s_or_b32 exec_lo, exec_lo, s8
	s_and_saveexec_b32 s11, vcc_lo
	s_cbranch_execz .LBB195_62
; %bb.56:                               ;   in Loop: Header=BB195_12 Depth=1
	s_and_b32 s13, s89, 0xfe
	s_mov_b32 s12, 0
	s_branch .LBB195_58
.LBB195_57:                             ;   in Loop: Header=BB195_58 Depth=2
	s_or_b32 exec_lo, exec_lo, s8
	s_waitcnt vmcnt(0)
	v_cmp_lt_i32_e64 s7, -1, v23
	s_and_b32 s8, exec_lo, vcc_lo
	s_delay_alu instid0(SALU_CYCLE_1) | instskip(NEXT) | instid1(VALU_DEP_1)
	s_or_b32 s12, s8, s12
	v_cndmask_b32_e64 v24, -1, 0x80000000, s7
	v_cmp_o_f32_e64 s7, v23, v23
	s_delay_alu instid0(VALU_DEP_2) | instskip(NEXT) | instid1(VALU_DEP_1)
	v_xor_b32_e32 v24, v24, v23
	v_cndmask_b32_e64 v23, -1, v24, s7
	s_delay_alu instid0(VALU_DEP_1) | instskip(SKIP_1) | instid1(VALU_DEP_2)
	v_and_b32_e32 v24, v23, v31
	v_bfe_u32 v23, v23, s13, 2
	v_cmp_eq_u32_e32 vcc_lo, v24, v32
	s_delay_alu instid0(VALU_DEP_2) | instskip(SKIP_3) | instid1(VALU_DEP_4)
	v_cmp_eq_u32_e64 s7, 0, v23
	v_cmp_eq_u32_e64 s8, 1, v23
	;; [unrolled: 1-line block ×4, first 2 shown]
	s_and_b32 s7, vcc_lo, s7
	s_delay_alu instid0(SALU_CYCLE_1) | instskip(SKIP_1) | instid1(SALU_CYCLE_1)
	v_cndmask_b32_e64 v23, 0, 1, s7
	s_and_b32 s7, vcc_lo, s8
	v_cndmask_b32_e64 v24, 0, 1, s7
	s_and_b32 s7, vcc_lo, s9
	s_delay_alu instid0(SALU_CYCLE_1)
	v_cndmask_b32_e64 v33, 0, 1, s7
	s_and_b32 s7, vcc_lo, s10
	v_cmp_ne_u32_e32 vcc_lo, 0, v23
	v_mov_b32_e32 v23, v17
	v_cndmask_b32_e64 v34, 0, 1, s7
	v_cmp_ne_u32_e64 s7, 0, v24
	v_cmp_ne_u32_e64 s8, 0, v33
	s_bcnt1_i32_b32 s10, vcc_lo
	s_delay_alu instid0(SALU_CYCLE_1) | instskip(NEXT) | instid1(VALU_DEP_3)
	v_add_co_u32 v2, vcc_lo, v2, s10
	s_bcnt1_i32_b32 s7, s7
	v_cmp_ne_u32_e64 s9, 0, v34
	v_add_co_ci_u32_e32 v3, vcc_lo, 0, v3, vcc_lo
	v_add_co_u32 v4, vcc_lo, v4, s7
	s_bcnt1_i32_b32 s8, s8
	v_add_co_ci_u32_e32 v5, vcc_lo, 0, v5, vcc_lo
	v_add_co_u32 v6, vcc_lo, v6, s8
	s_bcnt1_i32_b32 s7, s9
	v_add_co_ci_u32_e32 v7, vcc_lo, 0, v7, vcc_lo
	v_add_co_u32 v8, vcc_lo, v8, s7
	v_add_co_ci_u32_e32 v9, vcc_lo, 0, v9, vcc_lo
	s_and_not1_b32 exec_lo, exec_lo, s12
	s_cbranch_execz .LBB195_61
.LBB195_58:                             ;   Parent Loop BB195_12 Depth=1
                                        ; =>  This Inner Loop Header: Depth=2
	v_add_co_u32 v21, vcc_lo, v21, v12
	v_add_co_ci_u32_e32 v22, vcc_lo, 0, v22, vcc_lo
	v_mov_b32_e32 v17, 0
	s_mov_b32 s8, exec_lo
	s_delay_alu instid0(VALU_DEP_2)
	v_cmp_le_u64_e32 vcc_lo, s[36:37], v[21:22]
	v_cmpx_gt_u64_e64 s[36:37], v[21:22]
	s_cbranch_execz .LBB195_57
; %bb.59:                               ;   in Loop: Header=BB195_58 Depth=2
	v_mul_lo_u32 v17, v22, s30
	v_mul_lo_u32 v24, v21, s31
	v_mad_u64_u32 v[33:34], null, v21, s30, 0
	s_delay_alu instid0(VALU_DEP_1) | instskip(NEXT) | instid1(VALU_DEP_1)
	v_add3_u32 v34, v34, v24, v17
	v_lshlrev_b64 v[33:34], 2, v[33:34]
	s_delay_alu instid0(VALU_DEP_1) | instskip(NEXT) | instid1(VALU_DEP_1)
	v_add_co_u32 v33, s7, s33, v33
	v_add_co_ci_u32_e64 v34, s7, s35, v34, s7
	global_load_b32 v17, v[33:34], off
	s_branch .LBB195_57
.LBB195_60:                             ;   in Loop: Header=BB195_12 Depth=1
                                        ; implicit-def: $vgpr8_vgpr9
                                        ; implicit-def: $vgpr4_vgpr5
	s_cbranch_execnz .LBB195_63
	s_branch .LBB195_72
.LBB195_61:                             ;   in Loop: Header=BB195_12 Depth=1
	s_or_b32 exec_lo, exec_lo, s12
.LBB195_62:                             ;   in Loop: Header=BB195_12 Depth=1
	s_delay_alu instid0(SALU_CYCLE_1)
	s_or_b32 exec_lo, exec_lo, s11
	s_branch .LBB195_72
.LBB195_63:                             ;   in Loop: Header=BB195_12 Depth=1
	global_load_u16 v8, v13, s[60:61]
	s_mov_b64 s[64:65], 0
	s_mov_b32 s96, exec_lo
	s_waitcnt vmcnt(0)
	v_readfirstlane_b32 s7, v8
	v_and_b32_e32 v17, 0xffff, v8
	s_delay_alu instid0(VALU_DEP_2) | instskip(NEXT) | instid1(SALU_CYCLE_1)
	s_and_b32 s7, 0xffff, s7
	s_lshl_b32 s63, s7, 2
	s_delay_alu instid0(SALU_CYCLE_1) | instskip(SKIP_1) | instid1(VALU_DEP_1)
	v_cvt_f32_u32_e32 v2, s63
	s_sub_i32 s8, 0, s63
	v_rcp_iflag_f32_e32 v2, v2
	s_waitcnt_depctr 0xfff
	v_mul_f32_e32 v2, 0x4f7ffffe, v2
	s_delay_alu instid0(VALU_DEP_1) | instskip(NEXT) | instid1(VALU_DEP_1)
	v_cvt_u32_f32_e32 v2, v2
	v_readfirstlane_b32 s7, v2
	v_mov_b32_e32 v2, 0
	v_mov_b32_e32 v3, 0
	s_delay_alu instid0(VALU_DEP_3) | instskip(NEXT) | instid1(VALU_DEP_1)
	s_mul_i32 s8, s8, s7
	v_dual_mov_b32 v5, v3 :: v_dual_mov_b32 v4, v2
	s_mul_hi_u32 s8, s7, s8
	v_dual_mov_b32 v7, v3 :: v_dual_mov_b32 v6, v2
	s_add_i32 s7, s7, s8
	v_dual_mov_b32 v9, v3 :: v_dual_mov_b32 v8, v2
	s_mul_hi_u32 s7, s62, s7
	s_delay_alu instid0(SALU_CYCLE_1) | instskip(NEXT) | instid1(SALU_CYCLE_1)
	s_mul_i32 s7, s7, s63
	s_sub_i32 s7, s62, s7
	s_delay_alu instid0(SALU_CYCLE_1) | instskip(SKIP_2) | instid1(SALU_CYCLE_1)
	s_sub_i32 s8, s7, s63
	s_cmp_ge_u32 s7, s63
	s_cselect_b32 s7, s8, s7
	s_sub_i32 s8, s7, s63
	s_cmp_ge_u32 s7, s63
	s_cselect_b32 s7, s8, s7
	s_delay_alu instid0(SALU_CYCLE_1) | instskip(NEXT) | instid1(SALU_CYCLE_1)
	s_sub_i32 s58, s62, s7
	v_cmpx_gt_u32_e64 s58, v14
	s_cbranch_execz .LBB195_67
; %bb.64:                               ;   in Loop: Header=BB195_12 Depth=1
	v_dual_mov_b32 v23, v29 :: v_dual_lshlrev_b32 v12, 4, v17
	v_dual_mov_b32 v22, v15 :: v_dual_mov_b32 v21, v14
	s_and_b32 s97, s89, 0xfe
	s_mov_b32 s98, 0
	s_mov_b64 s[66:67], 0
	s_mov_b64 s[68:69], 0
	;; [unrolled: 1-line block ×3, first 2 shown]
.LBB195_65:                             ;   Parent Loop BB195_12 Depth=1
                                        ; =>  This Inner Loop Header: Depth=2
	ds_load_b128 v[2:5], v23
	v_add_co_u32 v21, vcc_lo, v21, s63
	v_add_co_ci_u32_e32 v22, vcc_lo, 0, v22, vcc_lo
	s_delay_alu instid0(VALU_DEP_1)
	v_cmp_le_u64_e32 vcc_lo, s[58:59], v[21:22]
	s_waitcnt lgkmcnt(0)
	v_cmp_lt_i32_e64 s7, -1, v2
	v_cmp_o_f32_e64 s10, v2, v2
	v_cmp_o_f32_e64 s8, v4, v4
	;; [unrolled: 1-line block ×3, first 2 shown]
	s_delay_alu instid0(VALU_DEP_4) | instskip(SKIP_1) | instid1(VALU_DEP_2)
	v_cndmask_b32_e64 v6, -1, 0x80000000, s7
	v_cmp_lt_i32_e64 s7, -1, v3
	v_xor_b32_e32 v6, v6, v2
	s_delay_alu instid0(VALU_DEP_2) | instskip(SKIP_1) | instid1(VALU_DEP_3)
	v_cndmask_b32_e64 v7, -1, 0x80000000, s7
	v_cmp_lt_i32_e64 s7, -1, v4
	v_cndmask_b32_e64 v2, -1, v6, s10
	s_delay_alu instid0(VALU_DEP_3) | instskip(NEXT) | instid1(VALU_DEP_3)
	v_xor_b32_e32 v7, v7, v3
	v_cndmask_b32_e64 v8, -1, 0x80000000, s7
	v_cmp_lt_i32_e64 s7, -1, v5
	s_delay_alu instid0(VALU_DEP_4) | instskip(SKIP_1) | instid1(VALU_DEP_3)
	v_and_b32_e32 v6, v2, v31
	v_bfe_u32 v2, v2, s97, 2
	v_cndmask_b32_e64 v9, -1, 0x80000000, s7
	v_cmp_o_f32_e64 s7, v3, v3
	v_xor_b32_e32 v3, v8, v4
	s_delay_alu instid0(VALU_DEP_4)
	v_cmp_eq_u32_e64 s11, 0, v2
	v_cmp_eq_u32_e64 s15, 1, v2
	v_xor_b32_e32 v4, v9, v5
	v_cndmask_b32_e64 v5, -1, v7, s7
	v_cndmask_b32_e64 v3, -1, v3, s8
	v_cmp_eq_u32_e64 s7, v6, v32
	v_cmp_eq_u32_e64 s19, 2, v2
	v_cndmask_b32_e64 v4, -1, v4, s9
	v_and_b32_e32 v7, v5, v31
	v_bfe_u32 v5, v5, s97, 2
	v_and_b32_e32 v8, v3, v31
	v_bfe_u32 v3, v3, s97, 2
	;; [unrolled: 2-line block ×3, first 2 shown]
	v_cmp_eq_u32_e64 s8, v7, v32
	v_cmp_eq_u32_e64 s12, 0, v5
	;; [unrolled: 1-line block ×4, first 2 shown]
	s_and_b32 s11, s7, s11
	v_cmp_eq_u32_e64 s10, v9, v32
	v_cmp_eq_u32_e64 s14, 0, v4
	v_cmp_eq_u32_e64 s23, 3, v2
	v_cndmask_b32_e64 v2, 0, 1, s11
	s_and_b32 s11, s8, s12
	v_cmp_eq_u32_e64 s17, 1, v3
	v_cmp_eq_u32_e64 s21, 2, v3
	v_cmp_eq_u32_e64 s25, 3, v3
	v_cndmask_b32_e64 v3, 0, 1, s11
	;; [unrolled: 5-line block ×4, first 2 shown]
	v_cmp_ne_u32_e64 s11, 0, v2
	v_cmp_ne_u32_e64 s12, 0, v3
	;; [unrolled: 1-line block ×3, first 2 shown]
	s_delay_alu instid0(VALU_DEP_4) | instskip(NEXT) | instid1(VALU_DEP_4)
	v_cmp_ne_u32_e64 s14, 0, v5
	s_bcnt1_i32_b32 s11, s11
	s_delay_alu instid0(VALU_DEP_3) | instskip(NEXT) | instid1(VALU_DEP_2)
	s_bcnt1_i32_b32 s12, s12
	s_bcnt1_i32_b32 s13, s13
	s_add_i32 s11, s12, s11
	s_bcnt1_i32_b32 s14, s14
	s_add_i32 s11, s11, s13
	s_delay_alu instid0(SALU_CYCLE_1) | instskip(NEXT) | instid1(SALU_CYCLE_1)
	s_add_i32 s11, s11, s14
	s_add_u32 s70, s70, s11
	s_addc_u32 s71, s71, 0
	s_and_b32 s11, s7, s15
	v_add_nc_u32_e32 v23, v23, v12
	v_cndmask_b32_e64 v2, 0, 1, s11
	s_and_b32 s11, s8, s16
	s_delay_alu instid0(SALU_CYCLE_1) | instskip(SKIP_1) | instid1(SALU_CYCLE_1)
	v_cndmask_b32_e64 v3, 0, 1, s11
	s_and_b32 s11, s9, s17
	v_cndmask_b32_e64 v4, 0, 1, s11
	s_and_b32 s11, s10, s18
	s_delay_alu instid0(VALU_DEP_2) | instskip(SKIP_3) | instid1(VALU_DEP_4)
	v_cmp_ne_u32_e64 s12, 0, v3
	v_cndmask_b32_e64 v5, 0, 1, s11
	v_cmp_ne_u32_e64 s11, 0, v2
	v_cmp_ne_u32_e64 s13, 0, v4
	s_bcnt1_i32_b32 s12, s12
	s_delay_alu instid0(VALU_DEP_3) | instskip(NEXT) | instid1(VALU_DEP_3)
	v_cmp_ne_u32_e64 s14, 0, v5
	s_bcnt1_i32_b32 s11, s11
	s_delay_alu instid0(VALU_DEP_2) | instskip(SKIP_1) | instid1(VALU_DEP_1)
	s_bcnt1_i32_b32 s13, s13
	s_add_i32 s11, s12, s11
	s_bcnt1_i32_b32 s14, s14
	s_add_i32 s11, s11, s13
	s_delay_alu instid0(SALU_CYCLE_1) | instskip(NEXT) | instid1(SALU_CYCLE_1)
	s_add_i32 s11, s11, s14
	s_add_u32 s68, s68, s11
	s_addc_u32 s69, s69, 0
	s_and_b32 s11, s7, s19
	s_delay_alu instid0(SALU_CYCLE_1) | instskip(SKIP_1) | instid1(SALU_CYCLE_1)
	v_cndmask_b32_e64 v2, 0, 1, s11
	s_and_b32 s11, s8, s20
	v_cndmask_b32_e64 v3, 0, 1, s11
	s_and_b32 s11, s9, s21
	s_delay_alu instid0(SALU_CYCLE_1) | instskip(SKIP_1) | instid1(VALU_DEP_2)
	v_cndmask_b32_e64 v4, 0, 1, s11
	s_and_b32 s11, s10, s22
	v_cmp_ne_u32_e64 s12, 0, v3
	v_cndmask_b32_e64 v5, 0, 1, s11
	v_cmp_ne_u32_e64 s11, 0, v2
	v_cmp_ne_u32_e64 s13, 0, v4
	s_delay_alu instid0(VALU_DEP_4) | instskip(NEXT) | instid1(VALU_DEP_3)
	s_bcnt1_i32_b32 s12, s12
	v_cmp_ne_u32_e64 s14, 0, v5
	s_delay_alu instid0(VALU_DEP_3) | instskip(NEXT) | instid1(VALU_DEP_2)
	s_bcnt1_i32_b32 s11, s11
	s_bcnt1_i32_b32 s13, s13
	s_add_i32 s11, s12, s11
	s_delay_alu instid0(VALU_DEP_1) | instskip(SKIP_1) | instid1(SALU_CYCLE_1)
	s_bcnt1_i32_b32 s14, s14
	s_add_i32 s11, s11, s13
	s_add_i32 s11, s11, s14
	s_delay_alu instid0(SALU_CYCLE_1)
	s_add_u32 s66, s66, s11
	s_addc_u32 s67, s67, 0
	s_and_b32 s7, s7, s23
	v_mov_b32_e32 v6, s66
	v_cndmask_b32_e64 v2, 0, 1, s7
	s_and_b32 s7, s8, s24
	s_delay_alu instid0(SALU_CYCLE_1) | instskip(SKIP_1) | instid1(SALU_CYCLE_1)
	v_cndmask_b32_e64 v3, 0, 1, s7
	s_and_b32 s7, s9, s25
	v_cndmask_b32_e64 v4, 0, 1, s7
	s_and_b32 s7, s10, s26
	s_delay_alu instid0(VALU_DEP_2)
	v_cmp_ne_u32_e64 s8, 0, v3
	v_cndmask_b32_e64 v5, 0, 1, s7
	v_cmp_ne_u32_e64 s7, 0, v2
	v_mov_b32_e32 v2, s70
	v_cmp_ne_u32_e64 s9, 0, v4
	s_bcnt1_i32_b32 s8, s8
	v_cmp_ne_u32_e64 s10, 0, v5
	s_bcnt1_i32_b32 s7, s7
	v_mov_b32_e32 v4, s68
	s_bcnt1_i32_b32 s9, s9
	s_add_i32 s7, s8, s7
	s_bcnt1_i32_b32 s8, s10
	s_add_i32 s7, s7, s9
	v_mov_b32_e32 v3, s71
	s_add_i32 s7, s7, s8
	v_mov_b32_e32 v5, s69
	s_add_u32 s64, s64, s7
	s_addc_u32 s65, s65, 0
	v_dual_mov_b32 v7, s67 :: v_dual_mov_b32 v8, s64
	v_mov_b32_e32 v9, s65
	s_or_b32 s98, vcc_lo, s98
	s_delay_alu instid0(SALU_CYCLE_1)
	s_and_not1_b32 exec_lo, exec_lo, s98
	s_cbranch_execnz .LBB195_65
; %bb.66:                               ;   in Loop: Header=BB195_12 Depth=1
	s_or_b32 exec_lo, exec_lo, s98
.LBB195_67:                             ;   in Loop: Header=BB195_12 Depth=1
	s_delay_alu instid0(SALU_CYCLE_1) | instskip(SKIP_2) | instid1(VALU_DEP_1)
	s_or_b32 exec_lo, exec_lo, s96
	v_add_nc_u32_e32 v12, s58, v0
	s_mov_b32 s14, exec_lo
	v_cmpx_gt_u32_e64 s62, v12
	s_cbranch_execz .LBB195_71
; %bb.68:                               ;   in Loop: Header=BB195_12 Depth=1
	v_dual_mov_b32 v22, v13 :: v_dual_lshlrev_b32 v23, 2, v12
	v_mov_b32_e32 v21, v12
	s_mov_b32 s13, 0
	s_and_b32 s12, s62, 0x7fffffff
	s_and_b32 s16, s89, 0xfe
	s_mov_b32 s15, s13
.LBB195_69:                             ;   Parent Loop BB195_12 Depth=1
                                        ; =>  This Inner Loop Header: Depth=2
	ds_load_b32 v12, v23
	v_add_co_u32 v21, vcc_lo, v21, v17
	v_add_co_ci_u32_e32 v22, vcc_lo, 0, v22, vcc_lo
	v_add_nc_u32_e32 v23, s63, v23
	s_delay_alu instid0(VALU_DEP_2) | instskip(SKIP_2) | instid1(VALU_DEP_1)
	v_cmp_le_u64_e32 vcc_lo, s[12:13], v[21:22]
	s_waitcnt lgkmcnt(0)
	v_cmp_lt_i32_e64 s7, -1, v12
	v_cndmask_b32_e64 v24, -1, 0x80000000, s7
	v_cmp_o_f32_e64 s7, v12, v12
	s_delay_alu instid0(VALU_DEP_2) | instskip(NEXT) | instid1(VALU_DEP_1)
	v_xor_b32_e32 v24, v24, v12
	v_cndmask_b32_e64 v12, -1, v24, s7
	s_delay_alu instid0(VALU_DEP_1) | instskip(SKIP_1) | instid1(VALU_DEP_2)
	v_and_b32_e32 v24, v12, v31
	v_bfe_u32 v12, v12, s16, 2
	v_cmp_eq_u32_e64 s7, v24, v32
	s_delay_alu instid0(VALU_DEP_2) | instskip(SKIP_3) | instid1(VALU_DEP_4)
	v_cmp_eq_u32_e64 s8, 0, v12
	v_cmp_eq_u32_e64 s9, 1, v12
	;; [unrolled: 1-line block ×4, first 2 shown]
	s_and_b32 s8, s7, s8
	s_delay_alu instid0(SALU_CYCLE_1) | instskip(SKIP_1) | instid1(SALU_CYCLE_1)
	v_cndmask_b32_e64 v12, 0, 1, s8
	s_and_b32 s8, s7, s9
	v_cndmask_b32_e64 v24, 0, 1, s8
	s_and_b32 s8, s7, s10
	s_and_b32 s7, s7, s11
	v_cndmask_b32_e64 v33, 0, 1, s8
	v_cndmask_b32_e64 v34, 0, 1, s7
	v_cmp_ne_u32_e64 s7, 0, v12
	v_cmp_ne_u32_e64 s8, 0, v24
	s_delay_alu instid0(VALU_DEP_4) | instskip(NEXT) | instid1(VALU_DEP_4)
	v_cmp_ne_u32_e64 s9, 0, v33
	v_cmp_ne_u32_e64 s10, 0, v34
	s_delay_alu instid0(VALU_DEP_4) | instskip(NEXT) | instid1(VALU_DEP_3)
	s_bcnt1_i32_b32 s7, s7
	s_bcnt1_i32_b32 s8, s8
	v_add_co_u32 v2, s7, v2, s7
	s_delay_alu instid0(VALU_DEP_1)
	v_add_co_ci_u32_e64 v3, s7, 0, v3, s7
	v_add_co_u32 v4, s7, v4, s8
	s_bcnt1_i32_b32 s9, s9
	v_add_co_ci_u32_e64 v5, s7, 0, v5, s7
	v_add_co_u32 v6, s7, v6, s9
	s_bcnt1_i32_b32 s10, s10
	v_add_co_ci_u32_e64 v7, s7, 0, v7, s7
	v_add_co_u32 v8, s7, v8, s10
	s_delay_alu instid0(VALU_DEP_1) | instskip(SKIP_1) | instid1(SALU_CYCLE_1)
	v_add_co_ci_u32_e64 v9, s7, 0, v9, s7
	s_or_b32 s15, vcc_lo, s15
	s_and_not1_b32 exec_lo, exec_lo, s15
	s_cbranch_execnz .LBB195_69
; %bb.70:                               ;   in Loop: Header=BB195_12 Depth=1
	s_or_b32 exec_lo, exec_lo, s15
.LBB195_71:                             ;   in Loop: Header=BB195_12 Depth=1
	s_delay_alu instid0(SALU_CYCLE_1)
	s_or_b32 exec_lo, exec_lo, s14
.LBB195_72:                             ;   in Loop: Header=BB195_12 Depth=1
	s_lshl_b32 s7, s85, 7
	s_and_saveexec_b32 s8, s2
	s_cbranch_execz .LBB195_74
; %bb.73:                               ;   in Loop: Header=BB195_12 Depth=1
	v_or_b32_e32 v12, s7, v27
	s_delay_alu instid0(VALU_DEP_1)
	v_lshlrev_b32_e32 v12, 3, v12
	ds_store_b128 v12, v[2:5] offset:3072
	ds_store_b128 v12, v[6:9] offset:3088
.LBB195_74:                             ;   in Loop: Header=BB195_12 Depth=1
	s_or_b32 exec_lo, exec_lo, s8
	s_waitcnt vmcnt(0) lgkmcnt(0)
	s_barrier
	buffer_gl0_inv
	s_and_saveexec_b32 s8, s72
	s_cbranch_execz .LBB195_85
; %bb.75:                               ;   in Loop: Header=BB195_12 Depth=1
	v_mov_b32_e32 v2, 0
	v_mov_b32_e32 v3, 0
	s_and_not1_b32 vcc_lo, exec_lo, s80
	s_cbranch_vccnz .LBB195_84
; %bb.76:                               ;   in Loop: Header=BB195_12 Depth=1
	v_mov_b32_e32 v2, 0
	v_mov_b32_e32 v3, 0
	s_and_not1_b32 vcc_lo, exec_lo, s78
	s_cbranch_vccnz .LBB195_81
; %bb.77:                               ;   in Loop: Header=BB195_12 Depth=1
	v_lshl_add_u32 v4, s85, 10, v30
	s_mov_b32 s9, 0
	s_set_inst_prefetch_distance 0x1
	.p2align	6
.LBB195_78:                             ;   Parent Loop BB195_12 Depth=1
                                        ; =>  This Inner Loop Header: Depth=2
	ds_load_2addr_b64 v[5:8], v4 offset1:4
	ds_load_2addr_b64 v[21:24], v4 offset0:8 offset1:12
	ds_load_2addr_b64 v[33:36], v4 offset0:16 offset1:20
	s_add_i32 s9, s9, 8
	s_delay_alu instid0(SALU_CYCLE_1) | instskip(SKIP_3) | instid1(VALU_DEP_2)
	s_cmp_eq_u32 s79, s9
	s_waitcnt lgkmcnt(2)
	v_add_co_u32 v2, vcc_lo, v5, v2
	v_add_co_ci_u32_e32 v3, vcc_lo, v6, v3, vcc_lo
	v_add_co_u32 v2, vcc_lo, v7, v2
	s_delay_alu instid0(VALU_DEP_2)
	v_add_co_ci_u32_e32 v3, vcc_lo, v8, v3, vcc_lo
	ds_load_2addr_b64 v[5:8], v4 offset0:24 offset1:28
	s_waitcnt lgkmcnt(2)
	v_add_co_u32 v2, vcc_lo, v21, v2
	v_add_co_ci_u32_e32 v3, vcc_lo, v22, v3, vcc_lo
	v_add_nc_u32_e32 v4, 0x100, v4
	s_delay_alu instid0(VALU_DEP_3) | instskip(NEXT) | instid1(VALU_DEP_3)
	v_add_co_u32 v2, vcc_lo, v23, v2
	v_add_co_ci_u32_e32 v3, vcc_lo, v24, v3, vcc_lo
	s_waitcnt lgkmcnt(1)
	s_delay_alu instid0(VALU_DEP_2) | instskip(NEXT) | instid1(VALU_DEP_2)
	v_add_co_u32 v2, vcc_lo, v33, v2
	v_add_co_ci_u32_e32 v3, vcc_lo, v34, v3, vcc_lo
	s_delay_alu instid0(VALU_DEP_2) | instskip(NEXT) | instid1(VALU_DEP_2)
	v_add_co_u32 v2, vcc_lo, v35, v2
	v_add_co_ci_u32_e32 v3, vcc_lo, v36, v3, vcc_lo
	s_waitcnt lgkmcnt(0)
	s_delay_alu instid0(VALU_DEP_2) | instskip(NEXT) | instid1(VALU_DEP_2)
	v_add_co_u32 v2, vcc_lo, v5, v2
	v_add_co_ci_u32_e32 v3, vcc_lo, v6, v3, vcc_lo
	s_delay_alu instid0(VALU_DEP_2) | instskip(NEXT) | instid1(VALU_DEP_2)
	v_add_co_u32 v2, vcc_lo, v7, v2
	v_add_co_ci_u32_e32 v3, vcc_lo, v8, v3, vcc_lo
	s_cbranch_scc0 .LBB195_78
; %bb.79:                               ;   in Loop: Header=BB195_12 Depth=1
	s_set_inst_prefetch_distance 0x2
	s_mov_b32 s9, s79
	s_and_not1_b32 vcc_lo, exec_lo, s81
	s_cbranch_vccz .LBB195_82
	s_branch .LBB195_84
.LBB195_80:                             ;   in Loop: Header=BB195_12 Depth=1
                                        ; implicit-def: $vgpr2_vgpr3
	s_branch .LBB195_48
.LBB195_81:                             ;   in Loop: Header=BB195_12 Depth=1
	s_mov_b32 s9, 0
	s_and_not1_b32 vcc_lo, exec_lo, s81
	s_cbranch_vccnz .LBB195_84
.LBB195_82:                             ;   in Loop: Header=BB195_12 Depth=1
	s_lshl_b32 s10, s85, 10
	s_lshl_b32 s9, s9, 5
	s_delay_alu instid0(SALU_CYCLE_1)
	v_add3_u32 v4, s10, s9, v30
	s_mov_b32 s9, s77
.LBB195_83:                             ;   Parent Loop BB195_12 Depth=1
                                        ; =>  This Inner Loop Header: Depth=2
	ds_load_b64 v[5:6], v4
	v_add_nc_u32_e32 v4, 32, v4
	s_add_i32 s9, s9, -1
	s_delay_alu instid0(SALU_CYCLE_1)
	s_cmp_lg_u32 s9, 0
	s_waitcnt lgkmcnt(0)
	v_add_co_u32 v2, vcc_lo, v5, v2
	v_add_co_ci_u32_e32 v3, vcc_lo, v6, v3, vcc_lo
	s_cbranch_scc1 .LBB195_83
.LBB195_84:                             ;   in Loop: Header=BB195_12 Depth=1
	v_add_lshl_u32 v4, s7, v26, 3
	ds_store_b64 v4, v[2:3] offset:3072
.LBB195_85:                             ;   in Loop: Header=BB195_12 Depth=1
	s_or_b32 exec_lo, exec_lo, s8
	s_lshl_b32 s7, s7, 3
	s_waitcnt lgkmcnt(0)
	v_mov_b32_e32 v6, s7
	s_barrier
	buffer_gl0_inv
	s_and_b32 s22, s89, 0xfe
	v_cmp_eq_u64_e64 s7, 1, v[19:20]
	ds_load_b128 v[2:5], v6 offset:3072
	ds_load_b128 v[6:9], v6 offset:3088
	s_lshl_b32 s20, 3, s22
	s_and_not1_b32 vcc_lo, exec_lo, s53
	s_not_b32 s21, s20
	s_waitcnt lgkmcnt(1)
	v_readfirstlane_b32 s11, v3
	v_readfirstlane_b32 s10, v2
	;; [unrolled: 1-line block ×4, first 2 shown]
	s_waitcnt lgkmcnt(0)
	v_readfirstlane_b32 s15, v7
	v_readfirstlane_b32 s14, v6
	;; [unrolled: 1-line block ×4, first 2 shown]
	s_cbranch_vccnz .LBB195_101
; %bb.86:                               ;   in Loop: Header=BB195_12 Depth=1
	s_cmp_eq_u64 s[10:11], 1
	v_dual_mov_b32 v21, v32 :: v_dual_mov_b32 v22, v31
	v_mov_b32_e32 v5, v18
	s_cselect_b32 s8, -1, 0
                                        ; implicit-def: $sgpr23
                                        ; implicit-def: $sgpr62
                                        ; implicit-def: $sgpr58
	s_delay_alu instid0(SALU_CYCLE_1)
	s_and_b32 s65, s8, s7
	s_mov_b32 s8, -1
	s_and_saveexec_b32 s24, s65
	s_cbranch_execz .LBB195_120
; %bb.87:                               ;   in Loop: Header=BB195_12 Depth=1
	ds_load_b64 v[2:3], v13 offset:5120
	s_waitcnt lgkmcnt(0)
	s_barrier
	buffer_gl0_inv
	v_readfirstlane_b32 s18, v2
	v_readfirstlane_b32 s19, v3
	s_and_saveexec_b32 s8, s6
	s_cbranch_execz .LBB195_89
; %bb.88:                               ;   in Loop: Header=BB195_12 Depth=1
	ds_store_b32 v28, v13
.LBB195_89:                             ;   in Loop: Header=BB195_12 Depth=1
	s_or_b32 exec_lo, exec_lo, s8
	v_and_b32_e32 v21, s21, v32
	v_or_b32_e32 v22, s20, v31
	s_cmp_eq_u64 s[18:19], 0
	s_waitcnt lgkmcnt(0)
	s_barrier
	buffer_gl0_inv
	s_cbranch_scc1 .LBB195_103
; %bb.90:                               ;   in Loop: Header=BB195_12 Depth=1
	s_add_u32 s23, s74, s18
	s_addc_u32 s9, s75, s19
	s_mov_b32 s8, s59
	s_delay_alu instid0(SALU_CYCLE_1)
	s_cmp_lg_u64 s[8:9], 0
	s_cbranch_scc0 .LBB195_147
; %bb.91:                               ;   in Loop: Header=BB195_12 Depth=1
	v_cvt_f32_u32_e32 v2, s49
	s_sub_u32 s26, 0, s49
	s_subb_u32 s54, 0, 0
	s_delay_alu instid0(VALU_DEP_1) | instskip(NEXT) | instid1(VALU_DEP_1)
	v_fmac_f32_e64 v2, 0, 0x4f800000
	v_rcp_f32_e32 v2, v2
	s_waitcnt_depctr 0xfff
	v_mul_f32_e32 v2, 0x5f7ffffc, v2
	s_delay_alu instid0(VALU_DEP_1) | instskip(NEXT) | instid1(VALU_DEP_1)
	v_mul_f32_e32 v3, 0x2f800000, v2
	v_trunc_f32_e32 v3, v3
	s_delay_alu instid0(VALU_DEP_1) | instskip(SKIP_1) | instid1(VALU_DEP_2)
	v_fmac_f32_e32 v2, 0xcf800000, v3
	v_cvt_u32_f32_e32 v3, v3
	v_cvt_u32_f32_e32 v2, v2
	s_delay_alu instid0(VALU_DEP_2) | instskip(NEXT) | instid1(VALU_DEP_2)
	v_readfirstlane_b32 s8, v3
	v_readfirstlane_b32 s25, v2
	s_delay_alu instid0(VALU_DEP_2) | instskip(NEXT) | instid1(VALU_DEP_1)
	s_mul_i32 s55, s26, s8
	s_mul_hi_u32 s62, s26, s25
	s_mul_i32 s58, s54, s25
	s_add_i32 s55, s62, s55
	s_mul_i32 s63, s26, s25
	s_add_i32 s55, s55, s58
	s_mul_hi_u32 s62, s25, s63
	s_mul_hi_u32 s64, s8, s63
	s_mul_i32 s58, s8, s63
	s_mul_hi_u32 s63, s25, s55
	s_mul_i32 s25, s25, s55
	s_mul_hi_u32 s66, s8, s55
	s_add_u32 s25, s62, s25
	s_addc_u32 s62, 0, s63
	s_add_u32 s25, s25, s58
	s_mul_i32 s55, s8, s55
	s_addc_u32 s25, s62, s64
	s_addc_u32 s58, s66, 0
	s_add_u32 s25, s25, s55
	s_addc_u32 s55, 0, s58
	v_add_co_u32 v2, s25, v2, s25
	s_delay_alu instid0(VALU_DEP_1) | instskip(SKIP_1) | instid1(VALU_DEP_1)
	s_cmp_lg_u32 s25, 0
	s_addc_u32 s8, s8, s55
	v_readfirstlane_b32 s25, v2
	s_mul_i32 s55, s26, s8
	s_delay_alu instid0(VALU_DEP_1)
	s_mul_hi_u32 s58, s26, s25
	s_mul_i32 s54, s54, s25
	s_add_i32 s55, s58, s55
	s_mul_i32 s26, s26, s25
	s_add_i32 s55, s55, s54
	s_mul_hi_u32 s58, s8, s26
	s_mul_i32 s62, s8, s26
	s_mul_hi_u32 s26, s25, s26
	s_mul_hi_u32 s63, s25, s55
	s_mul_i32 s25, s25, s55
	s_mul_hi_u32 s54, s8, s55
	s_add_u32 s25, s26, s25
	s_addc_u32 s26, 0, s63
	s_add_u32 s25, s25, s62
	s_mul_i32 s55, s8, s55
	s_addc_u32 s25, s26, s58
	s_addc_u32 s26, s54, 0
	s_add_u32 s25, s25, s55
	s_addc_u32 s26, 0, s26
	v_add_co_u32 v2, s25, v2, s25
	s_delay_alu instid0(VALU_DEP_1) | instskip(SKIP_1) | instid1(VALU_DEP_1)
	s_cmp_lg_u32 s25, 0
	s_addc_u32 s8, s8, s26
	v_readfirstlane_b32 s25, v2
	s_mul_i32 s54, s23, s8
	s_mul_hi_u32 s26, s23, s8
	s_mul_hi_u32 s55, s9, s8
	s_mul_i32 s8, s9, s8
	s_mul_hi_u32 s58, s23, s25
	s_mul_hi_u32 s62, s9, s25
	s_mul_i32 s25, s9, s25
	s_add_u32 s54, s58, s54
	s_addc_u32 s26, 0, s26
	s_add_u32 s25, s54, s25
	s_addc_u32 s25, s26, s62
	s_addc_u32 s26, s55, 0
	s_add_u32 s8, s25, s8
	s_addc_u32 s25, 0, s26
	s_mul_hi_u32 s26, s49, s8
	s_mul_i32 s8, s49, s8
	s_mul_i32 s25, s49, s25
	v_sub_co_u32 v2, s8, s23, s8
	s_add_i32 s26, s26, s25
	s_cmp_lg_u32 s8, 0
	s_delay_alu instid0(VALU_DEP_1) | instskip(SKIP_2) | instid1(VALU_DEP_1)
	v_sub_co_u32 v3, s8, v2, s49
	s_subb_u32 s25, s9, s26
	s_cmp_lg_u32 s8, 0
	v_cmp_le_u32_e32 vcc_lo, s49, v3
	v_sub_co_u32 v4, s8, v3, s49
	s_subb_u32 s26, s25, 0
	s_cmp_lg_u32 s8, 0
	v_cndmask_b32_e64 v5, 0, -1, vcc_lo
	s_subb_u32 s8, s26, 0
	s_cmp_eq_u32 s26, 0
	v_mov_b32_e32 v7, s8
	s_cselect_b32 vcc_lo, -1, 0
	s_cmp_eq_u32 s25, 0
	v_cndmask_b32_e32 v5, -1, v5, vcc_lo
	v_cmp_le_u32_e32 vcc_lo, s49, v2
	s_cselect_b32 s8, -1, 0
	v_cndmask_b32_e64 v6, 0, -1, vcc_lo
	s_delay_alu instid0(VALU_DEP_3) | instskip(NEXT) | instid1(VALU_DEP_2)
	v_cmp_ne_u32_e32 vcc_lo, 0, v5
	v_cndmask_b32_e64 v5, -1, v6, s8
	v_cndmask_b32_e32 v6, s26, v7, vcc_lo
	v_cndmask_b32_e32 v4, v3, v4, vcc_lo
	s_delay_alu instid0(VALU_DEP_3) | instskip(NEXT) | instid1(VALU_DEP_3)
	v_cmp_ne_u32_e32 vcc_lo, 0, v5
	v_cndmask_b32_e32 v3, s25, v6, vcc_lo
	s_delay_alu instid0(VALU_DEP_3)
	v_cndmask_b32_e32 v2, v2, v4, vcc_lo
	s_cbranch_execnz .LBB195_93
.LBB195_92:                             ;   in Loop: Header=BB195_12 Depth=1
	v_cvt_f32_u32_e32 v2, s49
	s_sub_i32 s8, 0, s49
	s_delay_alu instid0(VALU_DEP_1) | instskip(SKIP_2) | instid1(VALU_DEP_1)
	v_rcp_iflag_f32_e32 v2, v2
	s_waitcnt_depctr 0xfff
	v_mul_f32_e32 v2, 0x4f7ffffe, v2
	v_cvt_u32_f32_e32 v2, v2
	s_delay_alu instid0(VALU_DEP_1) | instskip(NEXT) | instid1(VALU_DEP_1)
	v_mul_lo_u32 v3, s8, v2
	v_mul_hi_u32 v3, v2, v3
	s_delay_alu instid0(VALU_DEP_1) | instskip(NEXT) | instid1(VALU_DEP_1)
	v_add_nc_u32_e32 v2, v2, v3
	v_mul_hi_u32 v2, s23, v2
	s_delay_alu instid0(VALU_DEP_1) | instskip(NEXT) | instid1(VALU_DEP_1)
	v_mul_lo_u32 v2, v2, s49
	v_sub_nc_u32_e32 v2, s23, v2
	s_delay_alu instid0(VALU_DEP_1) | instskip(SKIP_1) | instid1(VALU_DEP_2)
	v_subrev_nc_u32_e32 v3, s49, v2
	v_cmp_le_u32_e32 vcc_lo, s49, v2
	v_cndmask_b32_e32 v2, v2, v3, vcc_lo
	s_delay_alu instid0(VALU_DEP_1) | instskip(SKIP_1) | instid1(VALU_DEP_2)
	v_subrev_nc_u32_e32 v3, s49, v2
	v_cmp_le_u32_e32 vcc_lo, s49, v2
	v_cndmask_b32_e32 v12, v2, v3, vcc_lo
	s_delay_alu instid0(VALU_DEP_1)
	v_dual_mov_b32 v2, v12 :: v_dual_mov_b32 v3, v13
.LBB195_93:                             ;   in Loop: Header=BB195_12 Depth=1
	s_delay_alu instid0(VALU_DEP_1) | instskip(NEXT) | instid1(VALU_DEP_2)
	v_sub_co_u32 v2, vcc_lo, s23, v2
	v_sub_co_ci_u32_e32 v3, vcc_lo, s9, v3, vcc_lo
	s_mov_b32 s8, 0
	s_mov_b32 s9, exec_lo
                                        ; implicit-def: $vgpr5
	s_delay_alu instid0(VALU_DEP_1)
	v_cmpx_gt_u64_e64 v[2:3], v[0:1]
	s_cbranch_execz .LBB195_105
; %bb.94:                               ;   in Loop: Header=BB195_12 Depth=1
	v_dual_mov_b32 v8, v14 :: v_dual_mov_b32 v7, v1
	v_mov_b32_e32 v6, v0
	s_mov_b32 s23, 0
                                        ; implicit-def: $sgpr25
	s_set_inst_prefetch_distance 0x1
	s_branch .LBB195_96
	.p2align	6
.LBB195_95:                             ;   in Loop: Header=BB195_96 Depth=2
	s_or_b32 exec_lo, exec_lo, s8
	s_waitcnt lgkmcnt(0)
	s_barrier
	buffer_gl0_inv
	ds_load_b64 v[4:5], v13 offset:3072
	v_add_co_u32 v6, vcc_lo, v6, s49
	v_add_co_ci_u32_e32 v7, vcc_lo, 0, v7, vcc_lo
	v_add_nc_u32_e32 v8, s82, v8
	s_waitcnt lgkmcnt(0)
	s_barrier
	s_delay_alu instid0(VALU_DEP_2) | instskip(SKIP_2) | instid1(VALU_DEP_1)
	v_cmp_ge_u64_e32 vcc_lo, v[6:7], v[2:3]
	buffer_gl0_inv
	v_cmp_neq_f32_e64 s8, 0, v4
	s_or_b32 s26, vcc_lo, s8
	s_delay_alu instid0(SALU_CYCLE_1) | instskip(NEXT) | instid1(SALU_CYCLE_1)
	s_and_b32 s26, exec_lo, s26
	s_or_b32 s23, s26, s23
	s_and_not1_b32 s25, s25, exec_lo
	s_and_b32 s8, s8, exec_lo
	s_delay_alu instid0(SALU_CYCLE_1)
	s_or_b32 s25, s25, s8
	s_and_not1_b32 exec_lo, exec_lo, s23
	s_cbranch_execz .LBB195_104
.LBB195_96:                             ;   Parent Loop BB195_12 Depth=1
                                        ; =>  This Inner Loop Header: Depth=2
	s_delay_alu instid0(VALU_DEP_1)
	v_cmp_gt_u64_e32 vcc_lo, s[18:19], v[6:7]
	v_mov_b32_e32 v17, 0
	s_and_saveexec_b32 s8, vcc_lo
	s_cbranch_execz .LBB195_98
; %bb.97:                               ;   in Loop: Header=BB195_96 Depth=2
	ds_load_b32 v17, v8
.LBB195_98:                             ;   in Loop: Header=BB195_96 Depth=2
	s_or_b32 exec_lo, exec_lo, s8
	s_and_saveexec_b32 s8, vcc_lo
	s_cbranch_execz .LBB195_95
; %bb.99:                               ;   in Loop: Header=BB195_96 Depth=2
	s_waitcnt lgkmcnt(0)
	v_cmp_lt_i32_e32 vcc_lo, -1, v17
	v_cndmask_b32_e64 v4, -1, 0x80000000, vcc_lo
	v_cmp_o_f32_e32 vcc_lo, v17, v17
	s_delay_alu instid0(VALU_DEP_2) | instskip(NEXT) | instid1(VALU_DEP_1)
	v_xor_b32_e32 v4, v4, v17
	v_cndmask_b32_e32 v4, -1, v4, vcc_lo
	s_delay_alu instid0(VALU_DEP_1) | instskip(NEXT) | instid1(VALU_DEP_1)
	v_and_b32_e32 v4, v4, v22
	v_cmp_eq_u32_e32 vcc_lo, v4, v21
	s_and_b32 exec_lo, exec_lo, vcc_lo
	s_cbranch_execz .LBB195_95
; %bb.100:                              ;   in Loop: Header=BB195_96 Depth=2
	ds_store_b64 v13, v[16:17] offset:3072
	s_branch .LBB195_95
.LBB195_101:                            ;   in Loop: Header=BB195_12 Depth=1
	s_mov_b32 s25, 0
	s_mov_b32 s24, 0
                                        ; implicit-def: $sgpr58
                                        ; implicit-def: $sgpr62
                                        ; implicit-def: $sgpr23
                                        ; implicit-def: $vgpr8
                                        ; implicit-def: $vgpr2_vgpr3
                                        ; implicit-def: $vgpr21
                                        ; implicit-def: $vgpr22
                                        ; implicit-def: $vgpr5
	s_cbranch_execnz .LBB195_284
.LBB195_102:                            ;   in Loop: Header=BB195_12 Depth=1
	s_mov_b32 s18, s23
	s_mov_b32 s19, s23
	s_and_saveexec_b32 s7, s25
	s_cbranch_execnz .LBB195_480
	s_branch .LBB195_481
.LBB195_103:                            ;   in Loop: Header=BB195_12 Depth=1
	s_mov_b32 s23, -1
	s_mov_b32 s8, 0
                                        ; implicit-def: $sgpr58
                                        ; implicit-def: $vgpr5
	s_mov_b32 s62, s23
	s_cbranch_execnz .LBB195_106
	s_branch .LBB195_119
.LBB195_104:                            ;   in Loop: Header=BB195_12 Depth=1
	s_set_inst_prefetch_distance 0x2
	s_or_b32 exec_lo, exec_lo, s23
	s_delay_alu instid0(SALU_CYCLE_1)
	s_and_b32 s8, s25, exec_lo
.LBB195_105:                            ;   in Loop: Header=BB195_12 Depth=1
	s_or_b32 exec_lo, exec_lo, s9
	s_mov_b32 s58, -1
	s_mov_b32 s23, 0
	s_delay_alu instid0(SALU_CYCLE_1)
	s_mov_b32 s62, s23
	s_branch .LBB195_119
.LBB195_106:                            ;   in Loop: Header=BB195_12 Depth=1
	s_mov_b32 s26, s59
	s_delay_alu instid0(SALU_CYCLE_1)
	s_cmp_lg_u64 s[26:27], 0
	s_cbranch_scc0 .LBB195_148
; %bb.107:                              ;   in Loop: Header=BB195_12 Depth=1
	v_cvt_f32_u32_e32 v2, s49
	s_sub_u32 s18, 0, s49
	s_subb_u32 s19, 0, 0
	s_delay_alu instid0(VALU_DEP_1) | instskip(NEXT) | instid1(VALU_DEP_1)
	v_fmac_f32_e64 v2, 0, 0x4f800000
	v_rcp_f32_e32 v2, v2
	s_waitcnt_depctr 0xfff
	v_mul_f32_e32 v2, 0x5f7ffffc, v2
	s_delay_alu instid0(VALU_DEP_1) | instskip(NEXT) | instid1(VALU_DEP_1)
	v_mul_f32_e32 v3, 0x2f800000, v2
	v_trunc_f32_e32 v3, v3
	s_delay_alu instid0(VALU_DEP_1) | instskip(SKIP_1) | instid1(VALU_DEP_2)
	v_fmac_f32_e32 v2, 0xcf800000, v3
	v_cvt_u32_f32_e32 v3, v3
	v_cvt_u32_f32_e32 v2, v2
	s_delay_alu instid0(VALU_DEP_2) | instskip(NEXT) | instid1(VALU_DEP_2)
	v_readfirstlane_b32 s8, v3
	v_readfirstlane_b32 s9, v2
	s_delay_alu instid0(VALU_DEP_2) | instskip(NEXT) | instid1(VALU_DEP_1)
	s_mul_i32 s23, s18, s8
	s_mul_hi_u32 s26, s18, s9
	s_mul_i32 s25, s19, s9
	s_add_i32 s23, s26, s23
	s_mul_i32 s54, s18, s9
	s_add_i32 s23, s23, s25
	s_mul_hi_u32 s26, s9, s54
	s_mul_hi_u32 s55, s8, s54
	s_mul_i32 s25, s8, s54
	s_mul_hi_u32 s54, s9, s23
	s_mul_i32 s9, s9, s23
	s_mul_hi_u32 s58, s8, s23
	s_add_u32 s9, s26, s9
	s_addc_u32 s26, 0, s54
	s_add_u32 s9, s9, s25
	s_mul_i32 s23, s8, s23
	s_addc_u32 s9, s26, s55
	s_addc_u32 s25, s58, 0
	s_add_u32 s9, s9, s23
	s_addc_u32 s23, 0, s25
	v_add_co_u32 v2, s9, v2, s9
	s_delay_alu instid0(VALU_DEP_1) | instskip(SKIP_1) | instid1(VALU_DEP_1)
	s_cmp_lg_u32 s9, 0
	s_addc_u32 s8, s8, s23
	v_readfirstlane_b32 s9, v2
	s_mul_i32 s23, s18, s8
	s_delay_alu instid0(VALU_DEP_1)
	s_mul_hi_u32 s25, s18, s9
	s_mul_i32 s19, s19, s9
	s_add_i32 s23, s25, s23
	s_mul_i32 s18, s18, s9
	s_add_i32 s23, s23, s19
	s_mul_hi_u32 s25, s8, s18
	s_mul_i32 s26, s8, s18
	s_mul_hi_u32 s18, s9, s18
	s_mul_hi_u32 s54, s9, s23
	s_mul_i32 s9, s9, s23
	s_mul_hi_u32 s19, s8, s23
	s_add_u32 s9, s18, s9
	s_addc_u32 s18, 0, s54
	s_add_u32 s9, s9, s26
	s_mul_i32 s23, s8, s23
	s_addc_u32 s9, s18, s25
	s_addc_u32 s18, s19, 0
	s_add_u32 s9, s9, s23
	s_addc_u32 s18, 0, s18
	v_add_co_u32 v2, s9, v2, s9
	s_delay_alu instid0(VALU_DEP_1) | instskip(SKIP_1) | instid1(VALU_DEP_1)
	s_cmp_lg_u32 s9, 0
	s_addc_u32 s8, s8, s18
	v_readfirstlane_b32 s9, v2
	s_mul_i32 s19, s76, s8
	s_mul_hi_u32 s18, s76, s8
	s_mul_hi_u32 s23, s27, s8
	s_mul_i32 s8, s27, s8
	s_mul_hi_u32 s25, s76, s9
	s_mul_hi_u32 s26, s27, s9
	s_mul_i32 s9, s27, s9
	s_add_u32 s19, s25, s19
	s_addc_u32 s18, 0, s18
	s_add_u32 s9, s19, s9
	s_addc_u32 s9, s18, s26
	s_addc_u32 s18, s23, 0
	s_add_u32 s8, s9, s8
	s_addc_u32 s9, 0, s18
	s_mul_hi_u32 s18, s49, s8
	s_mul_i32 s8, s49, s8
	s_mul_i32 s9, s49, s9
	v_sub_co_u32 v2, s8, s76, s8
	s_add_i32 s18, s18, s9
	s_cmp_lg_u32 s8, 0
	s_delay_alu instid0(VALU_DEP_1) | instskip(SKIP_2) | instid1(VALU_DEP_1)
	v_sub_co_u32 v3, s8, v2, s49
	s_subb_u32 s9, s27, s18
	s_cmp_lg_u32 s8, 0
	v_cmp_le_u32_e32 vcc_lo, s49, v3
	v_sub_co_u32 v4, s8, v3, s49
	s_subb_u32 s18, s9, 0
	s_cmp_lg_u32 s8, 0
	v_cndmask_b32_e64 v5, 0, -1, vcc_lo
	s_subb_u32 s8, s18, 0
	s_cmp_eq_u32 s18, 0
	v_mov_b32_e32 v7, s8
	s_cselect_b32 vcc_lo, -1, 0
	s_cmp_eq_u32 s9, 0
	v_cndmask_b32_e32 v5, -1, v5, vcc_lo
	v_cmp_le_u32_e32 vcc_lo, s49, v2
	s_cselect_b32 s8, -1, 0
	v_cndmask_b32_e64 v6, 0, -1, vcc_lo
	s_delay_alu instid0(VALU_DEP_3) | instskip(NEXT) | instid1(VALU_DEP_2)
	v_cmp_ne_u32_e32 vcc_lo, 0, v5
	v_cndmask_b32_e64 v5, -1, v6, s8
	v_cndmask_b32_e32 v6, s18, v7, vcc_lo
	v_cndmask_b32_e32 v4, v3, v4, vcc_lo
	s_delay_alu instid0(VALU_DEP_3) | instskip(NEXT) | instid1(VALU_DEP_3)
	v_cmp_ne_u32_e32 vcc_lo, 0, v5
	v_cndmask_b32_e32 v3, s9, v6, vcc_lo
	s_delay_alu instid0(VALU_DEP_3)
	v_cndmask_b32_e32 v2, v2, v4, vcc_lo
	s_cbranch_execnz .LBB195_109
.LBB195_108:                            ;   in Loop: Header=BB195_12 Depth=1
	v_cvt_f32_u32_e32 v2, s49
	s_sub_i32 s8, 0, s49
	s_delay_alu instid0(VALU_DEP_1) | instskip(SKIP_2) | instid1(VALU_DEP_1)
	v_rcp_iflag_f32_e32 v2, v2
	s_waitcnt_depctr 0xfff
	v_mul_f32_e32 v2, 0x4f7ffffe, v2
	v_cvt_u32_f32_e32 v2, v2
	s_delay_alu instid0(VALU_DEP_1) | instskip(NEXT) | instid1(VALU_DEP_1)
	v_mul_lo_u32 v3, s8, v2
	v_mul_hi_u32 v3, v2, v3
	s_delay_alu instid0(VALU_DEP_1) | instskip(NEXT) | instid1(VALU_DEP_1)
	v_add_nc_u32_e32 v2, v2, v3
	v_mul_hi_u32 v2, s76, v2
	s_delay_alu instid0(VALU_DEP_1) | instskip(NEXT) | instid1(VALU_DEP_1)
	v_mul_lo_u32 v2, v2, s49
	v_sub_nc_u32_e32 v2, s76, v2
	s_delay_alu instid0(VALU_DEP_1) | instskip(SKIP_1) | instid1(VALU_DEP_2)
	v_subrev_nc_u32_e32 v3, s49, v2
	v_cmp_le_u32_e32 vcc_lo, s49, v2
	v_cndmask_b32_e32 v2, v2, v3, vcc_lo
	s_delay_alu instid0(VALU_DEP_1) | instskip(SKIP_1) | instid1(VALU_DEP_2)
	v_subrev_nc_u32_e32 v3, s49, v2
	v_cmp_le_u32_e32 vcc_lo, s49, v2
	v_cndmask_b32_e32 v12, v2, v3, vcc_lo
	s_delay_alu instid0(VALU_DEP_1)
	v_dual_mov_b32 v2, v12 :: v_dual_mov_b32 v3, v13
.LBB195_109:                            ;   in Loop: Header=BB195_12 Depth=1
	s_delay_alu instid0(VALU_DEP_1) | instskip(NEXT) | instid1(VALU_DEP_2)
	v_sub_co_u32 v2, vcc_lo, s76, v2
	v_sub_co_ci_u32_e32 v3, vcc_lo, s27, v3, vcc_lo
	s_mov_b32 s8, 0
	s_mov_b32 s9, exec_lo
                                        ; implicit-def: $vgpr5
	s_delay_alu instid0(VALU_DEP_1)
	v_cmpx_gt_u64_e64 v[2:3], v[0:1]
	s_cbranch_execz .LBB195_118
; %bb.110:                              ;   in Loop: Header=BB195_12 Depth=1
	v_dual_mov_b32 v7, v1 :: v_dual_mov_b32 v6, v0
	s_mov_b32 s18, 0
                                        ; implicit-def: $sgpr19
	s_branch .LBB195_112
.LBB195_111:                            ;   in Loop: Header=BB195_112 Depth=2
	s_or_b32 exec_lo, exec_lo, s8
	s_waitcnt vmcnt(0) lgkmcnt(0)
	s_barrier
	buffer_gl0_inv
	ds_load_b64 v[4:5], v13 offset:3072
	v_add_co_u32 v6, vcc_lo, v6, s49
	v_add_co_ci_u32_e32 v7, vcc_lo, 0, v7, vcc_lo
	s_waitcnt lgkmcnt(0)
	s_barrier
	buffer_gl0_inv
	v_cmp_ge_u64_e32 vcc_lo, v[6:7], v[2:3]
	v_cmp_neq_f32_e64 s8, 0, v4
	s_delay_alu instid0(VALU_DEP_1) | instskip(NEXT) | instid1(SALU_CYCLE_1)
	s_or_b32 s23, vcc_lo, s8
	s_and_b32 s23, exec_lo, s23
	s_delay_alu instid0(SALU_CYCLE_1) | instskip(SKIP_2) | instid1(SALU_CYCLE_1)
	s_or_b32 s18, s23, s18
	s_and_not1_b32 s19, s19, exec_lo
	s_and_b32 s8, s8, exec_lo
	s_or_b32 s19, s19, s8
	s_and_not1_b32 exec_lo, exec_lo, s18
	s_cbranch_execz .LBB195_117
.LBB195_112:                            ;   Parent Loop BB195_12 Depth=1
                                        ; =>  This Inner Loop Header: Depth=2
	s_delay_alu instid0(VALU_DEP_1)
	v_cmp_gt_u64_e32 vcc_lo, s[36:37], v[6:7]
	v_mov_b32_e32 v17, 0
	s_and_saveexec_b32 s23, vcc_lo
	s_cbranch_execz .LBB195_114
; %bb.113:                              ;   in Loop: Header=BB195_112 Depth=2
	v_mul_lo_u32 v8, v7, s30
	v_mul_lo_u32 v9, v6, s31
	v_mad_u64_u32 v[4:5], null, v6, s30, 0
	s_delay_alu instid0(VALU_DEP_1) | instskip(NEXT) | instid1(VALU_DEP_1)
	v_add3_u32 v5, v5, v9, v8
	v_lshlrev_b64 v[4:5], 2, v[4:5]
	s_delay_alu instid0(VALU_DEP_1) | instskip(NEXT) | instid1(VALU_DEP_1)
	v_add_co_u32 v4, s8, s33, v4
	v_add_co_ci_u32_e64 v5, s8, s35, v5, s8
	global_load_b32 v17, v[4:5], off
.LBB195_114:                            ;   in Loop: Header=BB195_112 Depth=2
	s_or_b32 exec_lo, exec_lo, s23
	s_and_saveexec_b32 s8, vcc_lo
	s_cbranch_execz .LBB195_111
; %bb.115:                              ;   in Loop: Header=BB195_112 Depth=2
	s_waitcnt vmcnt(0)
	v_cmp_lt_i32_e32 vcc_lo, -1, v17
	v_cndmask_b32_e64 v4, -1, 0x80000000, vcc_lo
	v_cmp_o_f32_e32 vcc_lo, v17, v17
	s_delay_alu instid0(VALU_DEP_2) | instskip(NEXT) | instid1(VALU_DEP_1)
	v_xor_b32_e32 v4, v4, v17
	v_cndmask_b32_e32 v4, -1, v4, vcc_lo
	s_delay_alu instid0(VALU_DEP_1) | instskip(NEXT) | instid1(VALU_DEP_1)
	v_and_b32_e32 v4, v4, v22
	v_cmp_eq_u32_e32 vcc_lo, v4, v21
	s_and_b32 exec_lo, exec_lo, vcc_lo
	s_cbranch_execz .LBB195_111
; %bb.116:                              ;   in Loop: Header=BB195_112 Depth=2
	ds_store_b64 v13, v[16:17] offset:3072
	s_branch .LBB195_111
.LBB195_117:                            ;   in Loop: Header=BB195_12 Depth=1
	s_or_b32 exec_lo, exec_lo, s18
	s_delay_alu instid0(SALU_CYCLE_1)
	s_and_b32 s8, s19, exec_lo
.LBB195_118:                            ;   in Loop: Header=BB195_12 Depth=1
	s_or_b32 exec_lo, exec_lo, s9
	s_mov_b32 s62, -1
	s_mov_b32 s23, 0
	s_mov_b32 s58, 0
.LBB195_119:                            ;   in Loop: Header=BB195_12 Depth=1
	s_or_not1_b32 s8, s8, exec_lo
.LBB195_120:                            ;   in Loop: Header=BB195_12 Depth=1
	s_or_b32 exec_lo, exec_lo, s24
	s_mov_b32 s63, 0
	s_mov_b32 s25, 0
	;; [unrolled: 1-line block ×3, first 2 shown]
                                        ; implicit-def: $vgpr8
                                        ; implicit-def: $vgpr2_vgpr3
	s_and_saveexec_b32 s64, s8
	s_cbranch_execz .LBB195_283
; %bb.121:                              ;   in Loop: Header=BB195_12 Depth=1
	v_mov_b32_e32 v2, 1
	v_dual_mov_b32 v3, 0 :: v_dual_mov_b32 v8, 1
	s_xor_b32 s9, s65, -1
	s_delay_alu instid0(SALU_CYCLE_1)
	s_and_saveexec_b32 s8, s9
	s_cbranch_execz .LBB195_131
; %bb.122:                              ;   in Loop: Header=BB195_12 Depth=1
	s_mov_b32 s18, exec_lo
                                        ; implicit-def: $sgpr19
                                        ; implicit-def: $sgpr9
	v_cmpx_ge_u64_e64 s[10:11], v[19:20]
	s_xor_b32 s18, exec_lo, s18
	s_cbranch_execz .LBB195_128
; %bb.123:                              ;   in Loop: Header=BB195_12 Depth=1
	ds_load_b64 v[2:3], v13 offset:5120
	s_waitcnt lgkmcnt(0)
	v_cmp_ne_u64_e32 vcc_lo, 0, v[2:3]
	s_cbranch_vccnz .LBB195_127
; %bb.124:                              ;   in Loop: Header=BB195_12 Depth=1
	s_and_saveexec_b32 s9, s5
	s_cbranch_execz .LBB195_126
; %bb.125:                              ;   in Loop: Header=BB195_12 Depth=1
	v_dual_mov_b32 v2, s10 :: v_dual_mov_b32 v3, s11
	ds_store_b64 v13, v[2:3] offset:5128
.LBB195_126:                            ;   in Loop: Header=BB195_12 Depth=1
	s_or_b32 exec_lo, exec_lo, s9
	s_waitcnt lgkmcnt(0)
	s_barrier
	buffer_gl0_inv
.LBB195_127:                            ;   in Loop: Header=BB195_12 Depth=1
	v_and_b32_e32 v21, s21, v21
	v_or_b32_e32 v22, s20, v22
	s_mov_b32 s9, 0
	s_mov_b32 s19, 8
.LBB195_128:                            ;   in Loop: Header=BB195_12 Depth=1
	s_or_saveexec_b32 s18, s18
	v_mov_b32_e32 v2, v19
	v_dual_mov_b32 v8, s19 :: v_dual_mov_b32 v3, v20
	s_xor_b32 exec_lo, exec_lo, s18
; %bb.129:                              ;   in Loop: Header=BB195_12 Depth=1
	v_sub_co_u32 v2, vcc_lo, v19, s10
	v_subrev_co_ci_u32_e32 v3, vcc_lo, s11, v20, vcc_lo
	v_mov_b32_e32 v8, 0
	s_or_b32 s9, s9, exec_lo
; %bb.130:                              ;   in Loop: Header=BB195_12 Depth=1
	s_or_b32 exec_lo, exec_lo, s18
	s_delay_alu instid0(SALU_CYCLE_1)
	s_and_b32 s24, s9, exec_lo
.LBB195_131:                            ;   in Loop: Header=BB195_12 Depth=1
	s_or_b32 exec_lo, exec_lo, s8
	s_mov_b32 s25, -1
                                        ; implicit-def: $sgpr9
                                        ; implicit-def: $sgpr18
                                        ; implicit-def: $sgpr19
	s_and_saveexec_b32 s8, s24
	s_delay_alu instid0(SALU_CYCLE_1)
	s_xor_b32 s24, exec_lo, s8
	s_cbranch_execz .LBB195_280
; %bb.132:                              ;   in Loop: Header=BB195_12 Depth=1
	v_cmp_eq_u64_e32 vcc_lo, 1, v[2:3]
	s_cmp_eq_u64 s[12:13], 1
                                        ; implicit-def: $sgpr25
                                        ; implicit-def: $sgpr66
                                        ; implicit-def: $sgpr65
	s_cselect_b32 s8, -1, 0
	s_delay_alu instid0(SALU_CYCLE_1)
	s_and_b32 s68, s8, vcc_lo
	s_mov_b32 s8, -1
	s_and_saveexec_b32 s67, s68
	s_cbranch_execz .LBB195_166
; %bb.133:                              ;   in Loop: Header=BB195_12 Depth=1
	ds_load_b64 v[4:5], v13 offset:5120
	s_waitcnt lgkmcnt(0)
	s_barrier
	buffer_gl0_inv
	v_readfirstlane_b32 s18, v4
	v_readfirstlane_b32 s19, v5
	s_and_saveexec_b32 s8, s6
	s_cbranch_execz .LBB195_135
; %bb.134:                              ;   in Loop: Header=BB195_12 Depth=1
	ds_store_b32 v28, v13
.LBB195_135:                            ;   in Loop: Header=BB195_12 Depth=1
	s_or_b32 exec_lo, exec_lo, s8
	s_lshl_b32 s8, 1, s22
	v_or_b32_e32 v22, s20, v22
	v_and_or_b32 v21, v21, s21, s8
	s_cmp_eq_u64 s[18:19], 0
	s_waitcnt lgkmcnt(0)
	s_barrier
	buffer_gl0_inv
	s_cbranch_scc1 .LBB195_149
; %bb.136:                              ;   in Loop: Header=BB195_12 Depth=1
	s_add_u32 s25, s74, s18
	s_addc_u32 s9, s75, s19
	s_mov_b32 s8, s59
	s_delay_alu instid0(SALU_CYCLE_1)
	s_cmp_lg_u64 s[8:9], 0
	s_cbranch_scc0 .LBB195_193
; %bb.137:                              ;   in Loop: Header=BB195_12 Depth=1
	v_cvt_f32_u32_e32 v4, s49
	s_sub_u32 s65, 0, s49
	s_subb_u32 s66, 0, 0
	s_delay_alu instid0(VALU_DEP_1) | instskip(NEXT) | instid1(VALU_DEP_1)
	v_fmac_f32_e64 v4, 0, 0x4f800000
	v_rcp_f32_e32 v4, v4
	s_waitcnt_depctr 0xfff
	v_mul_f32_e32 v4, 0x5f7ffffc, v4
	s_delay_alu instid0(VALU_DEP_1) | instskip(NEXT) | instid1(VALU_DEP_1)
	v_mul_f32_e32 v5, 0x2f800000, v4
	v_trunc_f32_e32 v5, v5
	s_delay_alu instid0(VALU_DEP_1) | instskip(SKIP_1) | instid1(VALU_DEP_2)
	v_fmac_f32_e32 v4, 0xcf800000, v5
	v_cvt_u32_f32_e32 v5, v5
	v_cvt_u32_f32_e32 v4, v4
	s_delay_alu instid0(VALU_DEP_2) | instskip(NEXT) | instid1(VALU_DEP_2)
	v_readfirstlane_b32 s8, v5
	v_readfirstlane_b32 s26, v4
	s_delay_alu instid0(VALU_DEP_2) | instskip(NEXT) | instid1(VALU_DEP_1)
	s_mul_i32 s69, s65, s8
	s_mul_hi_u32 s71, s65, s26
	s_mul_i32 s70, s66, s26
	s_add_i32 s69, s71, s69
	s_mul_i32 s96, s65, s26
	s_add_i32 s69, s69, s70
	s_mul_hi_u32 s71, s26, s96
	s_mul_hi_u32 s97, s8, s96
	s_mul_i32 s70, s8, s96
	s_mul_hi_u32 s96, s26, s69
	s_mul_i32 s26, s26, s69
	s_mul_hi_u32 s98, s8, s69
	s_add_u32 s26, s71, s26
	s_addc_u32 s71, 0, s96
	s_add_u32 s26, s26, s70
	s_mul_i32 s69, s8, s69
	s_addc_u32 s26, s71, s97
	s_addc_u32 s70, s98, 0
	s_add_u32 s26, s26, s69
	s_addc_u32 s69, 0, s70
	v_add_co_u32 v4, s26, v4, s26
	s_delay_alu instid0(VALU_DEP_1) | instskip(SKIP_1) | instid1(VALU_DEP_1)
	s_cmp_lg_u32 s26, 0
	s_addc_u32 s8, s8, s69
	v_readfirstlane_b32 s26, v4
	s_mul_i32 s69, s65, s8
	s_delay_alu instid0(VALU_DEP_1)
	s_mul_hi_u32 s70, s65, s26
	s_mul_i32 s66, s66, s26
	s_add_i32 s69, s70, s69
	s_mul_i32 s65, s65, s26
	s_add_i32 s69, s69, s66
	s_mul_hi_u32 s70, s8, s65
	s_mul_i32 s71, s8, s65
	s_mul_hi_u32 s65, s26, s65
	s_mul_hi_u32 s96, s26, s69
	s_mul_i32 s26, s26, s69
	s_mul_hi_u32 s66, s8, s69
	s_add_u32 s26, s65, s26
	s_addc_u32 s65, 0, s96
	s_add_u32 s26, s26, s71
	s_mul_i32 s69, s8, s69
	s_addc_u32 s26, s65, s70
	s_addc_u32 s65, s66, 0
	s_add_u32 s26, s26, s69
	s_addc_u32 s65, 0, s65
	v_add_co_u32 v4, s26, v4, s26
	s_delay_alu instid0(VALU_DEP_1) | instskip(SKIP_1) | instid1(VALU_DEP_1)
	s_cmp_lg_u32 s26, 0
	s_addc_u32 s8, s8, s65
	v_readfirstlane_b32 s26, v4
	s_mul_i32 s66, s25, s8
	s_mul_hi_u32 s65, s25, s8
	s_mul_hi_u32 s69, s9, s8
	s_mul_i32 s8, s9, s8
	s_mul_hi_u32 s70, s25, s26
	s_mul_hi_u32 s71, s9, s26
	s_mul_i32 s26, s9, s26
	s_add_u32 s66, s70, s66
	s_addc_u32 s65, 0, s65
	s_add_u32 s26, s66, s26
	s_addc_u32 s26, s65, s71
	s_addc_u32 s65, s69, 0
	s_add_u32 s8, s26, s8
	s_addc_u32 s26, 0, s65
	s_mul_hi_u32 s65, s49, s8
	s_mul_i32 s8, s49, s8
	s_mul_i32 s26, s49, s26
	v_sub_co_u32 v4, s8, s25, s8
	s_add_i32 s65, s65, s26
	s_cmp_lg_u32 s8, 0
	s_delay_alu instid0(VALU_DEP_1) | instskip(SKIP_2) | instid1(VALU_DEP_1)
	v_sub_co_u32 v5, s8, v4, s49
	s_subb_u32 s26, s9, s65
	s_cmp_lg_u32 s8, 0
	v_cmp_le_u32_e32 vcc_lo, s49, v5
	v_sub_co_u32 v6, s8, v5, s49
	s_subb_u32 s65, s26, 0
	s_cmp_lg_u32 s8, 0
	v_cndmask_b32_e64 v7, 0, -1, vcc_lo
	s_subb_u32 s8, s65, 0
	s_cmp_eq_u32 s65, 0
	v_mov_b32_e32 v9, s8
	s_cselect_b32 vcc_lo, -1, 0
	s_cmp_eq_u32 s26, 0
	v_cndmask_b32_e32 v7, -1, v7, vcc_lo
	v_cmp_le_u32_e32 vcc_lo, s49, v4
	s_cselect_b32 s8, -1, 0
	v_cndmask_b32_e64 v8, 0, -1, vcc_lo
	s_delay_alu instid0(VALU_DEP_3) | instskip(NEXT) | instid1(VALU_DEP_2)
	v_cmp_ne_u32_e32 vcc_lo, 0, v7
	v_cndmask_b32_e64 v7, -1, v8, s8
	v_cndmask_b32_e32 v8, s65, v9, vcc_lo
	v_cndmask_b32_e32 v6, v5, v6, vcc_lo
	s_delay_alu instid0(VALU_DEP_3) | instskip(NEXT) | instid1(VALU_DEP_3)
	v_cmp_ne_u32_e32 vcc_lo, 0, v7
	v_cndmask_b32_e32 v5, s26, v8, vcc_lo
	s_delay_alu instid0(VALU_DEP_3)
	v_cndmask_b32_e32 v4, v4, v6, vcc_lo
	s_cbranch_execnz .LBB195_139
.LBB195_138:                            ;   in Loop: Header=BB195_12 Depth=1
	v_cvt_f32_u32_e32 v4, s49
	s_sub_i32 s8, 0, s49
	s_delay_alu instid0(VALU_DEP_1) | instskip(SKIP_2) | instid1(VALU_DEP_1)
	v_rcp_iflag_f32_e32 v4, v4
	s_waitcnt_depctr 0xfff
	v_mul_f32_e32 v4, 0x4f7ffffe, v4
	v_cvt_u32_f32_e32 v4, v4
	s_delay_alu instid0(VALU_DEP_1) | instskip(NEXT) | instid1(VALU_DEP_1)
	v_mul_lo_u32 v5, s8, v4
	v_mul_hi_u32 v5, v4, v5
	s_delay_alu instid0(VALU_DEP_1) | instskip(NEXT) | instid1(VALU_DEP_1)
	v_add_nc_u32_e32 v4, v4, v5
	v_mul_hi_u32 v4, s25, v4
	s_delay_alu instid0(VALU_DEP_1) | instskip(NEXT) | instid1(VALU_DEP_1)
	v_mul_lo_u32 v4, v4, s49
	v_sub_nc_u32_e32 v4, s25, v4
	s_delay_alu instid0(VALU_DEP_1) | instskip(SKIP_1) | instid1(VALU_DEP_2)
	v_subrev_nc_u32_e32 v5, s49, v4
	v_cmp_le_u32_e32 vcc_lo, s49, v4
	v_cndmask_b32_e32 v4, v4, v5, vcc_lo
	s_delay_alu instid0(VALU_DEP_1) | instskip(SKIP_1) | instid1(VALU_DEP_2)
	v_subrev_nc_u32_e32 v5, s49, v4
	v_cmp_le_u32_e32 vcc_lo, s49, v4
	v_cndmask_b32_e32 v12, v4, v5, vcc_lo
	s_delay_alu instid0(VALU_DEP_1)
	v_dual_mov_b32 v4, v12 :: v_dual_mov_b32 v5, v13
.LBB195_139:                            ;   in Loop: Header=BB195_12 Depth=1
	s_delay_alu instid0(VALU_DEP_1) | instskip(NEXT) | instid1(VALU_DEP_2)
	v_sub_co_u32 v6, vcc_lo, s25, v4
	v_sub_co_ci_u32_e32 v7, vcc_lo, s9, v5, vcc_lo
	s_mov_b32 s8, 0
	s_mov_b32 s9, exec_lo
                                        ; implicit-def: $vgpr5
	s_delay_alu instid0(VALU_DEP_1)
	v_cmpx_gt_u64_e64 v[6:7], v[0:1]
	s_cbranch_execz .LBB195_151
; %bb.140:                              ;   in Loop: Header=BB195_12 Depth=1
	v_dual_mov_b32 v12, v14 :: v_dual_mov_b32 v9, v1
	v_mov_b32_e32 v8, v0
	s_mov_b32 s25, 0
                                        ; implicit-def: $sgpr26
	s_set_inst_prefetch_distance 0x1
	s_branch .LBB195_142
	.p2align	6
.LBB195_141:                            ;   in Loop: Header=BB195_142 Depth=2
	s_or_b32 exec_lo, exec_lo, s8
	s_waitcnt lgkmcnt(0)
	s_barrier
	buffer_gl0_inv
	ds_load_b64 v[4:5], v13 offset:3072
	v_add_co_u32 v8, vcc_lo, v8, s49
	v_add_co_ci_u32_e32 v9, vcc_lo, 0, v9, vcc_lo
	v_add_nc_u32_e32 v12, s82, v12
	s_waitcnt lgkmcnt(0)
	s_barrier
	s_delay_alu instid0(VALU_DEP_2) | instskip(SKIP_2) | instid1(VALU_DEP_1)
	v_cmp_ge_u64_e32 vcc_lo, v[8:9], v[6:7]
	buffer_gl0_inv
	v_cmp_neq_f32_e64 s8, 0, v4
	s_or_b32 s65, vcc_lo, s8
	s_delay_alu instid0(SALU_CYCLE_1) | instskip(NEXT) | instid1(SALU_CYCLE_1)
	s_and_b32 s65, exec_lo, s65
	s_or_b32 s25, s65, s25
	s_and_not1_b32 s26, s26, exec_lo
	s_and_b32 s8, s8, exec_lo
	s_delay_alu instid0(SALU_CYCLE_1)
	s_or_b32 s26, s26, s8
	s_and_not1_b32 exec_lo, exec_lo, s25
	s_cbranch_execz .LBB195_150
.LBB195_142:                            ;   Parent Loop BB195_12 Depth=1
                                        ; =>  This Inner Loop Header: Depth=2
	s_delay_alu instid0(VALU_DEP_1)
	v_cmp_gt_u64_e32 vcc_lo, s[18:19], v[8:9]
	v_mov_b32_e32 v17, 0
	s_and_saveexec_b32 s8, vcc_lo
	s_cbranch_execz .LBB195_144
; %bb.143:                              ;   in Loop: Header=BB195_142 Depth=2
	ds_load_b32 v17, v12
.LBB195_144:                            ;   in Loop: Header=BB195_142 Depth=2
	s_or_b32 exec_lo, exec_lo, s8
	s_and_saveexec_b32 s8, vcc_lo
	s_cbranch_execz .LBB195_141
; %bb.145:                              ;   in Loop: Header=BB195_142 Depth=2
	s_waitcnt lgkmcnt(0)
	v_cmp_lt_i32_e32 vcc_lo, -1, v17
	v_cndmask_b32_e64 v4, -1, 0x80000000, vcc_lo
	v_cmp_o_f32_e32 vcc_lo, v17, v17
	s_delay_alu instid0(VALU_DEP_2) | instskip(NEXT) | instid1(VALU_DEP_1)
	v_xor_b32_e32 v4, v4, v17
	v_cndmask_b32_e32 v4, -1, v4, vcc_lo
	s_delay_alu instid0(VALU_DEP_1) | instskip(NEXT) | instid1(VALU_DEP_1)
	v_and_b32_e32 v4, v4, v22
	v_cmp_eq_u32_e32 vcc_lo, v4, v21
	s_and_b32 exec_lo, exec_lo, vcc_lo
	s_cbranch_execz .LBB195_141
; %bb.146:                              ;   in Loop: Header=BB195_142 Depth=2
	ds_store_b64 v13, v[16:17] offset:3072
	s_branch .LBB195_141
.LBB195_147:                            ;   in Loop: Header=BB195_12 Depth=1
                                        ; implicit-def: $vgpr2_vgpr3
	s_branch .LBB195_92
.LBB195_148:                            ;   in Loop: Header=BB195_12 Depth=1
                                        ; implicit-def: $vgpr2_vgpr3
	s_branch .LBB195_108
.LBB195_149:                            ;   in Loop: Header=BB195_12 Depth=1
	s_mov_b32 s25, -1
	s_mov_b32 s8, 0
                                        ; implicit-def: $sgpr65
                                        ; implicit-def: $vgpr5
	s_mov_b32 s66, s25
	s_cbranch_execnz .LBB195_152
	s_branch .LBB195_165
.LBB195_150:                            ;   in Loop: Header=BB195_12 Depth=1
	s_set_inst_prefetch_distance 0x2
	s_or_b32 exec_lo, exec_lo, s25
	s_delay_alu instid0(SALU_CYCLE_1)
	s_and_b32 s8, s26, exec_lo
.LBB195_151:                            ;   in Loop: Header=BB195_12 Depth=1
	s_or_b32 exec_lo, exec_lo, s9
	s_mov_b32 s65, -1
	s_mov_b32 s25, 0
	s_delay_alu instid0(SALU_CYCLE_1)
	s_mov_b32 s66, s25
	s_branch .LBB195_165
.LBB195_152:                            ;   in Loop: Header=BB195_12 Depth=1
	s_mov_b32 s26, s59
	s_delay_alu instid0(SALU_CYCLE_1)
	s_cmp_lg_u64 s[26:27], 0
	s_cbranch_scc0 .LBB195_194
; %bb.153:                              ;   in Loop: Header=BB195_12 Depth=1
	v_cvt_f32_u32_e32 v4, s49
	s_sub_u32 s18, 0, s49
	s_subb_u32 s19, 0, 0
	s_delay_alu instid0(VALU_DEP_1) | instskip(NEXT) | instid1(VALU_DEP_1)
	v_fmac_f32_e64 v4, 0, 0x4f800000
	v_rcp_f32_e32 v4, v4
	s_waitcnt_depctr 0xfff
	v_mul_f32_e32 v4, 0x5f7ffffc, v4
	s_delay_alu instid0(VALU_DEP_1) | instskip(NEXT) | instid1(VALU_DEP_1)
	v_mul_f32_e32 v5, 0x2f800000, v4
	v_trunc_f32_e32 v5, v5
	s_delay_alu instid0(VALU_DEP_1) | instskip(SKIP_1) | instid1(VALU_DEP_2)
	v_fmac_f32_e32 v4, 0xcf800000, v5
	v_cvt_u32_f32_e32 v5, v5
	v_cvt_u32_f32_e32 v4, v4
	s_delay_alu instid0(VALU_DEP_2) | instskip(NEXT) | instid1(VALU_DEP_2)
	v_readfirstlane_b32 s8, v5
	v_readfirstlane_b32 s9, v4
	s_delay_alu instid0(VALU_DEP_2) | instskip(NEXT) | instid1(VALU_DEP_1)
	s_mul_i32 s25, s18, s8
	s_mul_hi_u32 s65, s18, s9
	s_mul_i32 s26, s19, s9
	s_add_i32 s25, s65, s25
	s_mul_i32 s66, s18, s9
	s_add_i32 s25, s25, s26
	s_mul_hi_u32 s65, s9, s66
	s_mul_hi_u32 s69, s8, s66
	s_mul_i32 s26, s8, s66
	s_mul_hi_u32 s66, s9, s25
	s_mul_i32 s9, s9, s25
	s_mul_hi_u32 s70, s8, s25
	s_add_u32 s9, s65, s9
	s_addc_u32 s65, 0, s66
	s_add_u32 s9, s9, s26
	s_mul_i32 s25, s8, s25
	s_addc_u32 s9, s65, s69
	s_addc_u32 s26, s70, 0
	s_add_u32 s9, s9, s25
	s_addc_u32 s25, 0, s26
	v_add_co_u32 v4, s9, v4, s9
	s_delay_alu instid0(VALU_DEP_1) | instskip(SKIP_1) | instid1(VALU_DEP_1)
	s_cmp_lg_u32 s9, 0
	s_addc_u32 s8, s8, s25
	v_readfirstlane_b32 s9, v4
	s_mul_i32 s25, s18, s8
	s_delay_alu instid0(VALU_DEP_1)
	s_mul_hi_u32 s26, s18, s9
	s_mul_i32 s19, s19, s9
	s_add_i32 s25, s26, s25
	s_mul_i32 s18, s18, s9
	s_add_i32 s25, s25, s19
	s_mul_hi_u32 s26, s8, s18
	s_mul_i32 s65, s8, s18
	s_mul_hi_u32 s18, s9, s18
	s_mul_hi_u32 s66, s9, s25
	s_mul_i32 s9, s9, s25
	s_mul_hi_u32 s19, s8, s25
	s_add_u32 s9, s18, s9
	s_addc_u32 s18, 0, s66
	s_add_u32 s9, s9, s65
	s_mul_i32 s25, s8, s25
	s_addc_u32 s9, s18, s26
	s_addc_u32 s18, s19, 0
	s_add_u32 s9, s9, s25
	s_addc_u32 s18, 0, s18
	v_add_co_u32 v4, s9, v4, s9
	s_delay_alu instid0(VALU_DEP_1) | instskip(SKIP_1) | instid1(VALU_DEP_1)
	s_cmp_lg_u32 s9, 0
	s_addc_u32 s8, s8, s18
	v_readfirstlane_b32 s9, v4
	s_mul_i32 s19, s76, s8
	s_mul_hi_u32 s18, s76, s8
	s_mul_hi_u32 s25, s27, s8
	s_mul_i32 s8, s27, s8
	s_mul_hi_u32 s26, s76, s9
	s_mul_hi_u32 s65, s27, s9
	s_mul_i32 s9, s27, s9
	s_add_u32 s19, s26, s19
	s_addc_u32 s18, 0, s18
	s_add_u32 s9, s19, s9
	s_addc_u32 s9, s18, s65
	s_addc_u32 s18, s25, 0
	s_add_u32 s8, s9, s8
	s_addc_u32 s9, 0, s18
	s_mul_hi_u32 s18, s49, s8
	s_mul_i32 s8, s49, s8
	s_mul_i32 s9, s49, s9
	v_sub_co_u32 v4, s8, s76, s8
	s_add_i32 s18, s18, s9
	s_cmp_lg_u32 s8, 0
	s_delay_alu instid0(VALU_DEP_1) | instskip(SKIP_2) | instid1(VALU_DEP_1)
	v_sub_co_u32 v5, s8, v4, s49
	s_subb_u32 s9, s27, s18
	s_cmp_lg_u32 s8, 0
	v_cmp_le_u32_e32 vcc_lo, s49, v5
	v_sub_co_u32 v6, s8, v5, s49
	s_subb_u32 s18, s9, 0
	s_cmp_lg_u32 s8, 0
	v_cndmask_b32_e64 v7, 0, -1, vcc_lo
	s_subb_u32 s8, s18, 0
	s_cmp_eq_u32 s18, 0
	v_mov_b32_e32 v9, s8
	s_cselect_b32 vcc_lo, -1, 0
	s_cmp_eq_u32 s9, 0
	v_cndmask_b32_e32 v7, -1, v7, vcc_lo
	v_cmp_le_u32_e32 vcc_lo, s49, v4
	s_cselect_b32 s8, -1, 0
	v_cndmask_b32_e64 v8, 0, -1, vcc_lo
	s_delay_alu instid0(VALU_DEP_3) | instskip(NEXT) | instid1(VALU_DEP_2)
	v_cmp_ne_u32_e32 vcc_lo, 0, v7
	v_cndmask_b32_e64 v7, -1, v8, s8
	v_cndmask_b32_e32 v8, s18, v9, vcc_lo
	v_cndmask_b32_e32 v6, v5, v6, vcc_lo
	s_delay_alu instid0(VALU_DEP_3) | instskip(NEXT) | instid1(VALU_DEP_3)
	v_cmp_ne_u32_e32 vcc_lo, 0, v7
	v_cndmask_b32_e32 v5, s9, v8, vcc_lo
	s_delay_alu instid0(VALU_DEP_3)
	v_cndmask_b32_e32 v4, v4, v6, vcc_lo
	s_cbranch_execnz .LBB195_155
.LBB195_154:                            ;   in Loop: Header=BB195_12 Depth=1
	v_cvt_f32_u32_e32 v4, s49
	s_sub_i32 s8, 0, s49
	s_delay_alu instid0(VALU_DEP_1) | instskip(SKIP_2) | instid1(VALU_DEP_1)
	v_rcp_iflag_f32_e32 v4, v4
	s_waitcnt_depctr 0xfff
	v_mul_f32_e32 v4, 0x4f7ffffe, v4
	v_cvt_u32_f32_e32 v4, v4
	s_delay_alu instid0(VALU_DEP_1) | instskip(NEXT) | instid1(VALU_DEP_1)
	v_mul_lo_u32 v5, s8, v4
	v_mul_hi_u32 v5, v4, v5
	s_delay_alu instid0(VALU_DEP_1) | instskip(NEXT) | instid1(VALU_DEP_1)
	v_add_nc_u32_e32 v4, v4, v5
	v_mul_hi_u32 v4, s76, v4
	s_delay_alu instid0(VALU_DEP_1) | instskip(NEXT) | instid1(VALU_DEP_1)
	v_mul_lo_u32 v4, v4, s49
	v_sub_nc_u32_e32 v4, s76, v4
	s_delay_alu instid0(VALU_DEP_1) | instskip(SKIP_1) | instid1(VALU_DEP_2)
	v_subrev_nc_u32_e32 v5, s49, v4
	v_cmp_le_u32_e32 vcc_lo, s49, v4
	v_cndmask_b32_e32 v4, v4, v5, vcc_lo
	s_delay_alu instid0(VALU_DEP_1) | instskip(SKIP_1) | instid1(VALU_DEP_2)
	v_subrev_nc_u32_e32 v5, s49, v4
	v_cmp_le_u32_e32 vcc_lo, s49, v4
	v_cndmask_b32_e32 v12, v4, v5, vcc_lo
	s_delay_alu instid0(VALU_DEP_1)
	v_dual_mov_b32 v4, v12 :: v_dual_mov_b32 v5, v13
.LBB195_155:                            ;   in Loop: Header=BB195_12 Depth=1
	s_delay_alu instid0(VALU_DEP_1) | instskip(NEXT) | instid1(VALU_DEP_2)
	v_sub_co_u32 v6, vcc_lo, s76, v4
	v_sub_co_ci_u32_e32 v7, vcc_lo, s27, v5, vcc_lo
	s_mov_b32 s8, 0
	s_mov_b32 s9, exec_lo
                                        ; implicit-def: $vgpr5
	s_delay_alu instid0(VALU_DEP_1)
	v_cmpx_gt_u64_e64 v[6:7], v[0:1]
	s_cbranch_execz .LBB195_164
; %bb.156:                              ;   in Loop: Header=BB195_12 Depth=1
	v_dual_mov_b32 v9, v1 :: v_dual_mov_b32 v8, v0
	s_mov_b32 s18, 0
                                        ; implicit-def: $sgpr19
	s_branch .LBB195_158
.LBB195_157:                            ;   in Loop: Header=BB195_158 Depth=2
	s_or_b32 exec_lo, exec_lo, s8
	s_waitcnt vmcnt(0) lgkmcnt(0)
	s_barrier
	buffer_gl0_inv
	ds_load_b64 v[4:5], v13 offset:3072
	v_add_co_u32 v8, vcc_lo, v8, s49
	v_add_co_ci_u32_e32 v9, vcc_lo, 0, v9, vcc_lo
	s_waitcnt lgkmcnt(0)
	s_barrier
	buffer_gl0_inv
	v_cmp_ge_u64_e32 vcc_lo, v[8:9], v[6:7]
	v_cmp_neq_f32_e64 s8, 0, v4
	s_delay_alu instid0(VALU_DEP_1) | instskip(NEXT) | instid1(SALU_CYCLE_1)
	s_or_b32 s25, vcc_lo, s8
	s_and_b32 s25, exec_lo, s25
	s_delay_alu instid0(SALU_CYCLE_1) | instskip(SKIP_2) | instid1(SALU_CYCLE_1)
	s_or_b32 s18, s25, s18
	s_and_not1_b32 s19, s19, exec_lo
	s_and_b32 s8, s8, exec_lo
	s_or_b32 s19, s19, s8
	s_and_not1_b32 exec_lo, exec_lo, s18
	s_cbranch_execz .LBB195_163
.LBB195_158:                            ;   Parent Loop BB195_12 Depth=1
                                        ; =>  This Inner Loop Header: Depth=2
	s_delay_alu instid0(VALU_DEP_1)
	v_cmp_gt_u64_e32 vcc_lo, s[36:37], v[8:9]
	v_mov_b32_e32 v17, 0
	s_and_saveexec_b32 s25, vcc_lo
	s_cbranch_execz .LBB195_160
; %bb.159:                              ;   in Loop: Header=BB195_158 Depth=2
	v_mul_lo_u32 v12, v9, s30
	v_mul_lo_u32 v17, v8, s31
	v_mad_u64_u32 v[4:5], null, v8, s30, 0
	s_delay_alu instid0(VALU_DEP_1) | instskip(NEXT) | instid1(VALU_DEP_1)
	v_add3_u32 v5, v5, v17, v12
	v_lshlrev_b64 v[4:5], 2, v[4:5]
	s_delay_alu instid0(VALU_DEP_1) | instskip(NEXT) | instid1(VALU_DEP_1)
	v_add_co_u32 v4, s8, s33, v4
	v_add_co_ci_u32_e64 v5, s8, s35, v5, s8
	global_load_b32 v17, v[4:5], off
.LBB195_160:                            ;   in Loop: Header=BB195_158 Depth=2
	s_or_b32 exec_lo, exec_lo, s25
	s_and_saveexec_b32 s8, vcc_lo
	s_cbranch_execz .LBB195_157
; %bb.161:                              ;   in Loop: Header=BB195_158 Depth=2
	s_waitcnt vmcnt(0)
	v_cmp_lt_i32_e32 vcc_lo, -1, v17
	v_cndmask_b32_e64 v4, -1, 0x80000000, vcc_lo
	v_cmp_o_f32_e32 vcc_lo, v17, v17
	s_delay_alu instid0(VALU_DEP_2) | instskip(NEXT) | instid1(VALU_DEP_1)
	v_xor_b32_e32 v4, v4, v17
	v_cndmask_b32_e32 v4, -1, v4, vcc_lo
	s_delay_alu instid0(VALU_DEP_1) | instskip(NEXT) | instid1(VALU_DEP_1)
	v_and_b32_e32 v4, v4, v22
	v_cmp_eq_u32_e32 vcc_lo, v4, v21
	s_and_b32 exec_lo, exec_lo, vcc_lo
	s_cbranch_execz .LBB195_157
; %bb.162:                              ;   in Loop: Header=BB195_158 Depth=2
	ds_store_b64 v13, v[16:17] offset:3072
	s_branch .LBB195_157
.LBB195_163:                            ;   in Loop: Header=BB195_12 Depth=1
	s_or_b32 exec_lo, exec_lo, s18
	s_delay_alu instid0(SALU_CYCLE_1)
	s_and_b32 s8, s19, exec_lo
.LBB195_164:                            ;   in Loop: Header=BB195_12 Depth=1
	s_or_b32 exec_lo, exec_lo, s9
	s_mov_b32 s66, -1
	s_mov_b32 s25, 0
	s_mov_b32 s65, 0
.LBB195_165:                            ;   in Loop: Header=BB195_12 Depth=1
	s_or_not1_b32 s8, s8, exec_lo
.LBB195_166:                            ;   in Loop: Header=BB195_12 Depth=1
	s_or_b32 exec_lo, exec_lo, s67
	s_mov_b32 s26, 0
                                        ; implicit-def: $vgpr8
	s_and_saveexec_b32 s67, s8
	s_cbranch_execz .LBB195_279
; %bb.167:                              ;   in Loop: Header=BB195_12 Depth=1
	v_mov_b32_e32 v6, 1
	v_dual_mov_b32 v7, 0 :: v_dual_mov_b32 v8, 1
	s_xor_b32 s9, s68, -1
	s_delay_alu instid0(SALU_CYCLE_1)
	s_and_saveexec_b32 s8, s9
	s_cbranch_execz .LBB195_177
; %bb.168:                              ;   in Loop: Header=BB195_12 Depth=1
	s_mov_b32 s18, exec_lo
                                        ; implicit-def: $sgpr19
                                        ; implicit-def: $sgpr9
	v_cmpx_ge_u64_e64 s[12:13], v[2:3]
	s_xor_b32 s18, exec_lo, s18
	s_cbranch_execz .LBB195_174
; %bb.169:                              ;   in Loop: Header=BB195_12 Depth=1
	ds_load_b64 v[6:7], v13 offset:5120
	s_waitcnt lgkmcnt(0)
	v_cmp_ne_u64_e32 vcc_lo, 0, v[6:7]
	s_cbranch_vccnz .LBB195_173
; %bb.170:                              ;   in Loop: Header=BB195_12 Depth=1
	s_and_saveexec_b32 s9, s5
	s_cbranch_execz .LBB195_172
; %bb.171:                              ;   in Loop: Header=BB195_12 Depth=1
	v_dual_mov_b32 v6, s12 :: v_dual_mov_b32 v7, s13
	ds_store_b64 v13, v[6:7] offset:5128
.LBB195_172:                            ;   in Loop: Header=BB195_12 Depth=1
	s_or_b32 exec_lo, exec_lo, s9
	s_waitcnt lgkmcnt(0)
	s_barrier
	buffer_gl0_inv
.LBB195_173:                            ;   in Loop: Header=BB195_12 Depth=1
	s_lshl_b32 s9, 1, s22
	v_or_b32_e32 v22, s20, v22
	v_and_or_b32 v21, v21, s21, s9
	s_mov_b32 s9, 0
	s_mov_b32 s19, 8
.LBB195_174:                            ;   in Loop: Header=BB195_12 Depth=1
	s_or_saveexec_b32 s18, s18
	v_mov_b32_e32 v8, s19
	s_xor_b32 exec_lo, exec_lo, s18
; %bb.175:                              ;   in Loop: Header=BB195_12 Depth=1
	v_sub_co_u32 v2, vcc_lo, v2, s12
	v_subrev_co_ci_u32_e32 v3, vcc_lo, s13, v3, vcc_lo
	v_mov_b32_e32 v8, 0
	s_or_b32 s9, s9, exec_lo
; %bb.176:                              ;   in Loop: Header=BB195_12 Depth=1
	s_or_b32 exec_lo, exec_lo, s18
	s_delay_alu instid0(VALU_DEP_2)
	v_dual_mov_b32 v7, v3 :: v_dual_mov_b32 v6, v2
	s_and_b32 s26, s9, exec_lo
.LBB195_177:                            ;   in Loop: Header=BB195_12 Depth=1
	s_or_b32 exec_lo, exec_lo, s8
	s_mov_b32 s8, -1
                                        ; implicit-def: $sgpr9
                                        ; implicit-def: $sgpr18
                                        ; implicit-def: $sgpr19
	s_and_saveexec_b32 s68, s26
	s_cbranch_execz .LBB195_278
; %bb.178:                              ;   in Loop: Header=BB195_12 Depth=1
	v_cmp_eq_u64_e32 vcc_lo, 1, v[6:7]
	s_cmp_eq_u64 s[14:15], 1
                                        ; implicit-def: $sgpr69
                                        ; implicit-def: $sgpr71
                                        ; implicit-def: $sgpr70
	s_cselect_b32 s8, -1, 0
	s_delay_alu instid0(SALU_CYCLE_1)
	s_and_b32 s97, s8, vcc_lo
	s_mov_b32 s8, -1
	s_and_saveexec_b32 s96, s97
	s_cbranch_execz .LBB195_212
; %bb.179:                              ;   in Loop: Header=BB195_12 Depth=1
	ds_load_b64 v[2:3], v13 offset:5120
	s_waitcnt lgkmcnt(0)
	s_barrier
	buffer_gl0_inv
	v_readfirstlane_b32 s18, v2
	v_readfirstlane_b32 s19, v3
	s_and_saveexec_b32 s8, s6
	s_cbranch_execz .LBB195_181
; %bb.180:                              ;   in Loop: Header=BB195_12 Depth=1
	ds_store_b32 v28, v13
.LBB195_181:                            ;   in Loop: Header=BB195_12 Depth=1
	s_or_b32 exec_lo, exec_lo, s8
	s_lshl_b32 s8, 2, s22
	v_or_b32_e32 v22, s20, v22
	v_and_or_b32 v21, v21, s21, s8
	s_cmp_eq_u64 s[18:19], 0
	s_waitcnt lgkmcnt(0)
	s_barrier
	buffer_gl0_inv
	s_cbranch_scc1 .LBB195_195
; %bb.182:                              ;   in Loop: Header=BB195_12 Depth=1
	s_add_u32 s26, s74, s18
	s_addc_u32 s9, s75, s19
	s_mov_b32 s8, s59
	s_mov_b64 s[54:55], s[102:103]
	s_cmp_lg_u64 s[8:9], 0
	s_cbranch_scc0 .LBB195_230
; %bb.183:                              ;   in Loop: Header=BB195_12 Depth=1
	v_cvt_f32_u32_e32 v2, s49
	s_sub_u32 s70, 0, s49
	s_subb_u32 s71, 0, 0
	s_delay_alu instid0(VALU_DEP_1) | instskip(NEXT) | instid1(VALU_DEP_1)
	v_fmac_f32_e64 v2, 0, 0x4f800000
	v_rcp_f32_e32 v2, v2
	s_waitcnt_depctr 0xfff
	v_mul_f32_e32 v2, 0x5f7ffffc, v2
	s_delay_alu instid0(VALU_DEP_1) | instskip(NEXT) | instid1(VALU_DEP_1)
	v_mul_f32_e32 v3, 0x2f800000, v2
	v_trunc_f32_e32 v3, v3
	s_delay_alu instid0(VALU_DEP_1) | instskip(SKIP_1) | instid1(VALU_DEP_2)
	v_fmac_f32_e32 v2, 0xcf800000, v3
	v_cvt_u32_f32_e32 v3, v3
	v_cvt_u32_f32_e32 v2, v2
	s_delay_alu instid0(VALU_DEP_2) | instskip(NEXT) | instid1(VALU_DEP_2)
	v_readfirstlane_b32 s8, v3
	v_readfirstlane_b32 s69, v2
	s_delay_alu instid0(VALU_DEP_2) | instskip(NEXT) | instid1(VALU_DEP_1)
	s_mul_i32 s98, s70, s8
	s_mul_hi_u32 s100, s70, s69
	s_mul_i32 s99, s71, s69
	s_add_i32 s98, s100, s98
	s_mul_i32 s101, s70, s69
	s_add_i32 s98, s98, s99
	s_mul_hi_u32 s100, s69, s101
	s_mul_hi_u32 s102, s8, s101
	s_mul_i32 s99, s8, s101
	s_mul_hi_u32 s101, s69, s98
	s_mul_i32 s69, s69, s98
	s_mul_hi_u32 s103, s8, s98
	s_add_u32 s69, s100, s69
	s_addc_u32 s100, 0, s101
	s_add_u32 s69, s69, s99
	s_mul_i32 s98, s8, s98
	s_addc_u32 s69, s100, s102
	s_addc_u32 s99, s103, 0
	s_add_u32 s69, s69, s98
	s_addc_u32 s98, 0, s99
	v_add_co_u32 v2, s69, v2, s69
	s_delay_alu instid0(VALU_DEP_1) | instskip(SKIP_1) | instid1(VALU_DEP_1)
	s_cmp_lg_u32 s69, 0
	s_addc_u32 s8, s8, s98
	v_readfirstlane_b32 s69, v2
	s_mul_i32 s98, s70, s8
	s_delay_alu instid0(VALU_DEP_1)
	s_mul_hi_u32 s99, s70, s69
	s_mul_i32 s71, s71, s69
	s_add_i32 s98, s99, s98
	s_mul_i32 s70, s70, s69
	s_add_i32 s98, s98, s71
	s_mul_hi_u32 s99, s8, s70
	s_mul_i32 s100, s8, s70
	s_mul_hi_u32 s70, s69, s70
	s_mul_hi_u32 s101, s69, s98
	s_mul_i32 s69, s69, s98
	s_mul_hi_u32 s71, s8, s98
	s_add_u32 s69, s70, s69
	s_addc_u32 s70, 0, s101
	s_add_u32 s69, s69, s100
	s_mul_i32 s98, s8, s98
	s_addc_u32 s69, s70, s99
	s_addc_u32 s70, s71, 0
	s_add_u32 s69, s69, s98
	s_addc_u32 s70, 0, s70
	v_add_co_u32 v2, s69, v2, s69
	s_delay_alu instid0(VALU_DEP_1) | instskip(SKIP_1) | instid1(VALU_DEP_1)
	s_cmp_lg_u32 s69, 0
	s_addc_u32 s8, s8, s70
	v_readfirstlane_b32 s69, v2
	s_mul_i32 s71, s26, s8
	s_mul_hi_u32 s70, s26, s8
	s_mul_hi_u32 s98, s9, s8
	s_mul_i32 s8, s9, s8
	s_mul_hi_u32 s99, s26, s69
	s_mul_hi_u32 s100, s9, s69
	s_mul_i32 s69, s9, s69
	s_add_u32 s71, s99, s71
	s_addc_u32 s70, 0, s70
	s_add_u32 s69, s71, s69
	s_addc_u32 s69, s70, s100
	s_addc_u32 s70, s98, 0
	s_add_u32 s8, s69, s8
	s_addc_u32 s69, 0, s70
	s_mul_hi_u32 s70, s49, s8
	s_mul_i32 s8, s49, s8
	s_mul_i32 s69, s49, s69
	v_sub_co_u32 v2, s8, s26, s8
	s_add_i32 s70, s70, s69
	s_cmp_lg_u32 s8, 0
	s_delay_alu instid0(VALU_DEP_1) | instskip(SKIP_2) | instid1(VALU_DEP_1)
	v_sub_co_u32 v3, s8, v2, s49
	s_subb_u32 s69, s9, s70
	s_cmp_lg_u32 s8, 0
	v_cmp_le_u32_e32 vcc_lo, s49, v3
	v_sub_co_u32 v4, s8, v3, s49
	s_subb_u32 s70, s69, 0
	s_cmp_lg_u32 s8, 0
	v_cndmask_b32_e64 v5, 0, -1, vcc_lo
	s_subb_u32 s8, s70, 0
	s_cmp_eq_u32 s70, 0
	v_mov_b32_e32 v9, s8
	s_cselect_b32 vcc_lo, -1, 0
	s_cmp_eq_u32 s69, 0
	v_cndmask_b32_e32 v5, -1, v5, vcc_lo
	v_cmp_le_u32_e32 vcc_lo, s49, v2
	s_cselect_b32 s8, -1, 0
	v_cndmask_b32_e64 v8, 0, -1, vcc_lo
	s_delay_alu instid0(VALU_DEP_3) | instskip(NEXT) | instid1(VALU_DEP_2)
	v_cmp_ne_u32_e32 vcc_lo, 0, v5
	v_cndmask_b32_e64 v5, -1, v8, s8
	v_cndmask_b32_e32 v8, s70, v9, vcc_lo
	v_cndmask_b32_e32 v4, v3, v4, vcc_lo
	s_delay_alu instid0(VALU_DEP_3) | instskip(NEXT) | instid1(VALU_DEP_3)
	v_cmp_ne_u32_e32 vcc_lo, 0, v5
	v_cndmask_b32_e32 v3, s69, v8, vcc_lo
	s_delay_alu instid0(VALU_DEP_3)
	v_cndmask_b32_e32 v2, v2, v4, vcc_lo
	s_cbranch_execnz .LBB195_185
.LBB195_184:                            ;   in Loop: Header=BB195_12 Depth=1
	v_cvt_f32_u32_e32 v2, s49
	s_sub_i32 s8, 0, s49
	s_delay_alu instid0(VALU_DEP_1) | instskip(SKIP_2) | instid1(VALU_DEP_1)
	v_rcp_iflag_f32_e32 v2, v2
	s_waitcnt_depctr 0xfff
	v_mul_f32_e32 v2, 0x4f7ffffe, v2
	v_cvt_u32_f32_e32 v2, v2
	s_delay_alu instid0(VALU_DEP_1) | instskip(NEXT) | instid1(VALU_DEP_1)
	v_mul_lo_u32 v3, s8, v2
	v_mul_hi_u32 v3, v2, v3
	s_delay_alu instid0(VALU_DEP_1) | instskip(NEXT) | instid1(VALU_DEP_1)
	v_add_nc_u32_e32 v2, v2, v3
	v_mul_hi_u32 v2, s26, v2
	s_delay_alu instid0(VALU_DEP_1) | instskip(NEXT) | instid1(VALU_DEP_1)
	v_mul_lo_u32 v2, v2, s49
	v_sub_nc_u32_e32 v2, s26, v2
	s_delay_alu instid0(VALU_DEP_1) | instskip(SKIP_1) | instid1(VALU_DEP_2)
	v_subrev_nc_u32_e32 v3, s49, v2
	v_cmp_le_u32_e32 vcc_lo, s49, v2
	v_cndmask_b32_e32 v2, v2, v3, vcc_lo
	s_delay_alu instid0(VALU_DEP_1) | instskip(SKIP_1) | instid1(VALU_DEP_2)
	v_subrev_nc_u32_e32 v3, s49, v2
	v_cmp_le_u32_e32 vcc_lo, s49, v2
	v_cndmask_b32_e32 v12, v2, v3, vcc_lo
	s_delay_alu instid0(VALU_DEP_1)
	v_dual_mov_b32 v2, v12 :: v_dual_mov_b32 v3, v13
.LBB195_185:                            ;   in Loop: Header=BB195_12 Depth=1
	s_delay_alu instid0(VALU_DEP_1) | instskip(NEXT) | instid1(VALU_DEP_2)
	v_sub_co_u32 v2, vcc_lo, s26, v2
	v_sub_co_ci_u32_e32 v3, vcc_lo, s9, v3, vcc_lo
	s_mov_b32 s8, 0
	s_mov_b32 s9, exec_lo
                                        ; implicit-def: $vgpr5
	s_delay_alu instid0(VALU_DEP_1)
	v_cmpx_gt_u64_e64 v[2:3], v[0:1]
	s_mov_b64 s[102:103], s[54:55]
	s_cbranch_execz .LBB195_197
; %bb.186:                              ;   in Loop: Header=BB195_12 Depth=1
	v_dual_mov_b32 v12, v14 :: v_dual_mov_b32 v9, v1
	v_mov_b32_e32 v8, v0
	s_mov_b32 s26, 0
                                        ; implicit-def: $sgpr69
	s_set_inst_prefetch_distance 0x1
	s_branch .LBB195_188
	.p2align	6
.LBB195_187:                            ;   in Loop: Header=BB195_188 Depth=2
	s_or_b32 exec_lo, exec_lo, s8
	s_waitcnt lgkmcnt(0)
	s_barrier
	buffer_gl0_inv
	ds_load_b64 v[4:5], v13 offset:3072
	v_add_co_u32 v8, vcc_lo, v8, s49
	v_add_co_ci_u32_e32 v9, vcc_lo, 0, v9, vcc_lo
	v_add_nc_u32_e32 v12, s82, v12
	s_waitcnt lgkmcnt(0)
	s_barrier
	s_delay_alu instid0(VALU_DEP_2) | instskip(SKIP_2) | instid1(VALU_DEP_1)
	v_cmp_ge_u64_e32 vcc_lo, v[8:9], v[2:3]
	buffer_gl0_inv
	v_cmp_neq_f32_e64 s8, 0, v4
	s_or_b32 s70, vcc_lo, s8
	s_delay_alu instid0(SALU_CYCLE_1) | instskip(NEXT) | instid1(SALU_CYCLE_1)
	s_and_b32 s70, exec_lo, s70
	s_or_b32 s26, s70, s26
	s_and_not1_b32 s69, s69, exec_lo
	s_and_b32 s8, s8, exec_lo
	s_delay_alu instid0(SALU_CYCLE_1)
	s_or_b32 s69, s69, s8
	s_and_not1_b32 exec_lo, exec_lo, s26
	s_cbranch_execz .LBB195_196
.LBB195_188:                            ;   Parent Loop BB195_12 Depth=1
                                        ; =>  This Inner Loop Header: Depth=2
	s_delay_alu instid0(VALU_DEP_1)
	v_cmp_gt_u64_e32 vcc_lo, s[18:19], v[8:9]
	v_mov_b32_e32 v17, 0
	s_and_saveexec_b32 s8, vcc_lo
	s_cbranch_execz .LBB195_190
; %bb.189:                              ;   in Loop: Header=BB195_188 Depth=2
	ds_load_b32 v17, v12
.LBB195_190:                            ;   in Loop: Header=BB195_188 Depth=2
	s_or_b32 exec_lo, exec_lo, s8
	s_and_saveexec_b32 s8, vcc_lo
	s_cbranch_execz .LBB195_187
; %bb.191:                              ;   in Loop: Header=BB195_188 Depth=2
	s_waitcnt lgkmcnt(0)
	v_cmp_lt_i32_e32 vcc_lo, -1, v17
	v_cndmask_b32_e64 v4, -1, 0x80000000, vcc_lo
	v_cmp_o_f32_e32 vcc_lo, v17, v17
	s_delay_alu instid0(VALU_DEP_2) | instskip(NEXT) | instid1(VALU_DEP_1)
	v_xor_b32_e32 v4, v4, v17
	v_cndmask_b32_e32 v4, -1, v4, vcc_lo
	s_delay_alu instid0(VALU_DEP_1) | instskip(NEXT) | instid1(VALU_DEP_1)
	v_and_b32_e32 v4, v4, v22
	v_cmp_eq_u32_e32 vcc_lo, v4, v21
	s_and_b32 exec_lo, exec_lo, vcc_lo
	s_cbranch_execz .LBB195_187
; %bb.192:                              ;   in Loop: Header=BB195_188 Depth=2
	ds_store_b64 v13, v[16:17] offset:3072
	s_branch .LBB195_187
.LBB195_193:                            ;   in Loop: Header=BB195_12 Depth=1
                                        ; implicit-def: $vgpr4_vgpr5
	s_branch .LBB195_138
.LBB195_194:                            ;   in Loop: Header=BB195_12 Depth=1
                                        ; implicit-def: $vgpr4_vgpr5
	s_branch .LBB195_154
.LBB195_195:                            ;   in Loop: Header=BB195_12 Depth=1
	s_mov_b32 s69, -1
	s_mov_b32 s8, 0
                                        ; implicit-def: $sgpr70
                                        ; implicit-def: $vgpr5
	s_mov_b32 s71, s69
	s_cbranch_execnz .LBB195_198
	s_branch .LBB195_211
.LBB195_196:                            ;   in Loop: Header=BB195_12 Depth=1
	s_set_inst_prefetch_distance 0x2
	s_or_b32 exec_lo, exec_lo, s26
	s_delay_alu instid0(SALU_CYCLE_1)
	s_and_b32 s8, s69, exec_lo
.LBB195_197:                            ;   in Loop: Header=BB195_12 Depth=1
	s_or_b32 exec_lo, exec_lo, s9
	s_mov_b32 s70, -1
	s_mov_b32 s69, 0
	s_delay_alu instid0(SALU_CYCLE_1)
	s_mov_b32 s71, s69
	s_branch .LBB195_211
.LBB195_198:                            ;   in Loop: Header=BB195_12 Depth=1
	s_mov_b32 s26, s59
	s_delay_alu instid0(SALU_CYCLE_1)
	s_cmp_lg_u64 s[26:27], 0
	s_cbranch_scc0 .LBB195_231
; %bb.199:                              ;   in Loop: Header=BB195_12 Depth=1
	v_cvt_f32_u32_e32 v2, s49
	s_sub_u32 s18, 0, s49
	s_subb_u32 s19, 0, 0
	s_delay_alu instid0(VALU_DEP_1) | instskip(NEXT) | instid1(VALU_DEP_1)
	v_fmac_f32_e64 v2, 0, 0x4f800000
	v_rcp_f32_e32 v2, v2
	s_waitcnt_depctr 0xfff
	v_mul_f32_e32 v2, 0x5f7ffffc, v2
	s_delay_alu instid0(VALU_DEP_1) | instskip(NEXT) | instid1(VALU_DEP_1)
	v_mul_f32_e32 v3, 0x2f800000, v2
	v_trunc_f32_e32 v3, v3
	s_delay_alu instid0(VALU_DEP_1) | instskip(SKIP_1) | instid1(VALU_DEP_2)
	v_fmac_f32_e32 v2, 0xcf800000, v3
	v_cvt_u32_f32_e32 v3, v3
	v_cvt_u32_f32_e32 v2, v2
	s_delay_alu instid0(VALU_DEP_2) | instskip(NEXT) | instid1(VALU_DEP_2)
	v_readfirstlane_b32 s8, v3
	v_readfirstlane_b32 s9, v2
	s_delay_alu instid0(VALU_DEP_2) | instskip(NEXT) | instid1(VALU_DEP_1)
	s_mul_i32 s26, s18, s8
	s_mul_hi_u32 s70, s18, s9
	s_mul_i32 s69, s19, s9
	s_add_i32 s26, s70, s26
	s_mul_i32 s71, s18, s9
	s_add_i32 s26, s26, s69
	s_mul_hi_u32 s70, s9, s71
	s_mul_hi_u32 s98, s8, s71
	s_mul_i32 s69, s8, s71
	s_mul_hi_u32 s71, s9, s26
	s_mul_i32 s9, s9, s26
	s_mul_hi_u32 s99, s8, s26
	s_add_u32 s9, s70, s9
	s_addc_u32 s70, 0, s71
	s_add_u32 s9, s9, s69
	s_mul_i32 s26, s8, s26
	s_addc_u32 s9, s70, s98
	s_addc_u32 s69, s99, 0
	s_add_u32 s9, s9, s26
	s_addc_u32 s26, 0, s69
	v_add_co_u32 v2, s9, v2, s9
	s_delay_alu instid0(VALU_DEP_1) | instskip(SKIP_1) | instid1(VALU_DEP_1)
	s_cmp_lg_u32 s9, 0
	s_addc_u32 s8, s8, s26
	v_readfirstlane_b32 s9, v2
	s_mul_i32 s26, s18, s8
	s_delay_alu instid0(VALU_DEP_1)
	s_mul_hi_u32 s69, s18, s9
	s_mul_i32 s19, s19, s9
	s_add_i32 s26, s69, s26
	s_mul_i32 s18, s18, s9
	s_add_i32 s26, s26, s19
	s_mul_hi_u32 s69, s8, s18
	s_mul_i32 s70, s8, s18
	s_mul_hi_u32 s18, s9, s18
	s_mul_hi_u32 s71, s9, s26
	s_mul_i32 s9, s9, s26
	s_mul_hi_u32 s19, s8, s26
	s_add_u32 s9, s18, s9
	s_addc_u32 s18, 0, s71
	s_add_u32 s9, s9, s70
	s_mul_i32 s26, s8, s26
	s_addc_u32 s9, s18, s69
	s_addc_u32 s18, s19, 0
	s_add_u32 s9, s9, s26
	s_addc_u32 s18, 0, s18
	v_add_co_u32 v2, s9, v2, s9
	s_delay_alu instid0(VALU_DEP_1) | instskip(SKIP_1) | instid1(VALU_DEP_1)
	s_cmp_lg_u32 s9, 0
	s_addc_u32 s8, s8, s18
	v_readfirstlane_b32 s9, v2
	s_mul_i32 s19, s76, s8
	s_mul_hi_u32 s18, s76, s8
	s_mul_hi_u32 s26, s27, s8
	s_mul_i32 s8, s27, s8
	s_mul_hi_u32 s69, s76, s9
	s_mul_hi_u32 s70, s27, s9
	s_mul_i32 s9, s27, s9
	s_add_u32 s19, s69, s19
	s_addc_u32 s18, 0, s18
	s_add_u32 s9, s19, s9
	s_addc_u32 s9, s18, s70
	s_addc_u32 s18, s26, 0
	s_add_u32 s8, s9, s8
	s_addc_u32 s9, 0, s18
	s_mul_hi_u32 s18, s49, s8
	s_mul_i32 s8, s49, s8
	s_mul_i32 s9, s49, s9
	v_sub_co_u32 v2, s8, s76, s8
	s_add_i32 s18, s18, s9
	s_cmp_lg_u32 s8, 0
	s_delay_alu instid0(VALU_DEP_1) | instskip(SKIP_2) | instid1(VALU_DEP_1)
	v_sub_co_u32 v3, s8, v2, s49
	s_subb_u32 s9, s27, s18
	s_cmp_lg_u32 s8, 0
	v_cmp_le_u32_e32 vcc_lo, s49, v3
	v_sub_co_u32 v4, s8, v3, s49
	s_subb_u32 s18, s9, 0
	s_cmp_lg_u32 s8, 0
	v_cndmask_b32_e64 v5, 0, -1, vcc_lo
	s_subb_u32 s8, s18, 0
	s_cmp_eq_u32 s18, 0
	v_mov_b32_e32 v9, s8
	s_cselect_b32 vcc_lo, -1, 0
	s_cmp_eq_u32 s9, 0
	v_cndmask_b32_e32 v5, -1, v5, vcc_lo
	v_cmp_le_u32_e32 vcc_lo, s49, v2
	s_cselect_b32 s8, -1, 0
	v_cndmask_b32_e64 v8, 0, -1, vcc_lo
	s_delay_alu instid0(VALU_DEP_3) | instskip(NEXT) | instid1(VALU_DEP_2)
	v_cmp_ne_u32_e32 vcc_lo, 0, v5
	v_cndmask_b32_e64 v5, -1, v8, s8
	v_cndmask_b32_e32 v8, s18, v9, vcc_lo
	v_cndmask_b32_e32 v4, v3, v4, vcc_lo
	s_delay_alu instid0(VALU_DEP_3) | instskip(NEXT) | instid1(VALU_DEP_3)
	v_cmp_ne_u32_e32 vcc_lo, 0, v5
	v_cndmask_b32_e32 v3, s9, v8, vcc_lo
	s_delay_alu instid0(VALU_DEP_3)
	v_cndmask_b32_e32 v2, v2, v4, vcc_lo
	s_cbranch_execnz .LBB195_201
.LBB195_200:                            ;   in Loop: Header=BB195_12 Depth=1
	v_cvt_f32_u32_e32 v2, s49
	s_sub_i32 s8, 0, s49
	s_delay_alu instid0(VALU_DEP_1) | instskip(SKIP_2) | instid1(VALU_DEP_1)
	v_rcp_iflag_f32_e32 v2, v2
	s_waitcnt_depctr 0xfff
	v_mul_f32_e32 v2, 0x4f7ffffe, v2
	v_cvt_u32_f32_e32 v2, v2
	s_delay_alu instid0(VALU_DEP_1) | instskip(NEXT) | instid1(VALU_DEP_1)
	v_mul_lo_u32 v3, s8, v2
	v_mul_hi_u32 v3, v2, v3
	s_delay_alu instid0(VALU_DEP_1) | instskip(NEXT) | instid1(VALU_DEP_1)
	v_add_nc_u32_e32 v2, v2, v3
	v_mul_hi_u32 v2, s76, v2
	s_delay_alu instid0(VALU_DEP_1) | instskip(NEXT) | instid1(VALU_DEP_1)
	v_mul_lo_u32 v2, v2, s49
	v_sub_nc_u32_e32 v2, s76, v2
	s_delay_alu instid0(VALU_DEP_1) | instskip(SKIP_1) | instid1(VALU_DEP_2)
	v_subrev_nc_u32_e32 v3, s49, v2
	v_cmp_le_u32_e32 vcc_lo, s49, v2
	v_cndmask_b32_e32 v2, v2, v3, vcc_lo
	s_delay_alu instid0(VALU_DEP_1) | instskip(SKIP_1) | instid1(VALU_DEP_2)
	v_subrev_nc_u32_e32 v3, s49, v2
	v_cmp_le_u32_e32 vcc_lo, s49, v2
	v_cndmask_b32_e32 v12, v2, v3, vcc_lo
	s_delay_alu instid0(VALU_DEP_1)
	v_dual_mov_b32 v2, v12 :: v_dual_mov_b32 v3, v13
.LBB195_201:                            ;   in Loop: Header=BB195_12 Depth=1
	s_delay_alu instid0(VALU_DEP_1) | instskip(NEXT) | instid1(VALU_DEP_2)
	v_sub_co_u32 v2, vcc_lo, s76, v2
	v_sub_co_ci_u32_e32 v3, vcc_lo, s27, v3, vcc_lo
	s_mov_b32 s8, 0
	s_mov_b32 s9, exec_lo
                                        ; implicit-def: $vgpr5
	s_delay_alu instid0(VALU_DEP_1)
	v_cmpx_gt_u64_e64 v[2:3], v[0:1]
	s_cbranch_execz .LBB195_210
; %bb.202:                              ;   in Loop: Header=BB195_12 Depth=1
	v_dual_mov_b32 v9, v1 :: v_dual_mov_b32 v8, v0
	s_mov_b32 s18, 0
                                        ; implicit-def: $sgpr19
	s_branch .LBB195_204
.LBB195_203:                            ;   in Loop: Header=BB195_204 Depth=2
	s_or_b32 exec_lo, exec_lo, s8
	s_waitcnt vmcnt(0) lgkmcnt(0)
	s_barrier
	buffer_gl0_inv
	ds_load_b64 v[4:5], v13 offset:3072
	v_add_co_u32 v8, vcc_lo, v8, s49
	v_add_co_ci_u32_e32 v9, vcc_lo, 0, v9, vcc_lo
	s_waitcnt lgkmcnt(0)
	s_barrier
	buffer_gl0_inv
	v_cmp_ge_u64_e32 vcc_lo, v[8:9], v[2:3]
	v_cmp_neq_f32_e64 s8, 0, v4
	s_delay_alu instid0(VALU_DEP_1) | instskip(NEXT) | instid1(SALU_CYCLE_1)
	s_or_b32 s26, vcc_lo, s8
	s_and_b32 s26, exec_lo, s26
	s_delay_alu instid0(SALU_CYCLE_1) | instskip(SKIP_2) | instid1(SALU_CYCLE_1)
	s_or_b32 s18, s26, s18
	s_and_not1_b32 s19, s19, exec_lo
	s_and_b32 s8, s8, exec_lo
	s_or_b32 s19, s19, s8
	s_and_not1_b32 exec_lo, exec_lo, s18
	s_cbranch_execz .LBB195_209
.LBB195_204:                            ;   Parent Loop BB195_12 Depth=1
                                        ; =>  This Inner Loop Header: Depth=2
	s_delay_alu instid0(VALU_DEP_1)
	v_cmp_gt_u64_e32 vcc_lo, s[36:37], v[8:9]
	v_mov_b32_e32 v17, 0
	s_and_saveexec_b32 s26, vcc_lo
	s_cbranch_execz .LBB195_206
; %bb.205:                              ;   in Loop: Header=BB195_204 Depth=2
	v_mul_lo_u32 v12, v9, s30
	v_mul_lo_u32 v17, v8, s31
	v_mad_u64_u32 v[4:5], null, v8, s30, 0
	s_delay_alu instid0(VALU_DEP_1) | instskip(NEXT) | instid1(VALU_DEP_1)
	v_add3_u32 v5, v5, v17, v12
	v_lshlrev_b64 v[4:5], 2, v[4:5]
	s_delay_alu instid0(VALU_DEP_1) | instskip(NEXT) | instid1(VALU_DEP_1)
	v_add_co_u32 v4, s8, s33, v4
	v_add_co_ci_u32_e64 v5, s8, s35, v5, s8
	global_load_b32 v17, v[4:5], off
.LBB195_206:                            ;   in Loop: Header=BB195_204 Depth=2
	s_or_b32 exec_lo, exec_lo, s26
	s_and_saveexec_b32 s8, vcc_lo
	s_cbranch_execz .LBB195_203
; %bb.207:                              ;   in Loop: Header=BB195_204 Depth=2
	s_waitcnt vmcnt(0)
	v_cmp_lt_i32_e32 vcc_lo, -1, v17
	v_cndmask_b32_e64 v4, -1, 0x80000000, vcc_lo
	v_cmp_o_f32_e32 vcc_lo, v17, v17
	s_delay_alu instid0(VALU_DEP_2) | instskip(NEXT) | instid1(VALU_DEP_1)
	v_xor_b32_e32 v4, v4, v17
	v_cndmask_b32_e32 v4, -1, v4, vcc_lo
	s_delay_alu instid0(VALU_DEP_1) | instskip(NEXT) | instid1(VALU_DEP_1)
	v_and_b32_e32 v4, v4, v22
	v_cmp_eq_u32_e32 vcc_lo, v4, v21
	s_and_b32 exec_lo, exec_lo, vcc_lo
	s_cbranch_execz .LBB195_203
; %bb.208:                              ;   in Loop: Header=BB195_204 Depth=2
	ds_store_b64 v13, v[16:17] offset:3072
	s_branch .LBB195_203
.LBB195_209:                            ;   in Loop: Header=BB195_12 Depth=1
	s_or_b32 exec_lo, exec_lo, s18
	s_delay_alu instid0(SALU_CYCLE_1)
	s_and_b32 s8, s19, exec_lo
.LBB195_210:                            ;   in Loop: Header=BB195_12 Depth=1
	s_or_b32 exec_lo, exec_lo, s9
	s_mov_b32 s71, -1
	s_mov_b32 s69, 0
	s_mov_b32 s70, 0
.LBB195_211:                            ;   in Loop: Header=BB195_12 Depth=1
	s_or_not1_b32 s8, s8, exec_lo
.LBB195_212:                            ;   in Loop: Header=BB195_12 Depth=1
	s_or_b32 exec_lo, exec_lo, s96
	s_mov_b32 s26, 0
                                        ; implicit-def: $vgpr8
	s_and_saveexec_b32 s96, s8
	s_cbranch_execz .LBB195_277
; %bb.213:                              ;   in Loop: Header=BB195_12 Depth=1
	v_mov_b32_e32 v2, 1
	v_dual_mov_b32 v3, 0 :: v_dual_mov_b32 v8, 1
	s_xor_b32 s9, s97, -1
	s_delay_alu instid0(SALU_CYCLE_1)
	s_and_saveexec_b32 s8, s9
	s_cbranch_execz .LBB195_223
; %bb.214:                              ;   in Loop: Header=BB195_12 Depth=1
	s_mov_b32 s18, exec_lo
                                        ; implicit-def: $sgpr19
                                        ; implicit-def: $sgpr9
	v_cmpx_ge_u64_e64 s[14:15], v[6:7]
	s_xor_b32 s18, exec_lo, s18
	s_cbranch_execz .LBB195_220
; %bb.215:                              ;   in Loop: Header=BB195_12 Depth=1
	ds_load_b64 v[2:3], v13 offset:5120
	s_waitcnt lgkmcnt(0)
	v_cmp_ne_u64_e32 vcc_lo, 0, v[2:3]
	s_cbranch_vccnz .LBB195_219
; %bb.216:                              ;   in Loop: Header=BB195_12 Depth=1
	s_and_saveexec_b32 s9, s5
	s_cbranch_execz .LBB195_218
; %bb.217:                              ;   in Loop: Header=BB195_12 Depth=1
	v_dual_mov_b32 v2, s14 :: v_dual_mov_b32 v3, s15
	ds_store_b64 v13, v[2:3] offset:5128
.LBB195_218:                            ;   in Loop: Header=BB195_12 Depth=1
	s_or_b32 exec_lo, exec_lo, s9
	s_waitcnt lgkmcnt(0)
	s_barrier
	buffer_gl0_inv
.LBB195_219:                            ;   in Loop: Header=BB195_12 Depth=1
	s_lshl_b32 s9, 2, s22
	v_or_b32_e32 v22, s20, v22
	v_and_or_b32 v21, v21, s21, s9
	s_mov_b32 s9, 0
	s_mov_b32 s19, 8
.LBB195_220:                            ;   in Loop: Header=BB195_12 Depth=1
	s_or_saveexec_b32 s18, s18
	v_mov_b32_e32 v8, s19
	s_xor_b32 exec_lo, exec_lo, s18
; %bb.221:                              ;   in Loop: Header=BB195_12 Depth=1
	v_sub_co_u32 v6, vcc_lo, v6, s14
	v_subrev_co_ci_u32_e32 v7, vcc_lo, s15, v7, vcc_lo
	v_mov_b32_e32 v8, 0
	s_or_b32 s9, s9, exec_lo
; %bb.222:                              ;   in Loop: Header=BB195_12 Depth=1
	s_or_b32 exec_lo, exec_lo, s18
	s_delay_alu instid0(VALU_DEP_2)
	v_dual_mov_b32 v2, v6 :: v_dual_mov_b32 v3, v7
	s_and_b32 s26, s9, exec_lo
.LBB195_223:                            ;   in Loop: Header=BB195_12 Depth=1
	s_or_b32 exec_lo, exec_lo, s8
	s_mov_b32 s19, -1
                                        ; implicit-def: $sgpr8
                                        ; implicit-def: $sgpr18
                                        ; implicit-def: $sgpr9
	s_and_saveexec_b32 s97, s26
	s_cbranch_execz .LBB195_276
; %bb.224:                              ;   in Loop: Header=BB195_12 Depth=1
	v_cmp_eq_u64_e32 vcc_lo, 1, v[2:3]
	s_cmp_eq_u64 s[16:17], 1
	s_mov_b32 s26, -1
	s_cselect_b32 s8, -1, 0
                                        ; implicit-def: $sgpr18
                                        ; implicit-def: $sgpr9
	s_delay_alu instid0(SALU_CYCLE_1) | instskip(NEXT) | instid1(SALU_CYCLE_1)
	s_and_b32 s98, s8, vcc_lo
                                        ; implicit-def: $sgpr8
	s_and_saveexec_b32 s99, s98
	s_cbranch_execz .LBB195_263
; %bb.225:                              ;   in Loop: Header=BB195_12 Depth=1
	ds_load_b64 v[4:5], v13 offset:5120
	s_waitcnt lgkmcnt(0)
	s_barrier
	buffer_gl0_inv
	v_readfirstlane_b32 s18, v4
	v_readfirstlane_b32 s19, v5
	s_and_saveexec_b32 s8, s6
	s_cbranch_execz .LBB195_227
; %bb.226:                              ;   in Loop: Header=BB195_12 Depth=1
	ds_store_b32 v28, v13
.LBB195_227:                            ;   in Loop: Header=BB195_12 Depth=1
	s_or_b32 exec_lo, exec_lo, s8
	v_or_b32_e32 v21, s20, v21
	v_or_b32_e32 v22, s20, v22
	s_cmp_eq_u64 s[18:19], 0
	s_waitcnt lgkmcnt(0)
	s_barrier
	buffer_gl0_inv
	s_cbranch_scc1 .LBB195_232
; %bb.228:                              ;   in Loop: Header=BB195_12 Depth=1
	s_add_u32 s26, s74, s18
	s_addc_u32 s9, s75, s19
	s_mov_b32 s8, s59
	s_mov_b64 s[46:47], s[42:43]
	s_mov_b64 s[44:45], s[40:41]
	;; [unrolled: 1-line block ×4, first 2 shown]
	s_cmp_lg_u64 s[8:9], 0
	s_cbranch_scc0 .LBB195_233
; %bb.229:                              ;   in Loop: Header=BB195_12 Depth=1
	v_cvt_f32_u32_e32 v4, s49
	s_sub_u32 s101, 0, s49
	s_subb_u32 s102, 0, 0
	s_delay_alu instid0(VALU_DEP_1) | instskip(NEXT) | instid1(VALU_DEP_1)
	v_fmac_f32_e64 v4, 0, 0x4f800000
	v_rcp_f32_e32 v4, v4
	s_waitcnt_depctr 0xfff
	v_mul_f32_e32 v4, 0x5f7ffffc, v4
	s_delay_alu instid0(VALU_DEP_1) | instskip(NEXT) | instid1(VALU_DEP_1)
	v_mul_f32_e32 v5, 0x2f800000, v4
	v_trunc_f32_e32 v5, v5
	s_delay_alu instid0(VALU_DEP_1) | instskip(SKIP_1) | instid1(VALU_DEP_2)
	v_fmac_f32_e32 v4, 0xcf800000, v5
	v_cvt_u32_f32_e32 v5, v5
	v_cvt_u32_f32_e32 v4, v4
	s_delay_alu instid0(VALU_DEP_2) | instskip(NEXT) | instid1(VALU_DEP_2)
	v_readfirstlane_b32 s8, v5
	v_readfirstlane_b32 s100, v4
	s_delay_alu instid0(VALU_DEP_2) | instskip(NEXT) | instid1(VALU_DEP_1)
	s_mul_i32 s103, s101, s8
	s_mul_hi_u32 vcc_lo, s101, s100
	s_mul_i32 s104, s102, s100
	s_add_i32 s103, vcc_lo, s103
	s_mul_i32 vcc_hi, s101, s100
	s_add_i32 s103, s103, s104
	s_mul_hi_u32 vcc_lo, s100, vcc_hi
	s_mul_hi_u32 s104, s100, s103
	s_mul_i32 s100, s100, s103
	s_mul_i32 s55, s8, vcc_hi
	s_add_u32 s100, vcc_lo, s100
	s_mul_hi_u32 s54, s8, vcc_hi
	s_addc_u32 s104, 0, s104
	s_mul_hi_u32 vcc_hi, s8, s103
	s_add_u32 s55, s100, s55
	s_mul_i32 s103, s8, s103
	s_addc_u32 s54, s104, s54
	s_addc_u32 s55, vcc_hi, 0
	s_add_u32 s54, s54, s103
	s_addc_u32 s55, 0, s55
	v_add_co_u32 v4, s54, v4, s54
	s_delay_alu instid0(VALU_DEP_1) | instskip(SKIP_1) | instid1(VALU_DEP_1)
	s_cmp_lg_u32 s54, 0
	s_addc_u32 s8, s8, s55
	v_readfirstlane_b32 s54, v4
	s_mul_i32 s55, s101, s8
	s_delay_alu instid0(VALU_DEP_1)
	s_mul_hi_u32 s100, s101, s54
	s_mul_i32 s102, s102, s54
	s_add_i32 s55, s100, s55
	s_mul_i32 s101, s101, s54
	s_add_i32 s55, s55, s102
	s_mul_hi_u32 s100, s8, s101
	s_mul_i32 s103, s8, s101
	s_mul_hi_u32 s101, s54, s101
	s_mul_hi_u32 s104, s54, s55
	s_mul_i32 s54, s54, s55
	s_mul_hi_u32 s102, s8, s55
	s_add_u32 s54, s101, s54
	s_addc_u32 s101, 0, s104
	s_add_u32 s54, s54, s103
	s_mul_i32 s55, s8, s55
	s_addc_u32 s54, s101, s100
	s_addc_u32 s100, s102, 0
	s_add_u32 s54, s54, s55
	s_addc_u32 s55, 0, s100
	v_add_co_u32 v4, s54, v4, s54
	s_delay_alu instid0(VALU_DEP_1) | instskip(SKIP_1) | instid1(VALU_DEP_1)
	s_cmp_lg_u32 s54, 0
	s_addc_u32 s8, s8, s55
	v_readfirstlane_b32 s54, v4
	s_mul_i32 s100, s26, s8
	s_mul_hi_u32 s55, s26, s8
	s_mul_hi_u32 s101, s9, s8
	s_mul_i32 s8, s9, s8
	s_mul_hi_u32 s102, s26, s54
	s_mul_hi_u32 s103, s9, s54
	s_mul_i32 s54, s9, s54
	s_add_u32 s100, s102, s100
	s_addc_u32 s55, 0, s55
	s_add_u32 s54, s100, s54
	s_addc_u32 s54, s55, s103
	s_addc_u32 s55, s101, 0
	s_add_u32 s8, s54, s8
	s_addc_u32 s54, 0, s55
	s_mul_hi_u32 s55, s49, s8
	s_mul_i32 s8, s49, s8
	s_mul_i32 s54, s49, s54
	v_sub_co_u32 v4, s8, s26, s8
	s_add_i32 s55, s55, s54
	s_cmp_lg_u32 s8, 0
	s_delay_alu instid0(VALU_DEP_1) | instskip(SKIP_3) | instid1(VALU_DEP_2)
	v_sub_co_u32 v5, s8, v4, s49
	s_subb_u32 s54, s9, s55
	s_cmp_lg_u32 s8, 0
	v_cmp_le_u32_e32 vcc_lo, s49, v4
	v_cmp_le_u32_e64 s8, s49, v5
	v_sub_co_u32 v6, s55, v5, s49
	s_subb_u32 s100, s54, 0
	s_cmp_lg_u32 s55, 0
	s_delay_alu instid0(VALU_DEP_2)
	v_cndmask_b32_e64 v7, 0, -1, s8
	s_subb_u32 s55, s100, 0
	s_cmp_eq_u32 s100, 0
	v_mov_b32_e32 v9, s55
	v_cndmask_b32_e64 v8, 0, -1, vcc_lo
	s_cselect_b32 vcc_lo, -1, 0
	s_cmp_eq_u32 s54, 0
	v_cndmask_b32_e32 v7, -1, v7, vcc_lo
	s_cselect_b32 vcc_lo, -1, 0
	v_cndmask_b32_e32 v8, -1, v8, vcc_lo
	s_delay_alu instid0(VALU_DEP_2) | instskip(NEXT) | instid1(VALU_DEP_2)
	v_cmp_ne_u32_e32 vcc_lo, 0, v7
	v_cmp_ne_u32_e64 s8, 0, v8
	v_cndmask_b32_e32 v7, s100, v9, vcc_lo
	v_cndmask_b32_e32 v6, v5, v6, vcc_lo
	s_delay_alu instid0(VALU_DEP_2) | instskip(NEXT) | instid1(VALU_DEP_2)
	v_cndmask_b32_e64 v5, s54, v7, s8
	v_cndmask_b32_e64 v4, v4, v6, s8
	s_mov_b32 s8, 0
	s_branch .LBB195_234
.LBB195_230:                            ;   in Loop: Header=BB195_12 Depth=1
                                        ; implicit-def: $vgpr2_vgpr3
	s_branch .LBB195_184
.LBB195_231:                            ;   in Loop: Header=BB195_12 Depth=1
                                        ; implicit-def: $vgpr2_vgpr3
	s_branch .LBB195_200
.LBB195_232:                            ;   in Loop: Header=BB195_12 Depth=1
	s_mov_b32 s8, -1
	s_mov_b32 s26, 0
                                        ; implicit-def: $sgpr9
                                        ; implicit-def: $vgpr5
	s_branch .LBB195_246
.LBB195_233:                            ;   in Loop: Header=BB195_12 Depth=1
	s_mov_b32 s8, -1
                                        ; implicit-def: $vgpr4_vgpr5
.LBB195_234:                            ;   in Loop: Header=BB195_12 Depth=1
	s_delay_alu instid0(SALU_CYCLE_1)
	s_and_not1_b32 vcc_lo, exec_lo, s8
	s_cbranch_vccnz .LBB195_236
; %bb.235:                              ;   in Loop: Header=BB195_12 Depth=1
	v_cvt_f32_u32_e32 v4, s49
	s_sub_i32 s8, 0, s49
	s_delay_alu instid0(VALU_DEP_1) | instskip(SKIP_2) | instid1(VALU_DEP_1)
	v_rcp_iflag_f32_e32 v4, v4
	s_waitcnt_depctr 0xfff
	v_mul_f32_e32 v4, 0x4f7ffffe, v4
	v_cvt_u32_f32_e32 v4, v4
	s_delay_alu instid0(VALU_DEP_1) | instskip(NEXT) | instid1(VALU_DEP_1)
	v_mul_lo_u32 v5, s8, v4
	v_mul_hi_u32 v5, v4, v5
	s_delay_alu instid0(VALU_DEP_1) | instskip(NEXT) | instid1(VALU_DEP_1)
	v_add_nc_u32_e32 v4, v4, v5
	v_mul_hi_u32 v4, s26, v4
	s_delay_alu instid0(VALU_DEP_1) | instskip(NEXT) | instid1(VALU_DEP_1)
	v_mul_lo_u32 v4, v4, s49
	v_sub_nc_u32_e32 v4, s26, v4
	s_delay_alu instid0(VALU_DEP_1) | instskip(SKIP_1) | instid1(VALU_DEP_2)
	v_subrev_nc_u32_e32 v5, s49, v4
	v_cmp_le_u32_e32 vcc_lo, s49, v4
	v_cndmask_b32_e32 v4, v4, v5, vcc_lo
	s_delay_alu instid0(VALU_DEP_1) | instskip(SKIP_1) | instid1(VALU_DEP_2)
	v_subrev_nc_u32_e32 v5, s49, v4
	v_cmp_le_u32_e32 vcc_lo, s49, v4
	v_cndmask_b32_e32 v12, v4, v5, vcc_lo
	s_delay_alu instid0(VALU_DEP_1)
	v_dual_mov_b32 v4, v12 :: v_dual_mov_b32 v5, v13
.LBB195_236:                            ;   in Loop: Header=BB195_12 Depth=1
	s_delay_alu instid0(VALU_DEP_1) | instskip(NEXT) | instid1(VALU_DEP_2)
	v_sub_co_u32 v6, vcc_lo, s26, v4
	v_sub_co_ci_u32_e32 v7, vcc_lo, s9, v5, vcc_lo
	s_mov_b32 s26, 0
	s_mov_b32 s9, exec_lo
                                        ; implicit-def: $vgpr5
	s_delay_alu instid0(VALU_DEP_1)
	v_cmpx_gt_u64_e64 v[6:7], v[0:1]
	s_mov_b64 s[102:103], s[56:57]
	s_mov_b64 s[56:57], s[40:41]
	;; [unrolled: 1-line block ×4, first 2 shown]
	s_load_b128 s[44:47], s[0:1], 0x298
	s_cbranch_execz .LBB195_245
; %bb.237:                              ;   in Loop: Header=BB195_12 Depth=1
	v_dual_mov_b32 v12, v14 :: v_dual_mov_b32 v9, v1
	v_mov_b32_e32 v8, v0
                                        ; implicit-def: $sgpr100
	s_set_inst_prefetch_distance 0x1
	s_branch .LBB195_239
	.p2align	6
.LBB195_238:                            ;   in Loop: Header=BB195_239 Depth=2
	s_or_b32 exec_lo, exec_lo, s8
	s_waitcnt lgkmcnt(0)
	s_barrier
	buffer_gl0_inv
	ds_load_b64 v[4:5], v13 offset:3072
	v_add_co_u32 v8, vcc_lo, v8, s49
	v_add_co_ci_u32_e32 v9, vcc_lo, 0, v9, vcc_lo
	v_add_nc_u32_e32 v12, s82, v12
	s_waitcnt lgkmcnt(0)
	s_barrier
	s_delay_alu instid0(VALU_DEP_2) | instskip(SKIP_2) | instid1(VALU_DEP_1)
	v_cmp_ge_u64_e32 vcc_lo, v[8:9], v[6:7]
	buffer_gl0_inv
	v_cmp_neq_f32_e64 s8, 0, v4
	s_or_b32 s54, vcc_lo, s8
	s_delay_alu instid0(SALU_CYCLE_1) | instskip(NEXT) | instid1(SALU_CYCLE_1)
	s_and_b32 s54, exec_lo, s54
	s_or_b32 s26, s54, s26
	s_and_not1_b32 s54, s100, exec_lo
	s_and_b32 s8, s8, exec_lo
	s_delay_alu instid0(SALU_CYCLE_1)
	s_or_b32 s100, s54, s8
	s_and_not1_b32 exec_lo, exec_lo, s26
	s_cbranch_execz .LBB195_244
.LBB195_239:                            ;   Parent Loop BB195_12 Depth=1
                                        ; =>  This Inner Loop Header: Depth=2
	s_delay_alu instid0(VALU_DEP_1)
	v_cmp_gt_u64_e32 vcc_lo, s[18:19], v[8:9]
	v_mov_b32_e32 v17, 0
	s_and_saveexec_b32 s8, vcc_lo
	s_cbranch_execz .LBB195_241
; %bb.240:                              ;   in Loop: Header=BB195_239 Depth=2
	ds_load_b32 v17, v12
.LBB195_241:                            ;   in Loop: Header=BB195_239 Depth=2
	s_or_b32 exec_lo, exec_lo, s8
	s_and_saveexec_b32 s8, vcc_lo
	s_cbranch_execz .LBB195_238
; %bb.242:                              ;   in Loop: Header=BB195_239 Depth=2
	s_waitcnt lgkmcnt(0)
	v_cmp_lt_i32_e32 vcc_lo, -1, v17
	v_cndmask_b32_e64 v4, -1, 0x80000000, vcc_lo
	v_cmp_o_f32_e32 vcc_lo, v17, v17
	s_delay_alu instid0(VALU_DEP_2) | instskip(NEXT) | instid1(VALU_DEP_1)
	v_xor_b32_e32 v4, v4, v17
	v_cndmask_b32_e32 v4, -1, v4, vcc_lo
	s_delay_alu instid0(VALU_DEP_1) | instskip(NEXT) | instid1(VALU_DEP_1)
	v_and_b32_e32 v4, v4, v22
	v_cmp_eq_u32_e32 vcc_lo, v4, v21
	s_and_b32 exec_lo, exec_lo, vcc_lo
	s_cbranch_execz .LBB195_238
; %bb.243:                              ;   in Loop: Header=BB195_239 Depth=2
	ds_store_b64 v13, v[16:17] offset:3072
	s_branch .LBB195_238
.LBB195_244:                            ;   in Loop: Header=BB195_12 Depth=1
	s_set_inst_prefetch_distance 0x2
	s_or_b32 exec_lo, exec_lo, s26
	s_delay_alu instid0(SALU_CYCLE_1)
	s_and_b32 s26, s100, exec_lo
.LBB195_245:                            ;   in Loop: Header=BB195_12 Depth=1
	s_or_b32 exec_lo, exec_lo, s9
	s_mov_b32 s9, -1
	s_mov_b32 s8, 0
.LBB195_246:                            ;   in Loop: Header=BB195_12 Depth=1
	s_delay_alu instid0(SALU_CYCLE_1)
	s_and_b32 vcc_lo, exec_lo, s8
	s_mov_b32 s18, s8
	s_cbranch_vccz .LBB195_262
; %bb.247:                              ;   in Loop: Header=BB195_12 Depth=1
	s_mov_b32 s26, s59
	s_waitcnt lgkmcnt(0)
	s_mov_b64 s[46:47], s[42:43]
	s_mov_b64 s[44:45], s[40:41]
	s_mov_b64 s[40:41], s[56:57]
	s_mov_b64 s[56:57], s[102:103]
	s_cmp_lg_u64 s[26:27], 0
	s_cbranch_scc0 .LBB195_249
; %bb.248:                              ;   in Loop: Header=BB195_12 Depth=1
	v_cvt_f32_u32_e32 v4, s49
	s_sub_u32 s18, 0, s49
	s_subb_u32 s19, 0, 0
	s_delay_alu instid0(VALU_DEP_1) | instskip(NEXT) | instid1(VALU_DEP_1)
	v_fmac_f32_e64 v4, 0, 0x4f800000
	v_rcp_f32_e32 v4, v4
	s_waitcnt_depctr 0xfff
	v_mul_f32_e32 v4, 0x5f7ffffc, v4
	s_delay_alu instid0(VALU_DEP_1) | instskip(NEXT) | instid1(VALU_DEP_1)
	v_mul_f32_e32 v5, 0x2f800000, v4
	v_trunc_f32_e32 v5, v5
	s_delay_alu instid0(VALU_DEP_1) | instskip(SKIP_1) | instid1(VALU_DEP_2)
	v_fmac_f32_e32 v4, 0xcf800000, v5
	v_cvt_u32_f32_e32 v5, v5
	v_cvt_u32_f32_e32 v4, v4
	s_delay_alu instid0(VALU_DEP_2) | instskip(NEXT) | instid1(VALU_DEP_2)
	v_readfirstlane_b32 s8, v5
	v_readfirstlane_b32 s9, v4
	s_delay_alu instid0(VALU_DEP_2) | instskip(NEXT) | instid1(VALU_DEP_1)
	s_mul_i32 s26, s18, s8
	s_mul_hi_u32 s55, s18, s9
	s_mul_i32 s54, s19, s9
	s_add_i32 s26, s55, s26
	s_mul_i32 s100, s18, s9
	s_add_i32 s26, s26, s54
	s_mul_hi_u32 s55, s9, s100
	s_mul_hi_u32 s101, s8, s100
	s_mul_i32 s54, s8, s100
	s_mul_hi_u32 s100, s9, s26
	s_mul_i32 s9, s9, s26
	s_mul_hi_u32 s102, s8, s26
	s_add_u32 s9, s55, s9
	s_addc_u32 s55, 0, s100
	s_add_u32 s9, s9, s54
	s_mul_i32 s26, s8, s26
	s_addc_u32 s9, s55, s101
	s_addc_u32 s54, s102, 0
	s_add_u32 s9, s9, s26
	s_addc_u32 s26, 0, s54
	v_add_co_u32 v4, s9, v4, s9
	s_delay_alu instid0(VALU_DEP_1) | instskip(SKIP_1) | instid1(VALU_DEP_1)
	s_cmp_lg_u32 s9, 0
	s_addc_u32 s8, s8, s26
	v_readfirstlane_b32 s9, v4
	s_mul_i32 s26, s18, s8
	s_delay_alu instid0(VALU_DEP_1)
	s_mul_hi_u32 s54, s18, s9
	s_mul_i32 s19, s19, s9
	s_add_i32 s26, s54, s26
	s_mul_i32 s18, s18, s9
	s_add_i32 s26, s26, s19
	s_mul_hi_u32 s54, s8, s18
	s_mul_i32 s55, s8, s18
	s_mul_hi_u32 s18, s9, s18
	s_mul_hi_u32 s100, s9, s26
	s_mul_i32 s9, s9, s26
	s_mul_hi_u32 s19, s8, s26
	s_add_u32 s9, s18, s9
	s_addc_u32 s18, 0, s100
	s_add_u32 s9, s9, s55
	s_mul_i32 s26, s8, s26
	s_addc_u32 s9, s18, s54
	s_addc_u32 s18, s19, 0
	s_add_u32 s9, s9, s26
	s_addc_u32 s18, 0, s18
	v_add_co_u32 v4, s9, v4, s9
	s_delay_alu instid0(VALU_DEP_1) | instskip(SKIP_1) | instid1(VALU_DEP_1)
	s_cmp_lg_u32 s9, 0
	s_addc_u32 s8, s8, s18
	v_readfirstlane_b32 s9, v4
	s_mul_i32 s19, s76, s8
	s_mul_hi_u32 s18, s76, s8
	s_mul_hi_u32 s26, s27, s8
	s_mul_i32 s8, s27, s8
	s_mul_hi_u32 s54, s76, s9
	s_mul_hi_u32 s55, s27, s9
	s_mul_i32 s9, s27, s9
	s_add_u32 s19, s54, s19
	s_addc_u32 s18, 0, s18
	s_add_u32 s9, s19, s9
	s_addc_u32 s9, s18, s55
	s_addc_u32 s18, s26, 0
	s_add_u32 s8, s9, s8
	s_addc_u32 s9, 0, s18
	s_mul_hi_u32 s18, s49, s8
	s_mul_i32 s8, s49, s8
	s_mul_i32 s9, s49, s9
	v_sub_co_u32 v4, s8, s76, s8
	s_add_i32 s18, s18, s9
	s_cmp_lg_u32 s8, 0
	s_delay_alu instid0(VALU_DEP_1) | instskip(SKIP_2) | instid1(VALU_DEP_1)
	v_sub_co_u32 v5, s8, v4, s49
	s_subb_u32 s9, s27, s18
	s_cmp_lg_u32 s8, 0
	v_cmp_le_u32_e32 vcc_lo, s49, v5
	v_sub_co_u32 v6, s8, v5, s49
	s_subb_u32 s18, s9, 0
	s_cmp_lg_u32 s8, 0
	v_cndmask_b32_e64 v7, 0, -1, vcc_lo
	s_subb_u32 s8, s18, 0
	s_cmp_eq_u32 s18, 0
	v_mov_b32_e32 v9, s8
	s_cselect_b32 vcc_lo, -1, 0
	s_cmp_eq_u32 s9, 0
	v_cndmask_b32_e32 v7, -1, v7, vcc_lo
	v_cmp_le_u32_e32 vcc_lo, s49, v4
	s_cselect_b32 s8, -1, 0
	v_cndmask_b32_e64 v8, 0, -1, vcc_lo
	s_delay_alu instid0(VALU_DEP_3) | instskip(NEXT) | instid1(VALU_DEP_2)
	v_cmp_ne_u32_e32 vcc_lo, 0, v7
	v_cndmask_b32_e64 v7, -1, v8, s8
	v_cndmask_b32_e32 v8, s18, v9, vcc_lo
	v_cndmask_b32_e32 v6, v5, v6, vcc_lo
	s_mov_b32 s8, 0
	s_delay_alu instid0(VALU_DEP_3) | instskip(NEXT) | instid1(VALU_DEP_3)
	v_cmp_ne_u32_e32 vcc_lo, 0, v7
	v_cndmask_b32_e32 v5, s9, v8, vcc_lo
	s_delay_alu instid0(VALU_DEP_3)
	v_cndmask_b32_e32 v4, v4, v6, vcc_lo
	s_branch .LBB195_250
.LBB195_249:                            ;   in Loop: Header=BB195_12 Depth=1
	s_mov_b32 s8, -1
                                        ; implicit-def: $vgpr4_vgpr5
.LBB195_250:                            ;   in Loop: Header=BB195_12 Depth=1
	s_delay_alu instid0(SALU_CYCLE_1)
	s_and_not1_b32 vcc_lo, exec_lo, s8
	s_cbranch_vccnz .LBB195_252
; %bb.251:                              ;   in Loop: Header=BB195_12 Depth=1
	v_cvt_f32_u32_e32 v4, s49
	s_sub_i32 s8, 0, s49
	s_delay_alu instid0(VALU_DEP_1) | instskip(SKIP_2) | instid1(VALU_DEP_1)
	v_rcp_iflag_f32_e32 v4, v4
	s_waitcnt_depctr 0xfff
	v_mul_f32_e32 v4, 0x4f7ffffe, v4
	v_cvt_u32_f32_e32 v4, v4
	s_delay_alu instid0(VALU_DEP_1) | instskip(NEXT) | instid1(VALU_DEP_1)
	v_mul_lo_u32 v5, s8, v4
	v_mul_hi_u32 v5, v4, v5
	s_delay_alu instid0(VALU_DEP_1) | instskip(NEXT) | instid1(VALU_DEP_1)
	v_add_nc_u32_e32 v4, v4, v5
	v_mul_hi_u32 v4, s76, v4
	s_delay_alu instid0(VALU_DEP_1) | instskip(NEXT) | instid1(VALU_DEP_1)
	v_mul_lo_u32 v4, v4, s49
	v_sub_nc_u32_e32 v4, s76, v4
	s_delay_alu instid0(VALU_DEP_1) | instskip(SKIP_1) | instid1(VALU_DEP_2)
	v_subrev_nc_u32_e32 v5, s49, v4
	v_cmp_le_u32_e32 vcc_lo, s49, v4
	v_cndmask_b32_e32 v4, v4, v5, vcc_lo
	s_delay_alu instid0(VALU_DEP_1) | instskip(SKIP_1) | instid1(VALU_DEP_2)
	v_subrev_nc_u32_e32 v5, s49, v4
	v_cmp_le_u32_e32 vcc_lo, s49, v4
	v_cndmask_b32_e32 v12, v4, v5, vcc_lo
	s_delay_alu instid0(VALU_DEP_1)
	v_dual_mov_b32 v4, v12 :: v_dual_mov_b32 v5, v13
.LBB195_252:                            ;   in Loop: Header=BB195_12 Depth=1
	s_delay_alu instid0(VALU_DEP_1) | instskip(NEXT) | instid1(VALU_DEP_2)
	v_sub_co_u32 v6, vcc_lo, s76, v4
	v_sub_co_ci_u32_e32 v7, vcc_lo, s27, v5, vcc_lo
	s_mov_b32 s26, 0
	s_mov_b32 s9, exec_lo
                                        ; implicit-def: $vgpr5
	s_delay_alu instid0(VALU_DEP_1)
	v_cmpx_gt_u64_e64 v[6:7], v[0:1]
	s_mov_b64 s[102:103], s[56:57]
	s_mov_b64 s[56:57], s[40:41]
	;; [unrolled: 1-line block ×4, first 2 shown]
	s_load_b128 s[44:47], s[0:1], 0x298
	s_cbranch_execz .LBB195_261
; %bb.253:                              ;   in Loop: Header=BB195_12 Depth=1
	v_dual_mov_b32 v9, v1 :: v_dual_mov_b32 v8, v0
	s_mov_b32 s18, 0
                                        ; implicit-def: $sgpr19
	s_branch .LBB195_255
.LBB195_254:                            ;   in Loop: Header=BB195_255 Depth=2
	s_or_b32 exec_lo, exec_lo, s8
	s_waitcnt vmcnt(0) lgkmcnt(0)
	s_barrier
	buffer_gl0_inv
	ds_load_b64 v[4:5], v13 offset:3072
	v_add_co_u32 v8, vcc_lo, v8, s49
	v_add_co_ci_u32_e32 v9, vcc_lo, 0, v9, vcc_lo
	s_waitcnt lgkmcnt(0)
	s_barrier
	buffer_gl0_inv
	v_cmp_ge_u64_e32 vcc_lo, v[8:9], v[6:7]
	v_cmp_neq_f32_e64 s8, 0, v4
	s_delay_alu instid0(VALU_DEP_1) | instskip(NEXT) | instid1(SALU_CYCLE_1)
	s_or_b32 s26, vcc_lo, s8
	s_and_b32 s26, exec_lo, s26
	s_delay_alu instid0(SALU_CYCLE_1) | instskip(SKIP_2) | instid1(SALU_CYCLE_1)
	s_or_b32 s18, s26, s18
	s_and_not1_b32 s19, s19, exec_lo
	s_and_b32 s8, s8, exec_lo
	s_or_b32 s19, s19, s8
	s_and_not1_b32 exec_lo, exec_lo, s18
	s_cbranch_execz .LBB195_260
.LBB195_255:                            ;   Parent Loop BB195_12 Depth=1
                                        ; =>  This Inner Loop Header: Depth=2
	s_delay_alu instid0(VALU_DEP_1)
	v_cmp_gt_u64_e32 vcc_lo, s[36:37], v[8:9]
	v_mov_b32_e32 v17, 0
	s_and_saveexec_b32 s26, vcc_lo
	s_cbranch_execz .LBB195_257
; %bb.256:                              ;   in Loop: Header=BB195_255 Depth=2
	v_mul_lo_u32 v12, v9, s30
	v_mul_lo_u32 v17, v8, s31
	v_mad_u64_u32 v[4:5], null, v8, s30, 0
	s_delay_alu instid0(VALU_DEP_1) | instskip(NEXT) | instid1(VALU_DEP_1)
	v_add3_u32 v5, v5, v17, v12
	v_lshlrev_b64 v[4:5], 2, v[4:5]
	s_delay_alu instid0(VALU_DEP_1) | instskip(NEXT) | instid1(VALU_DEP_1)
	v_add_co_u32 v4, s8, s33, v4
	v_add_co_ci_u32_e64 v5, s8, s35, v5, s8
	global_load_b32 v17, v[4:5], off
.LBB195_257:                            ;   in Loop: Header=BB195_255 Depth=2
	s_or_b32 exec_lo, exec_lo, s26
	s_and_saveexec_b32 s8, vcc_lo
	s_cbranch_execz .LBB195_254
; %bb.258:                              ;   in Loop: Header=BB195_255 Depth=2
	s_waitcnt vmcnt(0)
	v_cmp_lt_i32_e32 vcc_lo, -1, v17
	v_cndmask_b32_e64 v4, -1, 0x80000000, vcc_lo
	v_cmp_o_f32_e32 vcc_lo, v17, v17
	s_delay_alu instid0(VALU_DEP_2) | instskip(NEXT) | instid1(VALU_DEP_1)
	v_xor_b32_e32 v4, v4, v17
	v_cndmask_b32_e32 v4, -1, v4, vcc_lo
	s_delay_alu instid0(VALU_DEP_1) | instskip(NEXT) | instid1(VALU_DEP_1)
	v_and_b32_e32 v4, v4, v22
	v_cmp_eq_u32_e32 vcc_lo, v4, v21
	s_and_b32 exec_lo, exec_lo, vcc_lo
	s_cbranch_execz .LBB195_254
; %bb.259:                              ;   in Loop: Header=BB195_255 Depth=2
	ds_store_b64 v13, v[16:17] offset:3072
	s_branch .LBB195_254
.LBB195_260:                            ;   in Loop: Header=BB195_12 Depth=1
	s_or_b32 exec_lo, exec_lo, s18
	s_delay_alu instid0(SALU_CYCLE_1)
	s_and_b32 s26, s19, exec_lo
.LBB195_261:                            ;   in Loop: Header=BB195_12 Depth=1
	s_or_b32 exec_lo, exec_lo, s9
	s_mov_b32 s18, -1
	s_mov_b32 s8, 0
	s_mov_b32 s9, 0
.LBB195_262:                            ;   in Loop: Header=BB195_12 Depth=1
	s_or_not1_b32 s26, s26, exec_lo
.LBB195_263:                            ;   in Loop: Header=BB195_12 Depth=1
	s_or_b32 exec_lo, exec_lo, s99
	s_mov_b32 s99, 0
                                        ; implicit-def: $vgpr8
                                        ; implicit-def: $vgpr6_vgpr7
	s_and_saveexec_b32 s19, s26
	s_cbranch_execz .LBB195_275
; %bb.264:                              ;   in Loop: Header=BB195_12 Depth=1
	v_mov_b32_e32 v6, 1
	v_dual_mov_b32 v7, 0 :: v_dual_mov_b32 v8, 1
	s_xor_b32 s54, s98, -1
	s_delay_alu instid0(SALU_CYCLE_1)
	s_and_saveexec_b32 s26, s54
	s_cbranch_execz .LBB195_274
; %bb.265:                              ;   in Loop: Header=BB195_12 Depth=1
                                        ; implicit-def: $sgpr99
	s_mov_b32 s54, exec_lo
	v_cmpx_ge_u64_e64 s[16:17], v[2:3]
	s_xor_b32 s98, exec_lo, s54
	s_cbranch_execz .LBB195_271
; %bb.266:                              ;   in Loop: Header=BB195_12 Depth=1
	ds_load_b64 v[6:7], v13 offset:5120
	s_waitcnt lgkmcnt(0)
	v_cmp_ne_u64_e32 vcc_lo, 0, v[6:7]
	s_cbranch_vccnz .LBB195_270
; %bb.267:                              ;   in Loop: Header=BB195_12 Depth=1
	s_and_saveexec_b32 s99, s5
	s_cbranch_execz .LBB195_269
; %bb.268:                              ;   in Loop: Header=BB195_12 Depth=1
	v_dual_mov_b32 v6, s16 :: v_dual_mov_b32 v7, s17
	ds_store_b64 v13, v[6:7] offset:5128
.LBB195_269:                            ;   in Loop: Header=BB195_12 Depth=1
	s_or_b32 exec_lo, exec_lo, s99
	s_waitcnt lgkmcnt(0)
	s_barrier
	buffer_gl0_inv
.LBB195_270:                            ;   in Loop: Header=BB195_12 Depth=1
	v_or_b32_e32 v21, s20, v21
	v_or_b32_e32 v22, s20, v22
	s_mov_b32 s99, 8
.LBB195_271:                            ;   in Loop: Header=BB195_12 Depth=1
	s_or_saveexec_b32 s98, s98
	v_mov_b32_e32 v8, s99
	s_xor_b32 exec_lo, exec_lo, s98
; %bb.272:                              ;   in Loop: Header=BB195_12 Depth=1
	v_sub_co_u32 v2, vcc_lo, v2, s16
	v_subrev_co_ci_u32_e32 v3, vcc_lo, s17, v3, vcc_lo
	v_mov_b32_e32 v8, 8
; %bb.273:                              ;   in Loop: Header=BB195_12 Depth=1
	s_or_b32 exec_lo, exec_lo, s98
	s_delay_alu instid0(VALU_DEP_2)
	v_dual_mov_b32 v7, v3 :: v_dual_mov_b32 v6, v2
.LBB195_274:                            ;   in Loop: Header=BB195_12 Depth=1
	s_or_b32 exec_lo, exec_lo, s26
	s_delay_alu instid0(SALU_CYCLE_1)
	s_mov_b32 s99, exec_lo
.LBB195_275:                            ;   in Loop: Header=BB195_12 Depth=1
	s_or_b32 exec_lo, exec_lo, s19
	s_delay_alu instid0(VALU_DEP_1)
	v_dual_mov_b32 v2, v6 :: v_dual_mov_b32 v3, v7
	s_or_not1_b32 s19, s99, exec_lo
.LBB195_276:                            ;   in Loop: Header=BB195_12 Depth=1
	s_or_b32 exec_lo, exec_lo, s97
	s_delay_alu instid0(SALU_CYCLE_1)
	s_and_not1_b32 s26, s69, exec_lo
	s_and_b32 s8, s8, exec_lo
	v_dual_mov_b32 v7, v3 :: v_dual_mov_b32 v6, v2
	s_or_b32 s69, s26, s8
	s_and_not1_b32 s8, s71, exec_lo
	s_and_b32 s18, s18, exec_lo
	s_and_not1_b32 s26, s70, exec_lo
	s_and_b32 s9, s9, exec_lo
	s_or_b32 s71, s8, s18
	s_or_b32 s70, s26, s9
	s_and_b32 s26, s19, exec_lo
.LBB195_277:                            ;   in Loop: Header=BB195_12 Depth=1
	s_or_b32 exec_lo, exec_lo, s96
	s_delay_alu instid0(SALU_CYCLE_1)
	s_and_b32 s19, s69, exec_lo
	s_and_b32 s18, s71, exec_lo
	;; [unrolled: 1-line block ×3, first 2 shown]
	s_or_not1_b32 s8, s26, exec_lo
.LBB195_278:                            ;   in Loop: Header=BB195_12 Depth=1
	s_or_b32 exec_lo, exec_lo, s68
	s_delay_alu instid0(SALU_CYCLE_1)
	s_and_not1_b32 s25, s25, exec_lo
	s_and_b32 s19, s19, exec_lo
	v_dual_mov_b32 v2, v6 :: v_dual_mov_b32 v3, v7
	s_or_b32 s25, s25, s19
	s_and_not1_b32 s19, s66, exec_lo
	s_and_b32 s18, s18, exec_lo
	s_and_not1_b32 s26, s65, exec_lo
	s_and_b32 s9, s9, exec_lo
	s_or_b32 s66, s19, s18
	s_or_b32 s65, s26, s9
	s_and_b32 s26, s8, exec_lo
.LBB195_279:                            ;   in Loop: Header=BB195_12 Depth=1
	s_or_b32 exec_lo, exec_lo, s67
	s_delay_alu instid0(SALU_CYCLE_1)
	s_and_b32 s19, s25, exec_lo
	s_and_b32 s18, s66, exec_lo
	s_and_b32 s9, s65, exec_lo
	s_or_not1_b32 s25, s26, exec_lo
.LBB195_280:                            ;   in Loop: Header=BB195_12 Depth=1
	s_or_b32 exec_lo, exec_lo, s24
	s_mov_b32 s8, 0
	s_mov_b32 s24, 0
	s_and_saveexec_b32 s26, s25
	s_delay_alu instid0(SALU_CYCLE_1)
	s_xor_b32 s25, exec_lo, s26
; %bb.281:                              ;   in Loop: Header=BB195_12 Depth=1
	v_cmp_ne_u32_e32 vcc_lo, 8, v8
	v_cmp_eq_u32_e64 s8, 8, v8
	s_and_not1_b32 s19, s19, exec_lo
	s_and_not1_b32 s18, s18, exec_lo
	;; [unrolled: 1-line block ×3, first 2 shown]
	s_and_b32 s24, vcc_lo, exec_lo
	s_and_b32 s8, s8, exec_lo
; %bb.282:                              ;   in Loop: Header=BB195_12 Depth=1
	s_or_b32 exec_lo, exec_lo, s25
	s_delay_alu instid0(SALU_CYCLE_1)
	s_and_not1_b32 s23, s23, exec_lo
	s_and_b32 s19, s19, exec_lo
	s_and_b32 s18, s18, exec_lo
	s_or_b32 s23, s23, s19
	s_and_not1_b32 s19, s62, exec_lo
	s_and_not1_b32 s25, s58, exec_lo
	s_and_b32 s9, s9, exec_lo
	s_or_b32 s62, s19, s18
	s_or_b32 s58, s25, s9
	s_and_b32 s24, s24, exec_lo
	s_and_b32 s25, s8, exec_lo
.LBB195_283:                            ;   in Loop: Header=BB195_12 Depth=1
	s_or_b32 exec_lo, exec_lo, s64
	s_delay_alu instid0(SALU_CYCLE_1)
	s_and_b32 vcc_lo, exec_lo, s63
	s_cbranch_vccz .LBB195_102
.LBB195_284:                            ;   in Loop: Header=BB195_12 Depth=1
	s_cmp_eq_u64 s[16:17], 1
                                        ; implicit-def: $sgpr18
                                        ; implicit-def: $sgpr19
                                        ; implicit-def: $sgpr23
	s_cselect_b32 s8, -1, 0
	s_delay_alu instid0(SALU_CYCLE_1)
	s_and_b32 s62, s8, s7
	s_mov_b32 s7, -1
	s_and_saveexec_b32 s58, s62
	s_cbranch_execz .LBB195_316
; %bb.285:                              ;   in Loop: Header=BB195_12 Depth=1
	ds_load_b64 v[2:3], v13 offset:5120
	s_waitcnt lgkmcnt(0)
	s_barrier
	buffer_gl0_inv
	v_readfirstlane_b32 s8, v2
	v_readfirstlane_b32 s9, v3
	s_and_saveexec_b32 s7, s6
	s_cbranch_execz .LBB195_287
; %bb.286:                              ;   in Loop: Header=BB195_12 Depth=1
	ds_store_b32 v28, v13
.LBB195_287:                            ;   in Loop: Header=BB195_12 Depth=1
	s_or_b32 exec_lo, exec_lo, s7
	v_or_b32_e32 v32, s20, v32
	v_or_b32_e32 v31, s20, v31
	s_cmp_eq_u64 s[8:9], 0
	s_waitcnt lgkmcnt(0)
	s_barrier
	buffer_gl0_inv
	s_cbranch_scc1 .LBB195_299
; %bb.288:                              ;   in Loop: Header=BB195_12 Depth=1
	s_add_u32 s23, s74, s8
	s_addc_u32 s19, s75, s9
	s_mov_b32 s18, s59
	s_delay_alu instid0(SALU_CYCLE_1)
	s_cmp_lg_u64 s[18:19], 0
	s_cbranch_scc0 .LBB195_343
; %bb.289:                              ;   in Loop: Header=BB195_12 Depth=1
	v_cvt_f32_u32_e32 v2, s49
	s_sub_u32 s26, 0, s49
	s_subb_u32 s63, 0, 0
	s_delay_alu instid0(VALU_DEP_1) | instskip(NEXT) | instid1(VALU_DEP_1)
	v_fmac_f32_e64 v2, 0, 0x4f800000
	v_rcp_f32_e32 v2, v2
	s_waitcnt_depctr 0xfff
	v_mul_f32_e32 v2, 0x5f7ffffc, v2
	s_delay_alu instid0(VALU_DEP_1) | instskip(NEXT) | instid1(VALU_DEP_1)
	v_mul_f32_e32 v3, 0x2f800000, v2
	v_trunc_f32_e32 v3, v3
	s_delay_alu instid0(VALU_DEP_1) | instskip(SKIP_1) | instid1(VALU_DEP_2)
	v_fmac_f32_e32 v2, 0xcf800000, v3
	v_cvt_u32_f32_e32 v3, v3
	v_cvt_u32_f32_e32 v2, v2
	s_delay_alu instid0(VALU_DEP_2) | instskip(NEXT) | instid1(VALU_DEP_2)
	v_readfirstlane_b32 s7, v3
	v_readfirstlane_b32 s18, v2
	s_delay_alu instid0(VALU_DEP_2) | instskip(NEXT) | instid1(VALU_DEP_1)
	s_mul_i32 s64, s26, s7
	s_mul_hi_u32 s66, s26, s18
	s_mul_i32 s65, s63, s18
	s_add_i32 s64, s66, s64
	s_mul_i32 s67, s26, s18
	s_add_i32 s64, s64, s65
	s_mul_hi_u32 s66, s18, s67
	s_mul_hi_u32 s68, s7, s67
	s_mul_i32 s65, s7, s67
	s_mul_hi_u32 s67, s18, s64
	s_mul_i32 s18, s18, s64
	s_mul_hi_u32 s69, s7, s64
	s_add_u32 s18, s66, s18
	s_addc_u32 s66, 0, s67
	s_add_u32 s18, s18, s65
	s_mul_i32 s64, s7, s64
	s_addc_u32 s18, s66, s68
	s_addc_u32 s65, s69, 0
	s_add_u32 s18, s18, s64
	s_addc_u32 s64, 0, s65
	v_add_co_u32 v2, s18, v2, s18
	s_delay_alu instid0(VALU_DEP_1) | instskip(SKIP_1) | instid1(VALU_DEP_1)
	s_cmp_lg_u32 s18, 0
	s_addc_u32 s7, s7, s64
	v_readfirstlane_b32 s18, v2
	s_mul_i32 s64, s26, s7
	s_delay_alu instid0(VALU_DEP_1)
	s_mul_hi_u32 s65, s26, s18
	s_mul_i32 s63, s63, s18
	s_add_i32 s64, s65, s64
	s_mul_i32 s26, s26, s18
	s_add_i32 s64, s64, s63
	s_mul_hi_u32 s65, s7, s26
	s_mul_i32 s66, s7, s26
	s_mul_hi_u32 s26, s18, s26
	s_mul_hi_u32 s67, s18, s64
	s_mul_i32 s18, s18, s64
	s_mul_hi_u32 s63, s7, s64
	s_add_u32 s18, s26, s18
	s_addc_u32 s26, 0, s67
	s_add_u32 s18, s18, s66
	s_mul_i32 s64, s7, s64
	s_addc_u32 s18, s26, s65
	s_addc_u32 s26, s63, 0
	s_add_u32 s18, s18, s64
	s_addc_u32 s26, 0, s26
	v_add_co_u32 v2, s18, v2, s18
	s_delay_alu instid0(VALU_DEP_1) | instskip(SKIP_1) | instid1(VALU_DEP_1)
	s_cmp_lg_u32 s18, 0
	s_addc_u32 s7, s7, s26
	v_readfirstlane_b32 s18, v2
	s_mul_i32 s63, s23, s7
	s_mul_hi_u32 s26, s23, s7
	s_mul_hi_u32 s64, s19, s7
	s_mul_i32 s7, s19, s7
	s_mul_hi_u32 s65, s23, s18
	s_mul_hi_u32 s66, s19, s18
	s_mul_i32 s18, s19, s18
	s_add_u32 s63, s65, s63
	s_addc_u32 s26, 0, s26
	s_add_u32 s18, s63, s18
	s_addc_u32 s18, s26, s66
	s_addc_u32 s26, s64, 0
	s_add_u32 s7, s18, s7
	s_addc_u32 s18, 0, s26
	s_mul_hi_u32 s26, s49, s7
	s_mul_i32 s7, s49, s7
	s_mul_i32 s18, s49, s18
	v_sub_co_u32 v2, s7, s23, s7
	s_add_i32 s26, s26, s18
	s_cmp_lg_u32 s7, 0
	s_delay_alu instid0(VALU_DEP_1) | instskip(SKIP_2) | instid1(VALU_DEP_1)
	v_sub_co_u32 v3, s7, v2, s49
	s_subb_u32 s18, s19, s26
	s_cmp_lg_u32 s7, 0
	v_cmp_le_u32_e32 vcc_lo, s49, v3
	v_sub_co_u32 v4, s7, v3, s49
	s_subb_u32 s26, s18, 0
	s_cmp_lg_u32 s7, 0
	v_cndmask_b32_e64 v5, 0, -1, vcc_lo
	s_subb_u32 s7, s26, 0
	s_cmp_eq_u32 s26, 0
	v_mov_b32_e32 v7, s7
	s_cselect_b32 vcc_lo, -1, 0
	s_cmp_eq_u32 s18, 0
	v_cndmask_b32_e32 v5, -1, v5, vcc_lo
	v_cmp_le_u32_e32 vcc_lo, s49, v2
	s_cselect_b32 s7, -1, 0
	v_cndmask_b32_e64 v6, 0, -1, vcc_lo
	s_delay_alu instid0(VALU_DEP_3) | instskip(NEXT) | instid1(VALU_DEP_2)
	v_cmp_ne_u32_e32 vcc_lo, 0, v5
	v_cndmask_b32_e64 v5, -1, v6, s7
	v_cndmask_b32_e32 v6, s26, v7, vcc_lo
	v_cndmask_b32_e32 v4, v3, v4, vcc_lo
	s_delay_alu instid0(VALU_DEP_3) | instskip(NEXT) | instid1(VALU_DEP_3)
	v_cmp_ne_u32_e32 vcc_lo, 0, v5
	v_cndmask_b32_e32 v3, s18, v6, vcc_lo
	s_delay_alu instid0(VALU_DEP_3)
	v_cndmask_b32_e32 v2, v2, v4, vcc_lo
	s_cbranch_execnz .LBB195_291
.LBB195_290:                            ;   in Loop: Header=BB195_12 Depth=1
	v_cvt_f32_u32_e32 v2, s49
	s_sub_i32 s7, 0, s49
	s_delay_alu instid0(VALU_DEP_1) | instskip(SKIP_2) | instid1(VALU_DEP_1)
	v_rcp_iflag_f32_e32 v2, v2
	s_waitcnt_depctr 0xfff
	v_mul_f32_e32 v2, 0x4f7ffffe, v2
	v_cvt_u32_f32_e32 v2, v2
	s_delay_alu instid0(VALU_DEP_1) | instskip(NEXT) | instid1(VALU_DEP_1)
	v_mul_lo_u32 v3, s7, v2
	v_mul_hi_u32 v3, v2, v3
	s_delay_alu instid0(VALU_DEP_1) | instskip(NEXT) | instid1(VALU_DEP_1)
	v_add_nc_u32_e32 v2, v2, v3
	v_mul_hi_u32 v2, s23, v2
	s_delay_alu instid0(VALU_DEP_1) | instskip(NEXT) | instid1(VALU_DEP_1)
	v_mul_lo_u32 v2, v2, s49
	v_sub_nc_u32_e32 v2, s23, v2
	s_delay_alu instid0(VALU_DEP_1) | instskip(SKIP_1) | instid1(VALU_DEP_2)
	v_subrev_nc_u32_e32 v3, s49, v2
	v_cmp_le_u32_e32 vcc_lo, s49, v2
	v_cndmask_b32_e32 v2, v2, v3, vcc_lo
	s_delay_alu instid0(VALU_DEP_1) | instskip(SKIP_1) | instid1(VALU_DEP_2)
	v_subrev_nc_u32_e32 v3, s49, v2
	v_cmp_le_u32_e32 vcc_lo, s49, v2
	v_cndmask_b32_e32 v12, v2, v3, vcc_lo
	s_delay_alu instid0(VALU_DEP_1)
	v_dual_mov_b32 v2, v12 :: v_dual_mov_b32 v3, v13
.LBB195_291:                            ;   in Loop: Header=BB195_12 Depth=1
	s_delay_alu instid0(VALU_DEP_1) | instskip(NEXT) | instid1(VALU_DEP_2)
	v_sub_co_u32 v2, vcc_lo, s23, v2
	v_sub_co_ci_u32_e32 v3, vcc_lo, s19, v3, vcc_lo
	s_mov_b32 s7, 0
	s_mov_b32 s18, exec_lo
                                        ; implicit-def: $vgpr18
	s_delay_alu instid0(VALU_DEP_1)
	v_cmpx_gt_u64_e64 v[2:3], v[0:1]
	s_cbranch_execz .LBB195_301
; %bb.292:                              ;   in Loop: Header=BB195_12 Depth=1
	v_dual_mov_b32 v6, v14 :: v_dual_mov_b32 v5, v1
	v_mov_b32_e32 v4, v0
	s_mov_b32 s19, 0
                                        ; implicit-def: $sgpr23
	s_set_inst_prefetch_distance 0x1
	s_branch .LBB195_294
	.p2align	6
.LBB195_293:                            ;   in Loop: Header=BB195_294 Depth=2
	s_or_b32 exec_lo, exec_lo, s7
	s_waitcnt lgkmcnt(0)
	s_barrier
	buffer_gl0_inv
	ds_load_b64 v[17:18], v13 offset:3072
	v_add_co_u32 v4, vcc_lo, v4, s49
	v_add_co_ci_u32_e32 v5, vcc_lo, 0, v5, vcc_lo
	v_add_nc_u32_e32 v6, s82, v6
	s_waitcnt lgkmcnt(0)
	s_barrier
	s_delay_alu instid0(VALU_DEP_2) | instskip(SKIP_2) | instid1(VALU_DEP_1)
	v_cmp_ge_u64_e32 vcc_lo, v[4:5], v[2:3]
	buffer_gl0_inv
	v_cmp_neq_f32_e64 s7, 0, v17
	s_or_b32 s26, vcc_lo, s7
	s_delay_alu instid0(SALU_CYCLE_1) | instskip(NEXT) | instid1(SALU_CYCLE_1)
	s_and_b32 s26, exec_lo, s26
	s_or_b32 s19, s26, s19
	s_and_not1_b32 s23, s23, exec_lo
	s_and_b32 s7, s7, exec_lo
	s_delay_alu instid0(SALU_CYCLE_1)
	s_or_b32 s23, s23, s7
	s_and_not1_b32 exec_lo, exec_lo, s19
	s_cbranch_execz .LBB195_300
.LBB195_294:                            ;   Parent Loop BB195_12 Depth=1
                                        ; =>  This Inner Loop Header: Depth=2
	s_delay_alu instid0(VALU_DEP_1)
	v_cmp_gt_u64_e32 vcc_lo, s[8:9], v[4:5]
	v_mov_b32_e32 v17, 0
	s_and_saveexec_b32 s7, vcc_lo
	s_cbranch_execz .LBB195_296
; %bb.295:                              ;   in Loop: Header=BB195_294 Depth=2
	ds_load_b32 v17, v6
.LBB195_296:                            ;   in Loop: Header=BB195_294 Depth=2
	s_or_b32 exec_lo, exec_lo, s7
	s_and_saveexec_b32 s7, vcc_lo
	s_cbranch_execz .LBB195_293
; %bb.297:                              ;   in Loop: Header=BB195_294 Depth=2
	s_waitcnt lgkmcnt(0)
	v_cmp_lt_i32_e32 vcc_lo, -1, v17
	v_cndmask_b32_e64 v7, -1, 0x80000000, vcc_lo
	v_cmp_o_f32_e32 vcc_lo, v17, v17
	s_delay_alu instid0(VALU_DEP_2) | instskip(NEXT) | instid1(VALU_DEP_1)
	v_xor_b32_e32 v7, v7, v17
	v_cndmask_b32_e32 v7, -1, v7, vcc_lo
	s_delay_alu instid0(VALU_DEP_1) | instskip(NEXT) | instid1(VALU_DEP_1)
	v_and_b32_e32 v7, v7, v31
	v_cmp_eq_u32_e32 vcc_lo, v7, v32
	s_and_b32 exec_lo, exec_lo, vcc_lo
	s_cbranch_execz .LBB195_293
; %bb.298:                              ;   in Loop: Header=BB195_294 Depth=2
	ds_store_b64 v13, v[16:17] offset:3072
	s_branch .LBB195_293
.LBB195_299:                            ;   in Loop: Header=BB195_12 Depth=1
	s_mov_b32 s18, -1
	s_mov_b32 s7, 0
                                        ; implicit-def: $sgpr19
                                        ; implicit-def: $vgpr18
	s_mov_b32 s23, s18
	s_cbranch_execnz .LBB195_302
	s_branch .LBB195_315
.LBB195_300:                            ;   in Loop: Header=BB195_12 Depth=1
	s_set_inst_prefetch_distance 0x2
	s_or_b32 exec_lo, exec_lo, s19
	s_delay_alu instid0(SALU_CYCLE_1)
	s_and_b32 s7, s23, exec_lo
.LBB195_301:                            ;   in Loop: Header=BB195_12 Depth=1
	s_or_b32 exec_lo, exec_lo, s18
	s_mov_b32 s18, 0
	s_mov_b32 s19, -1
	s_mov_b32 s23, s18
	s_branch .LBB195_315
.LBB195_302:                            ;   in Loop: Header=BB195_12 Depth=1
	s_mov_b32 s26, s59
	s_delay_alu instid0(SALU_CYCLE_1)
	s_cmp_lg_u64 s[26:27], 0
	s_cbranch_scc0 .LBB195_344
; %bb.303:                              ;   in Loop: Header=BB195_12 Depth=1
	v_cvt_f32_u32_e32 v2, s49
	s_sub_u32 s9, 0, s49
	s_subb_u32 s18, 0, 0
	s_delay_alu instid0(VALU_DEP_1) | instskip(NEXT) | instid1(VALU_DEP_1)
	v_fmac_f32_e64 v2, 0, 0x4f800000
	v_rcp_f32_e32 v2, v2
	s_waitcnt_depctr 0xfff
	v_mul_f32_e32 v2, 0x5f7ffffc, v2
	s_delay_alu instid0(VALU_DEP_1) | instskip(NEXT) | instid1(VALU_DEP_1)
	v_mul_f32_e32 v3, 0x2f800000, v2
	v_trunc_f32_e32 v3, v3
	s_delay_alu instid0(VALU_DEP_1) | instskip(SKIP_1) | instid1(VALU_DEP_2)
	v_fmac_f32_e32 v2, 0xcf800000, v3
	v_cvt_u32_f32_e32 v3, v3
	v_cvt_u32_f32_e32 v2, v2
	s_delay_alu instid0(VALU_DEP_2) | instskip(NEXT) | instid1(VALU_DEP_2)
	v_readfirstlane_b32 s7, v3
	v_readfirstlane_b32 s8, v2
	s_delay_alu instid0(VALU_DEP_2) | instskip(NEXT) | instid1(VALU_DEP_1)
	s_mul_i32 s19, s9, s7
	s_mul_hi_u32 s26, s9, s8
	s_mul_i32 s23, s18, s8
	s_add_i32 s19, s26, s19
	s_mul_i32 s63, s9, s8
	s_add_i32 s19, s19, s23
	s_mul_hi_u32 s26, s8, s63
	s_mul_hi_u32 s64, s7, s63
	s_mul_i32 s23, s7, s63
	s_mul_hi_u32 s63, s8, s19
	s_mul_i32 s8, s8, s19
	s_mul_hi_u32 s65, s7, s19
	s_add_u32 s8, s26, s8
	s_addc_u32 s26, 0, s63
	s_add_u32 s8, s8, s23
	s_mul_i32 s19, s7, s19
	s_addc_u32 s8, s26, s64
	s_addc_u32 s23, s65, 0
	s_add_u32 s8, s8, s19
	s_addc_u32 s19, 0, s23
	v_add_co_u32 v2, s8, v2, s8
	s_delay_alu instid0(VALU_DEP_1) | instskip(SKIP_1) | instid1(VALU_DEP_1)
	s_cmp_lg_u32 s8, 0
	s_addc_u32 s7, s7, s19
	v_readfirstlane_b32 s8, v2
	s_mul_i32 s19, s9, s7
	s_delay_alu instid0(VALU_DEP_1)
	s_mul_hi_u32 s23, s9, s8
	s_mul_i32 s18, s18, s8
	s_add_i32 s19, s23, s19
	s_mul_i32 s9, s9, s8
	s_add_i32 s19, s19, s18
	s_mul_hi_u32 s23, s7, s9
	s_mul_i32 s26, s7, s9
	s_mul_hi_u32 s9, s8, s9
	s_mul_hi_u32 s63, s8, s19
	s_mul_i32 s8, s8, s19
	s_mul_hi_u32 s18, s7, s19
	s_add_u32 s8, s9, s8
	s_addc_u32 s9, 0, s63
	s_add_u32 s8, s8, s26
	s_mul_i32 s19, s7, s19
	s_addc_u32 s8, s9, s23
	s_addc_u32 s9, s18, 0
	s_add_u32 s8, s8, s19
	s_addc_u32 s9, 0, s9
	v_add_co_u32 v2, s8, v2, s8
	s_delay_alu instid0(VALU_DEP_1) | instskip(SKIP_1) | instid1(VALU_DEP_1)
	s_cmp_lg_u32 s8, 0
	s_addc_u32 s7, s7, s9
	v_readfirstlane_b32 s8, v2
	s_mul_i32 s18, s76, s7
	s_mul_hi_u32 s9, s76, s7
	s_mul_hi_u32 s19, s27, s7
	s_mul_i32 s7, s27, s7
	s_mul_hi_u32 s23, s76, s8
	s_mul_hi_u32 s26, s27, s8
	s_mul_i32 s8, s27, s8
	s_add_u32 s18, s23, s18
	s_addc_u32 s9, 0, s9
	s_add_u32 s8, s18, s8
	s_addc_u32 s8, s9, s26
	s_addc_u32 s9, s19, 0
	s_add_u32 s7, s8, s7
	s_addc_u32 s8, 0, s9
	s_mul_hi_u32 s9, s49, s7
	s_mul_i32 s7, s49, s7
	s_mul_i32 s8, s49, s8
	v_sub_co_u32 v2, s7, s76, s7
	s_add_i32 s9, s9, s8
	s_cmp_lg_u32 s7, 0
	s_delay_alu instid0(VALU_DEP_1) | instskip(SKIP_2) | instid1(VALU_DEP_1)
	v_sub_co_u32 v3, s7, v2, s49
	s_subb_u32 s8, s27, s9
	s_cmp_lg_u32 s7, 0
	v_cmp_le_u32_e32 vcc_lo, s49, v3
	v_sub_co_u32 v4, s7, v3, s49
	s_subb_u32 s9, s8, 0
	s_cmp_lg_u32 s7, 0
	v_cndmask_b32_e64 v5, 0, -1, vcc_lo
	s_subb_u32 s7, s9, 0
	s_cmp_eq_u32 s9, 0
	v_mov_b32_e32 v7, s7
	s_cselect_b32 vcc_lo, -1, 0
	s_cmp_eq_u32 s8, 0
	v_cndmask_b32_e32 v5, -1, v5, vcc_lo
	v_cmp_le_u32_e32 vcc_lo, s49, v2
	s_cselect_b32 s7, -1, 0
	v_cndmask_b32_e64 v6, 0, -1, vcc_lo
	s_delay_alu instid0(VALU_DEP_3) | instskip(NEXT) | instid1(VALU_DEP_2)
	v_cmp_ne_u32_e32 vcc_lo, 0, v5
	v_cndmask_b32_e64 v5, -1, v6, s7
	v_cndmask_b32_e32 v6, s9, v7, vcc_lo
	v_cndmask_b32_e32 v4, v3, v4, vcc_lo
	s_delay_alu instid0(VALU_DEP_3) | instskip(NEXT) | instid1(VALU_DEP_3)
	v_cmp_ne_u32_e32 vcc_lo, 0, v5
	v_cndmask_b32_e32 v3, s8, v6, vcc_lo
	s_delay_alu instid0(VALU_DEP_3)
	v_cndmask_b32_e32 v2, v2, v4, vcc_lo
	s_cbranch_execnz .LBB195_305
.LBB195_304:                            ;   in Loop: Header=BB195_12 Depth=1
	v_cvt_f32_u32_e32 v2, s49
	s_sub_i32 s7, 0, s49
	s_delay_alu instid0(VALU_DEP_1) | instskip(SKIP_2) | instid1(VALU_DEP_1)
	v_rcp_iflag_f32_e32 v2, v2
	s_waitcnt_depctr 0xfff
	v_mul_f32_e32 v2, 0x4f7ffffe, v2
	v_cvt_u32_f32_e32 v2, v2
	s_delay_alu instid0(VALU_DEP_1) | instskip(NEXT) | instid1(VALU_DEP_1)
	v_mul_lo_u32 v3, s7, v2
	v_mul_hi_u32 v3, v2, v3
	s_delay_alu instid0(VALU_DEP_1) | instskip(NEXT) | instid1(VALU_DEP_1)
	v_add_nc_u32_e32 v2, v2, v3
	v_mul_hi_u32 v2, s76, v2
	s_delay_alu instid0(VALU_DEP_1) | instskip(NEXT) | instid1(VALU_DEP_1)
	v_mul_lo_u32 v2, v2, s49
	v_sub_nc_u32_e32 v2, s76, v2
	s_delay_alu instid0(VALU_DEP_1) | instskip(SKIP_1) | instid1(VALU_DEP_2)
	v_subrev_nc_u32_e32 v3, s49, v2
	v_cmp_le_u32_e32 vcc_lo, s49, v2
	v_cndmask_b32_e32 v2, v2, v3, vcc_lo
	s_delay_alu instid0(VALU_DEP_1) | instskip(SKIP_1) | instid1(VALU_DEP_2)
	v_subrev_nc_u32_e32 v3, s49, v2
	v_cmp_le_u32_e32 vcc_lo, s49, v2
	v_cndmask_b32_e32 v12, v2, v3, vcc_lo
	s_delay_alu instid0(VALU_DEP_1)
	v_dual_mov_b32 v2, v12 :: v_dual_mov_b32 v3, v13
.LBB195_305:                            ;   in Loop: Header=BB195_12 Depth=1
	s_delay_alu instid0(VALU_DEP_1) | instskip(NEXT) | instid1(VALU_DEP_2)
	v_sub_co_u32 v2, vcc_lo, s76, v2
	v_sub_co_ci_u32_e32 v3, vcc_lo, s27, v3, vcc_lo
	s_mov_b32 s7, 0
	s_mov_b32 s8, exec_lo
                                        ; implicit-def: $vgpr18
	s_delay_alu instid0(VALU_DEP_1)
	v_cmpx_gt_u64_e64 v[2:3], v[0:1]
	s_cbranch_execz .LBB195_314
; %bb.306:                              ;   in Loop: Header=BB195_12 Depth=1
	v_dual_mov_b32 v5, v1 :: v_dual_mov_b32 v4, v0
	s_mov_b32 s9, 0
                                        ; implicit-def: $sgpr18
	s_branch .LBB195_308
.LBB195_307:                            ;   in Loop: Header=BB195_308 Depth=2
	s_or_b32 exec_lo, exec_lo, s7
	s_waitcnt vmcnt(0) lgkmcnt(0)
	s_barrier
	buffer_gl0_inv
	ds_load_b64 v[17:18], v13 offset:3072
	v_add_co_u32 v4, vcc_lo, v4, s49
	v_add_co_ci_u32_e32 v5, vcc_lo, 0, v5, vcc_lo
	s_waitcnt lgkmcnt(0)
	s_barrier
	buffer_gl0_inv
	v_cmp_ge_u64_e32 vcc_lo, v[4:5], v[2:3]
	v_cmp_neq_f32_e64 s7, 0, v17
	s_delay_alu instid0(VALU_DEP_1) | instskip(NEXT) | instid1(SALU_CYCLE_1)
	s_or_b32 s19, vcc_lo, s7
	s_and_b32 s19, exec_lo, s19
	s_delay_alu instid0(SALU_CYCLE_1) | instskip(SKIP_2) | instid1(SALU_CYCLE_1)
	s_or_b32 s9, s19, s9
	s_and_not1_b32 s18, s18, exec_lo
	s_and_b32 s7, s7, exec_lo
	s_or_b32 s18, s18, s7
	s_and_not1_b32 exec_lo, exec_lo, s9
	s_cbranch_execz .LBB195_313
.LBB195_308:                            ;   Parent Loop BB195_12 Depth=1
                                        ; =>  This Inner Loop Header: Depth=2
	s_delay_alu instid0(VALU_DEP_1)
	v_cmp_gt_u64_e32 vcc_lo, s[36:37], v[4:5]
	v_mov_b32_e32 v17, 0
	s_and_saveexec_b32 s19, vcc_lo
	s_cbranch_execz .LBB195_310
; %bb.309:                              ;   in Loop: Header=BB195_308 Depth=2
	v_mul_lo_u32 v8, v5, s30
	v_mul_lo_u32 v9, v4, s31
	v_mad_u64_u32 v[6:7], null, v4, s30, 0
	s_delay_alu instid0(VALU_DEP_1) | instskip(NEXT) | instid1(VALU_DEP_1)
	v_add3_u32 v7, v7, v9, v8
	v_lshlrev_b64 v[6:7], 2, v[6:7]
	s_delay_alu instid0(VALU_DEP_1) | instskip(NEXT) | instid1(VALU_DEP_1)
	v_add_co_u32 v6, s7, s33, v6
	v_add_co_ci_u32_e64 v7, s7, s35, v7, s7
	global_load_b32 v17, v[6:7], off
.LBB195_310:                            ;   in Loop: Header=BB195_308 Depth=2
	s_or_b32 exec_lo, exec_lo, s19
	s_and_saveexec_b32 s7, vcc_lo
	s_cbranch_execz .LBB195_307
; %bb.311:                              ;   in Loop: Header=BB195_308 Depth=2
	s_waitcnt vmcnt(0)
	v_cmp_lt_i32_e32 vcc_lo, -1, v17
	v_cndmask_b32_e64 v6, -1, 0x80000000, vcc_lo
	v_cmp_o_f32_e32 vcc_lo, v17, v17
	s_delay_alu instid0(VALU_DEP_2) | instskip(NEXT) | instid1(VALU_DEP_1)
	v_xor_b32_e32 v6, v6, v17
	v_cndmask_b32_e32 v6, -1, v6, vcc_lo
	s_delay_alu instid0(VALU_DEP_1) | instskip(NEXT) | instid1(VALU_DEP_1)
	v_and_b32_e32 v6, v6, v31
	v_cmp_eq_u32_e32 vcc_lo, v6, v32
	s_and_b32 exec_lo, exec_lo, vcc_lo
	s_cbranch_execz .LBB195_307
; %bb.312:                              ;   in Loop: Header=BB195_308 Depth=2
	ds_store_b64 v13, v[16:17] offset:3072
	s_branch .LBB195_307
.LBB195_313:                            ;   in Loop: Header=BB195_12 Depth=1
	s_or_b32 exec_lo, exec_lo, s9
	s_delay_alu instid0(SALU_CYCLE_1)
	s_and_b32 s7, s18, exec_lo
.LBB195_314:                            ;   in Loop: Header=BB195_12 Depth=1
	s_or_b32 exec_lo, exec_lo, s8
	s_mov_b32 s19, 0
	s_mov_b32 s18, -1
	s_mov_b32 s23, 0
.LBB195_315:                            ;   in Loop: Header=BB195_12 Depth=1
	s_or_not1_b32 s7, s7, exec_lo
.LBB195_316:                            ;   in Loop: Header=BB195_12 Depth=1
	s_or_b32 exec_lo, exec_lo, s58
                                        ; implicit-def: $vgpr8
                                        ; implicit-def: $vgpr2_vgpr3
                                        ; implicit-def: $vgpr21
                                        ; implicit-def: $vgpr22
                                        ; implicit-def: $vgpr5
	s_and_saveexec_b32 s58, s7
	s_cbranch_execz .LBB195_479
; %bb.317:                              ;   in Loop: Header=BB195_12 Depth=1
	v_mov_b32_e32 v2, 1
	v_dual_mov_b32 v3, 0 :: v_dual_mov_b32 v8, 1
	s_xor_b32 s8, s62, -1
	s_mov_b32 s26, 0
	s_and_saveexec_b32 s7, s8
	s_cbranch_execz .LBB195_327
; %bb.318:                              ;   in Loop: Header=BB195_12 Depth=1
	s_mov_b32 s9, exec_lo
                                        ; implicit-def: $sgpr26
                                        ; implicit-def: $sgpr8
	v_cmpx_ge_u64_e64 s[16:17], v[19:20]
	s_xor_b32 s9, exec_lo, s9
	s_cbranch_execz .LBB195_324
; %bb.319:                              ;   in Loop: Header=BB195_12 Depth=1
	ds_load_b64 v[2:3], v13 offset:5120
	s_waitcnt lgkmcnt(0)
	v_cmp_ne_u64_e32 vcc_lo, 0, v[2:3]
	s_cbranch_vccnz .LBB195_323
; %bb.320:                              ;   in Loop: Header=BB195_12 Depth=1
	s_and_saveexec_b32 s8, s5
	s_cbranch_execz .LBB195_322
; %bb.321:                              ;   in Loop: Header=BB195_12 Depth=1
	v_dual_mov_b32 v2, s16 :: v_dual_mov_b32 v3, s17
	ds_store_b64 v13, v[2:3] offset:5128
.LBB195_322:                            ;   in Loop: Header=BB195_12 Depth=1
	s_or_b32 exec_lo, exec_lo, s8
	s_waitcnt lgkmcnt(0)
	s_barrier
	buffer_gl0_inv
.LBB195_323:                            ;   in Loop: Header=BB195_12 Depth=1
	v_or_b32_e32 v32, s20, v32
	v_or_b32_e32 v31, s20, v31
	s_mov_b32 s8, 0
	s_mov_b32 s26, 5
.LBB195_324:                            ;   in Loop: Header=BB195_12 Depth=1
	s_or_saveexec_b32 s9, s9
	v_mov_b32_e32 v8, s26
	s_xor_b32 exec_lo, exec_lo, s9
; %bb.325:                              ;   in Loop: Header=BB195_12 Depth=1
	v_sub_co_u32 v19, vcc_lo, v19, s16
	v_subrev_co_ci_u32_e32 v20, vcc_lo, s17, v20, vcc_lo
	v_mov_b32_e32 v8, 0
	s_or_b32 s8, s8, exec_lo
; %bb.326:                              ;   in Loop: Header=BB195_12 Depth=1
	s_or_b32 exec_lo, exec_lo, s9
	s_delay_alu instid0(VALU_DEP_2)
	v_dual_mov_b32 v2, v19 :: v_dual_mov_b32 v3, v20
	s_and_b32 s26, s8, exec_lo
.LBB195_327:                            ;   in Loop: Header=BB195_12 Depth=1
	s_or_b32 exec_lo, exec_lo, s7
	s_mov_b32 s17, -1
                                        ; implicit-def: $sgpr8
                                        ; implicit-def: $sgpr9
                                        ; implicit-def: $sgpr16
	s_and_saveexec_b32 s7, s26
	s_delay_alu instid0(SALU_CYCLE_1)
	s_xor_b32 s62, exec_lo, s7
	s_cbranch_execz .LBB195_476
; %bb.328:                              ;   in Loop: Header=BB195_12 Depth=1
	v_cmp_eq_u64_e32 vcc_lo, 1, v[2:3]
	s_cmp_eq_u64 s[14:15], 1
                                        ; implicit-def: $sgpr16
                                        ; implicit-def: $sgpr17
                                        ; implicit-def: $sgpr63
	s_cselect_b32 s7, -1, 0
	s_delay_alu instid0(SALU_CYCLE_1)
	s_and_b32 s65, s7, vcc_lo
	s_mov_b32 s7, -1
	s_and_saveexec_b32 s64, s65
	s_cbranch_execz .LBB195_362
; %bb.329:                              ;   in Loop: Header=BB195_12 Depth=1
	ds_load_b64 v[4:5], v13 offset:5120
	s_waitcnt lgkmcnt(0)
	s_barrier
	buffer_gl0_inv
	v_readfirstlane_b32 s8, v4
	v_readfirstlane_b32 s9, v5
	s_and_saveexec_b32 s7, s6
	s_cbranch_execz .LBB195_331
; %bb.330:                              ;   in Loop: Header=BB195_12 Depth=1
	ds_store_b32 v28, v13
.LBB195_331:                            ;   in Loop: Header=BB195_12 Depth=1
	s_or_b32 exec_lo, exec_lo, s7
	s_lshl_b32 s7, 2, s22
	v_or_b32_e32 v31, s20, v31
	v_and_or_b32 v32, v32, s21, s7
	s_cmp_eq_u64 s[8:9], 0
	s_waitcnt lgkmcnt(0)
	s_barrier
	buffer_gl0_inv
	s_cbranch_scc1 .LBB195_345
; %bb.332:                              ;   in Loop: Header=BB195_12 Depth=1
	s_add_u32 s26, s74, s8
	s_addc_u32 s17, s75, s9
	s_mov_b32 s16, s59
	s_delay_alu instid0(SALU_CYCLE_1)
	s_cmp_lg_u64 s[16:17], 0
	s_cbranch_scc0 .LBB195_389
; %bb.333:                              ;   in Loop: Header=BB195_12 Depth=1
	v_cvt_f32_u32_e32 v4, s49
	s_sub_u32 s63, 0, s49
	s_subb_u32 s66, 0, 0
	s_delay_alu instid0(VALU_DEP_1) | instskip(NEXT) | instid1(VALU_DEP_1)
	v_fmac_f32_e64 v4, 0, 0x4f800000
	v_rcp_f32_e32 v4, v4
	s_waitcnt_depctr 0xfff
	v_mul_f32_e32 v4, 0x5f7ffffc, v4
	s_delay_alu instid0(VALU_DEP_1) | instskip(NEXT) | instid1(VALU_DEP_1)
	v_mul_f32_e32 v5, 0x2f800000, v4
	v_trunc_f32_e32 v5, v5
	s_delay_alu instid0(VALU_DEP_1) | instskip(SKIP_1) | instid1(VALU_DEP_2)
	v_fmac_f32_e32 v4, 0xcf800000, v5
	v_cvt_u32_f32_e32 v5, v5
	v_cvt_u32_f32_e32 v4, v4
	s_delay_alu instid0(VALU_DEP_2) | instskip(NEXT) | instid1(VALU_DEP_2)
	v_readfirstlane_b32 s7, v5
	v_readfirstlane_b32 s16, v4
	s_delay_alu instid0(VALU_DEP_2) | instskip(NEXT) | instid1(VALU_DEP_1)
	s_mul_i32 s67, s63, s7
	s_mul_hi_u32 s69, s63, s16
	s_mul_i32 s68, s66, s16
	s_add_i32 s67, s69, s67
	s_mul_i32 s70, s63, s16
	s_add_i32 s67, s67, s68
	s_mul_hi_u32 s69, s16, s70
	s_mul_hi_u32 s71, s7, s70
	s_mul_i32 s68, s7, s70
	s_mul_hi_u32 s70, s16, s67
	s_mul_i32 s16, s16, s67
	s_mul_hi_u32 s96, s7, s67
	s_add_u32 s16, s69, s16
	s_addc_u32 s69, 0, s70
	s_add_u32 s16, s16, s68
	s_mul_i32 s67, s7, s67
	s_addc_u32 s16, s69, s71
	s_addc_u32 s68, s96, 0
	s_add_u32 s16, s16, s67
	s_addc_u32 s67, 0, s68
	v_add_co_u32 v4, s16, v4, s16
	s_delay_alu instid0(VALU_DEP_1) | instskip(SKIP_1) | instid1(VALU_DEP_1)
	s_cmp_lg_u32 s16, 0
	s_addc_u32 s7, s7, s67
	v_readfirstlane_b32 s16, v4
	s_mul_i32 s67, s63, s7
	s_delay_alu instid0(VALU_DEP_1)
	s_mul_hi_u32 s68, s63, s16
	s_mul_i32 s66, s66, s16
	s_add_i32 s67, s68, s67
	s_mul_i32 s63, s63, s16
	s_add_i32 s67, s67, s66
	s_mul_hi_u32 s68, s7, s63
	s_mul_i32 s69, s7, s63
	s_mul_hi_u32 s63, s16, s63
	s_mul_hi_u32 s70, s16, s67
	s_mul_i32 s16, s16, s67
	s_mul_hi_u32 s66, s7, s67
	s_add_u32 s16, s63, s16
	s_addc_u32 s63, 0, s70
	s_add_u32 s16, s16, s69
	s_mul_i32 s67, s7, s67
	s_addc_u32 s16, s63, s68
	s_addc_u32 s63, s66, 0
	s_add_u32 s16, s16, s67
	s_addc_u32 s63, 0, s63
	v_add_co_u32 v4, s16, v4, s16
	s_delay_alu instid0(VALU_DEP_1) | instskip(SKIP_1) | instid1(VALU_DEP_1)
	s_cmp_lg_u32 s16, 0
	s_addc_u32 s7, s7, s63
	v_readfirstlane_b32 s16, v4
	s_mul_i32 s66, s26, s7
	s_mul_hi_u32 s63, s26, s7
	s_mul_hi_u32 s67, s17, s7
	s_mul_i32 s7, s17, s7
	s_mul_hi_u32 s68, s26, s16
	s_mul_hi_u32 s69, s17, s16
	s_mul_i32 s16, s17, s16
	s_add_u32 s66, s68, s66
	s_addc_u32 s63, 0, s63
	s_add_u32 s16, s66, s16
	s_addc_u32 s16, s63, s69
	s_addc_u32 s63, s67, 0
	s_add_u32 s7, s16, s7
	s_addc_u32 s16, 0, s63
	s_mul_hi_u32 s63, s49, s7
	s_mul_i32 s7, s49, s7
	s_mul_i32 s16, s49, s16
	v_sub_co_u32 v4, s7, s26, s7
	s_add_i32 s63, s63, s16
	s_cmp_lg_u32 s7, 0
	s_delay_alu instid0(VALU_DEP_1) | instskip(SKIP_2) | instid1(VALU_DEP_1)
	v_sub_co_u32 v5, s7, v4, s49
	s_subb_u32 s16, s17, s63
	s_cmp_lg_u32 s7, 0
	v_cmp_le_u32_e32 vcc_lo, s49, v5
	v_sub_co_u32 v6, s7, v5, s49
	s_subb_u32 s63, s16, 0
	s_cmp_lg_u32 s7, 0
	v_cndmask_b32_e64 v7, 0, -1, vcc_lo
	s_subb_u32 s7, s63, 0
	s_cmp_eq_u32 s63, 0
	v_mov_b32_e32 v9, s7
	s_cselect_b32 vcc_lo, -1, 0
	s_cmp_eq_u32 s16, 0
	v_cndmask_b32_e32 v7, -1, v7, vcc_lo
	v_cmp_le_u32_e32 vcc_lo, s49, v4
	s_cselect_b32 s7, -1, 0
	v_cndmask_b32_e64 v8, 0, -1, vcc_lo
	s_delay_alu instid0(VALU_DEP_3) | instskip(NEXT) | instid1(VALU_DEP_2)
	v_cmp_ne_u32_e32 vcc_lo, 0, v7
	v_cndmask_b32_e64 v7, -1, v8, s7
	v_cndmask_b32_e32 v8, s63, v9, vcc_lo
	v_cndmask_b32_e32 v6, v5, v6, vcc_lo
	s_delay_alu instid0(VALU_DEP_3) | instskip(NEXT) | instid1(VALU_DEP_3)
	v_cmp_ne_u32_e32 vcc_lo, 0, v7
	v_cndmask_b32_e32 v5, s16, v8, vcc_lo
	s_delay_alu instid0(VALU_DEP_3)
	v_cndmask_b32_e32 v4, v4, v6, vcc_lo
	s_cbranch_execnz .LBB195_335
.LBB195_334:                            ;   in Loop: Header=BB195_12 Depth=1
	v_cvt_f32_u32_e32 v4, s49
	s_sub_i32 s7, 0, s49
	s_delay_alu instid0(VALU_DEP_1) | instskip(SKIP_2) | instid1(VALU_DEP_1)
	v_rcp_iflag_f32_e32 v4, v4
	s_waitcnt_depctr 0xfff
	v_mul_f32_e32 v4, 0x4f7ffffe, v4
	v_cvt_u32_f32_e32 v4, v4
	s_delay_alu instid0(VALU_DEP_1) | instskip(NEXT) | instid1(VALU_DEP_1)
	v_mul_lo_u32 v5, s7, v4
	v_mul_hi_u32 v5, v4, v5
	s_delay_alu instid0(VALU_DEP_1) | instskip(NEXT) | instid1(VALU_DEP_1)
	v_add_nc_u32_e32 v4, v4, v5
	v_mul_hi_u32 v4, s26, v4
	s_delay_alu instid0(VALU_DEP_1) | instskip(NEXT) | instid1(VALU_DEP_1)
	v_mul_lo_u32 v4, v4, s49
	v_sub_nc_u32_e32 v4, s26, v4
	s_delay_alu instid0(VALU_DEP_1) | instskip(SKIP_1) | instid1(VALU_DEP_2)
	v_subrev_nc_u32_e32 v5, s49, v4
	v_cmp_le_u32_e32 vcc_lo, s49, v4
	v_cndmask_b32_e32 v4, v4, v5, vcc_lo
	s_delay_alu instid0(VALU_DEP_1) | instskip(SKIP_1) | instid1(VALU_DEP_2)
	v_subrev_nc_u32_e32 v5, s49, v4
	v_cmp_le_u32_e32 vcc_lo, s49, v4
	v_cndmask_b32_e32 v12, v4, v5, vcc_lo
	s_delay_alu instid0(VALU_DEP_1)
	v_dual_mov_b32 v4, v12 :: v_dual_mov_b32 v5, v13
.LBB195_335:                            ;   in Loop: Header=BB195_12 Depth=1
	s_delay_alu instid0(VALU_DEP_1) | instskip(NEXT) | instid1(VALU_DEP_2)
	v_sub_co_u32 v4, vcc_lo, s26, v4
	v_sub_co_ci_u32_e32 v5, vcc_lo, s17, v5, vcc_lo
	s_mov_b32 s7, 0
	s_mov_b32 s16, exec_lo
                                        ; implicit-def: $vgpr18
	s_delay_alu instid0(VALU_DEP_1)
	v_cmpx_gt_u64_e64 v[4:5], v[0:1]
	s_cbranch_execz .LBB195_347
; %bb.336:                              ;   in Loop: Header=BB195_12 Depth=1
	v_dual_mov_b32 v8, v14 :: v_dual_mov_b32 v7, v1
	v_mov_b32_e32 v6, v0
	s_mov_b32 s17, 0
                                        ; implicit-def: $sgpr26
	s_set_inst_prefetch_distance 0x1
	s_branch .LBB195_338
	.p2align	6
.LBB195_337:                            ;   in Loop: Header=BB195_338 Depth=2
	s_or_b32 exec_lo, exec_lo, s7
	s_waitcnt lgkmcnt(0)
	s_barrier
	buffer_gl0_inv
	ds_load_b64 v[17:18], v13 offset:3072
	v_add_co_u32 v6, vcc_lo, v6, s49
	v_add_co_ci_u32_e32 v7, vcc_lo, 0, v7, vcc_lo
	v_add_nc_u32_e32 v8, s82, v8
	s_waitcnt lgkmcnt(0)
	s_barrier
	s_delay_alu instid0(VALU_DEP_2) | instskip(SKIP_2) | instid1(VALU_DEP_1)
	v_cmp_ge_u64_e32 vcc_lo, v[6:7], v[4:5]
	buffer_gl0_inv
	v_cmp_neq_f32_e64 s7, 0, v17
	s_or_b32 s63, vcc_lo, s7
	s_delay_alu instid0(SALU_CYCLE_1) | instskip(NEXT) | instid1(SALU_CYCLE_1)
	s_and_b32 s63, exec_lo, s63
	s_or_b32 s17, s63, s17
	s_and_not1_b32 s26, s26, exec_lo
	s_and_b32 s7, s7, exec_lo
	s_delay_alu instid0(SALU_CYCLE_1)
	s_or_b32 s26, s26, s7
	s_and_not1_b32 exec_lo, exec_lo, s17
	s_cbranch_execz .LBB195_346
.LBB195_338:                            ;   Parent Loop BB195_12 Depth=1
                                        ; =>  This Inner Loop Header: Depth=2
	s_delay_alu instid0(VALU_DEP_1)
	v_cmp_gt_u64_e32 vcc_lo, s[8:9], v[6:7]
	v_mov_b32_e32 v17, 0
	s_and_saveexec_b32 s7, vcc_lo
	s_cbranch_execz .LBB195_340
; %bb.339:                              ;   in Loop: Header=BB195_338 Depth=2
	ds_load_b32 v17, v8
.LBB195_340:                            ;   in Loop: Header=BB195_338 Depth=2
	s_or_b32 exec_lo, exec_lo, s7
	s_and_saveexec_b32 s7, vcc_lo
	s_cbranch_execz .LBB195_337
; %bb.341:                              ;   in Loop: Header=BB195_338 Depth=2
	s_waitcnt lgkmcnt(0)
	v_cmp_lt_i32_e32 vcc_lo, -1, v17
	v_cndmask_b32_e64 v9, -1, 0x80000000, vcc_lo
	v_cmp_o_f32_e32 vcc_lo, v17, v17
	s_delay_alu instid0(VALU_DEP_2) | instskip(NEXT) | instid1(VALU_DEP_1)
	v_xor_b32_e32 v9, v9, v17
	v_cndmask_b32_e32 v9, -1, v9, vcc_lo
	s_delay_alu instid0(VALU_DEP_1) | instskip(NEXT) | instid1(VALU_DEP_1)
	v_and_b32_e32 v9, v9, v31
	v_cmp_eq_u32_e32 vcc_lo, v9, v32
	s_and_b32 exec_lo, exec_lo, vcc_lo
	s_cbranch_execz .LBB195_337
; %bb.342:                              ;   in Loop: Header=BB195_338 Depth=2
	ds_store_b64 v13, v[16:17] offset:3072
	s_branch .LBB195_337
.LBB195_343:                            ;   in Loop: Header=BB195_12 Depth=1
                                        ; implicit-def: $vgpr2_vgpr3
	s_branch .LBB195_290
.LBB195_344:                            ;   in Loop: Header=BB195_12 Depth=1
                                        ; implicit-def: $vgpr2_vgpr3
	s_branch .LBB195_304
.LBB195_345:                            ;   in Loop: Header=BB195_12 Depth=1
	s_mov_b32 s16, -1
	s_mov_b32 s7, 0
                                        ; implicit-def: $sgpr17
                                        ; implicit-def: $vgpr18
	s_mov_b32 s63, s16
	s_cbranch_execnz .LBB195_348
	s_branch .LBB195_361
.LBB195_346:                            ;   in Loop: Header=BB195_12 Depth=1
	s_set_inst_prefetch_distance 0x2
	s_or_b32 exec_lo, exec_lo, s17
	s_delay_alu instid0(SALU_CYCLE_1)
	s_and_b32 s7, s26, exec_lo
.LBB195_347:                            ;   in Loop: Header=BB195_12 Depth=1
	s_or_b32 exec_lo, exec_lo, s16
	s_mov_b32 s16, 0
	s_mov_b32 s17, -1
	s_mov_b32 s63, s16
	s_branch .LBB195_361
.LBB195_348:                            ;   in Loop: Header=BB195_12 Depth=1
	s_mov_b32 s26, s59
	s_delay_alu instid0(SALU_CYCLE_1)
	s_cmp_lg_u64 s[26:27], 0
	s_cbranch_scc0 .LBB195_390
; %bb.349:                              ;   in Loop: Header=BB195_12 Depth=1
	v_cvt_f32_u32_e32 v4, s49
	s_sub_u32 s9, 0, s49
	s_subb_u32 s16, 0, 0
	s_delay_alu instid0(VALU_DEP_1) | instskip(NEXT) | instid1(VALU_DEP_1)
	v_fmac_f32_e64 v4, 0, 0x4f800000
	v_rcp_f32_e32 v4, v4
	s_waitcnt_depctr 0xfff
	v_mul_f32_e32 v4, 0x5f7ffffc, v4
	s_delay_alu instid0(VALU_DEP_1) | instskip(NEXT) | instid1(VALU_DEP_1)
	v_mul_f32_e32 v5, 0x2f800000, v4
	v_trunc_f32_e32 v5, v5
	s_delay_alu instid0(VALU_DEP_1) | instskip(SKIP_1) | instid1(VALU_DEP_2)
	v_fmac_f32_e32 v4, 0xcf800000, v5
	v_cvt_u32_f32_e32 v5, v5
	v_cvt_u32_f32_e32 v4, v4
	s_delay_alu instid0(VALU_DEP_2) | instskip(NEXT) | instid1(VALU_DEP_2)
	v_readfirstlane_b32 s7, v5
	v_readfirstlane_b32 s8, v4
	s_delay_alu instid0(VALU_DEP_2) | instskip(NEXT) | instid1(VALU_DEP_1)
	s_mul_i32 s17, s9, s7
	s_mul_hi_u32 s63, s9, s8
	s_mul_i32 s26, s16, s8
	s_add_i32 s17, s63, s17
	s_mul_i32 s66, s9, s8
	s_add_i32 s17, s17, s26
	s_mul_hi_u32 s63, s8, s66
	s_mul_hi_u32 s67, s7, s66
	s_mul_i32 s26, s7, s66
	s_mul_hi_u32 s66, s8, s17
	s_mul_i32 s8, s8, s17
	s_mul_hi_u32 s68, s7, s17
	s_add_u32 s8, s63, s8
	s_addc_u32 s63, 0, s66
	s_add_u32 s8, s8, s26
	s_mul_i32 s17, s7, s17
	s_addc_u32 s8, s63, s67
	s_addc_u32 s26, s68, 0
	s_add_u32 s8, s8, s17
	s_addc_u32 s17, 0, s26
	v_add_co_u32 v4, s8, v4, s8
	s_delay_alu instid0(VALU_DEP_1) | instskip(SKIP_1) | instid1(VALU_DEP_1)
	s_cmp_lg_u32 s8, 0
	s_addc_u32 s7, s7, s17
	v_readfirstlane_b32 s8, v4
	s_mul_i32 s17, s9, s7
	s_delay_alu instid0(VALU_DEP_1)
	s_mul_hi_u32 s26, s9, s8
	s_mul_i32 s16, s16, s8
	s_add_i32 s17, s26, s17
	s_mul_i32 s9, s9, s8
	s_add_i32 s17, s17, s16
	s_mul_hi_u32 s26, s7, s9
	s_mul_i32 s63, s7, s9
	s_mul_hi_u32 s9, s8, s9
	s_mul_hi_u32 s66, s8, s17
	s_mul_i32 s8, s8, s17
	s_mul_hi_u32 s16, s7, s17
	s_add_u32 s8, s9, s8
	s_addc_u32 s9, 0, s66
	s_add_u32 s8, s8, s63
	s_mul_i32 s17, s7, s17
	s_addc_u32 s8, s9, s26
	s_addc_u32 s9, s16, 0
	s_add_u32 s8, s8, s17
	s_addc_u32 s9, 0, s9
	v_add_co_u32 v4, s8, v4, s8
	s_delay_alu instid0(VALU_DEP_1) | instskip(SKIP_1) | instid1(VALU_DEP_1)
	s_cmp_lg_u32 s8, 0
	s_addc_u32 s7, s7, s9
	v_readfirstlane_b32 s8, v4
	s_mul_i32 s16, s76, s7
	s_mul_hi_u32 s9, s76, s7
	s_mul_hi_u32 s17, s27, s7
	s_mul_i32 s7, s27, s7
	s_mul_hi_u32 s26, s76, s8
	s_mul_hi_u32 s63, s27, s8
	s_mul_i32 s8, s27, s8
	s_add_u32 s16, s26, s16
	s_addc_u32 s9, 0, s9
	s_add_u32 s8, s16, s8
	s_addc_u32 s8, s9, s63
	s_addc_u32 s9, s17, 0
	s_add_u32 s7, s8, s7
	s_addc_u32 s8, 0, s9
	s_mul_hi_u32 s9, s49, s7
	s_mul_i32 s7, s49, s7
	s_mul_i32 s8, s49, s8
	v_sub_co_u32 v4, s7, s76, s7
	s_add_i32 s9, s9, s8
	s_cmp_lg_u32 s7, 0
	s_delay_alu instid0(VALU_DEP_1) | instskip(SKIP_2) | instid1(VALU_DEP_1)
	v_sub_co_u32 v5, s7, v4, s49
	s_subb_u32 s8, s27, s9
	s_cmp_lg_u32 s7, 0
	v_cmp_le_u32_e32 vcc_lo, s49, v5
	v_sub_co_u32 v6, s7, v5, s49
	s_subb_u32 s9, s8, 0
	s_cmp_lg_u32 s7, 0
	v_cndmask_b32_e64 v7, 0, -1, vcc_lo
	s_subb_u32 s7, s9, 0
	s_cmp_eq_u32 s9, 0
	v_mov_b32_e32 v9, s7
	s_cselect_b32 vcc_lo, -1, 0
	s_cmp_eq_u32 s8, 0
	v_cndmask_b32_e32 v7, -1, v7, vcc_lo
	v_cmp_le_u32_e32 vcc_lo, s49, v4
	s_cselect_b32 s7, -1, 0
	v_cndmask_b32_e64 v8, 0, -1, vcc_lo
	s_delay_alu instid0(VALU_DEP_3) | instskip(NEXT) | instid1(VALU_DEP_2)
	v_cmp_ne_u32_e32 vcc_lo, 0, v7
	v_cndmask_b32_e64 v7, -1, v8, s7
	v_cndmask_b32_e32 v8, s9, v9, vcc_lo
	v_cndmask_b32_e32 v6, v5, v6, vcc_lo
	s_delay_alu instid0(VALU_DEP_3) | instskip(NEXT) | instid1(VALU_DEP_3)
	v_cmp_ne_u32_e32 vcc_lo, 0, v7
	v_cndmask_b32_e32 v5, s8, v8, vcc_lo
	s_delay_alu instid0(VALU_DEP_3)
	v_cndmask_b32_e32 v4, v4, v6, vcc_lo
	s_cbranch_execnz .LBB195_351
.LBB195_350:                            ;   in Loop: Header=BB195_12 Depth=1
	v_cvt_f32_u32_e32 v4, s49
	s_sub_i32 s7, 0, s49
	s_delay_alu instid0(VALU_DEP_1) | instskip(SKIP_2) | instid1(VALU_DEP_1)
	v_rcp_iflag_f32_e32 v4, v4
	s_waitcnt_depctr 0xfff
	v_mul_f32_e32 v4, 0x4f7ffffe, v4
	v_cvt_u32_f32_e32 v4, v4
	s_delay_alu instid0(VALU_DEP_1) | instskip(NEXT) | instid1(VALU_DEP_1)
	v_mul_lo_u32 v5, s7, v4
	v_mul_hi_u32 v5, v4, v5
	s_delay_alu instid0(VALU_DEP_1) | instskip(NEXT) | instid1(VALU_DEP_1)
	v_add_nc_u32_e32 v4, v4, v5
	v_mul_hi_u32 v4, s76, v4
	s_delay_alu instid0(VALU_DEP_1) | instskip(NEXT) | instid1(VALU_DEP_1)
	v_mul_lo_u32 v4, v4, s49
	v_sub_nc_u32_e32 v4, s76, v4
	s_delay_alu instid0(VALU_DEP_1) | instskip(SKIP_1) | instid1(VALU_DEP_2)
	v_subrev_nc_u32_e32 v5, s49, v4
	v_cmp_le_u32_e32 vcc_lo, s49, v4
	v_cndmask_b32_e32 v4, v4, v5, vcc_lo
	s_delay_alu instid0(VALU_DEP_1) | instskip(SKIP_1) | instid1(VALU_DEP_2)
	v_subrev_nc_u32_e32 v5, s49, v4
	v_cmp_le_u32_e32 vcc_lo, s49, v4
	v_cndmask_b32_e32 v12, v4, v5, vcc_lo
	s_delay_alu instid0(VALU_DEP_1)
	v_dual_mov_b32 v4, v12 :: v_dual_mov_b32 v5, v13
.LBB195_351:                            ;   in Loop: Header=BB195_12 Depth=1
	s_delay_alu instid0(VALU_DEP_1) | instskip(NEXT) | instid1(VALU_DEP_2)
	v_sub_co_u32 v4, vcc_lo, s76, v4
	v_sub_co_ci_u32_e32 v5, vcc_lo, s27, v5, vcc_lo
	s_mov_b32 s7, 0
	s_mov_b32 s8, exec_lo
                                        ; implicit-def: $vgpr18
	s_delay_alu instid0(VALU_DEP_1)
	v_cmpx_gt_u64_e64 v[4:5], v[0:1]
	s_cbranch_execz .LBB195_360
; %bb.352:                              ;   in Loop: Header=BB195_12 Depth=1
	v_dual_mov_b32 v7, v1 :: v_dual_mov_b32 v6, v0
	s_mov_b32 s9, 0
                                        ; implicit-def: $sgpr16
	s_branch .LBB195_354
.LBB195_353:                            ;   in Loop: Header=BB195_354 Depth=2
	s_or_b32 exec_lo, exec_lo, s7
	s_waitcnt vmcnt(0) lgkmcnt(0)
	s_barrier
	buffer_gl0_inv
	ds_load_b64 v[17:18], v13 offset:3072
	v_add_co_u32 v6, vcc_lo, v6, s49
	v_add_co_ci_u32_e32 v7, vcc_lo, 0, v7, vcc_lo
	s_waitcnt lgkmcnt(0)
	s_barrier
	buffer_gl0_inv
	v_cmp_ge_u64_e32 vcc_lo, v[6:7], v[4:5]
	v_cmp_neq_f32_e64 s7, 0, v17
	s_delay_alu instid0(VALU_DEP_1) | instskip(NEXT) | instid1(SALU_CYCLE_1)
	s_or_b32 s17, vcc_lo, s7
	s_and_b32 s17, exec_lo, s17
	s_delay_alu instid0(SALU_CYCLE_1) | instskip(SKIP_2) | instid1(SALU_CYCLE_1)
	s_or_b32 s9, s17, s9
	s_and_not1_b32 s16, s16, exec_lo
	s_and_b32 s7, s7, exec_lo
	s_or_b32 s16, s16, s7
	s_and_not1_b32 exec_lo, exec_lo, s9
	s_cbranch_execz .LBB195_359
.LBB195_354:                            ;   Parent Loop BB195_12 Depth=1
                                        ; =>  This Inner Loop Header: Depth=2
	s_delay_alu instid0(VALU_DEP_1)
	v_cmp_gt_u64_e32 vcc_lo, s[36:37], v[6:7]
	v_mov_b32_e32 v17, 0
	s_and_saveexec_b32 s17, vcc_lo
	s_cbranch_execz .LBB195_356
; %bb.355:                              ;   in Loop: Header=BB195_354 Depth=2
	v_mul_lo_u32 v12, v7, s30
	v_mul_lo_u32 v17, v6, s31
	v_mad_u64_u32 v[8:9], null, v6, s30, 0
	s_delay_alu instid0(VALU_DEP_1) | instskip(NEXT) | instid1(VALU_DEP_1)
	v_add3_u32 v9, v9, v17, v12
	v_lshlrev_b64 v[8:9], 2, v[8:9]
	s_delay_alu instid0(VALU_DEP_1) | instskip(NEXT) | instid1(VALU_DEP_1)
	v_add_co_u32 v8, s7, s33, v8
	v_add_co_ci_u32_e64 v9, s7, s35, v9, s7
	global_load_b32 v17, v[8:9], off
.LBB195_356:                            ;   in Loop: Header=BB195_354 Depth=2
	s_or_b32 exec_lo, exec_lo, s17
	s_and_saveexec_b32 s7, vcc_lo
	s_cbranch_execz .LBB195_353
; %bb.357:                              ;   in Loop: Header=BB195_354 Depth=2
	s_waitcnt vmcnt(0)
	v_cmp_lt_i32_e32 vcc_lo, -1, v17
	v_cndmask_b32_e64 v8, -1, 0x80000000, vcc_lo
	v_cmp_o_f32_e32 vcc_lo, v17, v17
	s_delay_alu instid0(VALU_DEP_2) | instskip(NEXT) | instid1(VALU_DEP_1)
	v_xor_b32_e32 v8, v8, v17
	v_cndmask_b32_e32 v8, -1, v8, vcc_lo
	s_delay_alu instid0(VALU_DEP_1) | instskip(NEXT) | instid1(VALU_DEP_1)
	v_and_b32_e32 v8, v8, v31
	v_cmp_eq_u32_e32 vcc_lo, v8, v32
	s_and_b32 exec_lo, exec_lo, vcc_lo
	s_cbranch_execz .LBB195_353
; %bb.358:                              ;   in Loop: Header=BB195_354 Depth=2
	ds_store_b64 v13, v[16:17] offset:3072
	s_branch .LBB195_353
.LBB195_359:                            ;   in Loop: Header=BB195_12 Depth=1
	s_or_b32 exec_lo, exec_lo, s9
	s_delay_alu instid0(SALU_CYCLE_1)
	s_and_b32 s7, s16, exec_lo
.LBB195_360:                            ;   in Loop: Header=BB195_12 Depth=1
	s_or_b32 exec_lo, exec_lo, s8
	s_mov_b32 s17, 0
	s_mov_b32 s16, -1
	s_mov_b32 s63, 0
.LBB195_361:                            ;   in Loop: Header=BB195_12 Depth=1
	s_or_not1_b32 s7, s7, exec_lo
.LBB195_362:                            ;   in Loop: Header=BB195_12 Depth=1
	s_or_b32 exec_lo, exec_lo, s64
	s_mov_b32 s26, 0
                                        ; implicit-def: $vgpr8
	s_and_saveexec_b32 s64, s7
	s_cbranch_execz .LBB195_475
; %bb.363:                              ;   in Loop: Header=BB195_12 Depth=1
	v_mov_b32_e32 v4, 1
	v_dual_mov_b32 v5, 0 :: v_dual_mov_b32 v8, 1
	s_xor_b32 s8, s65, -1
	s_delay_alu instid0(SALU_CYCLE_1)
	s_and_saveexec_b32 s7, s8
	s_cbranch_execz .LBB195_373
; %bb.364:                              ;   in Loop: Header=BB195_12 Depth=1
	s_mov_b32 s9, exec_lo
                                        ; implicit-def: $sgpr26
                                        ; implicit-def: $sgpr8
	v_cmpx_ge_u64_e64 s[14:15], v[2:3]
	s_xor_b32 s9, exec_lo, s9
	s_cbranch_execz .LBB195_370
; %bb.365:                              ;   in Loop: Header=BB195_12 Depth=1
	ds_load_b64 v[4:5], v13 offset:5120
	s_waitcnt lgkmcnt(0)
	v_cmp_ne_u64_e32 vcc_lo, 0, v[4:5]
	s_cbranch_vccnz .LBB195_369
; %bb.366:                              ;   in Loop: Header=BB195_12 Depth=1
	s_and_saveexec_b32 s8, s5
	s_cbranch_execz .LBB195_368
; %bb.367:                              ;   in Loop: Header=BB195_12 Depth=1
	v_dual_mov_b32 v4, s14 :: v_dual_mov_b32 v5, s15
	ds_store_b64 v13, v[4:5] offset:5128
.LBB195_368:                            ;   in Loop: Header=BB195_12 Depth=1
	s_or_b32 exec_lo, exec_lo, s8
	s_waitcnt lgkmcnt(0)
	s_barrier
	buffer_gl0_inv
.LBB195_369:                            ;   in Loop: Header=BB195_12 Depth=1
	s_lshl_b32 s8, 2, s22
	v_or_b32_e32 v31, s20, v31
	v_and_or_b32 v32, v32, s21, s8
	s_mov_b32 s8, 0
	s_mov_b32 s26, 5
.LBB195_370:                            ;   in Loop: Header=BB195_12 Depth=1
	s_or_saveexec_b32 s9, s9
	v_mov_b32_e32 v8, s26
	s_xor_b32 exec_lo, exec_lo, s9
; %bb.371:                              ;   in Loop: Header=BB195_12 Depth=1
	v_sub_co_u32 v2, vcc_lo, v2, s14
	v_subrev_co_ci_u32_e32 v3, vcc_lo, s15, v3, vcc_lo
	v_mov_b32_e32 v8, 0
	s_or_b32 s8, s8, exec_lo
; %bb.372:                              ;   in Loop: Header=BB195_12 Depth=1
	s_or_b32 exec_lo, exec_lo, s9
	s_delay_alu instid0(VALU_DEP_2)
	v_dual_mov_b32 v5, v3 :: v_dual_mov_b32 v4, v2
	s_and_b32 s26, s8, exec_lo
.LBB195_373:                            ;   in Loop: Header=BB195_12 Depth=1
	s_or_b32 exec_lo, exec_lo, s7
	s_mov_b32 s7, -1
                                        ; implicit-def: $sgpr8
                                        ; implicit-def: $sgpr9
                                        ; implicit-def: $sgpr14
	s_and_saveexec_b32 s65, s26
	s_cbranch_execz .LBB195_474
; %bb.374:                              ;   in Loop: Header=BB195_12 Depth=1
	v_cmp_eq_u64_e32 vcc_lo, 1, v[4:5]
	s_cmp_eq_u64 s[12:13], 1
                                        ; implicit-def: $sgpr14
                                        ; implicit-def: $sgpr15
                                        ; implicit-def: $sgpr66
	s_cselect_b32 s7, -1, 0
	s_delay_alu instid0(SALU_CYCLE_1)
	s_and_b32 s68, s7, vcc_lo
	s_mov_b32 s7, -1
	s_and_saveexec_b32 s67, s68
	s_cbranch_execz .LBB195_408
; %bb.375:                              ;   in Loop: Header=BB195_12 Depth=1
	ds_load_b64 v[2:3], v13 offset:5120
	s_waitcnt lgkmcnt(0)
	s_barrier
	buffer_gl0_inv
	v_readfirstlane_b32 s8, v2
	v_readfirstlane_b32 s9, v3
	s_and_saveexec_b32 s7, s6
	s_cbranch_execz .LBB195_377
; %bb.376:                              ;   in Loop: Header=BB195_12 Depth=1
	ds_store_b32 v28, v13
.LBB195_377:                            ;   in Loop: Header=BB195_12 Depth=1
	s_or_b32 exec_lo, exec_lo, s7
	s_lshl_b32 s7, 1, s22
	v_or_b32_e32 v31, s20, v31
	v_and_or_b32 v32, v32, s21, s7
	s_cmp_eq_u64 s[8:9], 0
	s_waitcnt lgkmcnt(0)
	s_barrier
	buffer_gl0_inv
	s_cbranch_scc1 .LBB195_391
; %bb.378:                              ;   in Loop: Header=BB195_12 Depth=1
	s_add_u32 s26, s74, s8
	s_addc_u32 s15, s75, s9
	s_mov_b32 s14, s59
	s_delay_alu instid0(SALU_CYCLE_1)
	s_cmp_lg_u64 s[14:15], 0
	s_cbranch_scc0 .LBB195_426
; %bb.379:                              ;   in Loop: Header=BB195_12 Depth=1
	v_cvt_f32_u32_e32 v2, s49
	s_sub_u32 s66, 0, s49
	s_subb_u32 s69, 0, 0
	s_delay_alu instid0(VALU_DEP_1) | instskip(NEXT) | instid1(VALU_DEP_1)
	v_fmac_f32_e64 v2, 0, 0x4f800000
	v_rcp_f32_e32 v2, v2
	s_waitcnt_depctr 0xfff
	v_mul_f32_e32 v2, 0x5f7ffffc, v2
	s_delay_alu instid0(VALU_DEP_1) | instskip(NEXT) | instid1(VALU_DEP_1)
	v_mul_f32_e32 v3, 0x2f800000, v2
	v_trunc_f32_e32 v3, v3
	s_delay_alu instid0(VALU_DEP_1) | instskip(SKIP_1) | instid1(VALU_DEP_2)
	v_fmac_f32_e32 v2, 0xcf800000, v3
	v_cvt_u32_f32_e32 v3, v3
	v_cvt_u32_f32_e32 v2, v2
	s_delay_alu instid0(VALU_DEP_2) | instskip(NEXT) | instid1(VALU_DEP_2)
	v_readfirstlane_b32 s7, v3
	v_readfirstlane_b32 s14, v2
	s_delay_alu instid0(VALU_DEP_2) | instskip(NEXT) | instid1(VALU_DEP_1)
	s_mul_i32 s70, s66, s7
	s_mul_hi_u32 s96, s66, s14
	s_mul_i32 s71, s69, s14
	s_add_i32 s70, s96, s70
	s_mul_i32 s97, s66, s14
	s_add_i32 s70, s70, s71
	s_mul_hi_u32 s96, s14, s97
	s_mul_hi_u32 s98, s7, s97
	s_mul_i32 s71, s7, s97
	s_mul_hi_u32 s97, s14, s70
	s_mul_i32 s14, s14, s70
	s_mul_hi_u32 s99, s7, s70
	s_add_u32 s14, s96, s14
	s_addc_u32 s96, 0, s97
	s_add_u32 s14, s14, s71
	s_mul_i32 s70, s7, s70
	s_addc_u32 s14, s96, s98
	s_addc_u32 s71, s99, 0
	s_add_u32 s14, s14, s70
	s_addc_u32 s70, 0, s71
	v_add_co_u32 v2, s14, v2, s14
	s_delay_alu instid0(VALU_DEP_1) | instskip(SKIP_1) | instid1(VALU_DEP_1)
	s_cmp_lg_u32 s14, 0
	s_addc_u32 s7, s7, s70
	v_readfirstlane_b32 s14, v2
	s_mul_i32 s70, s66, s7
	s_delay_alu instid0(VALU_DEP_1)
	s_mul_hi_u32 s71, s66, s14
	s_mul_i32 s69, s69, s14
	s_add_i32 s70, s71, s70
	s_mul_i32 s66, s66, s14
	s_add_i32 s70, s70, s69
	s_mul_hi_u32 s71, s7, s66
	s_mul_i32 s96, s7, s66
	s_mul_hi_u32 s66, s14, s66
	s_mul_hi_u32 s97, s14, s70
	s_mul_i32 s14, s14, s70
	s_mul_hi_u32 s69, s7, s70
	s_add_u32 s14, s66, s14
	s_addc_u32 s66, 0, s97
	s_add_u32 s14, s14, s96
	s_mul_i32 s70, s7, s70
	s_addc_u32 s14, s66, s71
	s_addc_u32 s66, s69, 0
	s_add_u32 s14, s14, s70
	s_addc_u32 s66, 0, s66
	v_add_co_u32 v2, s14, v2, s14
	s_delay_alu instid0(VALU_DEP_1) | instskip(SKIP_1) | instid1(VALU_DEP_1)
	s_cmp_lg_u32 s14, 0
	s_addc_u32 s7, s7, s66
	v_readfirstlane_b32 s14, v2
	s_mul_i32 s69, s26, s7
	s_mul_hi_u32 s66, s26, s7
	s_mul_hi_u32 s70, s15, s7
	s_mul_i32 s7, s15, s7
	s_mul_hi_u32 s71, s26, s14
	s_mul_hi_u32 s96, s15, s14
	s_mul_i32 s14, s15, s14
	s_add_u32 s69, s71, s69
	s_addc_u32 s66, 0, s66
	s_add_u32 s14, s69, s14
	s_addc_u32 s14, s66, s96
	s_addc_u32 s66, s70, 0
	s_add_u32 s7, s14, s7
	s_addc_u32 s14, 0, s66
	s_mul_hi_u32 s66, s49, s7
	s_mul_i32 s7, s49, s7
	s_mul_i32 s14, s49, s14
	v_sub_co_u32 v2, s7, s26, s7
	s_add_i32 s66, s66, s14
	s_cmp_lg_u32 s7, 0
	s_delay_alu instid0(VALU_DEP_1) | instskip(SKIP_2) | instid1(VALU_DEP_1)
	v_sub_co_u32 v3, s7, v2, s49
	s_subb_u32 s14, s15, s66
	s_cmp_lg_u32 s7, 0
	v_cmp_le_u32_e32 vcc_lo, s49, v3
	v_sub_co_u32 v6, s7, v3, s49
	s_subb_u32 s66, s14, 0
	s_cmp_lg_u32 s7, 0
	v_cndmask_b32_e64 v7, 0, -1, vcc_lo
	s_subb_u32 s7, s66, 0
	s_cmp_eq_u32 s66, 0
	v_mov_b32_e32 v9, s7
	s_cselect_b32 vcc_lo, -1, 0
	s_cmp_eq_u32 s14, 0
	v_cndmask_b32_e32 v7, -1, v7, vcc_lo
	v_cmp_le_u32_e32 vcc_lo, s49, v2
	s_cselect_b32 s7, -1, 0
	v_cndmask_b32_e64 v8, 0, -1, vcc_lo
	s_delay_alu instid0(VALU_DEP_3) | instskip(NEXT) | instid1(VALU_DEP_2)
	v_cmp_ne_u32_e32 vcc_lo, 0, v7
	v_cndmask_b32_e64 v7, -1, v8, s7
	v_cndmask_b32_e32 v8, s66, v9, vcc_lo
	v_cndmask_b32_e32 v6, v3, v6, vcc_lo
	s_delay_alu instid0(VALU_DEP_3) | instskip(NEXT) | instid1(VALU_DEP_3)
	v_cmp_ne_u32_e32 vcc_lo, 0, v7
	v_cndmask_b32_e32 v3, s14, v8, vcc_lo
	s_delay_alu instid0(VALU_DEP_3)
	v_cndmask_b32_e32 v2, v2, v6, vcc_lo
	s_cbranch_execnz .LBB195_381
.LBB195_380:                            ;   in Loop: Header=BB195_12 Depth=1
	v_cvt_f32_u32_e32 v2, s49
	s_sub_i32 s7, 0, s49
	s_delay_alu instid0(VALU_DEP_1) | instskip(SKIP_2) | instid1(VALU_DEP_1)
	v_rcp_iflag_f32_e32 v2, v2
	s_waitcnt_depctr 0xfff
	v_mul_f32_e32 v2, 0x4f7ffffe, v2
	v_cvt_u32_f32_e32 v2, v2
	s_delay_alu instid0(VALU_DEP_1) | instskip(NEXT) | instid1(VALU_DEP_1)
	v_mul_lo_u32 v3, s7, v2
	v_mul_hi_u32 v3, v2, v3
	s_delay_alu instid0(VALU_DEP_1) | instskip(NEXT) | instid1(VALU_DEP_1)
	v_add_nc_u32_e32 v2, v2, v3
	v_mul_hi_u32 v2, s26, v2
	s_delay_alu instid0(VALU_DEP_1) | instskip(NEXT) | instid1(VALU_DEP_1)
	v_mul_lo_u32 v2, v2, s49
	v_sub_nc_u32_e32 v2, s26, v2
	s_delay_alu instid0(VALU_DEP_1) | instskip(SKIP_1) | instid1(VALU_DEP_2)
	v_subrev_nc_u32_e32 v3, s49, v2
	v_cmp_le_u32_e32 vcc_lo, s49, v2
	v_cndmask_b32_e32 v2, v2, v3, vcc_lo
	s_delay_alu instid0(VALU_DEP_1) | instskip(SKIP_1) | instid1(VALU_DEP_2)
	v_subrev_nc_u32_e32 v3, s49, v2
	v_cmp_le_u32_e32 vcc_lo, s49, v2
	v_cndmask_b32_e32 v12, v2, v3, vcc_lo
	s_delay_alu instid0(VALU_DEP_1)
	v_dual_mov_b32 v2, v12 :: v_dual_mov_b32 v3, v13
.LBB195_381:                            ;   in Loop: Header=BB195_12 Depth=1
	s_delay_alu instid0(VALU_DEP_1) | instskip(NEXT) | instid1(VALU_DEP_2)
	v_sub_co_u32 v2, vcc_lo, s26, v2
	v_sub_co_ci_u32_e32 v3, vcc_lo, s15, v3, vcc_lo
	s_mov_b32 s7, 0
	s_mov_b32 s14, exec_lo
                                        ; implicit-def: $vgpr18
	s_delay_alu instid0(VALU_DEP_1)
	v_cmpx_gt_u64_e64 v[2:3], v[0:1]
	s_cbranch_execz .LBB195_393
; %bb.382:                              ;   in Loop: Header=BB195_12 Depth=1
	v_dual_mov_b32 v8, v14 :: v_dual_mov_b32 v7, v1
	v_mov_b32_e32 v6, v0
	s_mov_b32 s15, 0
                                        ; implicit-def: $sgpr26
	s_set_inst_prefetch_distance 0x1
	s_branch .LBB195_384
	.p2align	6
.LBB195_383:                            ;   in Loop: Header=BB195_384 Depth=2
	s_or_b32 exec_lo, exec_lo, s7
	s_waitcnt lgkmcnt(0)
	s_barrier
	buffer_gl0_inv
	ds_load_b64 v[17:18], v13 offset:3072
	v_add_co_u32 v6, vcc_lo, v6, s49
	v_add_co_ci_u32_e32 v7, vcc_lo, 0, v7, vcc_lo
	v_add_nc_u32_e32 v8, s82, v8
	s_waitcnt lgkmcnt(0)
	s_barrier
	s_delay_alu instid0(VALU_DEP_2) | instskip(SKIP_2) | instid1(VALU_DEP_1)
	v_cmp_ge_u64_e32 vcc_lo, v[6:7], v[2:3]
	buffer_gl0_inv
	v_cmp_neq_f32_e64 s7, 0, v17
	s_or_b32 s66, vcc_lo, s7
	s_delay_alu instid0(SALU_CYCLE_1) | instskip(NEXT) | instid1(SALU_CYCLE_1)
	s_and_b32 s66, exec_lo, s66
	s_or_b32 s15, s66, s15
	s_and_not1_b32 s26, s26, exec_lo
	s_and_b32 s7, s7, exec_lo
	s_delay_alu instid0(SALU_CYCLE_1)
	s_or_b32 s26, s26, s7
	s_and_not1_b32 exec_lo, exec_lo, s15
	s_cbranch_execz .LBB195_392
.LBB195_384:                            ;   Parent Loop BB195_12 Depth=1
                                        ; =>  This Inner Loop Header: Depth=2
	s_delay_alu instid0(VALU_DEP_1)
	v_cmp_gt_u64_e32 vcc_lo, s[8:9], v[6:7]
	v_mov_b32_e32 v17, 0
	s_and_saveexec_b32 s7, vcc_lo
	s_cbranch_execz .LBB195_386
; %bb.385:                              ;   in Loop: Header=BB195_384 Depth=2
	ds_load_b32 v17, v8
.LBB195_386:                            ;   in Loop: Header=BB195_384 Depth=2
	s_or_b32 exec_lo, exec_lo, s7
	s_and_saveexec_b32 s7, vcc_lo
	s_cbranch_execz .LBB195_383
; %bb.387:                              ;   in Loop: Header=BB195_384 Depth=2
	s_waitcnt lgkmcnt(0)
	v_cmp_lt_i32_e32 vcc_lo, -1, v17
	v_cndmask_b32_e64 v9, -1, 0x80000000, vcc_lo
	v_cmp_o_f32_e32 vcc_lo, v17, v17
	s_delay_alu instid0(VALU_DEP_2) | instskip(NEXT) | instid1(VALU_DEP_1)
	v_xor_b32_e32 v9, v9, v17
	v_cndmask_b32_e32 v9, -1, v9, vcc_lo
	s_delay_alu instid0(VALU_DEP_1) | instskip(NEXT) | instid1(VALU_DEP_1)
	v_and_b32_e32 v9, v9, v31
	v_cmp_eq_u32_e32 vcc_lo, v9, v32
	s_and_b32 exec_lo, exec_lo, vcc_lo
	s_cbranch_execz .LBB195_383
; %bb.388:                              ;   in Loop: Header=BB195_384 Depth=2
	ds_store_b64 v13, v[16:17] offset:3072
	s_branch .LBB195_383
.LBB195_389:                            ;   in Loop: Header=BB195_12 Depth=1
                                        ; implicit-def: $vgpr4_vgpr5
	s_branch .LBB195_334
.LBB195_390:                            ;   in Loop: Header=BB195_12 Depth=1
                                        ; implicit-def: $vgpr4_vgpr5
	s_branch .LBB195_350
.LBB195_391:                            ;   in Loop: Header=BB195_12 Depth=1
	s_mov_b32 s14, -1
	s_mov_b32 s7, 0
                                        ; implicit-def: $sgpr15
                                        ; implicit-def: $vgpr18
	s_mov_b32 s66, s14
	s_cbranch_execnz .LBB195_394
	s_branch .LBB195_407
.LBB195_392:                            ;   in Loop: Header=BB195_12 Depth=1
	s_set_inst_prefetch_distance 0x2
	s_or_b32 exec_lo, exec_lo, s15
	s_delay_alu instid0(SALU_CYCLE_1)
	s_and_b32 s7, s26, exec_lo
.LBB195_393:                            ;   in Loop: Header=BB195_12 Depth=1
	s_or_b32 exec_lo, exec_lo, s14
	s_mov_b32 s14, 0
	s_mov_b32 s15, -1
	s_mov_b32 s66, s14
	s_branch .LBB195_407
.LBB195_394:                            ;   in Loop: Header=BB195_12 Depth=1
	s_mov_b32 s26, s59
	s_delay_alu instid0(SALU_CYCLE_1)
	s_cmp_lg_u64 s[26:27], 0
	s_cbranch_scc0 .LBB195_427
; %bb.395:                              ;   in Loop: Header=BB195_12 Depth=1
	v_cvt_f32_u32_e32 v2, s49
	s_sub_u32 s9, 0, s49
	s_subb_u32 s14, 0, 0
	s_delay_alu instid0(VALU_DEP_1) | instskip(NEXT) | instid1(VALU_DEP_1)
	v_fmac_f32_e64 v2, 0, 0x4f800000
	v_rcp_f32_e32 v2, v2
	s_waitcnt_depctr 0xfff
	v_mul_f32_e32 v2, 0x5f7ffffc, v2
	s_delay_alu instid0(VALU_DEP_1) | instskip(NEXT) | instid1(VALU_DEP_1)
	v_mul_f32_e32 v3, 0x2f800000, v2
	v_trunc_f32_e32 v3, v3
	s_delay_alu instid0(VALU_DEP_1) | instskip(SKIP_1) | instid1(VALU_DEP_2)
	v_fmac_f32_e32 v2, 0xcf800000, v3
	v_cvt_u32_f32_e32 v3, v3
	v_cvt_u32_f32_e32 v2, v2
	s_delay_alu instid0(VALU_DEP_2) | instskip(NEXT) | instid1(VALU_DEP_2)
	v_readfirstlane_b32 s7, v3
	v_readfirstlane_b32 s8, v2
	s_delay_alu instid0(VALU_DEP_2) | instskip(NEXT) | instid1(VALU_DEP_1)
	s_mul_i32 s15, s9, s7
	s_mul_hi_u32 s66, s9, s8
	s_mul_i32 s26, s14, s8
	s_add_i32 s15, s66, s15
	s_mul_i32 s69, s9, s8
	s_add_i32 s15, s15, s26
	s_mul_hi_u32 s66, s8, s69
	s_mul_hi_u32 s70, s7, s69
	s_mul_i32 s26, s7, s69
	s_mul_hi_u32 s69, s8, s15
	s_mul_i32 s8, s8, s15
	s_mul_hi_u32 s71, s7, s15
	s_add_u32 s8, s66, s8
	s_addc_u32 s66, 0, s69
	s_add_u32 s8, s8, s26
	s_mul_i32 s15, s7, s15
	s_addc_u32 s8, s66, s70
	s_addc_u32 s26, s71, 0
	s_add_u32 s8, s8, s15
	s_addc_u32 s15, 0, s26
	v_add_co_u32 v2, s8, v2, s8
	s_delay_alu instid0(VALU_DEP_1) | instskip(SKIP_1) | instid1(VALU_DEP_1)
	s_cmp_lg_u32 s8, 0
	s_addc_u32 s7, s7, s15
	v_readfirstlane_b32 s8, v2
	s_mul_i32 s15, s9, s7
	s_delay_alu instid0(VALU_DEP_1)
	s_mul_hi_u32 s26, s9, s8
	s_mul_i32 s14, s14, s8
	s_add_i32 s15, s26, s15
	s_mul_i32 s9, s9, s8
	s_add_i32 s15, s15, s14
	s_mul_hi_u32 s26, s7, s9
	s_mul_i32 s66, s7, s9
	s_mul_hi_u32 s9, s8, s9
	s_mul_hi_u32 s69, s8, s15
	s_mul_i32 s8, s8, s15
	s_mul_hi_u32 s14, s7, s15
	s_add_u32 s8, s9, s8
	s_addc_u32 s9, 0, s69
	s_add_u32 s8, s8, s66
	s_mul_i32 s15, s7, s15
	s_addc_u32 s8, s9, s26
	s_addc_u32 s9, s14, 0
	s_add_u32 s8, s8, s15
	s_addc_u32 s9, 0, s9
	v_add_co_u32 v2, s8, v2, s8
	s_delay_alu instid0(VALU_DEP_1) | instskip(SKIP_1) | instid1(VALU_DEP_1)
	s_cmp_lg_u32 s8, 0
	s_addc_u32 s7, s7, s9
	v_readfirstlane_b32 s8, v2
	s_mul_i32 s14, s76, s7
	s_mul_hi_u32 s9, s76, s7
	s_mul_hi_u32 s15, s27, s7
	s_mul_i32 s7, s27, s7
	s_mul_hi_u32 s26, s76, s8
	s_mul_hi_u32 s66, s27, s8
	s_mul_i32 s8, s27, s8
	s_add_u32 s14, s26, s14
	s_addc_u32 s9, 0, s9
	s_add_u32 s8, s14, s8
	s_addc_u32 s8, s9, s66
	s_addc_u32 s9, s15, 0
	s_add_u32 s7, s8, s7
	s_addc_u32 s8, 0, s9
	s_mul_hi_u32 s9, s49, s7
	s_mul_i32 s7, s49, s7
	s_mul_i32 s8, s49, s8
	v_sub_co_u32 v2, s7, s76, s7
	s_add_i32 s9, s9, s8
	s_cmp_lg_u32 s7, 0
	s_delay_alu instid0(VALU_DEP_1) | instskip(SKIP_2) | instid1(VALU_DEP_1)
	v_sub_co_u32 v3, s7, v2, s49
	s_subb_u32 s8, s27, s9
	s_cmp_lg_u32 s7, 0
	v_cmp_le_u32_e32 vcc_lo, s49, v3
	v_sub_co_u32 v6, s7, v3, s49
	s_subb_u32 s9, s8, 0
	s_cmp_lg_u32 s7, 0
	v_cndmask_b32_e64 v7, 0, -1, vcc_lo
	s_subb_u32 s7, s9, 0
	s_cmp_eq_u32 s9, 0
	v_mov_b32_e32 v9, s7
	s_cselect_b32 vcc_lo, -1, 0
	s_cmp_eq_u32 s8, 0
	v_cndmask_b32_e32 v7, -1, v7, vcc_lo
	v_cmp_le_u32_e32 vcc_lo, s49, v2
	s_cselect_b32 s7, -1, 0
	v_cndmask_b32_e64 v8, 0, -1, vcc_lo
	s_delay_alu instid0(VALU_DEP_3) | instskip(NEXT) | instid1(VALU_DEP_2)
	v_cmp_ne_u32_e32 vcc_lo, 0, v7
	v_cndmask_b32_e64 v7, -1, v8, s7
	v_cndmask_b32_e32 v8, s9, v9, vcc_lo
	v_cndmask_b32_e32 v6, v3, v6, vcc_lo
	s_delay_alu instid0(VALU_DEP_3) | instskip(NEXT) | instid1(VALU_DEP_3)
	v_cmp_ne_u32_e32 vcc_lo, 0, v7
	v_cndmask_b32_e32 v3, s8, v8, vcc_lo
	s_delay_alu instid0(VALU_DEP_3)
	v_cndmask_b32_e32 v2, v2, v6, vcc_lo
	s_cbranch_execnz .LBB195_397
.LBB195_396:                            ;   in Loop: Header=BB195_12 Depth=1
	v_cvt_f32_u32_e32 v2, s49
	s_sub_i32 s7, 0, s49
	s_delay_alu instid0(VALU_DEP_1) | instskip(SKIP_2) | instid1(VALU_DEP_1)
	v_rcp_iflag_f32_e32 v2, v2
	s_waitcnt_depctr 0xfff
	v_mul_f32_e32 v2, 0x4f7ffffe, v2
	v_cvt_u32_f32_e32 v2, v2
	s_delay_alu instid0(VALU_DEP_1) | instskip(NEXT) | instid1(VALU_DEP_1)
	v_mul_lo_u32 v3, s7, v2
	v_mul_hi_u32 v3, v2, v3
	s_delay_alu instid0(VALU_DEP_1) | instskip(NEXT) | instid1(VALU_DEP_1)
	v_add_nc_u32_e32 v2, v2, v3
	v_mul_hi_u32 v2, s76, v2
	s_delay_alu instid0(VALU_DEP_1) | instskip(NEXT) | instid1(VALU_DEP_1)
	v_mul_lo_u32 v2, v2, s49
	v_sub_nc_u32_e32 v2, s76, v2
	s_delay_alu instid0(VALU_DEP_1) | instskip(SKIP_1) | instid1(VALU_DEP_2)
	v_subrev_nc_u32_e32 v3, s49, v2
	v_cmp_le_u32_e32 vcc_lo, s49, v2
	v_cndmask_b32_e32 v2, v2, v3, vcc_lo
	s_delay_alu instid0(VALU_DEP_1) | instskip(SKIP_1) | instid1(VALU_DEP_2)
	v_subrev_nc_u32_e32 v3, s49, v2
	v_cmp_le_u32_e32 vcc_lo, s49, v2
	v_cndmask_b32_e32 v12, v2, v3, vcc_lo
	s_delay_alu instid0(VALU_DEP_1)
	v_dual_mov_b32 v2, v12 :: v_dual_mov_b32 v3, v13
.LBB195_397:                            ;   in Loop: Header=BB195_12 Depth=1
	s_delay_alu instid0(VALU_DEP_1) | instskip(NEXT) | instid1(VALU_DEP_2)
	v_sub_co_u32 v2, vcc_lo, s76, v2
	v_sub_co_ci_u32_e32 v3, vcc_lo, s27, v3, vcc_lo
	s_mov_b32 s7, 0
	s_mov_b32 s8, exec_lo
                                        ; implicit-def: $vgpr18
	s_delay_alu instid0(VALU_DEP_1)
	v_cmpx_gt_u64_e64 v[2:3], v[0:1]
	s_cbranch_execz .LBB195_406
; %bb.398:                              ;   in Loop: Header=BB195_12 Depth=1
	v_dual_mov_b32 v7, v1 :: v_dual_mov_b32 v6, v0
	s_mov_b32 s9, 0
                                        ; implicit-def: $sgpr14
	s_branch .LBB195_400
.LBB195_399:                            ;   in Loop: Header=BB195_400 Depth=2
	s_or_b32 exec_lo, exec_lo, s7
	s_waitcnt vmcnt(0) lgkmcnt(0)
	s_barrier
	buffer_gl0_inv
	ds_load_b64 v[17:18], v13 offset:3072
	v_add_co_u32 v6, vcc_lo, v6, s49
	v_add_co_ci_u32_e32 v7, vcc_lo, 0, v7, vcc_lo
	s_waitcnt lgkmcnt(0)
	s_barrier
	buffer_gl0_inv
	v_cmp_ge_u64_e32 vcc_lo, v[6:7], v[2:3]
	v_cmp_neq_f32_e64 s7, 0, v17
	s_delay_alu instid0(VALU_DEP_1) | instskip(NEXT) | instid1(SALU_CYCLE_1)
	s_or_b32 s15, vcc_lo, s7
	s_and_b32 s15, exec_lo, s15
	s_delay_alu instid0(SALU_CYCLE_1) | instskip(SKIP_2) | instid1(SALU_CYCLE_1)
	s_or_b32 s9, s15, s9
	s_and_not1_b32 s14, s14, exec_lo
	s_and_b32 s7, s7, exec_lo
	s_or_b32 s14, s14, s7
	s_and_not1_b32 exec_lo, exec_lo, s9
	s_cbranch_execz .LBB195_405
.LBB195_400:                            ;   Parent Loop BB195_12 Depth=1
                                        ; =>  This Inner Loop Header: Depth=2
	s_delay_alu instid0(VALU_DEP_1)
	v_cmp_gt_u64_e32 vcc_lo, s[36:37], v[6:7]
	v_mov_b32_e32 v17, 0
	s_and_saveexec_b32 s15, vcc_lo
	s_cbranch_execz .LBB195_402
; %bb.401:                              ;   in Loop: Header=BB195_400 Depth=2
	v_mul_lo_u32 v12, v7, s30
	v_mul_lo_u32 v17, v6, s31
	v_mad_u64_u32 v[8:9], null, v6, s30, 0
	s_delay_alu instid0(VALU_DEP_1) | instskip(NEXT) | instid1(VALU_DEP_1)
	v_add3_u32 v9, v9, v17, v12
	v_lshlrev_b64 v[8:9], 2, v[8:9]
	s_delay_alu instid0(VALU_DEP_1) | instskip(NEXT) | instid1(VALU_DEP_1)
	v_add_co_u32 v8, s7, s33, v8
	v_add_co_ci_u32_e64 v9, s7, s35, v9, s7
	global_load_b32 v17, v[8:9], off
.LBB195_402:                            ;   in Loop: Header=BB195_400 Depth=2
	s_or_b32 exec_lo, exec_lo, s15
	s_and_saveexec_b32 s7, vcc_lo
	s_cbranch_execz .LBB195_399
; %bb.403:                              ;   in Loop: Header=BB195_400 Depth=2
	s_waitcnt vmcnt(0)
	v_cmp_lt_i32_e32 vcc_lo, -1, v17
	v_cndmask_b32_e64 v8, -1, 0x80000000, vcc_lo
	v_cmp_o_f32_e32 vcc_lo, v17, v17
	s_delay_alu instid0(VALU_DEP_2) | instskip(NEXT) | instid1(VALU_DEP_1)
	v_xor_b32_e32 v8, v8, v17
	v_cndmask_b32_e32 v8, -1, v8, vcc_lo
	s_delay_alu instid0(VALU_DEP_1) | instskip(NEXT) | instid1(VALU_DEP_1)
	v_and_b32_e32 v8, v8, v31
	v_cmp_eq_u32_e32 vcc_lo, v8, v32
	s_and_b32 exec_lo, exec_lo, vcc_lo
	s_cbranch_execz .LBB195_399
; %bb.404:                              ;   in Loop: Header=BB195_400 Depth=2
	ds_store_b64 v13, v[16:17] offset:3072
	s_branch .LBB195_399
.LBB195_405:                            ;   in Loop: Header=BB195_12 Depth=1
	s_or_b32 exec_lo, exec_lo, s9
	s_delay_alu instid0(SALU_CYCLE_1)
	s_and_b32 s7, s14, exec_lo
.LBB195_406:                            ;   in Loop: Header=BB195_12 Depth=1
	s_or_b32 exec_lo, exec_lo, s8
	s_mov_b32 s15, 0
	s_mov_b32 s14, -1
	s_mov_b32 s66, 0
.LBB195_407:                            ;   in Loop: Header=BB195_12 Depth=1
	s_or_not1_b32 s7, s7, exec_lo
.LBB195_408:                            ;   in Loop: Header=BB195_12 Depth=1
	s_or_b32 exec_lo, exec_lo, s67
	s_mov_b32 s26, 0
                                        ; implicit-def: $vgpr8
	s_and_saveexec_b32 s67, s7
	s_cbranch_execz .LBB195_473
; %bb.409:                              ;   in Loop: Header=BB195_12 Depth=1
	v_mov_b32_e32 v2, 1
	v_dual_mov_b32 v3, 0 :: v_dual_mov_b32 v8, 1
	s_xor_b32 s8, s68, -1
	s_delay_alu instid0(SALU_CYCLE_1)
	s_and_saveexec_b32 s7, s8
	s_cbranch_execz .LBB195_419
; %bb.410:                              ;   in Loop: Header=BB195_12 Depth=1
	s_mov_b32 s9, exec_lo
                                        ; implicit-def: $sgpr26
                                        ; implicit-def: $sgpr8
	v_cmpx_ge_u64_e64 s[12:13], v[4:5]
	s_xor_b32 s9, exec_lo, s9
	s_cbranch_execz .LBB195_416
; %bb.411:                              ;   in Loop: Header=BB195_12 Depth=1
	ds_load_b64 v[2:3], v13 offset:5120
	s_waitcnt lgkmcnt(0)
	v_cmp_ne_u64_e32 vcc_lo, 0, v[2:3]
	s_cbranch_vccnz .LBB195_415
; %bb.412:                              ;   in Loop: Header=BB195_12 Depth=1
	s_and_saveexec_b32 s8, s5
	s_cbranch_execz .LBB195_414
; %bb.413:                              ;   in Loop: Header=BB195_12 Depth=1
	v_dual_mov_b32 v2, s12 :: v_dual_mov_b32 v3, s13
	ds_store_b64 v13, v[2:3] offset:5128
.LBB195_414:                            ;   in Loop: Header=BB195_12 Depth=1
	s_or_b32 exec_lo, exec_lo, s8
	s_waitcnt lgkmcnt(0)
	s_barrier
	buffer_gl0_inv
.LBB195_415:                            ;   in Loop: Header=BB195_12 Depth=1
	s_lshl_b32 s8, 1, s22
	v_or_b32_e32 v31, s20, v31
	v_and_or_b32 v32, v32, s21, s8
	s_mov_b32 s8, 0
	s_mov_b32 s26, 5
.LBB195_416:                            ;   in Loop: Header=BB195_12 Depth=1
	s_or_saveexec_b32 s9, s9
	v_mov_b32_e32 v8, s26
	s_xor_b32 exec_lo, exec_lo, s9
; %bb.417:                              ;   in Loop: Header=BB195_12 Depth=1
	v_sub_co_u32 v4, vcc_lo, v4, s12
	v_subrev_co_ci_u32_e32 v5, vcc_lo, s13, v5, vcc_lo
	v_mov_b32_e32 v8, 0
	s_or_b32 s8, s8, exec_lo
; %bb.418:                              ;   in Loop: Header=BB195_12 Depth=1
	s_or_b32 exec_lo, exec_lo, s9
	s_delay_alu instid0(VALU_DEP_2)
	v_dual_mov_b32 v2, v4 :: v_dual_mov_b32 v3, v5
	s_and_b32 s26, s8, exec_lo
.LBB195_419:                            ;   in Loop: Header=BB195_12 Depth=1
	s_or_b32 exec_lo, exec_lo, s7
	s_mov_b32 s12, -1
                                        ; implicit-def: $sgpr7
                                        ; implicit-def: $sgpr8
                                        ; implicit-def: $sgpr9
	s_and_saveexec_b32 s22, s26
	s_cbranch_execz .LBB195_472
; %bb.420:                              ;   in Loop: Header=BB195_12 Depth=1
	v_cmp_eq_u64_e32 vcc_lo, 1, v[2:3]
	s_cmp_eq_u64 s[10:11], 1
	s_mov_b32 s13, -1
	s_cselect_b32 s7, -1, 0
                                        ; implicit-def: $sgpr8
                                        ; implicit-def: $sgpr9
	s_delay_alu instid0(SALU_CYCLE_1) | instskip(NEXT) | instid1(SALU_CYCLE_1)
	s_and_b32 s68, s7, vcc_lo
                                        ; implicit-def: $sgpr7
	s_and_saveexec_b32 s69, s68
	s_cbranch_execz .LBB195_459
; %bb.421:                              ;   in Loop: Header=BB195_12 Depth=1
	ds_load_b64 v[4:5], v13 offset:5120
	s_waitcnt lgkmcnt(0)
	s_barrier
	buffer_gl0_inv
	v_readfirstlane_b32 s8, v4
	v_readfirstlane_b32 s9, v5
	s_and_saveexec_b32 s7, s6
	s_cbranch_execz .LBB195_423
; %bb.422:                              ;   in Loop: Header=BB195_12 Depth=1
	ds_store_b32 v28, v13
.LBB195_423:                            ;   in Loop: Header=BB195_12 Depth=1
	s_or_b32 exec_lo, exec_lo, s7
	v_and_b32_e32 v32, s21, v32
	v_or_b32_e32 v31, s20, v31
	s_cmp_eq_u64 s[8:9], 0
	s_waitcnt lgkmcnt(0)
	s_barrier
	buffer_gl0_inv
	s_cbranch_scc1 .LBB195_428
; %bb.424:                              ;   in Loop: Header=BB195_12 Depth=1
	s_add_u32 s26, s74, s8
	s_addc_u32 s13, s75, s9
	s_mov_b32 s12, s59
	s_delay_alu instid0(SALU_CYCLE_1)
	s_cmp_lg_u64 s[12:13], 0
	s_cbranch_scc0 .LBB195_429
; %bb.425:                              ;   in Loop: Header=BB195_12 Depth=1
	v_cvt_f32_u32_e32 v4, s49
	s_sub_u32 s70, 0, s49
	s_subb_u32 s71, 0, 0
	s_delay_alu instid0(VALU_DEP_1) | instskip(NEXT) | instid1(VALU_DEP_1)
	v_fmac_f32_e64 v4, 0, 0x4f800000
	v_rcp_f32_e32 v4, v4
	s_waitcnt_depctr 0xfff
	v_mul_f32_e32 v4, 0x5f7ffffc, v4
	s_delay_alu instid0(VALU_DEP_1) | instskip(NEXT) | instid1(VALU_DEP_1)
	v_mul_f32_e32 v5, 0x2f800000, v4
	v_trunc_f32_e32 v5, v5
	s_delay_alu instid0(VALU_DEP_1) | instskip(SKIP_1) | instid1(VALU_DEP_2)
	v_fmac_f32_e32 v4, 0xcf800000, v5
	v_cvt_u32_f32_e32 v5, v5
	v_cvt_u32_f32_e32 v4, v4
	s_delay_alu instid0(VALU_DEP_2) | instskip(NEXT) | instid1(VALU_DEP_2)
	v_readfirstlane_b32 s7, v5
	v_readfirstlane_b32 s12, v4
	s_delay_alu instid0(VALU_DEP_2) | instskip(NEXT) | instid1(VALU_DEP_1)
	s_mul_i32 s96, s70, s7
	s_mul_hi_u32 s98, s70, s12
	s_mul_i32 s97, s71, s12
	s_add_i32 s96, s98, s96
	s_mul_i32 s99, s70, s12
	s_add_i32 s96, s96, s97
	s_mul_hi_u32 s98, s12, s99
	s_mul_hi_u32 s100, s7, s99
	s_mul_i32 s97, s7, s99
	s_mul_hi_u32 s99, s12, s96
	s_mul_i32 s12, s12, s96
	s_mul_hi_u32 s101, s7, s96
	s_add_u32 s12, s98, s12
	s_addc_u32 s98, 0, s99
	s_add_u32 s12, s12, s97
	s_mul_i32 s96, s7, s96
	s_addc_u32 s12, s98, s100
	s_addc_u32 s97, s101, 0
	s_add_u32 s12, s12, s96
	s_addc_u32 s96, 0, s97
	v_add_co_u32 v4, s12, v4, s12
	s_delay_alu instid0(VALU_DEP_1) | instskip(SKIP_1) | instid1(VALU_DEP_1)
	s_cmp_lg_u32 s12, 0
	s_addc_u32 s7, s7, s96
	v_readfirstlane_b32 s12, v4
	s_mul_i32 s96, s70, s7
	s_delay_alu instid0(VALU_DEP_1)
	s_mul_hi_u32 s97, s70, s12
	s_mul_i32 s71, s71, s12
	s_add_i32 s96, s97, s96
	s_mul_i32 s70, s70, s12
	s_add_i32 s96, s96, s71
	s_mul_hi_u32 s97, s7, s70
	s_mul_i32 s98, s7, s70
	s_mul_hi_u32 s70, s12, s70
	s_mul_hi_u32 s99, s12, s96
	s_mul_i32 s12, s12, s96
	s_mul_hi_u32 s71, s7, s96
	s_add_u32 s12, s70, s12
	s_addc_u32 s70, 0, s99
	s_add_u32 s12, s12, s98
	s_mul_i32 s96, s7, s96
	s_addc_u32 s12, s70, s97
	s_addc_u32 s70, s71, 0
	s_add_u32 s12, s12, s96
	s_addc_u32 s70, 0, s70
	v_add_co_u32 v4, s12, v4, s12
	s_delay_alu instid0(VALU_DEP_1) | instskip(SKIP_1) | instid1(VALU_DEP_1)
	s_cmp_lg_u32 s12, 0
	s_addc_u32 s7, s7, s70
	v_readfirstlane_b32 s12, v4
	s_mul_i32 s71, s26, s7
	s_mul_hi_u32 s70, s26, s7
	s_mul_hi_u32 s96, s13, s7
	s_mul_i32 s7, s13, s7
	s_mul_hi_u32 s97, s26, s12
	s_mul_hi_u32 s98, s13, s12
	s_mul_i32 s12, s13, s12
	s_add_u32 s71, s97, s71
	s_addc_u32 s70, 0, s70
	s_add_u32 s12, s71, s12
	s_addc_u32 s12, s70, s98
	s_addc_u32 s70, s96, 0
	s_add_u32 s7, s12, s7
	s_addc_u32 s12, 0, s70
	s_mul_hi_u32 s70, s49, s7
	s_mul_i32 s7, s49, s7
	s_mul_i32 s12, s49, s12
	v_sub_co_u32 v4, s7, s26, s7
	s_add_i32 s70, s70, s12
	s_cmp_lg_u32 s7, 0
	s_delay_alu instid0(VALU_DEP_1) | instskip(SKIP_2) | instid1(VALU_DEP_1)
	v_sub_co_u32 v5, s7, v4, s49
	s_subb_u32 s12, s13, s70
	s_cmp_lg_u32 s7, 0
	v_cmp_le_u32_e32 vcc_lo, s49, v5
	v_sub_co_u32 v6, s7, v5, s49
	s_subb_u32 s70, s12, 0
	s_cmp_lg_u32 s7, 0
	v_cndmask_b32_e64 v7, 0, -1, vcc_lo
	s_subb_u32 s7, s70, 0
	s_cmp_eq_u32 s70, 0
	v_mov_b32_e32 v9, s7
	s_cselect_b32 vcc_lo, -1, 0
	s_cmp_eq_u32 s12, 0
	v_cndmask_b32_e32 v7, -1, v7, vcc_lo
	v_cmp_le_u32_e32 vcc_lo, s49, v4
	s_cselect_b32 s7, -1, 0
	v_cndmask_b32_e64 v8, 0, -1, vcc_lo
	s_delay_alu instid0(VALU_DEP_3) | instskip(NEXT) | instid1(VALU_DEP_2)
	v_cmp_ne_u32_e32 vcc_lo, 0, v7
	v_cndmask_b32_e64 v7, -1, v8, s7
	v_cndmask_b32_e32 v8, s70, v9, vcc_lo
	v_cndmask_b32_e32 v6, v5, v6, vcc_lo
	s_mov_b32 s7, 0
	s_delay_alu instid0(VALU_DEP_3) | instskip(NEXT) | instid1(VALU_DEP_3)
	v_cmp_ne_u32_e32 vcc_lo, 0, v7
	v_cndmask_b32_e32 v5, s12, v8, vcc_lo
	s_delay_alu instid0(VALU_DEP_3)
	v_cndmask_b32_e32 v4, v4, v6, vcc_lo
	s_branch .LBB195_430
.LBB195_426:                            ;   in Loop: Header=BB195_12 Depth=1
                                        ; implicit-def: $vgpr2_vgpr3
	s_branch .LBB195_380
.LBB195_427:                            ;   in Loop: Header=BB195_12 Depth=1
                                        ; implicit-def: $vgpr2_vgpr3
	s_branch .LBB195_396
.LBB195_428:                            ;   in Loop: Header=BB195_12 Depth=1
	s_mov_b32 s7, -1
	s_mov_b32 s13, 0
                                        ; implicit-def: $sgpr8
                                        ; implicit-def: $vgpr18
	s_branch .LBB195_442
.LBB195_429:                            ;   in Loop: Header=BB195_12 Depth=1
	s_mov_b32 s7, -1
                                        ; implicit-def: $vgpr4_vgpr5
.LBB195_430:                            ;   in Loop: Header=BB195_12 Depth=1
	s_delay_alu instid0(SALU_CYCLE_1)
	s_and_not1_b32 vcc_lo, exec_lo, s7
	s_cbranch_vccnz .LBB195_432
; %bb.431:                              ;   in Loop: Header=BB195_12 Depth=1
	v_cvt_f32_u32_e32 v4, s49
	s_sub_i32 s7, 0, s49
	s_delay_alu instid0(VALU_DEP_1) | instskip(SKIP_2) | instid1(VALU_DEP_1)
	v_rcp_iflag_f32_e32 v4, v4
	s_waitcnt_depctr 0xfff
	v_mul_f32_e32 v4, 0x4f7ffffe, v4
	v_cvt_u32_f32_e32 v4, v4
	s_delay_alu instid0(VALU_DEP_1) | instskip(NEXT) | instid1(VALU_DEP_1)
	v_mul_lo_u32 v5, s7, v4
	v_mul_hi_u32 v5, v4, v5
	s_delay_alu instid0(VALU_DEP_1) | instskip(NEXT) | instid1(VALU_DEP_1)
	v_add_nc_u32_e32 v4, v4, v5
	v_mul_hi_u32 v4, s26, v4
	s_delay_alu instid0(VALU_DEP_1) | instskip(NEXT) | instid1(VALU_DEP_1)
	v_mul_lo_u32 v4, v4, s49
	v_sub_nc_u32_e32 v4, s26, v4
	s_delay_alu instid0(VALU_DEP_1) | instskip(SKIP_1) | instid1(VALU_DEP_2)
	v_subrev_nc_u32_e32 v5, s49, v4
	v_cmp_le_u32_e32 vcc_lo, s49, v4
	v_cndmask_b32_e32 v4, v4, v5, vcc_lo
	s_delay_alu instid0(VALU_DEP_1) | instskip(SKIP_1) | instid1(VALU_DEP_2)
	v_subrev_nc_u32_e32 v5, s49, v4
	v_cmp_le_u32_e32 vcc_lo, s49, v4
	v_cndmask_b32_e32 v12, v4, v5, vcc_lo
	s_delay_alu instid0(VALU_DEP_1)
	v_dual_mov_b32 v4, v12 :: v_dual_mov_b32 v5, v13
.LBB195_432:                            ;   in Loop: Header=BB195_12 Depth=1
	s_delay_alu instid0(VALU_DEP_1) | instskip(NEXT) | instid1(VALU_DEP_2)
	v_sub_co_u32 v4, vcc_lo, s26, v4
	v_sub_co_ci_u32_e32 v5, vcc_lo, s13, v5, vcc_lo
	s_mov_b32 s13, 0
	s_mov_b32 s12, exec_lo
                                        ; implicit-def: $vgpr18
	s_delay_alu instid0(VALU_DEP_1)
	v_cmpx_gt_u64_e64 v[4:5], v[0:1]
	s_cbranch_execz .LBB195_441
; %bb.433:                              ;   in Loop: Header=BB195_12 Depth=1
	v_dual_mov_b32 v8, v14 :: v_dual_mov_b32 v7, v1
	v_mov_b32_e32 v6, v0
                                        ; implicit-def: $sgpr26
	s_set_inst_prefetch_distance 0x1
	s_branch .LBB195_435
	.p2align	6
.LBB195_434:                            ;   in Loop: Header=BB195_435 Depth=2
	s_or_b32 exec_lo, exec_lo, s7
	s_waitcnt lgkmcnt(0)
	s_barrier
	buffer_gl0_inv
	ds_load_b64 v[17:18], v13 offset:3072
	v_add_co_u32 v6, vcc_lo, v6, s49
	v_add_co_ci_u32_e32 v7, vcc_lo, 0, v7, vcc_lo
	v_add_nc_u32_e32 v8, s82, v8
	s_waitcnt lgkmcnt(0)
	s_barrier
	s_delay_alu instid0(VALU_DEP_2) | instskip(SKIP_2) | instid1(VALU_DEP_1)
	v_cmp_ge_u64_e32 vcc_lo, v[6:7], v[4:5]
	buffer_gl0_inv
	v_cmp_neq_f32_e64 s7, 0, v17
	s_or_b32 s70, vcc_lo, s7
	s_delay_alu instid0(SALU_CYCLE_1) | instskip(NEXT) | instid1(SALU_CYCLE_1)
	s_and_b32 s70, exec_lo, s70
	s_or_b32 s13, s70, s13
	s_and_not1_b32 s26, s26, exec_lo
	s_and_b32 s7, s7, exec_lo
	s_delay_alu instid0(SALU_CYCLE_1)
	s_or_b32 s26, s26, s7
	s_and_not1_b32 exec_lo, exec_lo, s13
	s_cbranch_execz .LBB195_440
.LBB195_435:                            ;   Parent Loop BB195_12 Depth=1
                                        ; =>  This Inner Loop Header: Depth=2
	s_delay_alu instid0(VALU_DEP_1)
	v_cmp_gt_u64_e32 vcc_lo, s[8:9], v[6:7]
	v_mov_b32_e32 v17, 0
	s_and_saveexec_b32 s7, vcc_lo
	s_cbranch_execz .LBB195_437
; %bb.436:                              ;   in Loop: Header=BB195_435 Depth=2
	ds_load_b32 v17, v8
.LBB195_437:                            ;   in Loop: Header=BB195_435 Depth=2
	s_or_b32 exec_lo, exec_lo, s7
	s_and_saveexec_b32 s7, vcc_lo
	s_cbranch_execz .LBB195_434
; %bb.438:                              ;   in Loop: Header=BB195_435 Depth=2
	s_waitcnt lgkmcnt(0)
	v_cmp_lt_i32_e32 vcc_lo, -1, v17
	v_cndmask_b32_e64 v9, -1, 0x80000000, vcc_lo
	v_cmp_o_f32_e32 vcc_lo, v17, v17
	s_delay_alu instid0(VALU_DEP_2) | instskip(NEXT) | instid1(VALU_DEP_1)
	v_xor_b32_e32 v9, v9, v17
	v_cndmask_b32_e32 v9, -1, v9, vcc_lo
	s_delay_alu instid0(VALU_DEP_1) | instskip(NEXT) | instid1(VALU_DEP_1)
	v_and_b32_e32 v9, v9, v31
	v_cmp_eq_u32_e32 vcc_lo, v9, v32
	s_and_b32 exec_lo, exec_lo, vcc_lo
	s_cbranch_execz .LBB195_434
; %bb.439:                              ;   in Loop: Header=BB195_435 Depth=2
	ds_store_b64 v13, v[16:17] offset:3072
	s_branch .LBB195_434
.LBB195_440:                            ;   in Loop: Header=BB195_12 Depth=1
	s_set_inst_prefetch_distance 0x2
	s_or_b32 exec_lo, exec_lo, s13
	s_delay_alu instid0(SALU_CYCLE_1)
	s_and_b32 s13, s26, exec_lo
.LBB195_441:                            ;   in Loop: Header=BB195_12 Depth=1
	s_or_b32 exec_lo, exec_lo, s12
	s_mov_b32 s7, 0
	s_mov_b32 s8, -1
.LBB195_442:                            ;   in Loop: Header=BB195_12 Depth=1
	s_and_b32 vcc_lo, exec_lo, s7
	s_mov_b32 s9, s7
	s_cbranch_vccz .LBB195_458
; %bb.443:                              ;   in Loop: Header=BB195_12 Depth=1
	s_mov_b32 s26, s59
	s_delay_alu instid0(SALU_CYCLE_1)
	s_cmp_lg_u64 s[26:27], 0
	s_cbranch_scc0 .LBB195_445
; %bb.444:                              ;   in Loop: Header=BB195_12 Depth=1
	v_cvt_f32_u32_e32 v4, s49
	s_sub_u32 s9, 0, s49
	s_subb_u32 s12, 0, 0
	s_delay_alu instid0(VALU_DEP_1) | instskip(NEXT) | instid1(VALU_DEP_1)
	v_fmac_f32_e64 v4, 0, 0x4f800000
	v_rcp_f32_e32 v4, v4
	s_waitcnt_depctr 0xfff
	v_mul_f32_e32 v4, 0x5f7ffffc, v4
	s_delay_alu instid0(VALU_DEP_1) | instskip(NEXT) | instid1(VALU_DEP_1)
	v_mul_f32_e32 v5, 0x2f800000, v4
	v_trunc_f32_e32 v5, v5
	s_delay_alu instid0(VALU_DEP_1) | instskip(SKIP_1) | instid1(VALU_DEP_2)
	v_fmac_f32_e32 v4, 0xcf800000, v5
	v_cvt_u32_f32_e32 v5, v5
	v_cvt_u32_f32_e32 v4, v4
	s_delay_alu instid0(VALU_DEP_2) | instskip(NEXT) | instid1(VALU_DEP_2)
	v_readfirstlane_b32 s7, v5
	v_readfirstlane_b32 s8, v4
	s_delay_alu instid0(VALU_DEP_2) | instskip(NEXT) | instid1(VALU_DEP_1)
	s_mul_i32 s13, s9, s7
	s_mul_hi_u32 s70, s9, s8
	s_mul_i32 s26, s12, s8
	s_add_i32 s13, s70, s13
	s_mul_i32 s71, s9, s8
	s_add_i32 s13, s13, s26
	s_mul_hi_u32 s70, s8, s71
	s_mul_hi_u32 s96, s7, s71
	s_mul_i32 s26, s7, s71
	s_mul_hi_u32 s71, s8, s13
	s_mul_i32 s8, s8, s13
	s_mul_hi_u32 s97, s7, s13
	s_add_u32 s8, s70, s8
	s_addc_u32 s70, 0, s71
	s_add_u32 s8, s8, s26
	s_mul_i32 s13, s7, s13
	s_addc_u32 s8, s70, s96
	s_addc_u32 s26, s97, 0
	s_add_u32 s8, s8, s13
	s_addc_u32 s13, 0, s26
	v_add_co_u32 v4, s8, v4, s8
	s_delay_alu instid0(VALU_DEP_1) | instskip(SKIP_1) | instid1(VALU_DEP_1)
	s_cmp_lg_u32 s8, 0
	s_addc_u32 s7, s7, s13
	v_readfirstlane_b32 s8, v4
	s_mul_i32 s13, s9, s7
	s_delay_alu instid0(VALU_DEP_1)
	s_mul_hi_u32 s26, s9, s8
	s_mul_i32 s12, s12, s8
	s_add_i32 s13, s26, s13
	s_mul_i32 s9, s9, s8
	s_add_i32 s13, s13, s12
	s_mul_hi_u32 s26, s7, s9
	s_mul_i32 s70, s7, s9
	s_mul_hi_u32 s9, s8, s9
	s_mul_hi_u32 s71, s8, s13
	s_mul_i32 s8, s8, s13
	s_mul_hi_u32 s12, s7, s13
	s_add_u32 s8, s9, s8
	s_addc_u32 s9, 0, s71
	s_add_u32 s8, s8, s70
	s_mul_i32 s13, s7, s13
	s_addc_u32 s8, s9, s26
	s_addc_u32 s9, s12, 0
	s_add_u32 s8, s8, s13
	s_addc_u32 s9, 0, s9
	v_add_co_u32 v4, s8, v4, s8
	s_delay_alu instid0(VALU_DEP_1) | instskip(SKIP_1) | instid1(VALU_DEP_1)
	s_cmp_lg_u32 s8, 0
	s_addc_u32 s7, s7, s9
	v_readfirstlane_b32 s8, v4
	s_mul_i32 s12, s76, s7
	s_mul_hi_u32 s9, s76, s7
	s_mul_hi_u32 s13, s27, s7
	s_mul_i32 s7, s27, s7
	s_mul_hi_u32 s26, s76, s8
	s_mul_hi_u32 s70, s27, s8
	s_mul_i32 s8, s27, s8
	s_add_u32 s12, s26, s12
	s_addc_u32 s9, 0, s9
	s_add_u32 s8, s12, s8
	s_addc_u32 s8, s9, s70
	s_addc_u32 s9, s13, 0
	s_add_u32 s7, s8, s7
	s_addc_u32 s8, 0, s9
	s_mul_hi_u32 s9, s49, s7
	s_mul_i32 s7, s49, s7
	s_mul_i32 s8, s49, s8
	v_sub_co_u32 v4, s7, s76, s7
	s_add_i32 s9, s9, s8
	s_cmp_lg_u32 s7, 0
	s_delay_alu instid0(VALU_DEP_1) | instskip(SKIP_2) | instid1(VALU_DEP_1)
	v_sub_co_u32 v5, s7, v4, s49
	s_subb_u32 s8, s27, s9
	s_cmp_lg_u32 s7, 0
	v_cmp_le_u32_e32 vcc_lo, s49, v5
	v_sub_co_u32 v6, s7, v5, s49
	s_subb_u32 s9, s8, 0
	s_cmp_lg_u32 s7, 0
	v_cndmask_b32_e64 v7, 0, -1, vcc_lo
	s_subb_u32 s7, s9, 0
	s_cmp_eq_u32 s9, 0
	v_mov_b32_e32 v9, s7
	s_cselect_b32 vcc_lo, -1, 0
	s_cmp_eq_u32 s8, 0
	v_cndmask_b32_e32 v7, -1, v7, vcc_lo
	v_cmp_le_u32_e32 vcc_lo, s49, v4
	s_cselect_b32 s7, -1, 0
	v_cndmask_b32_e64 v8, 0, -1, vcc_lo
	s_delay_alu instid0(VALU_DEP_3) | instskip(NEXT) | instid1(VALU_DEP_2)
	v_cmp_ne_u32_e32 vcc_lo, 0, v7
	v_cndmask_b32_e64 v7, -1, v8, s7
	v_cndmask_b32_e32 v8, s9, v9, vcc_lo
	v_cndmask_b32_e32 v6, v5, v6, vcc_lo
	s_mov_b32 s7, 0
	s_delay_alu instid0(VALU_DEP_3) | instskip(NEXT) | instid1(VALU_DEP_3)
	v_cmp_ne_u32_e32 vcc_lo, 0, v7
	v_cndmask_b32_e32 v5, s8, v8, vcc_lo
	s_delay_alu instid0(VALU_DEP_3)
	v_cndmask_b32_e32 v4, v4, v6, vcc_lo
	s_branch .LBB195_446
.LBB195_445:                            ;   in Loop: Header=BB195_12 Depth=1
	s_mov_b32 s7, -1
                                        ; implicit-def: $vgpr4_vgpr5
.LBB195_446:                            ;   in Loop: Header=BB195_12 Depth=1
	s_delay_alu instid0(SALU_CYCLE_1)
	s_and_not1_b32 vcc_lo, exec_lo, s7
	s_cbranch_vccnz .LBB195_448
; %bb.447:                              ;   in Loop: Header=BB195_12 Depth=1
	v_cvt_f32_u32_e32 v4, s49
	s_sub_i32 s7, 0, s49
	s_delay_alu instid0(VALU_DEP_1) | instskip(SKIP_2) | instid1(VALU_DEP_1)
	v_rcp_iflag_f32_e32 v4, v4
	s_waitcnt_depctr 0xfff
	v_mul_f32_e32 v4, 0x4f7ffffe, v4
	v_cvt_u32_f32_e32 v4, v4
	s_delay_alu instid0(VALU_DEP_1) | instskip(NEXT) | instid1(VALU_DEP_1)
	v_mul_lo_u32 v5, s7, v4
	v_mul_hi_u32 v5, v4, v5
	s_delay_alu instid0(VALU_DEP_1) | instskip(NEXT) | instid1(VALU_DEP_1)
	v_add_nc_u32_e32 v4, v4, v5
	v_mul_hi_u32 v4, s76, v4
	s_delay_alu instid0(VALU_DEP_1) | instskip(NEXT) | instid1(VALU_DEP_1)
	v_mul_lo_u32 v4, v4, s49
	v_sub_nc_u32_e32 v4, s76, v4
	s_delay_alu instid0(VALU_DEP_1) | instskip(SKIP_1) | instid1(VALU_DEP_2)
	v_subrev_nc_u32_e32 v5, s49, v4
	v_cmp_le_u32_e32 vcc_lo, s49, v4
	v_cndmask_b32_e32 v4, v4, v5, vcc_lo
	s_delay_alu instid0(VALU_DEP_1) | instskip(SKIP_1) | instid1(VALU_DEP_2)
	v_subrev_nc_u32_e32 v5, s49, v4
	v_cmp_le_u32_e32 vcc_lo, s49, v4
	v_cndmask_b32_e32 v12, v4, v5, vcc_lo
	s_delay_alu instid0(VALU_DEP_1)
	v_dual_mov_b32 v4, v12 :: v_dual_mov_b32 v5, v13
.LBB195_448:                            ;   in Loop: Header=BB195_12 Depth=1
	s_delay_alu instid0(VALU_DEP_1) | instskip(NEXT) | instid1(VALU_DEP_2)
	v_sub_co_u32 v4, vcc_lo, s76, v4
	v_sub_co_ci_u32_e32 v5, vcc_lo, s27, v5, vcc_lo
	s_mov_b32 s13, 0
	s_mov_b32 s8, exec_lo
                                        ; implicit-def: $vgpr18
	s_delay_alu instid0(VALU_DEP_1)
	v_cmpx_gt_u64_e64 v[4:5], v[0:1]
	s_cbranch_execz .LBB195_457
; %bb.449:                              ;   in Loop: Header=BB195_12 Depth=1
	v_dual_mov_b32 v7, v1 :: v_dual_mov_b32 v6, v0
	s_mov_b32 s9, 0
                                        ; implicit-def: $sgpr12
	s_branch .LBB195_451
.LBB195_450:                            ;   in Loop: Header=BB195_451 Depth=2
	s_or_b32 exec_lo, exec_lo, s7
	s_waitcnt vmcnt(0) lgkmcnt(0)
	s_barrier
	buffer_gl0_inv
	ds_load_b64 v[17:18], v13 offset:3072
	v_add_co_u32 v6, vcc_lo, v6, s49
	v_add_co_ci_u32_e32 v7, vcc_lo, 0, v7, vcc_lo
	s_waitcnt lgkmcnt(0)
	s_barrier
	buffer_gl0_inv
	v_cmp_ge_u64_e32 vcc_lo, v[6:7], v[4:5]
	v_cmp_neq_f32_e64 s7, 0, v17
	s_delay_alu instid0(VALU_DEP_1) | instskip(NEXT) | instid1(SALU_CYCLE_1)
	s_or_b32 s13, vcc_lo, s7
	s_and_b32 s13, exec_lo, s13
	s_delay_alu instid0(SALU_CYCLE_1) | instskip(SKIP_2) | instid1(SALU_CYCLE_1)
	s_or_b32 s9, s13, s9
	s_and_not1_b32 s12, s12, exec_lo
	s_and_b32 s7, s7, exec_lo
	s_or_b32 s12, s12, s7
	s_and_not1_b32 exec_lo, exec_lo, s9
	s_cbranch_execz .LBB195_456
.LBB195_451:                            ;   Parent Loop BB195_12 Depth=1
                                        ; =>  This Inner Loop Header: Depth=2
	s_delay_alu instid0(VALU_DEP_1)
	v_cmp_gt_u64_e32 vcc_lo, s[36:37], v[6:7]
	v_mov_b32_e32 v17, 0
	s_and_saveexec_b32 s13, vcc_lo
	s_cbranch_execz .LBB195_453
; %bb.452:                              ;   in Loop: Header=BB195_451 Depth=2
	v_mul_lo_u32 v12, v7, s30
	v_mul_lo_u32 v17, v6, s31
	v_mad_u64_u32 v[8:9], null, v6, s30, 0
	s_delay_alu instid0(VALU_DEP_1) | instskip(NEXT) | instid1(VALU_DEP_1)
	v_add3_u32 v9, v9, v17, v12
	v_lshlrev_b64 v[8:9], 2, v[8:9]
	s_delay_alu instid0(VALU_DEP_1) | instskip(NEXT) | instid1(VALU_DEP_1)
	v_add_co_u32 v8, s7, s33, v8
	v_add_co_ci_u32_e64 v9, s7, s35, v9, s7
	global_load_b32 v17, v[8:9], off
.LBB195_453:                            ;   in Loop: Header=BB195_451 Depth=2
	s_or_b32 exec_lo, exec_lo, s13
	s_and_saveexec_b32 s7, vcc_lo
	s_cbranch_execz .LBB195_450
; %bb.454:                              ;   in Loop: Header=BB195_451 Depth=2
	s_waitcnt vmcnt(0)
	v_cmp_lt_i32_e32 vcc_lo, -1, v17
	v_cndmask_b32_e64 v8, -1, 0x80000000, vcc_lo
	v_cmp_o_f32_e32 vcc_lo, v17, v17
	s_delay_alu instid0(VALU_DEP_2) | instskip(NEXT) | instid1(VALU_DEP_1)
	v_xor_b32_e32 v8, v8, v17
	v_cndmask_b32_e32 v8, -1, v8, vcc_lo
	s_delay_alu instid0(VALU_DEP_1) | instskip(NEXT) | instid1(VALU_DEP_1)
	v_and_b32_e32 v8, v8, v31
	v_cmp_eq_u32_e32 vcc_lo, v8, v32
	s_and_b32 exec_lo, exec_lo, vcc_lo
	s_cbranch_execz .LBB195_450
; %bb.455:                              ;   in Loop: Header=BB195_451 Depth=2
	ds_store_b64 v13, v[16:17] offset:3072
	s_branch .LBB195_450
.LBB195_456:                            ;   in Loop: Header=BB195_12 Depth=1
	s_or_b32 exec_lo, exec_lo, s9
	s_delay_alu instid0(SALU_CYCLE_1)
	s_and_b32 s13, s12, exec_lo
.LBB195_457:                            ;   in Loop: Header=BB195_12 Depth=1
	s_or_b32 exec_lo, exec_lo, s8
	s_mov_b32 s8, 0
	s_mov_b32 s7, -1
	s_mov_b32 s9, 0
.LBB195_458:                            ;   in Loop: Header=BB195_12 Depth=1
	s_or_not1_b32 s13, s13, exec_lo
.LBB195_459:                            ;   in Loop: Header=BB195_12 Depth=1
	s_or_b32 exec_lo, exec_lo, s69
	s_mov_b32 s26, 0
                                        ; implicit-def: $vgpr8
                                        ; implicit-def: $vgpr4_vgpr5
	s_and_saveexec_b32 s12, s13
	s_cbranch_execz .LBB195_471
; %bb.460:                              ;   in Loop: Header=BB195_12 Depth=1
	v_mov_b32_e32 v4, 1
	v_dual_mov_b32 v5, 0 :: v_dual_mov_b32 v8, 1
	s_xor_b32 s26, s68, -1
	s_delay_alu instid0(SALU_CYCLE_1)
	s_and_saveexec_b32 s13, s26
	s_cbranch_execz .LBB195_470
; %bb.461:                              ;   in Loop: Header=BB195_12 Depth=1
	s_mov_b32 s26, exec_lo
                                        ; implicit-def: $sgpr68
	v_cmpx_ge_u64_e64 s[10:11], v[2:3]
	s_xor_b32 s26, exec_lo, s26
	s_cbranch_execz .LBB195_467
; %bb.462:                              ;   in Loop: Header=BB195_12 Depth=1
	ds_load_b64 v[4:5], v13 offset:5120
	s_waitcnt lgkmcnt(0)
	v_cmp_ne_u64_e32 vcc_lo, 0, v[4:5]
	s_cbranch_vccnz .LBB195_466
; %bb.463:                              ;   in Loop: Header=BB195_12 Depth=1
	s_and_saveexec_b32 s68, s5
	s_cbranch_execz .LBB195_465
; %bb.464:                              ;   in Loop: Header=BB195_12 Depth=1
	v_dual_mov_b32 v4, s10 :: v_dual_mov_b32 v5, s11
	ds_store_b64 v13, v[4:5] offset:5128
.LBB195_465:                            ;   in Loop: Header=BB195_12 Depth=1
	s_or_b32 exec_lo, exec_lo, s68
	s_waitcnt lgkmcnt(0)
	s_barrier
	buffer_gl0_inv
.LBB195_466:                            ;   in Loop: Header=BB195_12 Depth=1
	v_and_b32_e32 v32, s21, v32
	v_or_b32_e32 v31, s20, v31
	s_mov_b32 s68, 5
.LBB195_467:                            ;   in Loop: Header=BB195_12 Depth=1
	s_or_saveexec_b32 s20, s26
	v_mov_b32_e32 v8, s68
	s_xor_b32 exec_lo, exec_lo, s20
; %bb.468:                              ;   in Loop: Header=BB195_12 Depth=1
	v_sub_co_u32 v2, vcc_lo, v2, s10
	v_subrev_co_ci_u32_e32 v3, vcc_lo, s11, v3, vcc_lo
	v_mov_b32_e32 v8, 5
; %bb.469:                              ;   in Loop: Header=BB195_12 Depth=1
	s_or_b32 exec_lo, exec_lo, s20
	s_delay_alu instid0(VALU_DEP_2)
	v_dual_mov_b32 v5, v3 :: v_dual_mov_b32 v4, v2
.LBB195_470:                            ;   in Loop: Header=BB195_12 Depth=1
	s_or_b32 exec_lo, exec_lo, s13
	s_delay_alu instid0(SALU_CYCLE_1)
	s_mov_b32 s26, exec_lo
.LBB195_471:                            ;   in Loop: Header=BB195_12 Depth=1
	s_or_b32 exec_lo, exec_lo, s12
	s_delay_alu instid0(VALU_DEP_1)
	v_dual_mov_b32 v2, v4 :: v_dual_mov_b32 v3, v5
	s_or_not1_b32 s12, s26, exec_lo
.LBB195_472:                            ;   in Loop: Header=BB195_12 Depth=1
	s_or_b32 exec_lo, exec_lo, s22
	s_delay_alu instid0(SALU_CYCLE_1)
	s_and_not1_b32 s10, s14, exec_lo
	s_and_b32 s7, s7, exec_lo
	s_and_b32 s8, s8, exec_lo
	s_or_b32 s14, s10, s7
	s_and_not1_b32 s7, s15, exec_lo
	s_and_not1_b32 s10, s66, exec_lo
	s_and_b32 s9, s9, exec_lo
	v_dual_mov_b32 v5, v3 :: v_dual_mov_b32 v4, v2
	s_or_b32 s15, s7, s8
	s_or_b32 s66, s10, s9
	s_and_b32 s26, s12, exec_lo
.LBB195_473:                            ;   in Loop: Header=BB195_12 Depth=1
	s_or_b32 exec_lo, exec_lo, s67
	s_delay_alu instid0(SALU_CYCLE_1)
	s_and_b32 s14, s14, exec_lo
	s_and_b32 s9, s15, exec_lo
	;; [unrolled: 1-line block ×3, first 2 shown]
	s_or_not1_b32 s7, s26, exec_lo
.LBB195_474:                            ;   in Loop: Header=BB195_12 Depth=1
	s_or_b32 exec_lo, exec_lo, s65
	s_delay_alu instid0(SALU_CYCLE_1)
	s_and_not1_b32 s10, s16, exec_lo
	s_and_b32 s11, s14, exec_lo
	s_and_b32 s9, s9, exec_lo
	s_or_b32 s16, s10, s11
	s_and_not1_b32 s10, s17, exec_lo
	s_and_not1_b32 s11, s63, exec_lo
	s_and_b32 s8, s8, exec_lo
	v_dual_mov_b32 v2, v4 :: v_dual_mov_b32 v3, v5
	s_or_b32 s17, s10, s9
	s_or_b32 s63, s11, s8
	s_and_b32 s26, s7, exec_lo
.LBB195_475:                            ;   in Loop: Header=BB195_12 Depth=1
	s_or_b32 exec_lo, exec_lo, s64
	s_delay_alu instid0(SALU_CYCLE_1)
	s_and_b32 s16, s16, exec_lo
	s_and_b32 s9, s17, exec_lo
	;; [unrolled: 1-line block ×3, first 2 shown]
	s_or_not1_b32 s17, s26, exec_lo
.LBB195_476:                            ;   in Loop: Header=BB195_12 Depth=1
	s_or_b32 exec_lo, exec_lo, s62
	s_mov_b32 s7, s25
	s_mov_b32 s10, s24
	s_and_saveexec_b32 s11, s17
; %bb.477:                              ;   in Loop: Header=BB195_12 Depth=1
	v_cmp_eq_u32_e32 vcc_lo, 5, v8
	v_cmp_ne_u32_e64 s7, 5, v8
	s_and_not1_b32 s10, s24, exec_lo
	s_and_not1_b32 s12, s25, exec_lo
	;; [unrolled: 1-line block ×3, first 2 shown]
	s_and_b32 s13, vcc_lo, exec_lo
	s_and_b32 s7, s7, exec_lo
	s_and_not1_b32 s9, s9, exec_lo
	s_and_not1_b32 s8, s8, exec_lo
	s_or_b32 s10, s10, s7
	s_or_b32 s7, s12, s13
; %bb.478:                              ;   in Loop: Header=BB195_12 Depth=1
	s_or_b32 exec_lo, exec_lo, s11
	s_delay_alu instid0(SALU_CYCLE_1)
	s_and_not1_b32 s11, s18, exec_lo
	s_and_b32 s12, s16, exec_lo
	s_and_b32 s9, s9, exec_lo
	s_or_b32 s18, s11, s12
	s_and_not1_b32 s11, s19, exec_lo
	s_and_not1_b32 s12, s23, exec_lo
	s_and_b32 s8, s8, exec_lo
	v_dual_mov_b32 v21, v32 :: v_dual_mov_b32 v22, v31
	v_mov_b32_e32 v5, v18
	s_or_b32 s19, s11, s9
	s_or_b32 s23, s12, s8
	s_and_not1_b32 s8, s24, exec_lo
	s_and_b32 s9, s10, exec_lo
	s_and_not1_b32 s10, s25, exec_lo
	s_and_b32 s7, s7, exec_lo
	s_or_b32 s24, s8, s9
	s_or_b32 s25, s10, s7
.LBB195_479:                            ;   in Loop: Header=BB195_12 Depth=1
	s_or_b32 exec_lo, exec_lo, s58
	s_mov_b32 s62, s23
	s_mov_b32 s58, s23
	s_and_saveexec_b32 s7, s25
.LBB195_480:                            ;   in Loop: Header=BB195_12 Depth=1
	v_mov_b32_e32 v8, 0
	s_and_not1_b32 s23, s23, exec_lo
	s_and_not1_b32 s18, s18, exec_lo
	s_and_not1_b32 s19, s19, exec_lo
	s_and_not1_b32 s62, s62, exec_lo
	s_and_not1_b32 s58, s58, exec_lo
	s_or_b32 s24, s24, exec_lo
.LBB195_481:                            ;   in Loop: Header=BB195_12 Depth=1
	s_or_b32 exec_lo, exec_lo, s7
	s_delay_alu instid0(SALU_CYCLE_1)
	s_and_not1_b32 s7, s95, exec_lo
	s_and_b32 s9, s23, exec_lo
	s_and_not1_b32 s10, s92, exec_lo
	s_or_b32 s95, s7, s9
	s_and_not1_b32 s7, s94, exec_lo
	s_and_b32 s9, s18, exec_lo
	s_and_b32 s11, s19, exec_lo
	s_or_b32 s94, s7, s9
	s_or_b32 s92, s10, s11
	s_and_not1_b32 s7, s93, exec_lo
	s_and_b32 s9, s62, exec_lo
	s_and_not1_b32 s10, s91, exec_lo
	s_and_b32 s11, s58, exec_lo
	s_mov_b32 s8, -1
	s_or_b32 s93, s7, s9
	s_or_b32 s91, s10, s11
                                        ; implicit-def: $vgpr31
                                        ; implicit-def: $vgpr32
                                        ; implicit-def: $vgpr19_vgpr20
                                        ; implicit-def: $vgpr18
	s_and_saveexec_b32 s7, s24
	s_delay_alu instid0(SALU_CYCLE_1)
	s_xor_b32 s7, exec_lo, s7
	s_cbranch_execz .LBB195_11
; %bb.482:                              ;   in Loop: Header=BB195_12 Depth=1
	s_mov_b32 s9, -1
	s_mov_b32 s10, exec_lo
	v_cmpx_eq_u32_e32 0, v8
	s_cbranch_execz .LBB195_10
; %bb.483:                              ;   in Loop: Header=BB195_12 Depth=1
	s_xor_b32 s85, s85, 1
	s_add_i32 s11, s89, -2
	s_cmp_eq_u32 s89, 0
	s_mov_b32 s89, s11
	s_cselect_b32 s8, -1, 0
	s_xor_b32 s9, exec_lo, -1
	s_or_not1_b32 s8, s8, exec_lo
	s_branch .LBB195_10
.LBB195_484:
	s_or_b32 exec_lo, exec_lo, s83
	s_xor_b32 s7, s90, -1
	s_xor_b32 s9, s87, -1
	;; [unrolled: 1-line block ×5, first 2 shown]
	s_mov_b32 s8, 0
	s_and_saveexec_b32 s12, s11
	s_delay_alu instid0(SALU_CYCLE_1)
	s_xor_b32 s12, exec_lo, s12
	s_cbranch_execz .LBB195_543
; %bb.485:
	s_and_saveexec_b32 s11, s10
	s_delay_alu instid0(SALU_CYCLE_1)
	s_xor_b32 s13, exec_lo, s11
	s_cbranch_execz .LBB195_541
; %bb.486:
	;; [unrolled: 5-line block ×4, first 2 shown]
	s_and_saveexec_b32 s7, s6
	s_delay_alu instid0(SALU_CYCLE_1)
	s_xor_b32 s6, exec_lo, s7
; %bb.489:
	v_cmp_lt_i32_e32 vcc_lo, -1, v21
	v_cndmask_b32_e64 v2, 0x80000000, -1, vcc_lo
	s_delay_alu instid0(VALU_DEP_1)
	v_xor_b32_e32 v5, v2, v21
; %bb.490:
	s_or_b32 exec_lo, exec_lo, s6
	s_and_saveexec_b32 s6, s5
	s_cbranch_execz .LBB195_492
; %bb.491:
	v_mov_b32_e32 v2, 0
	s_delay_alu instid0(VALU_DEP_1)
	v_mov_b32_e32 v3, v2
	ds_store_b64 v2, v[2:3] offset:5136
.LBB195_492:
	s_or_b32 exec_lo, exec_lo, s6
	v_mov_b32_e32 v15, 0
	s_waitcnt lgkmcnt(0)
	s_barrier
	buffer_gl0_inv
	s_and_saveexec_b32 s5, s4
	s_cbranch_execz .LBB195_494
; %bb.493:
	global_load_b32 v15, v[10:11], off
.LBB195_494:
	s_or_b32 exec_lo, exec_lo, s5
	s_add_u32 s5, s36, 31
	s_addc_u32 s7, s37, 0
	s_and_b32 s6, s5, 0xffffffe0
	s_mul_i32 s5, s48, s51
	s_mul_hi_u32 s8, s48, s50
	s_mul_i32 s9, s48, s50
	s_add_i32 s8, s8, s5
	s_sub_u32 s5, s34, s9
	s_subb_u32 s8, 0, s8
	s_mul_i32 s9, s5, s47
	s_mul_hi_u32 s10, s5, s46
	s_mul_i32 s8, s8, s46
	s_add_i32 s9, s10, s9
	s_mul_i32 s10, s48, s45
	s_mul_hi_u32 s11, s48, s44
	s_add_i32 s17, s9, s8
	s_mul_i32 s8, s52, s29
	s_mul_hi_u32 s9, s52, s28
	s_add_i32 s19, s11, s10
	s_mul_i32 s10, s52, s28
	s_add_i32 s9, s9, s8
	s_sub_u32 s20, s34, s10
	s_mul_i32 s16, s5, s46
	s_mul_i32 s5, s20, s43
	s_mul_hi_u32 s8, s20, s42
	s_subb_u32 s9, 0, s9
	s_add_i32 s5, s8, s5
	s_mul_i32 s9, s9, s42
	v_cmp_lt_i32_e32 vcc_lo, -1, v5
	s_add_i32 s23, s5, s9
	s_clause 0x1
	s_load_b64 s[8:9], s[0:1], 0x368
	s_load_b64 s[10:11], s[0:1], 0x510
	s_mul_i32 s18, s48, s44
	s_mul_i32 s5, s52, s41
	v_cndmask_b32_e64 v2, -1, 0x80000000, vcc_lo
	s_mul_hi_u32 s22, s52, s40
	s_lshl_b64 s[0:1], s[18:19], 2
	s_add_i32 s19, s22, s5
	s_add_u32 s0, s56, s0
	s_addc_u32 s5, s57, s1
	s_lshl_b64 s[16:17], s[16:17], 2
	v_xor_b32_e32 v2, v2, v5
	v_cmp_o_f32_e32 vcc_lo, v5, v5
	s_mul_i32 s18, s52, s40
	s_add_u32 s1, s0, s16
	s_addc_u32 s5, s5, s17
	s_lshl_b64 s[16:17], s[18:19], 3
	s_mul_i32 s22, s20, s42
	s_add_u32 s0, s102, s16
	v_cndmask_b32_e32 v14, -1, v2, vcc_lo
	s_addc_u32 s18, s103, s17
	s_lshl_b64 s[16:17], s[22:23], 3
	s_mov_b32 s21, -1
	s_add_u32 s16, s0, s16
	s_addc_u32 s17, s18, s17
	s_mov_b32 s19, 0
	s_mov_b32 s18, 0
	s_mov_b32 s20, exec_lo
	v_cmpx_gt_u64_e64 s[6:7], v[0:1]
	s_cbranch_execz .LBB195_512
; %bb.495:
	v_mov_b32_e32 v9, v1
	v_dual_mov_b32 v3, 0 :: v_dual_mov_b32 v8, v0
                                        ; implicit-def: $sgpr21
                                        ; implicit-def: $vgpr6_vgpr7
	s_branch .LBB195_497
.LBB195_496:                            ;   in Loop: Header=BB195_497 Depth=1
	s_or_b32 exec_lo, exec_lo, s22
	s_xor_b32 s22, s24, -1
	s_and_b32 s0, exec_lo, s0
	s_waitcnt vmcnt(0)
	v_mov_b32_e32 v15, v16
	s_or_b32 s18, s0, s18
	v_dual_mov_b32 v9, v5 :: v_dual_mov_b32 v8, v4
	s_and_not1_b32 s0, s21, exec_lo
	s_and_b32 s21, s22, exec_lo
	s_delay_alu instid0(SALU_CYCLE_1)
	s_or_b32 s21, s0, s21
	s_and_not1_b32 exec_lo, exec_lo, s18
	s_cbranch_execz .LBB195_511
.LBB195_497:                            ; =>This Inner Loop Header: Depth=1
	s_delay_alu instid0(VALU_DEP_1) | instskip(NEXT) | instid1(VALU_DEP_3)
	v_add_co_u32 v4, vcc_lo, v8, s49
	v_add_co_ci_u32_e32 v5, vcc_lo, 0, v9, vcc_lo
	v_mov_b32_e32 v16, 0
	s_mov_b32 s0, exec_lo
	s_delay_alu instid0(VALU_DEP_2)
	v_cmpx_gt_u64_e64 s[36:37], v[4:5]
	s_cbranch_execz .LBB195_499
; %bb.498:                              ;   in Loop: Header=BB195_497 Depth=1
	v_mul_lo_u32 v2, v5, s30
	v_mul_lo_u32 v16, v4, s31
	v_mad_u64_u32 v[12:13], null, v4, s30, 0
	s_delay_alu instid0(VALU_DEP_1) | instskip(NEXT) | instid1(VALU_DEP_1)
	v_add3_u32 v13, v13, v16, v2
	v_lshlrev_b64 v[12:13], 2, v[12:13]
	s_delay_alu instid0(VALU_DEP_1) | instskip(NEXT) | instid1(VALU_DEP_2)
	v_add_co_u32 v12, vcc_lo, s33, v12
	v_add_co_ci_u32_e32 v13, vcc_lo, s35, v13, vcc_lo
	global_load_b32 v16, v[12:13], off
.LBB195_499:                            ;   in Loop: Header=BB195_497 Depth=1
	s_or_b32 exec_lo, exec_lo, s0
	s_mov_b32 s22, 0
	s_mov_b32 s0, exec_lo
	v_cmpx_gt_u64_e64 s[36:37], v[8:9]
	s_cbranch_execz .LBB195_501
; %bb.500:                              ;   in Loop: Header=BB195_497 Depth=1
	s_waitcnt vmcnt(0)
	v_cmp_lt_i32_e32 vcc_lo, -1, v15
	v_cndmask_b32_e64 v2, -1, 0x80000000, vcc_lo
	v_cmp_o_f32_e32 vcc_lo, v15, v15
	s_delay_alu instid0(VALU_DEP_2) | instskip(NEXT) | instid1(VALU_DEP_1)
	v_xor_b32_e32 v2, v2, v15
	v_cndmask_b32_e32 v2, -1, v2, vcc_lo
	s_delay_alu instid0(VALU_DEP_1) | instskip(SKIP_3) | instid1(VALU_DEP_1)
	v_cmp_gt_u32_e32 vcc_lo, v2, v14
	v_cndmask_b32_e64 v12, 0, 1, vcc_lo
	v_cmp_lt_u32_e32 vcc_lo, v2, v14
	v_cndmask_b32_e64 v2, 0, 1, vcc_lo
	v_cndmask_b32_e64 v2, v2, v12, s3
	s_delay_alu instid0(VALU_DEP_1) | instskip(NEXT) | instid1(VALU_DEP_1)
	v_and_b32_e32 v2, 1, v2
	v_cmp_eq_u32_e32 vcc_lo, 1, v2
	s_and_b32 s22, vcc_lo, exec_lo
.LBB195_501:                            ;   in Loop: Header=BB195_497 Depth=1
	s_or_b32 exec_lo, exec_lo, s0
	v_cndmask_b32_e64 v2, 0, 1, s22
	s_delay_alu instid0(VALU_DEP_1) | instskip(SKIP_2) | instid1(SALU_CYCLE_1)
	v_cmp_ne_u32_e32 vcc_lo, 0, v2
	s_cmp_lg_u32 vcc_lo, 0
	s_cselect_b32 s0, -1, 0
	s_and_b32 s0, s2, s0
	s_delay_alu instid0(SALU_CYCLE_1)
	s_and_saveexec_b32 s23, s0
	s_cbranch_execz .LBB195_505
; %bb.502:                              ;   in Loop: Header=BB195_497 Depth=1
	s_mov_b32 s26, exec_lo
	s_bcnt1_i32_b32 s24, vcc_lo
	v_mbcnt_lo_u32_b32 v12, s26, 0
	s_mov_b32 s25, exec_lo
                                        ; implicit-def: $vgpr6_vgpr7
	s_delay_alu instid0(VALU_DEP_1)
	v_cmpx_eq_u32_e32 0, v12
	s_cbranch_execz .LBB195_504
; %bb.503:                              ;   in Loop: Header=BB195_497 Depth=1
	s_bcnt1_i32_b32 s0, s26
	s_delay_alu instid0(SALU_CYCLE_1) | instskip(NEXT) | instid1(SALU_CYCLE_1)
	s_mul_i32 s0, s24, s0
	v_mov_b32_e32 v2, s0
	s_waitcnt lgkmcnt(0)
	ds_add_rtn_u64 v[6:7], v3, v[2:3] offset:5136
.LBB195_504:                            ;   in Loop: Header=BB195_497 Depth=1
	s_or_b32 exec_lo, exec_lo, s25
	s_waitcnt lgkmcnt(0)
	v_readfirstlane_b32 s27, v7
	v_readfirstlane_b32 s26, v6
	s_delay_alu instid0(VALU_DEP_1)
	v_mad_u64_u32 v[6:7], null, s24, v12, s[26:27]
.LBB195_505:                            ;   in Loop: Header=BB195_497 Depth=1
	s_or_b32 exec_lo, exec_lo, s23
	s_waitcnt lgkmcnt(0)
	ds_bpermute_b32 v6, v3, v6
	ds_bpermute_b32 v7, v3, v7
	s_mov_b32 s0, -1
	s_mov_b32 s25, -1
                                        ; implicit-def: $sgpr24
	s_and_saveexec_b32 s23, s22
	s_cbranch_execz .LBB195_509
; %bb.506:                              ;   in Loop: Header=BB195_497 Depth=1
	v_and_b32_e32 v2, vcc_lo, v25
	s_mov_b32 s22, 0
	s_mov_b32 s24, exec_lo
	s_delay_alu instid0(VALU_DEP_1) | instskip(SKIP_1) | instid1(VALU_DEP_1)
	v_bcnt_u32_b32 v2, v2, 0
	s_waitcnt lgkmcnt(0)
	v_add_co_u32 v12, vcc_lo, v6, v2
	v_add_co_ci_u32_e32 v13, vcc_lo, 0, v7, vcc_lo
	s_delay_alu instid0(VALU_DEP_1)
	v_cmpx_gt_u64_e64 s[38:39], v[12:13]
	s_cbranch_execz .LBB195_508
; %bb.507:                              ;   in Loop: Header=BB195_497 Depth=1
	v_mul_lo_u32 v2, v13, s8
	v_mul_lo_u32 v21, v12, s9
	v_mad_u64_u32 v[17:18], null, v12, s8, 0
	v_mul_lo_u32 v13, v13, s10
	v_mul_lo_u32 v22, v12, s11
	v_mad_u64_u32 v[19:20], null, v12, s10, 0
	s_mov_b32 s22, exec_lo
	s_delay_alu instid0(VALU_DEP_4) | instskip(NEXT) | instid1(VALU_DEP_2)
	v_add3_u32 v18, v18, v21, v2
	v_add3_u32 v20, v20, v22, v13
	s_delay_alu instid0(VALU_DEP_2) | instskip(NEXT) | instid1(VALU_DEP_2)
	v_lshlrev_b64 v[12:13], 2, v[17:18]
	v_lshlrev_b64 v[17:18], 3, v[19:20]
	s_delay_alu instid0(VALU_DEP_2) | instskip(NEXT) | instid1(VALU_DEP_3)
	v_add_co_u32 v12, vcc_lo, s1, v12
	v_add_co_ci_u32_e32 v13, vcc_lo, s5, v13, vcc_lo
	s_delay_alu instid0(VALU_DEP_3) | instskip(NEXT) | instid1(VALU_DEP_4)
	v_add_co_u32 v17, vcc_lo, s16, v17
	v_add_co_ci_u32_e32 v18, vcc_lo, s17, v18, vcc_lo
	s_waitcnt vmcnt(0)
	global_store_b32 v[12:13], v15, off
	global_store_b64 v[17:18], v[8:9], off
.LBB195_508:                            ;   in Loop: Header=BB195_497 Depth=1
	s_or_b32 exec_lo, exec_lo, s24
	s_mov_b32 s24, -1
	s_or_not1_b32 s25, s22, exec_lo
.LBB195_509:                            ;   in Loop: Header=BB195_497 Depth=1
	s_or_b32 exec_lo, exec_lo, s23
	s_and_saveexec_b32 s22, s25
	s_cbranch_execz .LBB195_496
; %bb.510:                              ;   in Loop: Header=BB195_497 Depth=1
	v_cmp_le_u64_e32 vcc_lo, s[6:7], v[4:5]
	s_and_not1_b32 s24, s24, exec_lo
	s_or_not1_b32 s0, vcc_lo, exec_lo
	s_branch .LBB195_496
.LBB195_511:
	s_or_b32 exec_lo, exec_lo, s18
	s_delay_alu instid0(SALU_CYCLE_1)
	s_mov_b32 s18, exec_lo
	s_or_not1_b32 s21, s21, exec_lo
.LBB195_512:
	s_or_b32 exec_lo, exec_lo, s20
	s_and_saveexec_b32 s3, s21
	s_cbranch_execz .LBB195_535
; %bb.513:
	v_dual_mov_b32 v3, 0 :: v_dual_mov_b32 v12, 0
	s_waitcnt vmcnt(0) lgkmcnt(0)
	s_waitcnt_vscnt null, 0x0
	s_barrier
	buffer_gl0_inv
	s_and_saveexec_b32 s0, s4
	s_cbranch_execz .LBB195_515
; %bb.514:
	global_load_b32 v12, v[10:11], off
.LBB195_515:
	s_or_b32 exec_lo, exec_lo, s0
	s_mov_b32 s19, 0
                                        ; implicit-def: $sgpr4
                                        ; implicit-def: $sgpr20
                                        ; implicit-def: $sgpr21
                                        ; implicit-def: $vgpr4_vgpr5
	s_branch .LBB195_518
.LBB195_516:                            ;   in Loop: Header=BB195_518 Depth=1
	s_or_b32 exec_lo, exec_lo, s24
	v_dual_mov_b32 v0, v6 :: v_dual_mov_b32 v1, v7
	v_mov_b32_e32 v12, v2
	s_and_not1_b32 s0, s21, exec_lo
	s_and_b32 s21, s26, exec_lo
	s_and_not1_b32 s20, s20, exec_lo
	s_and_b32 s23, s23, exec_lo
	s_or_b32 s21, s0, s21
	s_or_b32 s20, s20, s23
.LBB195_517:                            ;   in Loop: Header=BB195_518 Depth=1
	s_or_b32 exec_lo, exec_lo, s22
	s_xor_b32 s0, s21, -1
	s_and_b32 s22, exec_lo, s20
	s_delay_alu instid0(SALU_CYCLE_1) | instskip(SKIP_2) | instid1(SALU_CYCLE_1)
	s_or_b32 s19, s22, s19
	s_and_not1_b32 s4, s4, exec_lo
	s_and_b32 s0, s0, exec_lo
	s_or_b32 s4, s4, s0
	s_and_not1_b32 exec_lo, exec_lo, s19
	s_cbranch_execz .LBB195_533
.LBB195_518:                            ; =>This Inner Loop Header: Depth=1
	s_or_b32 s21, s21, exec_lo
	s_or_b32 s20, s20, exec_lo
	s_mov_b32 s22, exec_lo
	v_cmpx_gt_u64_e64 s[6:7], v[0:1]
	s_cbranch_execz .LBB195_517
; %bb.519:                              ;   in Loop: Header=BB195_518 Depth=1
	v_add_co_u32 v6, vcc_lo, v0, s49
	v_add_co_ci_u32_e32 v7, vcc_lo, 0, v1, vcc_lo
	v_mov_b32_e32 v10, 0
	s_mov_b32 s0, exec_lo
	s_delay_alu instid0(VALU_DEP_2)
	v_cmpx_gt_u64_e64 s[36:37], v[6:7]
	s_cbranch_execz .LBB195_521
; %bb.520:                              ;   in Loop: Header=BB195_518 Depth=1
	v_mul_lo_u32 v2, v7, s30
	v_mul_lo_u32 v10, v6, s31
	v_mad_u64_u32 v[8:9], null, v6, s30, 0
	s_delay_alu instid0(VALU_DEP_1) | instskip(NEXT) | instid1(VALU_DEP_1)
	v_add3_u32 v9, v9, v10, v2
	v_lshlrev_b64 v[8:9], 2, v[8:9]
	s_delay_alu instid0(VALU_DEP_1) | instskip(NEXT) | instid1(VALU_DEP_2)
	v_add_co_u32 v8, vcc_lo, s33, v8
	v_add_co_ci_u32_e32 v9, vcc_lo, s35, v9, vcc_lo
	global_load_b32 v10, v[8:9], off
.LBB195_521:                            ;   in Loop: Header=BB195_518 Depth=1
	s_or_b32 exec_lo, exec_lo, s0
	s_waitcnt vmcnt(0)
	v_cmp_lt_i32_e32 vcc_lo, -1, v12
	v_cndmask_b32_e64 v2, -1, 0x80000000, vcc_lo
	v_cmp_o_f32_e32 vcc_lo, v12, v12
	s_delay_alu instid0(VALU_DEP_2) | instskip(NEXT) | instid1(VALU_DEP_1)
	v_xor_b32_e32 v2, v2, v12
	v_cndmask_b32_e32 v2, -1, v2, vcc_lo
	v_cmp_gt_u64_e32 vcc_lo, s[36:37], v[0:1]
	s_delay_alu instid0(VALU_DEP_2) | instskip(NEXT) | instid1(VALU_DEP_1)
	v_cmp_eq_u32_e64 s0, v2, v14
	s_and_b32 s24, vcc_lo, s0
	s_delay_alu instid0(SALU_CYCLE_1) | instskip(NEXT) | instid1(VALU_DEP_1)
	v_cndmask_b32_e64 v2, 0, 1, s24
	v_cmp_ne_u32_e32 vcc_lo, 0, v2
	s_cmp_lg_u32 vcc_lo, 0
	s_cselect_b32 s0, -1, 0
	s_delay_alu instid0(SALU_CYCLE_1) | instskip(NEXT) | instid1(SALU_CYCLE_1)
	s_and_b32 s0, s2, s0
	s_and_saveexec_b32 s23, s0
	s_cbranch_execz .LBB195_525
; %bb.522:                              ;   in Loop: Header=BB195_518 Depth=1
	s_mov_b32 s27, exec_lo
	s_bcnt1_i32_b32 s25, vcc_lo
	v_mbcnt_lo_u32_b32 v8, s27, 0
	s_mov_b32 s26, exec_lo
                                        ; implicit-def: $vgpr4_vgpr5
	s_delay_alu instid0(VALU_DEP_1)
	v_cmpx_eq_u32_e32 0, v8
	s_cbranch_execz .LBB195_524
; %bb.523:                              ;   in Loop: Header=BB195_518 Depth=1
	s_bcnt1_i32_b32 s0, s27
	s_delay_alu instid0(SALU_CYCLE_1) | instskip(NEXT) | instid1(SALU_CYCLE_1)
	s_mul_i32 s0, s25, s0
	v_mov_b32_e32 v2, s0
	ds_add_rtn_u64 v[4:5], v3, v[2:3] offset:5136
.LBB195_524:                            ;   in Loop: Header=BB195_518 Depth=1
	s_or_b32 exec_lo, exec_lo, s26
	s_waitcnt lgkmcnt(0)
	v_readfirstlane_b32 s27, v5
	v_readfirstlane_b32 s26, v4
	s_delay_alu instid0(VALU_DEP_1)
	v_mad_u64_u32 v[4:5], null, s25, v8, s[26:27]
.LBB195_525:                            ;   in Loop: Header=BB195_518 Depth=1
	s_or_b32 exec_lo, exec_lo, s23
	ds_bpermute_b32 v4, v3, v4
	ds_bpermute_b32 v5, v3, v5
	s_cmp_eq_u32 vcc_lo, 0
	s_mov_b32 s23, -1
	s_cselect_b32 s25, -1, 0
	s_mov_b32 s26, -1
	s_waitcnt lgkmcnt(0)
	v_cmp_gt_u64_e64 s0, s[38:39], v[4:5]
	s_delay_alu instid0(VALU_DEP_1) | instskip(SKIP_3) | instid1(SALU_CYCLE_1)
	s_or_b32 s0, s25, s0
	s_mov_b32 s25, -1
	v_cndmask_b32_e64 v2, v12, v10, s0
	s_and_b32 s27, s24, s0
	s_and_saveexec_b32 s24, s27
	s_cbranch_execz .LBB195_531
; %bb.526:                              ;   in Loop: Header=BB195_518 Depth=1
	v_and_b32_e32 v2, vcc_lo, v25
	v_sub_co_u32 v8, vcc_lo, s38, v4
	v_sub_co_ci_u32_e32 v9, vcc_lo, s39, v5, vcc_lo
	s_delay_alu instid0(VALU_DEP_3) | instskip(SKIP_2) | instid1(VALU_DEP_1)
	v_bcnt_u32_b32 v2, v2, 0
	s_mov_b32 s27, -1
	s_mov_b32 s26, exec_lo
	v_cmp_le_u64_e64 s25, v[8:9], v[2:3]
	v_cmpx_gt_u64_e64 v[8:9], v[2:3]
	s_cbranch_execz .LBB195_530
; %bb.527:                              ;   in Loop: Header=BB195_518 Depth=1
	v_add_co_u32 v8, vcc_lo, v4, v2
	v_add_co_ci_u32_e32 v9, vcc_lo, 0, v5, vcc_lo
	s_delay_alu instid0(VALU_DEP_4) | instskip(SKIP_1) | instid1(VALU_DEP_1)
	s_mov_b32 s28, s25
	s_mov_b32 s27, exec_lo
	v_cmpx_gt_u64_e64 s[38:39], v[8:9]
	s_cbranch_execz .LBB195_529
; %bb.528:                              ;   in Loop: Header=BB195_518 Depth=1
	v_mul_lo_u32 v2, v9, s8
	v_mul_lo_u32 v11, v8, s9
	v_mad_u64_u32 v[15:16], null, v8, s8, 0
	v_mul_lo_u32 v9, v9, s10
	v_mul_lo_u32 v13, v8, s11
	v_mad_u64_u32 v[17:18], null, v8, s10, 0
	s_or_b32 s28, s25, exec_lo
	s_delay_alu instid0(VALU_DEP_4) | instskip(NEXT) | instid1(VALU_DEP_2)
	v_add3_u32 v16, v16, v11, v2
	v_add3_u32 v18, v18, v13, v9
	s_delay_alu instid0(VALU_DEP_2) | instskip(NEXT) | instid1(VALU_DEP_2)
	v_lshlrev_b64 v[8:9], 2, v[15:16]
	v_lshlrev_b64 v[15:16], 3, v[17:18]
	s_delay_alu instid0(VALU_DEP_2) | instskip(NEXT) | instid1(VALU_DEP_3)
	v_add_co_u32 v8, vcc_lo, s1, v8
	v_add_co_ci_u32_e32 v9, vcc_lo, s5, v9, vcc_lo
	s_delay_alu instid0(VALU_DEP_3) | instskip(NEXT) | instid1(VALU_DEP_4)
	v_add_co_u32 v15, vcc_lo, s16, v15
	v_add_co_ci_u32_e32 v16, vcc_lo, s17, v16, vcc_lo
	global_store_b32 v[8:9], v12, off
	global_store_b64 v[15:16], v[0:1], off
.LBB195_529:                            ;   in Loop: Header=BB195_518 Depth=1
	s_or_b32 exec_lo, exec_lo, s27
	s_delay_alu instid0(SALU_CYCLE_1)
	s_and_not1_b32 s25, s25, exec_lo
	s_and_b32 s28, s28, exec_lo
	s_xor_b32 s27, exec_lo, -1
	s_or_b32 s25, s25, s28
.LBB195_530:                            ;   in Loop: Header=BB195_518 Depth=1
	s_or_b32 exec_lo, exec_lo, s26
	v_mov_b32_e32 v2, v10
	s_or_not1_b32 s26, s27, exec_lo
	s_or_b32 s0, s0, exec_lo
	s_or_not1_b32 s25, s25, exec_lo
.LBB195_531:                            ;   in Loop: Header=BB195_518 Depth=1
	s_or_b32 exec_lo, exec_lo, s24
	s_and_saveexec_b32 s24, s25
	s_cbranch_execz .LBB195_516
; %bb.532:                              ;   in Loop: Header=BB195_518 Depth=1
	s_xor_b32 s0, s0, -1
	s_or_b32 s26, s26, exec_lo
	s_or_not1_b32 s23, s0, exec_lo
	s_branch .LBB195_516
.LBB195_533:
	s_or_b32 exec_lo, exec_lo, s19
	s_mov_b32 s0, 0
	s_and_saveexec_b32 s1, s4
	s_delay_alu instid0(SALU_CYCLE_1)
	s_xor_b32 s1, exec_lo, s1
	s_cbranch_execnz .LBB195_565
.LBB195_534:
	s_or_b32 exec_lo, exec_lo, s1
	s_delay_alu instid0(SALU_CYCLE_1)
	s_and_b32 s19, s0, exec_lo
	s_and_not1_b32 s18, s18, exec_lo
.LBB195_535:
	s_or_b32 exec_lo, exec_lo, s3
	s_and_saveexec_b32 s0, s18
	s_delay_alu instid0(SALU_CYCLE_1)
	s_xor_b32 s0, exec_lo, s0
	s_cbranch_execnz .LBB195_561
.LBB195_536:
	s_or_b32 exec_lo, exec_lo, s0
	s_waitcnt lgkmcnt(0)
	s_and_b32 s8, s19, exec_lo
.LBB195_537:
	s_and_not1_saveexec_b32 s0, s15
	s_cbranch_execnz .LBB195_557
.LBB195_538:
	s_or_b32 exec_lo, exec_lo, s0
	s_delay_alu instid0(SALU_CYCLE_1)
	s_and_b32 s8, s8, exec_lo
.LBB195_539:
	s_and_not1_saveexec_b32 s0, s14
	s_cbranch_execnz .LBB195_553
.LBB195_540:
	s_or_b32 exec_lo, exec_lo, s0
	s_delay_alu instid0(SALU_CYCLE_1)
	s_and_b32 s8, s8, exec_lo
.LBB195_541:
	s_and_not1_saveexec_b32 s0, s13
	s_cbranch_execnz .LBB195_549
.LBB195_542:
	s_or_b32 exec_lo, exec_lo, s0
	s_delay_alu instid0(SALU_CYCLE_1)
	s_and_b32 s8, s8, exec_lo
.LBB195_543:
	s_and_not1_saveexec_b32 s0, s12
	s_cbranch_execnz .LBB195_547
; %bb.544:
	s_or_b32 exec_lo, exec_lo, s0
	s_and_saveexec_b32 s0, s8
.LBB195_545:
	; divergent unreachable
.LBB195_546:
	s_nop 0
	s_sendmsg sendmsg(MSG_DEALLOC_VGPRS)
	s_endpgm
.LBB195_547:
	s_cbranch_execnz .LBB195_551
; %bb.548:
	s_or_b32 s8, s8, exec_lo
	s_or_b32 exec_lo, exec_lo, s0
	s_and_saveexec_b32 s0, s8
	s_cbranch_execnz .LBB195_545
	s_branch .LBB195_546
.LBB195_549:
	s_cbranch_execnz .LBB195_555
; %bb.550:
	s_or_b32 s8, s8, exec_lo
	s_branch .LBB195_542
.LBB195_551:
	s_trap 2
	s_sendmsg_rtn_b32 s0, sendmsg(MSG_RTN_GET_DOORBELL)
	s_mov_b32 ttmp2, m0
	s_waitcnt lgkmcnt(0)
	s_and_b32 s0, s0, 0x3ff
	s_delay_alu instid0(SALU_CYCLE_1) | instskip(NEXT) | instid1(SALU_CYCLE_1)
	s_bitset1_b32 s0, 10
	s_mov_b32 m0, s0
	s_sendmsg sendmsg(MSG_INTERRUPT)
	s_mov_b32 m0, ttmp2
.LBB195_552:                            ; =>This Inner Loop Header: Depth=1
	s_sethalt 5
	s_branch .LBB195_552
.LBB195_553:
	s_cbranch_execnz .LBB195_559
; %bb.554:
	s_or_b32 s8, s8, exec_lo
	s_branch .LBB195_540
.LBB195_555:
	s_trap 2
	s_sendmsg_rtn_b32 s0, sendmsg(MSG_RTN_GET_DOORBELL)
	s_mov_b32 ttmp2, m0
	s_waitcnt lgkmcnt(0)
	s_and_b32 s0, s0, 0x3ff
	s_delay_alu instid0(SALU_CYCLE_1) | instskip(NEXT) | instid1(SALU_CYCLE_1)
	s_bitset1_b32 s0, 10
	s_mov_b32 m0, s0
	s_sendmsg sendmsg(MSG_INTERRUPT)
	s_mov_b32 m0, ttmp2
.LBB195_556:                            ; =>This Inner Loop Header: Depth=1
	s_sethalt 5
	s_branch .LBB195_556
.LBB195_557:
	s_cbranch_execnz .LBB195_563
; %bb.558:
	s_or_b32 s8, s8, exec_lo
	s_branch .LBB195_538
.LBB195_559:
	s_trap 2
	s_sendmsg_rtn_b32 s0, sendmsg(MSG_RTN_GET_DOORBELL)
	s_mov_b32 ttmp2, m0
	s_waitcnt lgkmcnt(0)
	s_and_b32 s0, s0, 0x3ff
	s_delay_alu instid0(SALU_CYCLE_1) | instskip(NEXT) | instid1(SALU_CYCLE_1)
	s_bitset1_b32 s0, 10
	s_mov_b32 m0, s0
	s_sendmsg sendmsg(MSG_INTERRUPT)
	s_mov_b32 m0, ttmp2
.LBB195_560:                            ; =>This Inner Loop Header: Depth=1
	s_sethalt 5
	s_branch .LBB195_560
.LBB195_561:
	s_cbranch_execnz .LBB195_567
; %bb.562:
	s_or_b32 s19, s19, exec_lo
	s_branch .LBB195_536
.LBB195_563:
	s_trap 2
	s_sendmsg_rtn_b32 s0, sendmsg(MSG_RTN_GET_DOORBELL)
	s_mov_b32 ttmp2, m0
	s_waitcnt lgkmcnt(0)
	s_and_b32 s0, s0, 0x3ff
	s_delay_alu instid0(SALU_CYCLE_1) | instskip(NEXT) | instid1(SALU_CYCLE_1)
	s_bitset1_b32 s0, 10
	s_mov_b32 m0, s0
	s_sendmsg sendmsg(MSG_INTERRUPT)
	s_mov_b32 m0, ttmp2
.LBB195_564:                            ; =>This Inner Loop Header: Depth=1
	s_sethalt 5
	s_branch .LBB195_564
.LBB195_565:
	s_cbranch_execnz .LBB195_569
; %bb.566:
	s_mov_b32 s0, exec_lo
	s_branch .LBB195_534
.LBB195_567:
	s_trap 2
	s_sendmsg_rtn_b32 s0, sendmsg(MSG_RTN_GET_DOORBELL)
	s_mov_b32 ttmp2, m0
	s_waitcnt lgkmcnt(0)
	s_and_b32 s0, s0, 0x3ff
	s_delay_alu instid0(SALU_CYCLE_1) | instskip(NEXT) | instid1(SALU_CYCLE_1)
	s_bitset1_b32 s0, 10
	s_mov_b32 m0, s0
	s_sendmsg sendmsg(MSG_INTERRUPT)
	s_mov_b32 m0, ttmp2
.LBB195_568:                            ; =>This Inner Loop Header: Depth=1
	s_sethalt 5
	s_branch .LBB195_568
.LBB195_569:
	s_trap 2
	s_sendmsg_rtn_b32 s0, sendmsg(MSG_RTN_GET_DOORBELL)
	s_mov_b32 ttmp2, m0
	s_waitcnt lgkmcnt(0)
	s_and_b32 s0, s0, 0x3ff
	s_delay_alu instid0(SALU_CYCLE_1) | instskip(NEXT) | instid1(SALU_CYCLE_1)
	s_bitset1_b32 s0, 10
	s_mov_b32 m0, s0
	s_sendmsg sendmsg(MSG_INTERRUPT)
	s_mov_b32 m0, ttmp2
.LBB195_570:                            ; =>This Inner Loop Header: Depth=1
	s_sethalt 5
	s_branch .LBB195_570
	.section	.rodata,"a",@progbits
	.p2align	6, 0x0
	.amdhsa_kernel _ZN2at6native6sbtopk10gatherTopKIfmLi2ELb0EEEvNS_4cuda6detail10TensorInfoIKT_T0_EES8_S8_bS8_S8_NS5_IS6_S8_EES8_NS5_IlS8_EES8_PS6_
		.amdhsa_group_segment_fixed_size 5152
		.amdhsa_private_segment_fixed_size 0
		.amdhsa_kernarg_size 1568
		.amdhsa_user_sgpr_count 13
		.amdhsa_user_sgpr_dispatch_ptr 0
		.amdhsa_user_sgpr_queue_ptr 0
		.amdhsa_user_sgpr_kernarg_segment_ptr 1
		.amdhsa_user_sgpr_dispatch_id 0
		.amdhsa_user_sgpr_private_segment_size 0
		.amdhsa_wavefront_size32 1
		.amdhsa_uses_dynamic_stack 0
		.amdhsa_enable_private_segment 0
		.amdhsa_system_sgpr_workgroup_id_x 1
		.amdhsa_system_sgpr_workgroup_id_y 1
		.amdhsa_system_sgpr_workgroup_id_z 1
		.amdhsa_system_sgpr_workgroup_info 0
		.amdhsa_system_vgpr_workitem_id 0
		.amdhsa_next_free_vgpr 37
		.amdhsa_next_free_sgpr 105
		.amdhsa_reserve_vcc 1
		.amdhsa_float_round_mode_32 0
		.amdhsa_float_round_mode_16_64 0
		.amdhsa_float_denorm_mode_32 3
		.amdhsa_float_denorm_mode_16_64 3
		.amdhsa_dx10_clamp 1
		.amdhsa_ieee_mode 1
		.amdhsa_fp16_overflow 0
		.amdhsa_workgroup_processor_mode 1
		.amdhsa_memory_ordered 1
		.amdhsa_forward_progress 0
		.amdhsa_shared_vgpr_count 0
		.amdhsa_exception_fp_ieee_invalid_op 0
		.amdhsa_exception_fp_denorm_src 0
		.amdhsa_exception_fp_ieee_div_zero 0
		.amdhsa_exception_fp_ieee_overflow 0
		.amdhsa_exception_fp_ieee_underflow 0
		.amdhsa_exception_fp_ieee_inexact 0
		.amdhsa_exception_int_div_zero 0
	.end_amdhsa_kernel
	.section	.text._ZN2at6native6sbtopk10gatherTopKIfmLi2ELb0EEEvNS_4cuda6detail10TensorInfoIKT_T0_EES8_S8_bS8_S8_NS5_IS6_S8_EES8_NS5_IlS8_EES8_PS6_,"axG",@progbits,_ZN2at6native6sbtopk10gatherTopKIfmLi2ELb0EEEvNS_4cuda6detail10TensorInfoIKT_T0_EES8_S8_bS8_S8_NS5_IS6_S8_EES8_NS5_IlS8_EES8_PS6_,comdat
.Lfunc_end195:
	.size	_ZN2at6native6sbtopk10gatherTopKIfmLi2ELb0EEEvNS_4cuda6detail10TensorInfoIKT_T0_EES8_S8_bS8_S8_NS5_IS6_S8_EES8_NS5_IlS8_EES8_PS6_, .Lfunc_end195-_ZN2at6native6sbtopk10gatherTopKIfmLi2ELb0EEEvNS_4cuda6detail10TensorInfoIKT_T0_EES8_S8_bS8_S8_NS5_IS6_S8_EES8_NS5_IlS8_EES8_PS6_
                                        ; -- End function
	.section	.AMDGPU.csdata,"",@progbits
; Kernel info:
; codeLenInByte = 29760
; NumSgprs: 107
; NumVgprs: 37
; ScratchSize: 0
; MemoryBound: 0
; FloatMode: 240
; IeeeMode: 1
; LDSByteSize: 5152 bytes/workgroup (compile time only)
; SGPRBlocks: 13
; VGPRBlocks: 4
; NumSGPRsForWavesPerEU: 107
; NumVGPRsForWavesPerEU: 37
; Occupancy: 16
; WaveLimiterHint : 1
; COMPUTE_PGM_RSRC2:SCRATCH_EN: 0
; COMPUTE_PGM_RSRC2:USER_SGPR: 13
; COMPUTE_PGM_RSRC2:TRAP_HANDLER: 0
; COMPUTE_PGM_RSRC2:TGID_X_EN: 1
; COMPUTE_PGM_RSRC2:TGID_Y_EN: 1
; COMPUTE_PGM_RSRC2:TGID_Z_EN: 1
; COMPUTE_PGM_RSRC2:TIDIG_COMP_CNT: 0
	.section	.text._ZN2at6native6mbtopk23computeBlockDigitCountsIfmjLi3EEEvNS_4cuda6detail10TensorInfoIKT_T0_EEjPjjS8_iijT1_PSB_Ps,"axG",@progbits,_ZN2at6native6mbtopk23computeBlockDigitCountsIfmjLi3EEEvNS_4cuda6detail10TensorInfoIKT_T0_EEjPjjS8_iijT1_PSB_Ps,comdat
	.protected	_ZN2at6native6mbtopk23computeBlockDigitCountsIfmjLi3EEEvNS_4cuda6detail10TensorInfoIKT_T0_EEjPjjS8_iijT1_PSB_Ps ; -- Begin function _ZN2at6native6mbtopk23computeBlockDigitCountsIfmjLi3EEEvNS_4cuda6detail10TensorInfoIKT_T0_EEjPjjS8_iijT1_PSB_Ps
	.globl	_ZN2at6native6mbtopk23computeBlockDigitCountsIfmjLi3EEEvNS_4cuda6detail10TensorInfoIKT_T0_EEjPjjS8_iijT1_PSB_Ps
	.p2align	8
	.type	_ZN2at6native6mbtopk23computeBlockDigitCountsIfmjLi3EEEvNS_4cuda6detail10TensorInfoIKT_T0_EEjPjjS8_iijT1_PSB_Ps,@function
_ZN2at6native6mbtopk23computeBlockDigitCountsIfmjLi3EEEvNS_4cuda6detail10TensorInfoIKT_T0_EEjPjjS8_iijT1_PSB_Ps: ; @_ZN2at6native6mbtopk23computeBlockDigitCountsIfmjLi3EEEvNS_4cuda6detail10TensorInfoIKT_T0_EEjPjjS8_iijT1_PSB_Ps
; %bb.0:
	s_clause 0x2
	s_load_b128 s[8:11], s[0:1], 0x1c0
	s_load_b32 s5, s[0:1], 0x1b0
	s_load_b64 s[2:3], s[0:1], 0x1e0
	s_waitcnt lgkmcnt(0)
	v_cvt_f32_u32_e32 v1, s10
	s_sub_i32 s6, 0, s10
	s_mul_i32 s3, s3, s15
	s_delay_alu instid0(SALU_CYCLE_1) | instskip(NEXT) | instid1(VALU_DEP_1)
	s_add_i32 s3, s3, s14
	v_rcp_iflag_f32_e32 v1, v1
	s_mul_i32 s24, s3, s2
	s_delay_alu instid0(SALU_CYCLE_1) | instskip(SKIP_2) | instid1(VALU_DEP_1)
	s_add_i32 s24, s24, s13
	s_waitcnt_depctr 0xfff
	v_mul_f32_e32 v1, 0x4f7ffffe, v1
	v_cvt_u32_f32_e32 v1, v1
	s_delay_alu instid0(VALU_DEP_1) | instskip(NEXT) | instid1(VALU_DEP_1)
	v_readfirstlane_b32 s4, v1
	s_mul_i32 s6, s6, s4
	s_delay_alu instid0(SALU_CYCLE_1) | instskip(NEXT) | instid1(SALU_CYCLE_1)
	s_mul_hi_u32 s2, s4, s6
	s_add_i32 s4, s4, s2
	s_delay_alu instid0(SALU_CYCLE_1) | instskip(NEXT) | instid1(SALU_CYCLE_1)
	s_mul_hi_u32 s2, s24, s4
	s_mul_i32 s3, s2, s10
	s_add_i32 s4, s2, 1
	s_sub_i32 s3, s24, s3
	s_delay_alu instid0(SALU_CYCLE_1)
	s_sub_i32 s6, s3, s10
	s_cmp_ge_u32 s3, s10
	s_cselect_b32 s2, s4, s2
	s_cselect_b32 s3, s6, s3
	s_add_i32 s4, s2, 1
	s_cmp_ge_u32 s3, s10
	s_mov_b32 s3, 0
	s_cselect_b32 s2, s4, s2
	s_delay_alu instid0(SALU_CYCLE_1)
	s_cmp_ge_u32 s2, s5
	s_cbranch_scc1 .LBB196_27
; %bb.1:
	s_clause 0x1
	s_load_b128 s[12:15], s[0:1], 0x10
	s_load_b128 s[4:7], s[0:1], 0x1d0
	s_lshl_b64 s[16:17], s[2:3], 2
	s_mov_b64 s[20:21], 0
	s_mov_b64 s[22:23], 0
	s_waitcnt lgkmcnt(0)
	v_cmp_lt_u64_e64 s18, s[2:3], s[14:15]
	s_add_u32 s4, s4, s16
	s_addc_u32 s5, s5, s17
	s_delay_alu instid0(VALU_DEP_1)
	s_and_b32 vcc_lo, exec_lo, s18
	s_cbranch_vccz .LBB196_15
; %bb.2:
	v_cmp_lt_u64_e64 s3, s[22:23], s[12:13]
	s_delay_alu instid0(VALU_DEP_1)
	s_and_b32 vcc_lo, exec_lo, s3
	s_cbranch_vccz .LBB196_16
.LBB196_3:
	v_cmp_gt_u32_e32 vcc_lo, 0x100, v0
	v_lshlrev_b32_e32 v1, 2, v0
	s_and_saveexec_b32 s3, vcc_lo
	s_cbranch_execz .LBB196_5
.LBB196_4:
	v_mov_b32_e32 v2, 0
	ds_store_b32 v1, v2
.LBB196_5:
	s_or_b32 exec_lo, exec_lo, s3
	s_load_b32 s3, s[0:1], 0x1a0
	s_mul_i32 s16, s2, s10
	s_mov_b32 s21, 0
	s_sub_i32 s16, s24, s16
	s_waitcnt lgkmcnt(0)
	s_mul_i32 s17, s9, s16
	s_add_i32 s16, s16, 1
	s_lshl_b32 s25, s17, 8
	s_barrier
	buffer_gl0_inv
	s_sub_i32 s17, s3, s25
	s_delay_alu instid0(SALU_CYCLE_1) | instskip(SKIP_3) | instid1(VALU_DEP_1)
	s_add_u32 s17, s17, 0xff
	s_addc_u32 s18, 0, 0
	s_cmp_lt_u32 s16, s10
	v_alignbit_b32 v2, s18, s17, 8
	v_readfirstlane_b32 s17, v2
	s_delay_alu instid0(VALU_DEP_1) | instskip(NEXT) | instid1(SALU_CYCLE_1)
	s_cselect_b32 s10, s9, s17
	s_cmp_lt_i32 s10, 1
	s_cbranch_scc1 .LBB196_23
; %bb.6:
	s_clause 0x2
	s_load_b64 s[26:27], s[0:1], 0xe0
	s_load_b128 s[16:19], s[0:1], 0xd0
	s_load_b64 s[28:29], s[0:1], 0x0
	s_load_b32 s9, s[4:5], 0x0
	s_mul_i32 s15, s22, s15
	s_mul_hi_u32 s30, s22, s14
	s_mul_i32 s14, s22, s14
	s_add_i32 s30, s30, s15
	s_mul_i32 s13, s20, s13
	s_mul_hi_u32 s31, s20, s12
	s_sub_u32 s2, s2, s14
	s_load_b64 s[4:5], s[0:1], 0x1b8
	s_subb_u32 s0, 0, s30
	s_add_i32 s31, s31, s13
	s_mul_i32 s12, s20, s12
	v_add_nc_u32_e32 v2, s25, v0
	s_waitcnt lgkmcnt(0)
	s_mul_i32 s1, s2, s27
	s_mul_hi_u32 s13, s2, s26
	s_mul_i32 s14, s0, s26
	s_add_i32 s1, s13, s1
	s_mul_i32 s15, s20, s17
	s_add_i32 s13, s1, s14
	s_mul_hi_u32 s17, s20, s16
	s_sub_u32 s12, s22, s12
	s_mul_i32 s0, s20, s16
	s_subb_u32 s14, s23, s31
	s_add_i32 s1, s17, s15
	s_mul_i32 s15, s12, s19
	s_mul_hi_u32 s16, s12, s18
	s_mul_i32 s14, s14, s18
	s_add_i32 s15, s16, s15
	s_lshl_b64 s[0:1], s[0:1], 2
	s_add_i32 s15, s15, s14
	s_mul_i32 s14, s12, s18
	s_add_u32 s16, s28, s0
	s_addc_u32 s17, s29, s1
	s_lshl_b64 s[0:1], s[14:15], 2
	s_mul_i32 s12, s2, s26
	s_add_u32 s2, s16, s0
	s_addc_u32 s14, s17, s1
	s_lshl_b64 s[0:1], s[12:13], 2
	s_delay_alu instid0(SALU_CYCLE_1)
	s_add_u32 s2, s2, s0
	s_addc_u32 s12, s14, s1
	s_and_b32 s1, s8, 0xff
	s_cmp_eq_u32 s10, 1
	s_cbranch_scc1 .LBB196_18
; %bb.7:
	v_dual_mov_b32 v3, 1 :: v_dual_mov_b32 v4, v2
	s_and_b32 s8, s10, 0x7ffffffe
	s_mov_b32 s13, 0
	s_branch .LBB196_9
.LBB196_8:                              ;   in Loop: Header=BB196_9 Depth=1
	s_or_b32 exec_lo, exec_lo, s14
	v_add_nc_u32_e32 v4, 0x200, v4
	s_add_i32 s13, s13, 2
	s_delay_alu instid0(SALU_CYCLE_1)
	s_cmp_eq_u32 s8, s13
	s_cbranch_scc1 .LBB196_17
.LBB196_9:                              ; =>This Inner Loop Header: Depth=1
	s_mov_b32 s14, exec_lo
	v_cmpx_gt_u32_e64 s3, v4
	s_cbranch_execz .LBB196_12
; %bb.10:                               ;   in Loop: Header=BB196_9 Depth=1
	v_mad_u64_u32 v[5:6], null, v4, s4, 0
	s_delay_alu instid0(VALU_DEP_1) | instskip(NEXT) | instid1(VALU_DEP_1)
	v_mad_u64_u32 v[7:8], null, v4, s5, v[6:7]
	v_mov_b32_e32 v6, v7
	s_delay_alu instid0(VALU_DEP_1) | instskip(NEXT) | instid1(VALU_DEP_1)
	v_lshlrev_b64 v[5:6], 2, v[5:6]
	v_add_co_u32 v5, s0, s2, v5
	s_delay_alu instid0(VALU_DEP_1) | instskip(SKIP_3) | instid1(VALU_DEP_1)
	v_add_co_ci_u32_e64 v6, s0, s12, v6, s0
	global_load_b32 v5, v[5:6], off
	s_waitcnt vmcnt(0)
	v_cmp_lt_i32_e64 s0, -1, v5
	v_cndmask_b32_e64 v6, -1, 0x80000000, s0
	v_cmp_o_f32_e64 s0, v5, v5
	s_delay_alu instid0(VALU_DEP_2) | instskip(NEXT) | instid1(VALU_DEP_1)
	v_xor_b32_e32 v6, v6, v5
	v_cndmask_b32_e64 v5, -1, v6, s0
	s_delay_alu instid0(VALU_DEP_1) | instskip(NEXT) | instid1(VALU_DEP_1)
	v_xor_b32_e32 v6, s9, v5
	v_and_b32_e32 v6, s11, v6
	s_delay_alu instid0(VALU_DEP_1) | instskip(NEXT) | instid1(VALU_DEP_1)
	v_cmp_eq_u32_e64 s0, 0, v6
	s_and_b32 exec_lo, exec_lo, s0
	s_cbranch_execz .LBB196_12
; %bb.11:                               ;   in Loop: Header=BB196_9 Depth=1
	v_bfe_u32 v5, v5, s1, 8
	s_delay_alu instid0(VALU_DEP_1)
	v_lshlrev_b32_e32 v5, 2, v5
	ds_add_u32 v5, v3
.LBB196_12:                             ;   in Loop: Header=BB196_9 Depth=1
	s_or_b32 exec_lo, exec_lo, s14
	v_add_nc_u32_e32 v5, 0x100, v4
	s_mov_b32 s14, exec_lo
	s_delay_alu instid0(VALU_DEP_1)
	v_cmpx_gt_u32_e64 s3, v5
	s_cbranch_execz .LBB196_8
; %bb.13:                               ;   in Loop: Header=BB196_9 Depth=1
	v_mad_u64_u32 v[6:7], null, v5, s4, 0
	s_delay_alu instid0(VALU_DEP_1) | instskip(NEXT) | instid1(VALU_DEP_1)
	v_mad_u64_u32 v[8:9], null, v5, s5, v[7:8]
	v_mov_b32_e32 v7, v8
	s_delay_alu instid0(VALU_DEP_1) | instskip(NEXT) | instid1(VALU_DEP_1)
	v_lshlrev_b64 v[5:6], 2, v[6:7]
	v_add_co_u32 v5, s0, s2, v5
	s_delay_alu instid0(VALU_DEP_1) | instskip(SKIP_3) | instid1(VALU_DEP_1)
	v_add_co_ci_u32_e64 v6, s0, s12, v6, s0
	global_load_b32 v5, v[5:6], off
	s_waitcnt vmcnt(0)
	v_cmp_lt_i32_e64 s0, -1, v5
	v_cndmask_b32_e64 v6, -1, 0x80000000, s0
	v_cmp_o_f32_e64 s0, v5, v5
	s_delay_alu instid0(VALU_DEP_2) | instskip(NEXT) | instid1(VALU_DEP_1)
	v_xor_b32_e32 v6, v6, v5
	v_cndmask_b32_e64 v5, -1, v6, s0
	s_delay_alu instid0(VALU_DEP_1) | instskip(NEXT) | instid1(VALU_DEP_1)
	v_xor_b32_e32 v6, s9, v5
	v_and_b32_e32 v6, s11, v6
	s_delay_alu instid0(VALU_DEP_1) | instskip(NEXT) | instid1(VALU_DEP_1)
	v_cmp_eq_u32_e64 s0, 0, v6
	s_and_b32 exec_lo, exec_lo, s0
	s_cbranch_execz .LBB196_8
; %bb.14:                               ;   in Loop: Header=BB196_9 Depth=1
	v_bfe_u32 v5, v5, s1, 8
	s_delay_alu instid0(VALU_DEP_1)
	v_lshlrev_b32_e32 v5, 2, v5
	ds_add_u32 v5, v3
	s_branch .LBB196_8
.LBB196_15:
	v_cvt_f32_u32_e32 v1, s14
	s_sub_i32 s16, 0, s14
	s_mov_b32 s23, 0
	s_delay_alu instid0(VALU_DEP_1) | instskip(SKIP_2) | instid1(VALU_DEP_1)
	v_rcp_iflag_f32_e32 v1, v1
	s_waitcnt_depctr 0xfff
	v_mul_f32_e32 v1, 0x4f7ffffe, v1
	v_cvt_u32_f32_e32 v1, v1
	s_delay_alu instid0(VALU_DEP_1) | instskip(NEXT) | instid1(VALU_DEP_1)
	v_readfirstlane_b32 s3, v1
	s_mul_i32 s16, s16, s3
	s_delay_alu instid0(SALU_CYCLE_1) | instskip(NEXT) | instid1(SALU_CYCLE_1)
	s_mul_hi_u32 s16, s3, s16
	s_add_i32 s3, s3, s16
	s_delay_alu instid0(SALU_CYCLE_1) | instskip(NEXT) | instid1(SALU_CYCLE_1)
	s_mul_hi_u32 s3, s2, s3
	s_mul_i32 s16, s3, s14
	s_add_i32 s17, s3, 1
	s_sub_i32 s16, s2, s16
	s_delay_alu instid0(SALU_CYCLE_1)
	s_sub_i32 s18, s16, s14
	s_cmp_ge_u32 s16, s14
	s_cselect_b32 s3, s17, s3
	s_cselect_b32 s16, s18, s16
	s_add_i32 s17, s3, 1
	s_cmp_ge_u32 s16, s14
	s_cselect_b32 s22, s17, s3
	s_delay_alu instid0(SALU_CYCLE_1) | instskip(NEXT) | instid1(VALU_DEP_1)
	v_cmp_lt_u64_e64 s3, s[22:23], s[12:13]
	s_and_b32 vcc_lo, exec_lo, s3
	s_cbranch_vccnz .LBB196_3
.LBB196_16:
	v_cvt_f32_u32_e32 v1, s12
	s_sub_i32 s16, 0, s12
	s_delay_alu instid0(VALU_DEP_1) | instskip(SKIP_2) | instid1(VALU_DEP_1)
	v_rcp_iflag_f32_e32 v1, v1
	s_waitcnt_depctr 0xfff
	v_mul_f32_e32 v1, 0x4f7ffffe, v1
	v_cvt_u32_f32_e32 v1, v1
	s_delay_alu instid0(VALU_DEP_1) | instskip(NEXT) | instid1(VALU_DEP_1)
	v_readfirstlane_b32 s3, v1
	s_mul_i32 s16, s16, s3
	s_delay_alu instid0(SALU_CYCLE_1) | instskip(NEXT) | instid1(SALU_CYCLE_1)
	s_mul_hi_u32 s16, s3, s16
	s_add_i32 s3, s3, s16
	s_delay_alu instid0(SALU_CYCLE_1) | instskip(NEXT) | instid1(SALU_CYCLE_1)
	s_mul_hi_u32 s3, s22, s3
	s_mul_i32 s16, s3, s12
	s_add_i32 s17, s3, 1
	s_sub_i32 s16, s22, s16
	s_delay_alu instid0(SALU_CYCLE_1)
	s_sub_i32 s18, s16, s12
	s_cmp_ge_u32 s16, s12
	s_cselect_b32 s3, s17, s3
	s_cselect_b32 s16, s18, s16
	s_add_i32 s17, s3, 1
	s_cmp_ge_u32 s16, s12
	s_cselect_b32 s20, s17, s3
	v_cmp_gt_u32_e32 vcc_lo, 0x100, v0
	v_lshlrev_b32_e32 v1, 2, v0
	s_and_saveexec_b32 s3, vcc_lo
	s_cbranch_execnz .LBB196_4
	s_branch .LBB196_5
.LBB196_17:
	s_lshl_b32 s21, s8, 8
.LBB196_18:
	s_bitcmp0_b32 s10, 0
	s_cbranch_scc1 .LBB196_23
; %bb.19:
	v_add_nc_u32_e32 v2, s21, v2
	s_delay_alu instid0(VALU_DEP_1) | instskip(NEXT) | instid1(VALU_DEP_1)
	v_cmp_gt_u32_e64 s0, s3, v2
	s_and_saveexec_b32 s3, s0
	s_cbranch_execz .LBB196_22
; %bb.20:
	v_mad_u64_u32 v[3:4], null, v2, s4, 0
	s_delay_alu instid0(VALU_DEP_1) | instskip(NEXT) | instid1(VALU_DEP_1)
	v_mad_u64_u32 v[5:6], null, v2, s5, v[4:5]
	v_mov_b32_e32 v4, v5
	s_delay_alu instid0(VALU_DEP_1) | instskip(NEXT) | instid1(VALU_DEP_1)
	v_lshlrev_b64 v[2:3], 2, v[3:4]
	v_add_co_u32 v2, s0, s2, v2
	s_delay_alu instid0(VALU_DEP_1) | instskip(SKIP_3) | instid1(VALU_DEP_1)
	v_add_co_ci_u32_e64 v3, s0, s12, v3, s0
	global_load_b32 v2, v[2:3], off
	s_waitcnt vmcnt(0)
	v_cmp_lt_i32_e64 s0, -1, v2
	v_cndmask_b32_e64 v3, -1, 0x80000000, s0
	v_cmp_o_f32_e64 s0, v2, v2
	s_delay_alu instid0(VALU_DEP_2) | instskip(NEXT) | instid1(VALU_DEP_1)
	v_xor_b32_e32 v3, v3, v2
	v_cndmask_b32_e64 v2, -1, v3, s0
	s_delay_alu instid0(VALU_DEP_1) | instskip(NEXT) | instid1(VALU_DEP_1)
	v_xor_b32_e32 v3, s9, v2
	v_and_b32_e32 v3, s11, v3
	s_delay_alu instid0(VALU_DEP_1) | instskip(NEXT) | instid1(VALU_DEP_1)
	v_cmp_eq_u32_e64 s0, 0, v3
	s_and_b32 exec_lo, exec_lo, s0
	s_cbranch_execz .LBB196_22
; %bb.21:
	v_bfe_u32 v2, v2, s1, 8
	s_delay_alu instid0(VALU_DEP_1)
	v_dual_mov_b32 v3, 1 :: v_dual_lshlrev_b32 v2, 2, v2
	ds_add_u32 v2, v3
.LBB196_22:
	s_or_b32 exec_lo, exec_lo, s3
.LBB196_23:
	v_mov_b32_e32 v2, 0
	s_waitcnt lgkmcnt(0)
	s_barrier
	buffer_gl0_inv
	s_and_saveexec_b32 s0, vcc_lo
	s_cbranch_execz .LBB196_25
; %bb.24:
	ds_load_b32 v2, v1
.LBB196_25:
	s_or_b32 exec_lo, exec_lo, s0
	s_and_saveexec_b32 s0, vcc_lo
	s_cbranch_execz .LBB196_27
; %bb.26:
	v_lshl_or_b32 v0, s24, 8, v0
	v_mov_b32_e32 v1, 0
	s_delay_alu instid0(VALU_DEP_1) | instskip(NEXT) | instid1(VALU_DEP_1)
	v_lshlrev_b64 v[0:1], 1, v[0:1]
	v_add_co_u32 v0, vcc_lo, s6, v0
	s_delay_alu instid0(VALU_DEP_2)
	v_add_co_ci_u32_e32 v1, vcc_lo, s7, v1, vcc_lo
	s_waitcnt lgkmcnt(0)
	global_store_b16 v[0:1], v2, off
.LBB196_27:
	s_nop 0
	s_sendmsg sendmsg(MSG_DEALLOC_VGPRS)
	s_endpgm
	.section	.rodata,"a",@progbits
	.p2align	6, 0x0
	.amdhsa_kernel _ZN2at6native6mbtopk23computeBlockDigitCountsIfmjLi3EEEvNS_4cuda6detail10TensorInfoIKT_T0_EEjPjjS8_iijT1_PSB_Ps
		.amdhsa_group_segment_fixed_size 1024
		.amdhsa_private_segment_fixed_size 0
		.amdhsa_kernarg_size 736
		.amdhsa_user_sgpr_count 13
		.amdhsa_user_sgpr_dispatch_ptr 0
		.amdhsa_user_sgpr_queue_ptr 0
		.amdhsa_user_sgpr_kernarg_segment_ptr 1
		.amdhsa_user_sgpr_dispatch_id 0
		.amdhsa_user_sgpr_private_segment_size 0
		.amdhsa_wavefront_size32 1
		.amdhsa_uses_dynamic_stack 0
		.amdhsa_enable_private_segment 0
		.amdhsa_system_sgpr_workgroup_id_x 1
		.amdhsa_system_sgpr_workgroup_id_y 1
		.amdhsa_system_sgpr_workgroup_id_z 1
		.amdhsa_system_sgpr_workgroup_info 0
		.amdhsa_system_vgpr_workitem_id 0
		.amdhsa_next_free_vgpr 10
		.amdhsa_next_free_sgpr 32
		.amdhsa_reserve_vcc 1
		.amdhsa_float_round_mode_32 0
		.amdhsa_float_round_mode_16_64 0
		.amdhsa_float_denorm_mode_32 3
		.amdhsa_float_denorm_mode_16_64 3
		.amdhsa_dx10_clamp 1
		.amdhsa_ieee_mode 1
		.amdhsa_fp16_overflow 0
		.amdhsa_workgroup_processor_mode 1
		.amdhsa_memory_ordered 1
		.amdhsa_forward_progress 0
		.amdhsa_shared_vgpr_count 0
		.amdhsa_exception_fp_ieee_invalid_op 0
		.amdhsa_exception_fp_denorm_src 0
		.amdhsa_exception_fp_ieee_div_zero 0
		.amdhsa_exception_fp_ieee_overflow 0
		.amdhsa_exception_fp_ieee_underflow 0
		.amdhsa_exception_fp_ieee_inexact 0
		.amdhsa_exception_int_div_zero 0
	.end_amdhsa_kernel
	.section	.text._ZN2at6native6mbtopk23computeBlockDigitCountsIfmjLi3EEEvNS_4cuda6detail10TensorInfoIKT_T0_EEjPjjS8_iijT1_PSB_Ps,"axG",@progbits,_ZN2at6native6mbtopk23computeBlockDigitCountsIfmjLi3EEEvNS_4cuda6detail10TensorInfoIKT_T0_EEjPjjS8_iijT1_PSB_Ps,comdat
.Lfunc_end196:
	.size	_ZN2at6native6mbtopk23computeBlockDigitCountsIfmjLi3EEEvNS_4cuda6detail10TensorInfoIKT_T0_EEjPjjS8_iijT1_PSB_Ps, .Lfunc_end196-_ZN2at6native6mbtopk23computeBlockDigitCountsIfmjLi3EEEvNS_4cuda6detail10TensorInfoIKT_T0_EEjPjjS8_iijT1_PSB_Ps
                                        ; -- End function
	.section	.AMDGPU.csdata,"",@progbits
; Kernel info:
; codeLenInByte = 1644
; NumSgprs: 34
; NumVgprs: 10
; ScratchSize: 0
; MemoryBound: 0
; FloatMode: 240
; IeeeMode: 1
; LDSByteSize: 1024 bytes/workgroup (compile time only)
; SGPRBlocks: 4
; VGPRBlocks: 1
; NumSGPRsForWavesPerEU: 34
; NumVGPRsForWavesPerEU: 10
; Occupancy: 16
; WaveLimiterHint : 1
; COMPUTE_PGM_RSRC2:SCRATCH_EN: 0
; COMPUTE_PGM_RSRC2:USER_SGPR: 13
; COMPUTE_PGM_RSRC2:TRAP_HANDLER: 0
; COMPUTE_PGM_RSRC2:TGID_X_EN: 1
; COMPUTE_PGM_RSRC2:TGID_Y_EN: 1
; COMPUTE_PGM_RSRC2:TGID_Z_EN: 1
; COMPUTE_PGM_RSRC2:TIDIG_COMP_CNT: 0
	.section	.text._ZN2at6native6mbtopk10gatherTopKIfmLi3EEEvNS_4cuda6detail10TensorInfoIKT_T0_EES8_S8_bjS8_NS5_IS6_S8_EES8_NS5_IlS8_EES8_jjPS6_PjSD_j,"axG",@progbits,_ZN2at6native6mbtopk10gatherTopKIfmLi3EEEvNS_4cuda6detail10TensorInfoIKT_T0_EES8_S8_bjS8_NS5_IS6_S8_EES8_NS5_IlS8_EES8_jjPS6_PjSD_j,comdat
	.protected	_ZN2at6native6mbtopk10gatherTopKIfmLi3EEEvNS_4cuda6detail10TensorInfoIKT_T0_EES8_S8_bjS8_NS5_IS6_S8_EES8_NS5_IlS8_EES8_jjPS6_PjSD_j ; -- Begin function _ZN2at6native6mbtopk10gatherTopKIfmLi3EEEvNS_4cuda6detail10TensorInfoIKT_T0_EES8_S8_bjS8_NS5_IS6_S8_EES8_NS5_IlS8_EES8_jjPS6_PjSD_j
	.globl	_ZN2at6native6mbtopk10gatherTopKIfmLi3EEEvNS_4cuda6detail10TensorInfoIKT_T0_EES8_S8_bjS8_NS5_IS6_S8_EES8_NS5_IlS8_EES8_jjPS6_PjSD_j
	.p2align	8
	.type	_ZN2at6native6mbtopk10gatherTopKIfmLi3EEEvNS_4cuda6detail10TensorInfoIKT_T0_EES8_S8_bjS8_NS5_IS6_S8_EES8_NS5_IlS8_EES8_jjPS6_PjSD_j,@function
_ZN2at6native6mbtopk10gatherTopKIfmLi3EEEvNS_4cuda6detail10TensorInfoIKT_T0_EES8_S8_bjS8_NS5_IS6_S8_EES8_NS5_IlS8_EES8_jjPS6_PjSD_j: ; @_ZN2at6native6mbtopk10gatherTopKIfmLi3EEEvNS_4cuda6detail10TensorInfoIKT_T0_EES8_S8_bjS8_NS5_IS6_S8_EES8_NS5_IlS8_EES8_jjPS6_PjSD_j
; %bb.0:
	s_clause 0x1
	s_load_b64 s[2:3], s[0:1], 0x538
	s_load_b32 s4, s[0:1], 0x530
	s_waitcnt lgkmcnt(0)
	s_mul_i32 s3, s3, s15
	s_delay_alu instid0(SALU_CYCLE_1) | instskip(NEXT) | instid1(SALU_CYCLE_1)
	s_add_i32 s3, s3, s14
	s_mul_i32 s2, s3, s2
	s_delay_alu instid0(SALU_CYCLE_1) | instskip(NEXT) | instid1(SALU_CYCLE_1)
	s_add_i32 s2, s2, s13
	s_cmp_ge_u32 s2, s4
	s_cbranch_scc1 .LBB197_54
; %bb.1:
	s_load_b64 s[34:35], s[0:1], 0x510
	s_mov_b32 s45, 0
	s_waitcnt lgkmcnt(0)
	v_cvt_f32_u32_e32 v1, s35
	s_sub_i32 s4, 0, s35
	s_lshl_b32 s33, s34, 8
	s_delay_alu instid0(VALU_DEP_1) | instskip(SKIP_2) | instid1(VALU_DEP_1)
	v_rcp_iflag_f32_e32 v1, v1
	s_waitcnt_depctr 0xfff
	v_mul_f32_e32 v1, 0x4f7ffffe, v1
	v_cvt_u32_f32_e32 v1, v1
	s_delay_alu instid0(VALU_DEP_1) | instskip(NEXT) | instid1(VALU_DEP_1)
	v_readfirstlane_b32 s3, v1
	s_mul_i32 s4, s4, s3
	s_delay_alu instid0(SALU_CYCLE_1) | instskip(NEXT) | instid1(SALU_CYCLE_1)
	s_mul_hi_u32 s4, s3, s4
	s_add_i32 s3, s3, s4
	s_clause 0x1
	s_load_b128 s[4:7], s[0:1], 0x1a0
	s_load_b128 s[8:11], s[0:1], 0x10
	s_mul_hi_u32 s3, s2, s3
	s_delay_alu instid0(SALU_CYCLE_1) | instskip(SKIP_2) | instid1(SALU_CYCLE_1)
	s_mul_i32 s12, s3, s35
	s_add_i32 s13, s3, 1
	s_sub_i32 s12, s2, s12
	s_sub_i32 s14, s12, s35
	s_cmp_ge_u32 s12, s35
	s_cselect_b32 s3, s13, s3
	s_cselect_b32 s12, s14, s12
	s_add_i32 s13, s3, 1
	s_cmp_ge_u32 s12, s35
	s_cselect_b32 s44, s13, s3
	s_delay_alu instid0(SALU_CYCLE_1) | instskip(NEXT) | instid1(SALU_CYCLE_1)
	s_mul_i32 s52, s44, s35
	s_sub_i32 s72, s2, s52
	s_delay_alu instid0(SALU_CYCLE_1) | instskip(NEXT) | instid1(SALU_CYCLE_1)
	s_add_i32 s2, s72, 1
	s_cmp_lt_u32 s2, s35
	s_cbranch_scc1 .LBB197_3
; %bb.2:
	s_mul_i32 s2, s72, s33
	s_waitcnt lgkmcnt(0)
	s_sub_u32 s2, s4, s2
	s_subb_u32 s3, s5, 0
	s_add_u32 s2, s2, 0xff
	s_addc_u32 s3, s3, 0
	s_delay_alu instid0(SALU_CYCLE_1) | instskip(NEXT) | instid1(SALU_CYCLE_1)
	s_ashr_i32 s12, s3, 31
	s_lshr_b32 s12, s12, 24
	s_delay_alu instid0(SALU_CYCLE_1) | instskip(SKIP_1) | instid1(SALU_CYCLE_1)
	s_add_u32 s2, s2, s12
	s_addc_u32 s3, s3, 0
	v_alignbit_b32 v1, s3, s2, 8
	s_delay_alu instid0(VALU_DEP_1)
	v_readfirstlane_b32 s34, v1
.LBB197_3:
	s_waitcnt lgkmcnt(0)
	v_cmp_lt_u64_e64 s2, s[44:45], s[10:11]
	s_mov_b64 s[46:47], 0
	s_mov_b64 s[48:49], 0
	s_delay_alu instid0(VALU_DEP_1)
	s_and_b32 vcc_lo, exec_lo, s2
	s_cbranch_vccnz .LBB197_5
; %bb.4:
	v_cvt_f32_u32_e32 v1, s10
	s_sub_i32 s3, 0, s10
	s_mov_b32 s49, 0
	s_delay_alu instid0(VALU_DEP_1) | instskip(SKIP_2) | instid1(VALU_DEP_1)
	v_rcp_iflag_f32_e32 v1, v1
	s_waitcnt_depctr 0xfff
	v_mul_f32_e32 v1, 0x4f7ffffe, v1
	v_cvt_u32_f32_e32 v1, v1
	s_delay_alu instid0(VALU_DEP_1) | instskip(NEXT) | instid1(VALU_DEP_1)
	v_readfirstlane_b32 s2, v1
	s_mul_i32 s3, s3, s2
	s_delay_alu instid0(SALU_CYCLE_1) | instskip(NEXT) | instid1(SALU_CYCLE_1)
	s_mul_hi_u32 s3, s2, s3
	s_add_i32 s2, s2, s3
	s_delay_alu instid0(SALU_CYCLE_1) | instskip(NEXT) | instid1(SALU_CYCLE_1)
	s_mul_hi_u32 s2, s44, s2
	s_mul_i32 s3, s2, s10
	s_add_i32 s12, s2, 1
	s_sub_i32 s3, s44, s3
	s_delay_alu instid0(SALU_CYCLE_1)
	s_sub_i32 s13, s3, s10
	s_cmp_ge_u32 s3, s10
	s_cselect_b32 s2, s12, s2
	s_cselect_b32 s3, s13, s3
	s_add_i32 s12, s2, 1
	s_cmp_ge_u32 s3, s10
	s_cselect_b32 s48, s12, s2
.LBB197_5:
	s_load_b128 s[20:23], s[0:1], 0x1d0
	v_cmp_lt_u64_e64 s2, s[48:49], s[8:9]
	s_delay_alu instid0(VALU_DEP_1)
	s_and_b32 vcc_lo, exec_lo, s2
	s_cbranch_vccnz .LBB197_7
; %bb.6:
	v_cvt_f32_u32_e32 v1, s8
	s_sub_i32 s3, 0, s8
	s_delay_alu instid0(VALU_DEP_1) | instskip(SKIP_2) | instid1(VALU_DEP_1)
	v_rcp_iflag_f32_e32 v1, v1
	s_waitcnt_depctr 0xfff
	v_mul_f32_e32 v1, 0x4f7ffffe, v1
	v_cvt_u32_f32_e32 v1, v1
	s_delay_alu instid0(VALU_DEP_1) | instskip(NEXT) | instid1(VALU_DEP_1)
	v_readfirstlane_b32 s2, v1
	s_mul_i32 s3, s3, s2
	s_delay_alu instid0(SALU_CYCLE_1) | instskip(NEXT) | instid1(SALU_CYCLE_1)
	s_mul_hi_u32 s3, s2, s3
	s_add_i32 s2, s2, s3
	s_delay_alu instid0(SALU_CYCLE_1) | instskip(NEXT) | instid1(SALU_CYCLE_1)
	s_mul_hi_u32 s2, s48, s2
	s_mul_i32 s3, s2, s8
	s_add_i32 s12, s2, 1
	s_sub_i32 s3, s48, s3
	s_delay_alu instid0(SALU_CYCLE_1)
	s_sub_i32 s13, s3, s8
	s_cmp_ge_u32 s3, s8
	s_cselect_b32 s2, s12, s2
	s_cselect_b32 s3, s13, s3
	s_add_i32 s12, s2, 1
	s_cmp_ge_u32 s3, s8
	s_cselect_b32 s46, s12, s2
.LBB197_7:
	s_waitcnt lgkmcnt(0)
	v_cmp_lt_u64_e64 s2, s[44:45], s[22:23]
	s_mov_b64 s[50:51], 0
	s_mov_b64 s[58:59], 0
	s_delay_alu instid0(VALU_DEP_1)
	s_and_b32 vcc_lo, exec_lo, s2
	s_cbranch_vccnz .LBB197_9
; %bb.8:
	v_cvt_f32_u32_e32 v1, s22
	s_sub_i32 s3, 0, s22
	s_mov_b32 s59, 0
	s_delay_alu instid0(VALU_DEP_1) | instskip(SKIP_2) | instid1(VALU_DEP_1)
	v_rcp_iflag_f32_e32 v1, v1
	s_waitcnt_depctr 0xfff
	v_mul_f32_e32 v1, 0x4f7ffffe, v1
	v_cvt_u32_f32_e32 v1, v1
	s_delay_alu instid0(VALU_DEP_1) | instskip(NEXT) | instid1(VALU_DEP_1)
	v_readfirstlane_b32 s2, v1
	s_mul_i32 s3, s3, s2
	s_delay_alu instid0(SALU_CYCLE_1) | instskip(NEXT) | instid1(SALU_CYCLE_1)
	s_mul_hi_u32 s3, s2, s3
	s_add_i32 s2, s2, s3
	s_delay_alu instid0(SALU_CYCLE_1) | instskip(NEXT) | instid1(SALU_CYCLE_1)
	s_mul_hi_u32 s2, s44, s2
	s_mul_i32 s3, s2, s22
	s_add_i32 s12, s2, 1
	s_sub_i32 s3, s44, s3
	s_delay_alu instid0(SALU_CYCLE_1)
	s_sub_i32 s13, s3, s22
	s_cmp_ge_u32 s3, s22
	s_cselect_b32 s2, s12, s2
	s_cselect_b32 s3, s13, s3
	s_add_i32 s12, s2, 1
	s_cmp_ge_u32 s3, s22
	s_cselect_b32 s58, s12, s2
.LBB197_9:
	s_load_b128 s[24:27], s[0:1], 0x378
	v_cmp_lt_u64_e64 s2, s[58:59], s[20:21]
	s_delay_alu instid0(VALU_DEP_1)
	s_and_b32 vcc_lo, exec_lo, s2
	s_cbranch_vccnz .LBB197_11
; %bb.10:
	v_cvt_f32_u32_e32 v1, s20
	s_sub_i32 s3, 0, s20
	s_delay_alu instid0(VALU_DEP_1) | instskip(SKIP_2) | instid1(VALU_DEP_1)
	v_rcp_iflag_f32_e32 v1, v1
	s_waitcnt_depctr 0xfff
	v_mul_f32_e32 v1, 0x4f7ffffe, v1
	v_cvt_u32_f32_e32 v1, v1
	s_delay_alu instid0(VALU_DEP_1) | instskip(NEXT) | instid1(VALU_DEP_1)
	v_readfirstlane_b32 s2, v1
	s_mul_i32 s3, s3, s2
	s_delay_alu instid0(SALU_CYCLE_1) | instskip(NEXT) | instid1(SALU_CYCLE_1)
	s_mul_hi_u32 s3, s2, s3
	s_add_i32 s2, s2, s3
	s_delay_alu instid0(SALU_CYCLE_1) | instskip(NEXT) | instid1(SALU_CYCLE_1)
	s_mul_hi_u32 s2, s58, s2
	s_mul_i32 s3, s2, s20
	s_add_i32 s12, s2, 1
	s_sub_i32 s3, s58, s3
	s_delay_alu instid0(SALU_CYCLE_1)
	s_sub_i32 s13, s3, s20
	s_cmp_ge_u32 s3, s20
	s_cselect_b32 s2, s12, s2
	s_cselect_b32 s3, s13, s3
	s_add_i32 s12, s2, 1
	s_cmp_ge_u32 s3, s20
	s_cselect_b32 s50, s12, s2
.LBB197_11:
	s_waitcnt lgkmcnt(0)
	v_cmp_lt_u64_e64 s2, s[44:45], s[26:27]
	s_mov_b64 s[56:57], 0
	s_mov_b64 s[64:65], 0
	s_delay_alu instid0(VALU_DEP_1)
	s_and_b32 vcc_lo, exec_lo, s2
	s_cbranch_vccnz .LBB197_13
; %bb.12:
	v_cvt_f32_u32_e32 v1, s26
	s_sub_i32 s3, 0, s26
	s_mov_b32 s65, 0
	s_delay_alu instid0(VALU_DEP_1) | instskip(SKIP_2) | instid1(VALU_DEP_1)
	v_rcp_iflag_f32_e32 v1, v1
	s_waitcnt_depctr 0xfff
	v_mul_f32_e32 v1, 0x4f7ffffe, v1
	v_cvt_u32_f32_e32 v1, v1
	s_delay_alu instid0(VALU_DEP_1) | instskip(NEXT) | instid1(VALU_DEP_1)
	v_readfirstlane_b32 s2, v1
	s_mul_i32 s3, s3, s2
	s_delay_alu instid0(SALU_CYCLE_1) | instskip(NEXT) | instid1(SALU_CYCLE_1)
	s_mul_hi_u32 s3, s2, s3
	s_add_i32 s2, s2, s3
	s_delay_alu instid0(SALU_CYCLE_1) | instskip(NEXT) | instid1(SALU_CYCLE_1)
	s_mul_hi_u32 s2, s44, s2
	s_mul_i32 s3, s2, s26
	s_add_i32 s12, s2, 1
	s_sub_i32 s3, s44, s3
	s_delay_alu instid0(SALU_CYCLE_1)
	s_sub_i32 s13, s3, s26
	s_cmp_ge_u32 s3, s26
	s_cselect_b32 s2, s12, s2
	s_cselect_b32 s3, s13, s3
	s_add_i32 s12, s2, 1
	s_cmp_ge_u32 s3, s26
	s_cselect_b32 s64, s12, s2
.LBB197_13:
	s_clause 0x5
	s_load_b64 s[62:63], s[0:1], 0xe0
	s_load_b128 s[40:43], s[0:1], 0xd0
	s_load_b64 s[60:61], s[0:1], 0x2a0
	s_load_b128 s[36:39], s[0:1], 0x290
	;; [unrolled: 2-line block ×3, first 2 shown]
	v_cmp_lt_u64_e64 s2, s[64:65], s[24:25]
	s_delay_alu instid0(VALU_DEP_1)
	s_and_b32 vcc_lo, exec_lo, s2
	s_cbranch_vccnz .LBB197_15
; %bb.14:
	v_cvt_f32_u32_e32 v1, s24
	s_sub_i32 s3, 0, s24
	s_delay_alu instid0(VALU_DEP_1) | instskip(SKIP_2) | instid1(VALU_DEP_1)
	v_rcp_iflag_f32_e32 v1, v1
	s_waitcnt_depctr 0xfff
	v_mul_f32_e32 v1, 0x4f7ffffe, v1
	v_cvt_u32_f32_e32 v1, v1
	s_delay_alu instid0(VALU_DEP_1) | instskip(NEXT) | instid1(VALU_DEP_1)
	v_readfirstlane_b32 s2, v1
	s_mul_i32 s3, s3, s2
	s_delay_alu instid0(SALU_CYCLE_1) | instskip(NEXT) | instid1(SALU_CYCLE_1)
	s_mul_hi_u32 s3, s2, s3
	s_add_i32 s2, s2, s3
	s_delay_alu instid0(SALU_CYCLE_1) | instskip(NEXT) | instid1(SALU_CYCLE_1)
	s_mul_hi_u32 s2, s64, s2
	s_mul_i32 s3, s2, s24
	s_add_i32 s12, s2, 1
	s_sub_i32 s3, s64, s3
	s_delay_alu instid0(SALU_CYCLE_1)
	s_sub_i32 s13, s3, s24
	s_cmp_ge_u32 s3, s24
	s_cselect_b32 s2, s12, s2
	s_cselect_b32 s3, s13, s3
	s_add_i32 s12, s2, 1
	s_cmp_ge_u32 s3, s24
	s_cselect_b32 s56, s12, s2
.LBB197_15:
	s_load_b128 s[12:15], s[0:1], 0x518
	s_lshl_b64 s[2:3], s[44:45], 2
	s_mov_b32 s53, 0
	s_waitcnt lgkmcnt(0)
	s_add_u32 s2, s12, s2
	s_addc_u32 s3, s13, s3
	s_load_b64 s[66:67], s[0:1], 0x0
	s_load_b32 s45, s[2:3], 0x0
	v_cmp_ne_u32_e64 s2, 0, v0
	v_cmp_eq_u32_e64 s3, 0, v0
	s_delay_alu instid0(VALU_DEP_1)
	s_and_saveexec_b32 s47, s3
	s_cbranch_execz .LBB197_31
; %bb.16:
	s_load_b64 s[12:13], s[0:1], 0x528
	s_lshl_b64 s[68:69], s[52:53], 2
	s_mov_b32 s51, 0
	s_add_u32 s16, s14, s68
	s_addc_u32 s17, s15, s69
	s_mov_b32 s52, 0
	s_waitcnt lgkmcnt(0)
	s_add_u32 s18, s12, s68
	s_addc_u32 s19, s13, s69
	s_cmp_lt_u32 s35, 4
	s_cbranch_scc1 .LBB197_28
; %bb.17:
	s_mov_b32 s57, 0
.LBB197_18:                             ; =>This Inner Loop Header: Depth=1
	s_add_u32 s16, s14, s68
	s_addc_u32 s17, s15, s69
	s_add_u32 s70, s12, s68
	s_load_b128 s[16:19], s[16:17], 0x0
	s_addc_u32 s71, s13, s69
	s_cmp_ge_u32 s57, s72
	s_cbranch_scc0 .LBB197_25
; %bb.19:                               ;   in Loop: Header=BB197_18 Depth=1
	s_add_i32 s73, s57, 1
	s_delay_alu instid0(SALU_CYCLE_1)
	s_cmp_ge_u32 s73, s72
	s_cbranch_scc0 .LBB197_26
.LBB197_20:                             ;   in Loop: Header=BB197_18 Depth=1
	s_add_i32 s73, s73, 1
	s_delay_alu instid0(SALU_CYCLE_1)
	s_cmp_ge_u32 s73, s72
	s_cbranch_scc0 .LBB197_27
.LBB197_21:                             ;   in Loop: Header=BB197_18 Depth=1
	s_add_i32 s73, s73, 1
	s_delay_alu instid0(SALU_CYCLE_1)
	s_cmp_ge_u32 s73, s72
	s_cbranch_scc1 .LBB197_23
.LBB197_22:                             ;   in Loop: Header=BB197_18 Depth=1
	s_load_b32 s70, s[70:71], 0xc
	s_waitcnt lgkmcnt(0)
	s_add_i32 s53, s53, s19
	s_add_i32 s51, s70, s51
.LBB197_23:                             ;   in Loop: Header=BB197_18 Depth=1
	s_waitcnt lgkmcnt(0)
	s_add_i32 s16, s16, s52
	s_delay_alu instid0(SALU_CYCLE_1) | instskip(NEXT) | instid1(SALU_CYCLE_1)
	s_add_i32 s16, s16, s17
	s_add_i32 s16, s16, s18
	s_delay_alu instid0(SALU_CYCLE_1)
	s_add_i32 s52, s16, s19
	s_add_u32 s14, s14, 16
	s_addc_u32 s15, s15, 0
	s_add_u32 s12, s12, 16
	s_addc_u32 s13, s13, 0
	s_add_i32 s71, s73, 4
	s_add_u32 s18, s12, s68
	s_addc_u32 s19, s13, s69
	s_add_u32 s16, s14, s68
	s_addc_u32 s17, s15, s69
	s_add_i32 s70, s73, 1
	s_cmp_ge_u32 s71, s35
	s_cbranch_scc1 .LBB197_29
; %bb.24:                               ;   in Loop: Header=BB197_18 Depth=1
	s_mov_b32 s57, s70
	s_branch .LBB197_18
.LBB197_25:                             ;   in Loop: Header=BB197_18 Depth=1
	s_load_b32 s73, s[70:71], 0x0
	s_waitcnt lgkmcnt(0)
	s_add_i32 s53, s16, s53
	s_add_i32 s51, s73, s51
	s_add_i32 s73, s57, 1
	s_delay_alu instid0(SALU_CYCLE_1)
	s_cmp_ge_u32 s73, s72
	s_cbranch_scc1 .LBB197_20
.LBB197_26:                             ;   in Loop: Header=BB197_18 Depth=1
	s_load_b32 s74, s[70:71], 0x4
	s_waitcnt lgkmcnt(0)
	s_add_i32 s53, s53, s17
	s_add_i32 s51, s74, s51
	;; [unrolled: 1-line block ×3, first 2 shown]
	s_delay_alu instid0(SALU_CYCLE_1)
	s_cmp_ge_u32 s73, s72
	s_cbranch_scc1 .LBB197_21
.LBB197_27:                             ;   in Loop: Header=BB197_18 Depth=1
	s_load_b32 s74, s[70:71], 0x8
	s_waitcnt lgkmcnt(0)
	s_add_i32 s53, s53, s18
	s_add_i32 s51, s74, s51
	;; [unrolled: 1-line block ×3, first 2 shown]
	s_delay_alu instid0(SALU_CYCLE_1)
	s_cmp_ge_u32 s73, s72
	s_cbranch_scc0 .LBB197_22
	s_branch .LBB197_23
.LBB197_28:
	s_mov_b32 s12, 0
	s_delay_alu instid0(SALU_CYCLE_1)
	s_cmp_ge_u32 s12, s35
	s_cbranch_scc0 .LBB197_52
	s_branch .LBB197_30
.LBB197_29:
	s_add_i32 s12, s57, 4
	s_delay_alu instid0(SALU_CYCLE_1)
	s_cmp_ge_u32 s12, s35
	s_cbranch_scc0 .LBB197_52
.LBB197_30:
	v_dual_mov_b32 v1, s51 :: v_dual_mov_b32 v2, s52
	v_dual_mov_b32 v3, s53 :: v_dual_mov_b32 v4, 0
	ds_store_b96 v4, v[1:3] offset:1056
.LBB197_31:
	s_or_b32 exec_lo, exec_lo, s47
	s_clause 0x1
	s_load_b128 s[12:15], s[0:1], 0x1b8
	s_load_b128 s[16:19], s[0:1], 0x360
	s_cmp_eq_u32 s34, 0
	s_waitcnt lgkmcnt(0)
	s_barrier
	buffer_gl0_inv
	s_cbranch_scc1 .LBB197_54
; %bb.32:
	s_mul_i32 s27, s64, s27
	s_mul_hi_u32 s35, s64, s26
	s_mul_i32 s26, s64, s26
	s_add_i32 s35, s35, s27
	s_sub_u32 s26, s44, s26
	s_subb_u32 s35, 0, s35
	s_mul_i32 s27, s26, s55
	s_mul_hi_u32 s47, s26, s54
	s_mul_i32 s35, s35, s54
	s_add_i32 s27, s47, s27
	s_mul_i32 s21, s50, s21
	s_add_i32 s27, s27, s35
	s_mul_hi_u32 s35, s50, s20
	s_mul_i32 s20, s50, s20
	s_add_i32 s35, s35, s21
	s_sub_u32 s20, s58, s20
	s_subb_u32 s35, s59, s35
	s_mul_i32 s21, s20, s39
	s_mul_hi_u32 s39, s20, s38
	s_mul_i32 s35, s35, s38
	s_add_i32 s21, s39, s21
	s_mul_i32 s37, s50, s37
	s_mul_hi_u32 s39, s50, s36
	s_add_i32 s21, s21, s35
	s_mul_i32 s23, s58, s23
	s_mul_hi_u32 s35, s58, s22
	s_mul_i32 s22, s58, s22
	s_add_i32 s37, s39, s37
	s_add_i32 s35, s35, s23
	s_sub_u32 s22, s44, s22
	s_subb_u32 s35, 0, s35
	s_mul_i32 s23, s22, s61
	s_mul_hi_u32 s39, s22, s60
	s_mul_i32 s35, s35, s60
	s_add_i32 s23, s39, s23
	s_mul_i32 s9, s46, s9
	s_add_i32 s23, s23, s35
	s_mul_hi_u32 s35, s46, s8
	s_mul_i32 s8, s46, s8
	s_add_i32 s35, s35, s9
	s_sub_u32 s8, s48, s8
	s_subb_u32 s35, s49, s35
	s_mul_i32 s9, s8, s43
	s_mul_hi_u32 s39, s8, s42
	s_mul_i32 s35, s35, s42
	s_add_i32 s9, s39, s9
	s_mul_i32 s39, s46, s41
	s_mul_hi_u32 s41, s46, s40
	s_add_i32 s9, s9, s35
	s_mul_i32 s11, s48, s11
	s_mul_hi_u32 s35, s48, s10
	s_mul_i32 s10, s48, s10
	s_add_i32 s41, s41, s39
	s_add_i32 s35, s35, s11
	s_sub_u32 s10, s44, s10
	s_subb_u32 s35, 0, s35
	s_mul_i32 s11, s10, s63
	s_mul_hi_u32 s39, s10, s62
	s_mul_i32 s35, s35, s62
	s_add_i32 s11, s39, s11
	s_mul_i32 s25, s56, s25
	s_add_i32 s11, s11, s35
	s_mul_hi_u32 s35, s56, s24
	s_mul_i32 s24, s56, s24
	s_add_i32 s35, s35, s25
	s_sub_u32 s24, s64, s24
	s_subb_u32 s35, s65, s35
	s_mul_i32 s25, s24, s31
	s_mul_hi_u32 s31, s24, s30
	s_mul_i32 s40, s46, s40
	s_add_i32 s25, s31, s25
	s_mul_i32 s35, s35, s30
	s_mul_i32 s29, s56, s29
	s_mul_hi_u32 s31, s56, s28
	s_lshl_b64 s[40:41], s[40:41], 2
	s_mul_i32 s8, s8, s42
	s_add_i32 s25, s25, s35
	s_add_i32 s29, s31, s29
	s_add_u32 s31, s66, s40
	s_addc_u32 s35, s67, s41
	s_lshl_b64 s[8:9], s[8:9], 2
	s_mul_i32 s10, s10, s62
	s_add_u32 s31, s31, s8
	s_addc_u32 s35, s35, s9
	s_lshl_b64 s[8:9], s[10:11], 2
	s_mul_i32 s36, s50, s36
	s_add_u32 s10, s31, s8
	s_addc_u32 s11, s35, s9
	s_lshl_b64 s[8:9], s[36:37], 2
	s_mul_i32 s20, s20, s38
	s_add_u32 s14, s14, s8
	v_dual_mov_b32 v5, 0 :: v_dual_add_nc_u32 v4, -1, v0
	s_addc_u32 s15, s15, s9
	s_lshl_b64 s[8:9], s[20:21], 2
	s_mul_i32 s22, s22, s60
	s_add_u32 s14, s14, s8
	s_addc_u32 s15, s15, s9
	s_lshl_b64 s[8:9], s[22:23], 2
	s_mul_i32 s28, s56, s28
	ds_load_b96 v[1:3], v5 offset:1056
	s_add_u32 s14, s14, s8
	s_addc_u32 s15, s15, s9
	s_lshl_b64 s[8:9], s[28:29], 3
	s_mul_i32 s24, s24, s30
	s_add_u32 s18, s18, s8
	s_addc_u32 s19, s19, s9
	s_lshl_b64 s[8:9], s[24:25], 3
	s_mul_i32 s26, s26, s54
	s_add_u32 s18, s18, s8
	s_addc_u32 s19, s19, s9
	s_lshl_b64 s[8:9], s[26:27], 3
	s_load_b32 s21, s[0:1], 0x1b0
	s_add_u32 s18, s18, s8
	s_addc_u32 s19, s19, s9
	s_cmp_gt_i32 s45, -1
	v_cmp_o_f32_e64 s8, s45, s45
	s_cselect_b32 s9, 0x80000000, -1
	v_lshlrev_b32_e32 v10, 3, v0
	s_xor_b32 s9, s9, s45
	s_waitcnt lgkmcnt(0)
	v_add_nc_u32_e32 v1, v1, v2
	s_and_b32 s8, s8, exec_lo
	s_cselect_b32 s20, s9, -1
	s_load_b64 s[8:9], s[0:1], 0x508
	v_lshrrev_b32_e32 v2, 5, v0
	v_mad_u64_u32 v[6:7], null, s72, s33, v[0:1]
	v_lshrrev_b32_e32 v11, 2, v0
	v_lshrrev_b32_e32 v12, 5, v4
	v_mbcnt_lo_u32_b32 v8, -1, 0
	v_add_lshl_u32 v9, v2, v0, 2
	v_cmp_gt_u32_e64 s0, 32, v0
	v_add_lshl_u32 v0, v11, v10, 2
	v_add_lshl_u32 v10, v12, v4, 2
	v_dual_mov_b32 v4, v6 :: v_dual_and_b32 v11, 15, v8
	v_bfe_i32 v12, v8, 4, 1
	v_add_nc_u32_e32 v13, -1, v8
	s_bitcmp1_b32 s21, 0
                                        ; implicit-def: $vgpr14
	s_cselect_b32 s1, -1, 0
	s_branch .LBB197_35
.LBB197_33:                             ;   in Loop: Header=BB197_35 Depth=1
	s_or_b32 exec_lo, exec_lo, s21
	v_add_nc_u32_e32 v1, v2, v1
.LBB197_34:                             ;   in Loop: Header=BB197_35 Depth=1
	v_add_nc_u32_e32 v3, v15, v3
	v_add_nc_u32_e32 v4, 0x100, v4
	s_add_i32 s34, s34, -1
	s_delay_alu instid0(SALU_CYCLE_1)
	s_cmp_lg_u32 s34, 0
	s_cbranch_scc0 .LBB197_54
.LBB197_35:                             ; =>This Inner Loop Header: Depth=1
	v_mov_b32_e32 v2, v5
	v_mov_b32_e32 v6, v5
	s_mov_b32 s21, exec_lo
	v_cmpx_gt_u64_e64 s[4:5], v[4:5]
	s_cbranch_execz .LBB197_37
; %bb.36:                               ;   in Loop: Header=BB197_35 Depth=1
	v_mad_u64_u32 v[6:7], null, v4, s12, 0
	s_delay_alu instid0(VALU_DEP_1) | instskip(NEXT) | instid1(VALU_DEP_1)
	v_mov_b32_e32 v2, v7
	v_mad_u64_u32 v[14:15], null, v4, s13, v[2:3]
	s_delay_alu instid0(VALU_DEP_1) | instskip(NEXT) | instid1(VALU_DEP_1)
	v_mov_b32_e32 v7, v14
	v_lshlrev_b64 v[6:7], 2, v[6:7]
	s_delay_alu instid0(VALU_DEP_1) | instskip(NEXT) | instid1(VALU_DEP_2)
	v_add_co_u32 v6, vcc_lo, s10, v6
	v_add_co_ci_u32_e32 v7, vcc_lo, s11, v7, vcc_lo
	global_load_b32 v14, v[6:7], off
	s_waitcnt vmcnt(0)
	v_cmp_lt_i32_e32 vcc_lo, -1, v14
	v_cndmask_b32_e64 v2, -1, 0x80000000, vcc_lo
	v_cmp_o_f32_e32 vcc_lo, v14, v14
	s_delay_alu instid0(VALU_DEP_2) | instskip(NEXT) | instid1(VALU_DEP_1)
	v_xor_b32_e32 v2, v2, v14
	v_cndmask_b32_e32 v6, -1, v2, vcc_lo
	s_delay_alu instid0(VALU_DEP_1) | instskip(SKIP_4) | instid1(VALU_DEP_2)
	v_cmp_lt_u32_e32 vcc_lo, s20, v6
	v_cndmask_b32_e64 v2, 0, 1, vcc_lo
	v_cmp_gt_u32_e32 vcc_lo, s20, v6
	v_cndmask_b32_e64 v7, 0, 1, vcc_lo
	v_cmp_eq_u32_e32 vcc_lo, s20, v6
	v_cndmask_b32_e64 v2, v7, v2, s1
	v_cndmask_b32_e64 v6, 0, 1, vcc_lo
	s_delay_alu instid0(VALU_DEP_2)
	v_and_b32_e32 v2, 1, v2
.LBB197_37:                             ;   in Loop: Header=BB197_35 Depth=1
	s_or_b32 exec_lo, exec_lo, s21
	ds_store_b32 v9, v2
	s_waitcnt lgkmcnt(0)
	s_waitcnt_vscnt null, 0x0
	s_barrier
	buffer_gl0_inv
	s_and_saveexec_b32 s21, s0
	s_cbranch_execz .LBB197_39
; %bb.38:                               ;   in Loop: Header=BB197_35 Depth=1
	ds_load_2addr_b32 v[15:16], v0 offset1:1
	ds_load_2addr_b32 v[17:18], v0 offset0:2 offset1:3
	ds_load_2addr_b32 v[19:20], v0 offset0:4 offset1:5
	;; [unrolled: 1-line block ×3, first 2 shown]
	v_cmp_ne_u32_e32 vcc_lo, 0, v11
	; wave barrier
	s_waitcnt lgkmcnt(3)
	v_add_nc_u32_e32 v7, v16, v15
	s_waitcnt lgkmcnt(2)
	s_delay_alu instid0(VALU_DEP_1) | instskip(SKIP_1) | instid1(VALU_DEP_1)
	v_add3_u32 v7, v7, v17, v18
	s_waitcnt lgkmcnt(1)
	v_add3_u32 v7, v7, v19, v20
	s_waitcnt lgkmcnt(0)
	s_delay_alu instid0(VALU_DEP_1) | instskip(NEXT) | instid1(VALU_DEP_1)
	v_add3_u32 v7, v7, v21, v22
	v_mov_b32_dpp v16, v7 row_shr:1 row_mask:0xf bank_mask:0xf
	s_delay_alu instid0(VALU_DEP_1) | instskip(SKIP_1) | instid1(VALU_DEP_2)
	v_cndmask_b32_e32 v16, 0, v16, vcc_lo
	v_cmp_lt_u32_e32 vcc_lo, 1, v11
	v_add_nc_u32_e32 v7, v16, v7
	s_delay_alu instid0(VALU_DEP_1) | instskip(NEXT) | instid1(VALU_DEP_1)
	v_mov_b32_dpp v16, v7 row_shr:2 row_mask:0xf bank_mask:0xf
	v_cndmask_b32_e32 v16, 0, v16, vcc_lo
	v_cmp_lt_u32_e32 vcc_lo, 3, v11
	s_delay_alu instid0(VALU_DEP_2) | instskip(NEXT) | instid1(VALU_DEP_1)
	v_add_nc_u32_e32 v7, v7, v16
	v_mov_b32_dpp v16, v7 row_shr:4 row_mask:0xf bank_mask:0xf
	s_delay_alu instid0(VALU_DEP_1) | instskip(SKIP_1) | instid1(VALU_DEP_2)
	v_cndmask_b32_e32 v16, 0, v16, vcc_lo
	v_cmp_lt_u32_e32 vcc_lo, 7, v11
	v_add_nc_u32_e32 v7, v7, v16
	s_delay_alu instid0(VALU_DEP_1) | instskip(NEXT) | instid1(VALU_DEP_1)
	v_mov_b32_dpp v16, v7 row_shr:8 row_mask:0xf bank_mask:0xf
	v_cndmask_b32_e32 v16, 0, v16, vcc_lo
	v_cmp_gt_i32_e32 vcc_lo, 0, v13
	s_delay_alu instid0(VALU_DEP_2)
	v_add_nc_u32_e32 v7, v7, v16
	v_cndmask_b32_e32 v17, v13, v8, vcc_lo
	ds_swizzle_b32 v16, v7 offset:swizzle(BROADCAST,32,15)
	v_lshlrev_b32_e32 v17, 2, v17
	s_waitcnt lgkmcnt(0)
	v_and_b32_e32 v16, v12, v16
	s_delay_alu instid0(VALU_DEP_1) | instskip(SKIP_3) | instid1(VALU_DEP_1)
	v_add_nc_u32_e32 v7, v7, v16
	ds_bpermute_b32 v7, v17, v7
	s_waitcnt lgkmcnt(0)
	v_add_nc_u32_e32 v7, v7, v15
	v_cndmask_b32_e64 v7, v7, v2, s3
	ds_store_b32 v0, v7
	; wave barrier
	ds_load_2addr_b32 v[15:16], v0 offset0:1 offset1:2
	ds_load_2addr_b32 v[17:18], v0 offset0:3 offset1:4
	;; [unrolled: 1-line block ×3, first 2 shown]
	ds_load_b32 v21, v0 offset:28
	s_waitcnt lgkmcnt(3)
	v_add_nc_u32_e32 v7, v15, v7
	s_delay_alu instid0(VALU_DEP_1) | instskip(SKIP_1) | instid1(VALU_DEP_1)
	v_add_nc_u32_e32 v15, v16, v7
	s_waitcnt lgkmcnt(2)
	v_add_nc_u32_e32 v16, v17, v15
	s_delay_alu instid0(VALU_DEP_1) | instskip(SKIP_1) | instid1(VALU_DEP_1)
	v_add_nc_u32_e32 v17, v18, v16
	;; [unrolled: 4-line block ×3, first 2 shown]
	s_waitcnt lgkmcnt(0)
	v_add_nc_u32_e32 v20, v21, v19
	ds_store_2addr_b32 v0, v7, v15 offset0:1 offset1:2
	ds_store_2addr_b32 v0, v16, v17 offset0:3 offset1:4
	;; [unrolled: 1-line block ×3, first 2 shown]
	ds_store_b32 v0, v20 offset:28
.LBB197_39:                             ;   in Loop: Header=BB197_35 Depth=1
	s_or_b32 exec_lo, exec_lo, s21
	v_mov_b32_e32 v7, 0
	s_waitcnt lgkmcnt(0)
	s_barrier
	buffer_gl0_inv
	s_and_saveexec_b32 s21, s2
	s_cbranch_execz .LBB197_41
; %bb.40:                               ;   in Loop: Header=BB197_35 Depth=1
	ds_load_b32 v7, v10
.LBB197_41:                             ;   in Loop: Header=BB197_35 Depth=1
	s_or_b32 exec_lo, exec_lo, s21
	ds_load_b32 v15, v5 offset:1048
	s_mov_b32 s21, exec_lo
	s_waitcnt lgkmcnt(0)
	s_barrier
	buffer_gl0_inv
	v_cmpx_ne_u32_e32 0, v2
	s_cbranch_execz .LBB197_43
; %bb.42:                               ;   in Loop: Header=BB197_35 Depth=1
	v_add_nc_u32_e32 v22, v7, v3
	s_delay_alu instid0(VALU_DEP_1) | instskip(SKIP_1) | instid1(VALU_DEP_1)
	v_mad_u64_u32 v[16:17], null, v22, s16, 0
	v_mad_u64_u32 v[18:19], null, v22, s8, 0
	v_dual_mov_b32 v2, v17 :: v_dual_mov_b32 v7, v19
	s_delay_alu instid0(VALU_DEP_1) | instskip(NEXT) | instid1(VALU_DEP_2)
	v_mad_u64_u32 v[19:20], null, v22, s17, v[2:3]
	v_mad_u64_u32 v[20:21], null, v22, s9, v[7:8]
	s_delay_alu instid0(VALU_DEP_2) | instskip(NEXT) | instid1(VALU_DEP_2)
	v_mov_b32_e32 v17, v19
	v_mov_b32_e32 v19, v20
	s_delay_alu instid0(VALU_DEP_2) | instskip(NEXT) | instid1(VALU_DEP_2)
	v_lshlrev_b64 v[16:17], 2, v[16:17]
	v_lshlrev_b64 v[18:19], 3, v[18:19]
	s_delay_alu instid0(VALU_DEP_2) | instskip(NEXT) | instid1(VALU_DEP_3)
	v_add_co_u32 v16, vcc_lo, s14, v16
	v_add_co_ci_u32_e32 v17, vcc_lo, s15, v17, vcc_lo
	s_delay_alu instid0(VALU_DEP_3) | instskip(NEXT) | instid1(VALU_DEP_4)
	v_add_co_u32 v18, vcc_lo, s18, v18
	v_add_co_ci_u32_e32 v19, vcc_lo, s19, v19, vcc_lo
	global_store_b32 v[16:17], v14, off
	global_store_b64 v[18:19], v[4:5], off
.LBB197_43:                             ;   in Loop: Header=BB197_35 Depth=1
	s_or_b32 exec_lo, exec_lo, s21
	v_mov_b32_e32 v2, v5
	s_delay_alu instid0(VALU_DEP_1)
	v_cmp_le_u64_e32 vcc_lo, s[6:7], v[1:2]
	s_cbranch_vccnz .LBB197_34
; %bb.44:                               ;   in Loop: Header=BB197_35 Depth=1
	ds_store_b32 v9, v6
	s_waitcnt lgkmcnt(0)
	s_waitcnt_vscnt null, 0x0
	s_barrier
	buffer_gl0_inv
	s_and_saveexec_b32 s21, s0
	s_cbranch_execz .LBB197_46
; %bb.45:                               ;   in Loop: Header=BB197_35 Depth=1
	ds_load_2addr_b32 v[16:17], v0 offset1:1
	ds_load_2addr_b32 v[18:19], v0 offset0:2 offset1:3
	ds_load_2addr_b32 v[20:21], v0 offset0:4 offset1:5
	ds_load_2addr_b32 v[22:23], v0 offset0:6 offset1:7
	v_cmp_ne_u32_e32 vcc_lo, 0, v11
	; wave barrier
	s_waitcnt lgkmcnt(3)
	v_add_nc_u32_e32 v2, v17, v16
	s_waitcnt lgkmcnt(2)
	s_delay_alu instid0(VALU_DEP_1) | instskip(SKIP_1) | instid1(VALU_DEP_1)
	v_add3_u32 v2, v2, v18, v19
	s_waitcnt lgkmcnt(1)
	v_add3_u32 v2, v2, v20, v21
	s_waitcnt lgkmcnt(0)
	s_delay_alu instid0(VALU_DEP_1) | instskip(NEXT) | instid1(VALU_DEP_1)
	v_add3_u32 v2, v2, v22, v23
	v_mov_b32_dpp v7, v2 row_shr:1 row_mask:0xf bank_mask:0xf
	s_delay_alu instid0(VALU_DEP_1) | instskip(SKIP_1) | instid1(VALU_DEP_2)
	v_cndmask_b32_e32 v7, 0, v7, vcc_lo
	v_cmp_lt_u32_e32 vcc_lo, 1, v11
	v_add_nc_u32_e32 v2, v7, v2
	s_delay_alu instid0(VALU_DEP_1) | instskip(NEXT) | instid1(VALU_DEP_1)
	v_mov_b32_dpp v7, v2 row_shr:2 row_mask:0xf bank_mask:0xf
	v_cndmask_b32_e32 v7, 0, v7, vcc_lo
	v_cmp_lt_u32_e32 vcc_lo, 3, v11
	s_delay_alu instid0(VALU_DEP_2) | instskip(NEXT) | instid1(VALU_DEP_1)
	v_add_nc_u32_e32 v2, v2, v7
	v_mov_b32_dpp v7, v2 row_shr:4 row_mask:0xf bank_mask:0xf
	s_delay_alu instid0(VALU_DEP_1) | instskip(SKIP_1) | instid1(VALU_DEP_2)
	v_cndmask_b32_e32 v7, 0, v7, vcc_lo
	v_cmp_lt_u32_e32 vcc_lo, 7, v11
	v_add_nc_u32_e32 v2, v2, v7
	s_delay_alu instid0(VALU_DEP_1) | instskip(NEXT) | instid1(VALU_DEP_1)
	v_mov_b32_dpp v7, v2 row_shr:8 row_mask:0xf bank_mask:0xf
	v_cndmask_b32_e32 v7, 0, v7, vcc_lo
	v_cmp_gt_i32_e32 vcc_lo, 0, v13
	s_delay_alu instid0(VALU_DEP_2) | instskip(SKIP_4) | instid1(VALU_DEP_1)
	v_dual_cndmask_b32 v17, v13, v8 :: v_dual_add_nc_u32 v2, v2, v7
	ds_swizzle_b32 v7, v2 offset:swizzle(BROADCAST,32,15)
	v_lshlrev_b32_e32 v17, 2, v17
	s_waitcnt lgkmcnt(0)
	v_and_b32_e32 v7, v12, v7
	v_add_nc_u32_e32 v2, v2, v7
	ds_bpermute_b32 v2, v17, v2
	s_waitcnt lgkmcnt(0)
	v_add_nc_u32_e32 v2, v2, v16
	s_delay_alu instid0(VALU_DEP_1)
	v_cndmask_b32_e64 v2, v2, v6, s3
	ds_store_b32 v0, v2
	; wave barrier
	ds_load_2addr_b32 v[16:17], v0 offset0:1 offset1:2
	ds_load_2addr_b32 v[18:19], v0 offset0:3 offset1:4
	;; [unrolled: 1-line block ×3, first 2 shown]
	ds_load_b32 v7, v0 offset:28
	s_waitcnt lgkmcnt(3)
	v_add_nc_u32_e32 v2, v16, v2
	s_delay_alu instid0(VALU_DEP_1) | instskip(SKIP_1) | instid1(VALU_DEP_1)
	v_add_nc_u32_e32 v16, v17, v2
	s_waitcnt lgkmcnt(2)
	v_add_nc_u32_e32 v17, v18, v16
	s_delay_alu instid0(VALU_DEP_1) | instskip(SKIP_1) | instid1(VALU_DEP_1)
	v_add_nc_u32_e32 v18, v19, v17
	;; [unrolled: 4-line block ×3, first 2 shown]
	s_waitcnt lgkmcnt(0)
	v_add_nc_u32_e32 v7, v7, v20
	ds_store_2addr_b32 v0, v2, v16 offset0:1 offset1:2
	ds_store_2addr_b32 v0, v17, v18 offset0:3 offset1:4
	;; [unrolled: 1-line block ×3, first 2 shown]
	ds_store_b32 v0, v7 offset:28
.LBB197_46:                             ;   in Loop: Header=BB197_35 Depth=1
	s_or_b32 exec_lo, exec_lo, s21
	v_mov_b32_e32 v7, 0
	s_waitcnt lgkmcnt(0)
	s_barrier
	buffer_gl0_inv
	s_and_saveexec_b32 s21, s2
	s_cbranch_execz .LBB197_48
; %bb.47:                               ;   in Loop: Header=BB197_35 Depth=1
	ds_load_b32 v7, v10
.LBB197_48:                             ;   in Loop: Header=BB197_35 Depth=1
	s_or_b32 exec_lo, exec_lo, s21
	ds_load_b32 v2, v5 offset:1048
	s_mov_b32 s21, exec_lo
	s_waitcnt lgkmcnt(0)
	s_barrier
	buffer_gl0_inv
	v_cmpx_ne_u32_e32 0, v6
	s_cbranch_execz .LBB197_33
; %bb.49:                               ;   in Loop: Header=BB197_35 Depth=1
	v_dual_mov_b32 v7, v5 :: v_dual_add_nc_u32 v6, v7, v1
	s_delay_alu instid0(VALU_DEP_1)
	v_cmp_gt_u64_e32 vcc_lo, s[6:7], v[6:7]
	s_and_b32 exec_lo, exec_lo, vcc_lo
	s_cbranch_execz .LBB197_33
; %bb.50:                               ;   in Loop: Header=BB197_35 Depth=1
	v_mad_u64_u32 v[16:17], null, v6, s16, 0
	v_mad_u64_u32 v[18:19], null, v6, s8, 0
	s_delay_alu instid0(VALU_DEP_2) | instskip(NEXT) | instid1(VALU_DEP_2)
	v_mov_b32_e32 v7, v17
	v_mov_b32_e32 v17, v19
	s_delay_alu instid0(VALU_DEP_2) | instskip(NEXT) | instid1(VALU_DEP_2)
	v_mad_u64_u32 v[19:20], null, v6, s17, v[7:8]
	v_mad_u64_u32 v[20:21], null, v6, s9, v[17:18]
	s_delay_alu instid0(VALU_DEP_2) | instskip(NEXT) | instid1(VALU_DEP_2)
	v_mov_b32_e32 v17, v19
	v_mov_b32_e32 v19, v20
	s_delay_alu instid0(VALU_DEP_2) | instskip(NEXT) | instid1(VALU_DEP_2)
	v_lshlrev_b64 v[6:7], 2, v[16:17]
	v_lshlrev_b64 v[16:17], 3, v[18:19]
	s_delay_alu instid0(VALU_DEP_2) | instskip(NEXT) | instid1(VALU_DEP_3)
	v_add_co_u32 v6, vcc_lo, s14, v6
	v_add_co_ci_u32_e32 v7, vcc_lo, s15, v7, vcc_lo
	s_delay_alu instid0(VALU_DEP_3) | instskip(NEXT) | instid1(VALU_DEP_4)
	v_add_co_u32 v16, vcc_lo, s18, v16
	v_add_co_ci_u32_e32 v17, vcc_lo, s19, v17, vcc_lo
	global_store_b32 v[6:7], v14, off
	global_store_b64 v[16:17], v[4:5], off
	s_branch .LBB197_33
	.p2align	6
.LBB197_51:                             ;   in Loop: Header=BB197_52 Depth=1
	s_add_u32 s16, s16, 4
	s_addc_u32 s17, s17, 0
	s_waitcnt lgkmcnt(0)
	s_add_i32 s52, s13, s52
	s_add_u32 s18, s18, 4
	s_addc_u32 s19, s19, 0
	s_add_i32 s12, s12, 1
	s_delay_alu instid0(SALU_CYCLE_1)
	s_cmp_lt_u32 s12, s35
	s_cbranch_scc0 .LBB197_30
.LBB197_52:                             ; =>This Inner Loop Header: Depth=1
	s_load_b32 s13, s[16:17], 0x0
	s_cmp_ge_u32 s12, s72
	s_cbranch_scc1 .LBB197_51
; %bb.53:                               ;   in Loop: Header=BB197_52 Depth=1
	s_load_b32 s14, s[18:19], 0x0
	s_waitcnt lgkmcnt(0)
	s_add_i32 s53, s13, s53
	s_add_i32 s51, s14, s51
	s_branch .LBB197_51
.LBB197_54:
	s_nop 0
	s_sendmsg sendmsg(MSG_DEALLOC_VGPRS)
	s_endpgm
	.section	.rodata,"a",@progbits
	.p2align	6, 0x0
	.amdhsa_kernel _ZN2at6native6mbtopk10gatherTopKIfmLi3EEEvNS_4cuda6detail10TensorInfoIKT_T0_EES8_S8_bjS8_NS5_IS6_S8_EES8_NS5_IlS8_EES8_jjPS6_PjSD_j
		.amdhsa_group_segment_fixed_size 1068
		.amdhsa_private_segment_fixed_size 0
		.amdhsa_kernarg_size 1592
		.amdhsa_user_sgpr_count 13
		.amdhsa_user_sgpr_dispatch_ptr 0
		.amdhsa_user_sgpr_queue_ptr 0
		.amdhsa_user_sgpr_kernarg_segment_ptr 1
		.amdhsa_user_sgpr_dispatch_id 0
		.amdhsa_user_sgpr_private_segment_size 0
		.amdhsa_wavefront_size32 1
		.amdhsa_uses_dynamic_stack 0
		.amdhsa_enable_private_segment 0
		.amdhsa_system_sgpr_workgroup_id_x 1
		.amdhsa_system_sgpr_workgroup_id_y 1
		.amdhsa_system_sgpr_workgroup_id_z 1
		.amdhsa_system_sgpr_workgroup_info 0
		.amdhsa_system_vgpr_workitem_id 0
		.amdhsa_next_free_vgpr 24
		.amdhsa_next_free_sgpr 75
		.amdhsa_reserve_vcc 1
		.amdhsa_float_round_mode_32 0
		.amdhsa_float_round_mode_16_64 0
		.amdhsa_float_denorm_mode_32 3
		.amdhsa_float_denorm_mode_16_64 3
		.amdhsa_dx10_clamp 1
		.amdhsa_ieee_mode 1
		.amdhsa_fp16_overflow 0
		.amdhsa_workgroup_processor_mode 1
		.amdhsa_memory_ordered 1
		.amdhsa_forward_progress 0
		.amdhsa_shared_vgpr_count 0
		.amdhsa_exception_fp_ieee_invalid_op 0
		.amdhsa_exception_fp_denorm_src 0
		.amdhsa_exception_fp_ieee_div_zero 0
		.amdhsa_exception_fp_ieee_overflow 0
		.amdhsa_exception_fp_ieee_underflow 0
		.amdhsa_exception_fp_ieee_inexact 0
		.amdhsa_exception_int_div_zero 0
	.end_amdhsa_kernel
	.section	.text._ZN2at6native6mbtopk10gatherTopKIfmLi3EEEvNS_4cuda6detail10TensorInfoIKT_T0_EES8_S8_bjS8_NS5_IS6_S8_EES8_NS5_IlS8_EES8_jjPS6_PjSD_j,"axG",@progbits,_ZN2at6native6mbtopk10gatherTopKIfmLi3EEEvNS_4cuda6detail10TensorInfoIKT_T0_EES8_S8_bjS8_NS5_IS6_S8_EES8_NS5_IlS8_EES8_jjPS6_PjSD_j,comdat
.Lfunc_end197:
	.size	_ZN2at6native6mbtopk10gatherTopKIfmLi3EEEvNS_4cuda6detail10TensorInfoIKT_T0_EES8_S8_bjS8_NS5_IS6_S8_EES8_NS5_IlS8_EES8_jjPS6_PjSD_j, .Lfunc_end197-_ZN2at6native6mbtopk10gatherTopKIfmLi3EEEvNS_4cuda6detail10TensorInfoIKT_T0_EES8_S8_bjS8_NS5_IS6_S8_EES8_NS5_IlS8_EES8_jjPS6_PjSD_j
                                        ; -- End function
	.section	.AMDGPU.csdata,"",@progbits
; Kernel info:
; codeLenInByte = 3924
; NumSgprs: 77
; NumVgprs: 24
; ScratchSize: 0
; MemoryBound: 0
; FloatMode: 240
; IeeeMode: 1
; LDSByteSize: 1068 bytes/workgroup (compile time only)
; SGPRBlocks: 9
; VGPRBlocks: 2
; NumSGPRsForWavesPerEU: 77
; NumVGPRsForWavesPerEU: 24
; Occupancy: 16
; WaveLimiterHint : 1
; COMPUTE_PGM_RSRC2:SCRATCH_EN: 0
; COMPUTE_PGM_RSRC2:USER_SGPR: 13
; COMPUTE_PGM_RSRC2:TRAP_HANDLER: 0
; COMPUTE_PGM_RSRC2:TGID_X_EN: 1
; COMPUTE_PGM_RSRC2:TGID_Y_EN: 1
; COMPUTE_PGM_RSRC2:TGID_Z_EN: 1
; COMPUTE_PGM_RSRC2:TIDIG_COMP_CNT: 0
	.section	.text._ZN2at6native6sbtopk10gatherTopKIfmLi3ELb0EEEvNS_4cuda6detail10TensorInfoIKT_T0_EES8_S8_bS8_S8_NS5_IS6_S8_EES8_NS5_IlS8_EES8_PS6_,"axG",@progbits,_ZN2at6native6sbtopk10gatherTopKIfmLi3ELb0EEEvNS_4cuda6detail10TensorInfoIKT_T0_EES8_S8_bS8_S8_NS5_IS6_S8_EES8_NS5_IlS8_EES8_PS6_,comdat
	.protected	_ZN2at6native6sbtopk10gatherTopKIfmLi3ELb0EEEvNS_4cuda6detail10TensorInfoIKT_T0_EES8_S8_bS8_S8_NS5_IS6_S8_EES8_NS5_IlS8_EES8_PS6_ ; -- Begin function _ZN2at6native6sbtopk10gatherTopKIfmLi3ELb0EEEvNS_4cuda6detail10TensorInfoIKT_T0_EES8_S8_bS8_S8_NS5_IS6_S8_EES8_NS5_IlS8_EES8_PS6_
	.globl	_ZN2at6native6sbtopk10gatherTopKIfmLi3ELb0EEEvNS_4cuda6detail10TensorInfoIKT_T0_EES8_S8_bS8_S8_NS5_IS6_S8_EES8_NS5_IlS8_EES8_PS6_
	.p2align	8
	.type	_ZN2at6native6sbtopk10gatherTopKIfmLi3ELb0EEEvNS_4cuda6detail10TensorInfoIKT_T0_EES8_S8_bS8_S8_NS5_IS6_S8_EES8_NS5_IlS8_EES8_PS6_,@function
_ZN2at6native6sbtopk10gatherTopKIfmLi3ELb0EEEvNS_4cuda6detail10TensorInfoIKT_T0_EES8_S8_bS8_S8_NS5_IS6_S8_EES8_NS5_IlS8_EES8_PS6_: ; @_ZN2at6native6sbtopk10gatherTopKIfmLi3ELb0EEEvNS_4cuda6detail10TensorInfoIKT_T0_EES8_S8_bS8_S8_NS5_IS6_S8_EES8_NS5_IlS8_EES8_PS6_
; %bb.0:
	s_clause 0x1
	s_load_b64 s[22:23], s[0:1], 0x520
	s_load_b128 s[28:31], s[0:1], 0x1b8
	s_add_u32 s20, s0, 0x520
	s_addc_u32 s21, s1, 0
	s_mov_b32 s35, 0
	s_waitcnt lgkmcnt(0)
	s_mul_i32 s2, s23, s15
	s_delay_alu instid0(SALU_CYCLE_1) | instskip(NEXT) | instid1(SALU_CYCLE_1)
	s_add_i32 s2, s2, s14
	s_mul_i32 s2, s2, s22
	s_delay_alu instid0(SALU_CYCLE_1) | instskip(NEXT) | instid1(SALU_CYCLE_1)
	s_add_i32 s34, s2, s13
	v_cmp_ge_u64_e64 s2, s[34:35], s[28:29]
	s_delay_alu instid0(VALU_DEP_1)
	s_and_b32 vcc_lo, exec_lo, s2
	s_cbranch_vccnz .LBB198_552
; %bb.1:
	s_load_b128 s[8:11], s[0:1], 0x10
	s_mov_b64 s[2:3], 0
	s_mov_b64 s[6:7], 0
	s_waitcnt lgkmcnt(0)
	v_cmp_lt_u64_e64 s4, s[34:35], s[10:11]
	s_delay_alu instid0(VALU_DEP_1)
	s_and_b32 vcc_lo, exec_lo, s4
	s_cbranch_vccnz .LBB198_3
; %bb.2:
	v_cvt_f32_u32_e32 v1, s10
	s_sub_i32 s4, 0, s10
	s_mov_b32 s7, 0
	s_delay_alu instid0(VALU_DEP_1) | instskip(SKIP_2) | instid1(VALU_DEP_1)
	v_rcp_iflag_f32_e32 v1, v1
	s_waitcnt_depctr 0xfff
	v_mul_f32_e32 v1, 0x4f7ffffe, v1
	v_cvt_u32_f32_e32 v1, v1
	s_delay_alu instid0(VALU_DEP_1) | instskip(NEXT) | instid1(VALU_DEP_1)
	v_readfirstlane_b32 s3, v1
	s_mul_i32 s4, s4, s3
	s_delay_alu instid0(SALU_CYCLE_1) | instskip(NEXT) | instid1(SALU_CYCLE_1)
	s_mul_hi_u32 s4, s3, s4
	s_add_i32 s3, s3, s4
	s_delay_alu instid0(SALU_CYCLE_1) | instskip(NEXT) | instid1(SALU_CYCLE_1)
	s_mul_hi_u32 s3, s34, s3
	s_mul_i32 s4, s3, s10
	s_add_i32 s5, s3, 1
	s_sub_i32 s4, s34, s4
	s_delay_alu instid0(SALU_CYCLE_1)
	s_sub_i32 s6, s4, s10
	s_cmp_ge_u32 s4, s10
	s_cselect_b32 s3, s5, s3
	s_cselect_b32 s4, s6, s4
	s_add_i32 s5, s3, 1
	s_cmp_ge_u32 s4, s10
	s_cselect_b32 s6, s5, s3
.LBB198_3:
	s_load_b128 s[40:43], s[0:1], 0x1d8
	v_cmp_lt_u64_e64 s3, s[6:7], s[8:9]
	s_delay_alu instid0(VALU_DEP_1)
	s_and_b32 vcc_lo, exec_lo, s3
	s_cbranch_vccnz .LBB198_5
; %bb.4:
	v_cvt_f32_u32_e32 v1, s8
	s_sub_i32 s3, 0, s8
	s_delay_alu instid0(VALU_DEP_1) | instskip(SKIP_2) | instid1(VALU_DEP_1)
	v_rcp_iflag_f32_e32 v1, v1
	s_waitcnt_depctr 0xfff
	v_mul_f32_e32 v1, 0x4f7ffffe, v1
	v_cvt_u32_f32_e32 v1, v1
	s_delay_alu instid0(VALU_DEP_1) | instskip(NEXT) | instid1(VALU_DEP_1)
	v_readfirstlane_b32 s2, v1
	s_mul_i32 s3, s3, s2
	s_delay_alu instid0(SALU_CYCLE_1) | instskip(NEXT) | instid1(SALU_CYCLE_1)
	s_mul_hi_u32 s3, s2, s3
	s_add_i32 s2, s2, s3
	s_delay_alu instid0(SALU_CYCLE_1) | instskip(NEXT) | instid1(SALU_CYCLE_1)
	s_mul_hi_u32 s2, s6, s2
	s_mul_i32 s3, s2, s8
	s_add_i32 s4, s2, 1
	s_sub_i32 s3, s6, s3
	s_delay_alu instid0(SALU_CYCLE_1)
	s_sub_i32 s5, s3, s8
	s_cmp_ge_u32 s3, s8
	s_cselect_b32 s2, s4, s2
	s_cselect_b32 s3, s5, s3
	s_add_i32 s4, s2, 1
	s_cmp_ge_u32 s3, s8
	s_cselect_b32 s2, s4, s2
.LBB198_5:
	s_waitcnt lgkmcnt(0)
	v_cmp_lt_u64_e64 s3, s[34:35], s[42:43]
	s_mov_b64 s[28:29], 0
	s_mov_b64 s[56:57], 0
	s_delay_alu instid0(VALU_DEP_1)
	s_and_b32 vcc_lo, exec_lo, s3
	s_cbranch_vccnz .LBB198_7
; %bb.6:
	v_cvt_f32_u32_e32 v1, s42
	s_sub_i32 s4, 0, s42
	s_mov_b32 s57, 0
	s_delay_alu instid0(VALU_DEP_1) | instskip(SKIP_2) | instid1(VALU_DEP_1)
	v_rcp_iflag_f32_e32 v1, v1
	s_waitcnt_depctr 0xfff
	v_mul_f32_e32 v1, 0x4f7ffffe, v1
	v_cvt_u32_f32_e32 v1, v1
	s_delay_alu instid0(VALU_DEP_1) | instskip(NEXT) | instid1(VALU_DEP_1)
	v_readfirstlane_b32 s3, v1
	s_mul_i32 s4, s4, s3
	s_delay_alu instid0(SALU_CYCLE_1) | instskip(NEXT) | instid1(SALU_CYCLE_1)
	s_mul_hi_u32 s4, s3, s4
	s_add_i32 s3, s3, s4
	s_delay_alu instid0(SALU_CYCLE_1) | instskip(NEXT) | instid1(SALU_CYCLE_1)
	s_mul_hi_u32 s3, s34, s3
	s_mul_i32 s4, s3, s42
	s_add_i32 s5, s3, 1
	s_sub_i32 s4, s34, s4
	s_delay_alu instid0(SALU_CYCLE_1)
	s_sub_i32 s12, s4, s42
	s_cmp_ge_u32 s4, s42
	s_cselect_b32 s3, s5, s3
	s_cselect_b32 s4, s12, s4
	s_add_i32 s5, s3, 1
	s_cmp_ge_u32 s4, s42
	s_cselect_b32 s56, s5, s3
.LBB198_7:
	s_load_b128 s[44:47], s[0:1], 0x380
	v_cmp_lt_u64_e64 s3, s[56:57], s[40:41]
	s_delay_alu instid0(VALU_DEP_1)
	s_and_b32 vcc_lo, exec_lo, s3
	s_cbranch_vccnz .LBB198_9
; %bb.8:
	v_cvt_f32_u32_e32 v1, s40
	s_sub_i32 s4, 0, s40
	s_delay_alu instid0(VALU_DEP_1) | instskip(SKIP_2) | instid1(VALU_DEP_1)
	v_rcp_iflag_f32_e32 v1, v1
	s_waitcnt_depctr 0xfff
	v_mul_f32_e32 v1, 0x4f7ffffe, v1
	v_cvt_u32_f32_e32 v1, v1
	s_delay_alu instid0(VALU_DEP_1) | instskip(NEXT) | instid1(VALU_DEP_1)
	v_readfirstlane_b32 s3, v1
	s_mul_i32 s4, s4, s3
	s_delay_alu instid0(SALU_CYCLE_1) | instskip(NEXT) | instid1(SALU_CYCLE_1)
	s_mul_hi_u32 s4, s3, s4
	s_add_i32 s3, s3, s4
	s_delay_alu instid0(SALU_CYCLE_1) | instskip(NEXT) | instid1(SALU_CYCLE_1)
	s_mul_hi_u32 s3, s56, s3
	s_mul_i32 s4, s3, s40
	s_add_i32 s5, s3, 1
	s_sub_i32 s4, s56, s4
	s_delay_alu instid0(SALU_CYCLE_1)
	s_sub_i32 s12, s4, s40
	s_cmp_ge_u32 s4, s40
	s_cselect_b32 s3, s5, s3
	s_cselect_b32 s4, s12, s4
	s_add_i32 s5, s3, 1
	s_cmp_ge_u32 s4, s40
	s_cselect_b32 s28, s5, s3
.LBB198_9:
	s_clause 0x1
	s_load_b64 s[14:15], s[0:1], 0xe0
	s_load_b128 s[16:19], s[0:1], 0xd0
	s_waitcnt lgkmcnt(0)
	v_cmp_lt_u64_e64 s3, s[34:35], s[46:47]
	s_mov_b64 s[58:59], 0
	s_mov_b64 s[64:65], 0
	s_delay_alu instid0(VALU_DEP_1)
	s_and_b32 vcc_lo, exec_lo, s3
	s_cbranch_vccnz .LBB198_11
; %bb.10:
	v_cvt_f32_u32_e32 v1, s46
	s_sub_i32 s4, 0, s46
	s_mov_b32 s65, 0
	s_delay_alu instid0(VALU_DEP_1) | instskip(SKIP_2) | instid1(VALU_DEP_1)
	v_rcp_iflag_f32_e32 v1, v1
	s_waitcnt_depctr 0xfff
	v_mul_f32_e32 v1, 0x4f7ffffe, v1
	v_cvt_u32_f32_e32 v1, v1
	s_delay_alu instid0(VALU_DEP_1) | instskip(NEXT) | instid1(VALU_DEP_1)
	v_readfirstlane_b32 s3, v1
	s_mul_i32 s4, s4, s3
	s_delay_alu instid0(SALU_CYCLE_1) | instskip(NEXT) | instid1(SALU_CYCLE_1)
	s_mul_hi_u32 s4, s3, s4
	s_add_i32 s3, s3, s4
	s_delay_alu instid0(SALU_CYCLE_1) | instskip(NEXT) | instid1(SALU_CYCLE_1)
	s_mul_hi_u32 s3, s34, s3
	s_mul_i32 s4, s3, s46
	s_add_i32 s5, s3, 1
	s_sub_i32 s4, s34, s4
	s_delay_alu instid0(SALU_CYCLE_1)
	s_sub_i32 s12, s4, s46
	s_cmp_ge_u32 s4, s46
	s_cselect_b32 s3, s5, s3
	s_cselect_b32 s4, s12, s4
	s_add_i32 s5, s3, 1
	s_cmp_ge_u32 s4, s46
	s_cselect_b32 s64, s5, s3
.LBB198_11:
	s_load_b64 s[24:25], s[0:1], 0x0
	v_cmp_lt_u64_e64 s3, s[64:65], s[44:45]
	s_delay_alu instid0(VALU_DEP_1)
	s_and_b32 vcc_lo, exec_lo, s3
	s_cbranch_vccnz .LBB198_13
; %bb.12:
	v_cvt_f32_u32_e32 v1, s44
	s_sub_i32 s4, 0, s44
	s_delay_alu instid0(VALU_DEP_1) | instskip(SKIP_2) | instid1(VALU_DEP_1)
	v_rcp_iflag_f32_e32 v1, v1
	s_waitcnt_depctr 0xfff
	v_mul_f32_e32 v1, 0x4f7ffffe, v1
	v_cvt_u32_f32_e32 v1, v1
	s_delay_alu instid0(VALU_DEP_1) | instskip(NEXT) | instid1(VALU_DEP_1)
	v_readfirstlane_b32 s3, v1
	s_mul_i32 s4, s4, s3
	s_delay_alu instid0(SALU_CYCLE_1) | instskip(NEXT) | instid1(SALU_CYCLE_1)
	s_mul_hi_u32 s4, s3, s4
	s_add_i32 s3, s3, s4
	s_delay_alu instid0(SALU_CYCLE_1) | instskip(NEXT) | instid1(SALU_CYCLE_1)
	s_mul_hi_u32 s3, s64, s3
	s_mul_i32 s4, s3, s44
	s_add_i32 s5, s3, 1
	s_sub_i32 s4, s64, s4
	s_delay_alu instid0(SALU_CYCLE_1)
	s_sub_i32 s12, s4, s44
	s_cmp_ge_u32 s4, s44
	s_cselect_b32 s3, s5, s3
	s_cselect_b32 s4, s12, s4
	s_add_i32 s5, s3, 1
	s_cmp_ge_u32 s4, s44
	s_cselect_b32 s58, s5, s3
.LBB198_13:
	s_clause 0x1
	s_load_b64 s[4:5], s[0:1], 0x370
	s_load_b128 s[36:39], s[0:1], 0x1a0
                                        ; implicit-def: $vgpr37 : SGPR spill to VGPR lane
	s_mov_b32 s71, 0
	s_waitcnt lgkmcnt(0)
	v_writelane_b32 v37, s4, 0
	v_writelane_b32 v37, s5, 1
	v_cmp_eq_u32_e64 s5, 0, v0
	s_delay_alu instid0(VALU_DEP_1)
	s_and_saveexec_b32 s3, s5
	s_cbranch_execz .LBB198_15
; %bb.14:
	v_dual_mov_b32 v1, 0 :: v_dual_mov_b32 v4, s37
	s_delay_alu instid0(VALU_DEP_1)
	v_dual_mov_b32 v3, s36 :: v_dual_mov_b32 v2, v1
	ds_store_b32 v1, v1 offset:5144
	ds_store_b128 v1, v[1:4] offset:5120
.LBB198_15:
	s_or_b32 exec_lo, exec_lo, s3
	s_mul_i32 s3, s2, s9
	s_mul_hi_u32 s4, s2, s8
	s_mul_i32 s8, s2, s8
	s_add_i32 s4, s4, s3
	s_sub_u32 s3, s6, s8
	s_subb_u32 s4, s7, s4
	s_mul_i32 s8, s3, s19
	s_mul_hi_u32 s9, s3, s18
	s_mul_i32 s4, s4, s18
	s_add_i32 s7, s9, s8
	s_mul_i32 s8, s3, s18
	s_add_i32 s9, s7, s4
	s_mul_i32 s4, s2, s17
	s_mul_hi_u32 s7, s2, s16
	s_mul_i32 s2, s2, s16
	s_add_i32 s3, s7, s4
	s_mul_i32 s4, s6, s11
	s_mul_hi_u32 s7, s6, s10
	s_mul_i32 s6, s6, s10
	s_add_i32 s7, s7, s4
	s_sub_u32 s4, s34, s6
	s_subb_u32 s7, 0, s7
	s_mul_i32 s6, s4, s15
	s_mul_hi_u32 s11, s4, s14
	s_mul_i32 s7, s7, s14
	s_add_i32 s6, s11, s6
	s_lshl_b64 s[2:3], s[2:3], 2
	s_add_i32 s7, s6, s7
	s_add_u32 s11, s24, s2
	s_load_b32 s10, s[0:1], 0x1b0
	s_addc_u32 s12, s25, s3
	s_lshl_b64 s[2:3], s[8:9], 2
	s_mul_i32 s6, s4, s14
	s_add_u32 s4, s11, s2
	v_mad_u64_u32 v[2:3], null, v0, s30, 0
	s_addc_u32 s8, s12, s3
	s_lshl_b64 s[2:3], s[6:7], 2
	s_waitcnt lgkmcnt(0)
	s_barrier
	buffer_gl0_inv
	s_load_b32 s7, s[20:21], 0xc
	v_dual_mov_b32 v1, v3 :: v_dual_lshlrev_b32 v14, 2, v0
	v_mbcnt_lo_u32_b32 v26, -1, 0
	s_add_u32 s29, s4, s2
	s_addc_u32 s33, s8, s3
	s_delay_alu instid0(VALU_DEP_2)
	v_mad_u64_u32 v[3:4], null, v0, s31, v[1:2]
	v_cmp_gt_u32_e32 vcc_lo, 32, v0
	v_cmp_gt_i32_e64 s4, 4, v26
	s_bitcmp1_b32 s10, 0
	v_dual_mov_b32 v13, 0 :: v_dual_add_nc_u32 v28, 0xc00, v14
	s_cselect_b32 s3, -1, 0
	s_delay_alu instid0(VALU_DEP_4)
	v_lshlrev_b64 v[2:3], 2, v[2:3]
	s_xor_b32 s59, s3, -1
	s_and_b32 s84, vcc_lo, s4
	v_mov_b32_e32 v1, v13
	v_lshrrev_b32_e32 v4, 3, v0
	v_dual_mov_b32 v19, s38 :: v_dual_mov_b32 v20, s39
	s_waitcnt lgkmcnt(0)
	s_and_b32 s35, s7, 0xffff
	s_bfe_u32 s8, s7, 0xb0005
	s_add_u32 s86, s35, -1
	s_addc_u32 s87, 0, -1
	s_add_u32 s88, s86, s36
	s_addc_u32 s27, s87, s37
	s_cmp_lt_u32 s13, s22
	v_add_co_u32 v10, vcc_lo, s29, v2
	s_cselect_b32 s9, 12, 18
	v_add_co_ci_u32_e32 v11, vcc_lo, s33, v3, vcc_lo
	v_lshlrev_b64 v[2:3], v26, -1
	s_add_u32 s72, s20, s9
	s_addc_u32 s73, s21, 0
	s_add_i32 s9, s8, -1
	s_bfe_u32 s89, s35, 0x30005
	s_cmp_gt_u32 s9, 6
	v_cmp_lt_u64_e64 s85, 0x300, s[36:37]
	v_cmp_gt_u64_e64 s4, s[36:37], v[0:1]
	v_cmp_eq_u32_e64 s2, 0, v26
	v_dual_mov_b32 v15, v13 :: v_dual_mov_b32 v16, 1.0
	v_dual_mov_b32 v18, 0 :: v_dual_and_b32 v27, 0x7c, v4
	v_cmp_gt_u32_e64 s6, 2, v0
	v_not_b32_e32 v25, v2
	s_cselect_b32 s90, -1, 0
	s_and_b32 s91, s8, 0x7f8
	v_cmp_gt_u16_e64 s92, s7, 31
	v_dual_mov_b32 v32, 0 :: v_dual_lshlrev_b32 v29, 4, v0
	v_lshl_or_b32 v30, v26, 3, 0xc00
	v_mov_b32_e32 v31, 0
	s_cmp_lg_u32 s89, 0
	s_mov_b32 s101, 30
	s_cselect_b32 s93, -1, 0
	s_lshl_b32 s94, s35, 2
	s_mov_b32 s95, 0
	s_mov_b32 s97, 0
                                        ; implicit-def: $sgpr96
                                        ; implicit-def: $sgpr100
                                        ; implicit-def: $sgpr99
                                        ; implicit-def: $sgpr102
                                        ; implicit-def: $sgpr98
                                        ; implicit-def: $sgpr103
                                        ; implicit-def: $vcc_hi
                                        ; implicit-def: $sgpr104
                                        ; implicit-def: $sgpr66
                                        ; implicit-def: $sgpr67
	s_branch .LBB198_18
.LBB198_16:                             ;   in Loop: Header=BB198_18 Depth=1
	s_or_b32 exec_lo, exec_lo, s10
	v_dual_mov_b32 v31, v22 :: v_dual_mov_b32 v32, v21
	v_dual_mov_b32 v20, v3 :: v_dual_mov_b32 v19, v2
	v_mov_b32_e32 v18, v5
	s_and_not1_b32 s10, s67, exec_lo
	s_and_b32 s9, s9, exec_lo
	s_and_not1_b32 s66, s66, exec_lo
	s_or_b32 s67, s10, s9
	s_and_not1_b32 s104, s104, exec_lo
	s_and_not1_b32 vcc_hi, vcc_hi, exec_lo
	s_and_not1_b32 s103, s103, exec_lo
	s_or_not1_b32 s8, s8, exec_lo
.LBB198_17:                             ;   in Loop: Header=BB198_18 Depth=1
	s_or_b32 exec_lo, exec_lo, s7
	s_delay_alu instid0(SALU_CYCLE_1) | instskip(NEXT) | instid1(SALU_CYCLE_1)
	s_and_b32 s7, exec_lo, s8
	s_or_b32 s95, s7, s95
	s_and_not1_b32 s7, s98, exec_lo
	s_and_b32 s8, s67, exec_lo
	s_and_not1_b32 s9, s102, exec_lo
	s_or_b32 s98, s7, s8
	s_and_b32 s7, s66, exec_lo
	s_and_not1_b32 s8, s99, exec_lo
	s_and_b32 s10, s104, exec_lo
	s_or_b32 s102, s9, s7
	s_or_b32 s99, s8, s10
	s_and_not1_b32 s7, s100, exec_lo
	s_and_b32 s8, vcc_hi, exec_lo
	s_and_not1_b32 s9, s96, exec_lo
	s_and_b32 s10, s103, exec_lo
	s_or_b32 s100, s7, s8
	s_or_b32 s96, s9, s10
	s_and_not1_b32 exec_lo, exec_lo, s95
	s_cbranch_execz .LBB198_490
.LBB198_18:                             ; =>This Loop Header: Depth=1
                                        ;     Child Loop BB198_26 Depth 2
                                        ;     Child Loop BB198_44 Depth 2
	;; [unrolled: 1-line block ×24, first 2 shown]
	ds_load_b128 v[2:5], v13 offset:5120
	s_waitcnt lgkmcnt(0)
	v_readfirstlane_b32 s75, v3
	v_readfirstlane_b32 s74, v2
	s_delay_alu instid0(VALU_DEP_1)
	s_cmp_lg_u64 s[74:75], 0
	s_cbranch_scc1 .LBB198_51
; %bb.19:                               ;   in Loop: Header=BB198_18 Depth=1
	s_and_b32 vcc_lo, exec_lo, s85
	s_cbranch_vccz .LBB198_34
; %bb.20:                               ;   in Loop: Header=BB198_18 Depth=1
	v_cmp_gt_u64_e32 vcc_lo, 0x301, v[4:5]
	s_mov_b32 s9, 0
	s_mov_b32 s7, 0
	s_cbranch_vccz .LBB198_35
; %bb.21:                               ;   in Loop: Header=BB198_18 Depth=1
	v_mov_b32_e32 v4, 0
	s_and_saveexec_b32 s7, s4
	s_cbranch_execz .LBB198_23
; %bb.22:                               ;   in Loop: Header=BB198_18 Depth=1
	global_load_b32 v4, v[10:11], off
.LBB198_23:                             ;   in Loop: Header=BB198_18 Depth=1
	s_or_b32 exec_lo, exec_lo, s7
	s_and_saveexec_b32 s10, s4
	s_cbranch_execz .LBB198_36
; %bb.24:                               ;   in Loop: Header=BB198_18 Depth=1
	global_load_u16 v2, v13, s[72:73]
	s_mov_b32 s11, 0
	s_waitcnt vmcnt(0)
	v_and_b32_e32 v5, 0xffff, v2
	v_dual_mov_b32 v3, v1 :: v_dual_mov_b32 v2, v0
	s_branch .LBB198_26
.LBB198_25:                             ;   in Loop: Header=BB198_26 Depth=2
	s_or_b32 exec_lo, exec_lo, s8
	s_waitcnt vmcnt(0)
	v_mov_b32_e32 v4, v6
	s_and_not1_b32 exec_lo, exec_lo, s11
	s_cbranch_execz .LBB198_36
.LBB198_26:                             ;   Parent Loop BB198_18 Depth=1
                                        ; =>  This Inner Loop Header: Depth=2
	s_delay_alu instid0(VALU_DEP_1) | instskip(NEXT) | instid1(VALU_DEP_2)
	v_add_co_u32 v2, vcc_lo, v2, v5
	v_add_co_ci_u32_e32 v3, vcc_lo, 0, v3, vcc_lo
	s_waitcnt lgkmcnt(0)
	v_dual_mov_b32 v7, 0 :: v_dual_mov_b32 v6, 0
	s_mov_b32 s8, exec_lo
	s_delay_alu instid0(VALU_DEP_2)
	v_cmp_le_u64_e32 vcc_lo, s[36:37], v[2:3]
	v_cmpx_gt_u64_e64 s[36:37], v[2:3]
	s_cbranch_execz .LBB198_28
; %bb.27:                               ;   in Loop: Header=BB198_26 Depth=2
	v_mul_lo_u32 v6, v3, s30
	v_mul_lo_u32 v12, v2, s31
	v_mad_u64_u32 v[8:9], null, v2, s30, 0
	s_delay_alu instid0(VALU_DEP_1) | instskip(NEXT) | instid1(VALU_DEP_1)
	v_add3_u32 v9, v9, v12, v6
	v_lshlrev_b64 v[8:9], 2, v[8:9]
	s_delay_alu instid0(VALU_DEP_1) | instskip(NEXT) | instid1(VALU_DEP_1)
	v_add_co_u32 v8, s7, s29, v8
	v_add_co_ci_u32_e64 v9, s7, s33, v9, s7
	global_load_b32 v6, v[8:9], off
.LBB198_28:                             ;   in Loop: Header=BB198_26 Depth=2
	s_or_b32 exec_lo, exec_lo, s8
	v_cmp_lt_i32_e64 s7, -1, v4
	s_delay_alu instid0(VALU_DEP_1) | instskip(SKIP_1) | instid1(VALU_DEP_2)
	v_cndmask_b32_e64 v8, -1, 0x80000000, s7
	v_cmp_o_f32_e64 s7, v4, v4
	v_xor_b32_e32 v8, v8, v4
	s_delay_alu instid0(VALU_DEP_1) | instskip(NEXT) | instid1(VALU_DEP_1)
	v_cndmask_b32_e64 v8, -1, v8, s7
	v_and_b32_e32 v8, v8, v31
	s_delay_alu instid0(VALU_DEP_1) | instskip(NEXT) | instid1(VALU_DEP_1)
	v_cmp_eq_u32_e64 s7, v8, v32
	s_cmp_lg_u32 s7, 0
	s_cselect_b32 s8, -1, 0
	s_delay_alu instid0(SALU_CYCLE_1) | instskip(NEXT) | instid1(SALU_CYCLE_1)
	s_and_b32 s8, s2, s8
	s_and_saveexec_b32 s12, s8
	s_cbranch_execz .LBB198_32
; %bb.29:                               ;   in Loop: Header=BB198_26 Depth=2
	s_mov_b32 s15, exec_lo
	s_bcnt1_i32_b32 s13, s7
	v_mbcnt_lo_u32_b32 v7, s15, 0
	s_mov_b32 s14, exec_lo
                                        ; implicit-def: $vgpr8
	s_delay_alu instid0(VALU_DEP_1)
	v_cmpx_eq_u32_e32 0, v7
	s_cbranch_execz .LBB198_31
; %bb.30:                               ;   in Loop: Header=BB198_26 Depth=2
	s_bcnt1_i32_b32 s8, s15
	s_delay_alu instid0(SALU_CYCLE_1) | instskip(NEXT) | instid1(SALU_CYCLE_1)
	s_mul_i32 s8, s13, s8
	v_mov_b32_e32 v8, s8
	ds_add_rtn_u32 v8, v13, v8 offset:5144
.LBB198_31:                             ;   in Loop: Header=BB198_26 Depth=2
	s_or_b32 exec_lo, exec_lo, s14
	s_waitcnt lgkmcnt(0)
	v_readfirstlane_b32 s8, v8
	s_delay_alu instid0(VALU_DEP_1)
	v_mad_u32_u24 v7, s13, v7, s8
.LBB198_32:                             ;   in Loop: Header=BB198_26 Depth=2
	s_or_b32 exec_lo, exec_lo, s12
	ds_bpermute_b32 v7, v13, v7
	s_and_b32 s8, exec_lo, vcc_lo
	s_delay_alu instid0(SALU_CYCLE_1)
	s_or_b32 s11, s8, s11
	s_and_saveexec_b32 s8, s7
	s_cbranch_execz .LBB198_25
; %bb.33:                               ;   in Loop: Header=BB198_26 Depth=2
	v_and_b32_e32 v8, s7, v25
	s_delay_alu instid0(VALU_DEP_1) | instskip(NEXT) | instid1(VALU_DEP_1)
	v_bcnt_u32_b32 v8, v8, 0
	v_lshlrev_b32_e32 v8, 2, v8
	s_waitcnt lgkmcnt(0)
	s_delay_alu instid0(VALU_DEP_1)
	v_lshl_add_u32 v7, v7, 2, v8
	ds_store_b32 v7, v4
	s_branch .LBB198_25
.LBB198_34:                             ;   in Loop: Header=BB198_18 Depth=1
	s_mov_b32 s7, 0
                                        ; implicit-def: $sgpr74_sgpr75
	s_cbranch_execnz .LBB198_39
	s_branch .LBB198_49
.LBB198_35:                             ;   in Loop: Header=BB198_18 Depth=1
	s_mov_b64 s[74:75], 0
	s_and_b32 vcc_lo, exec_lo, s9
	s_cbranch_vccnz .LBB198_39
	s_branch .LBB198_49
.LBB198_36:                             ;   in Loop: Header=BB198_18 Depth=1
	s_or_b32 exec_lo, exec_lo, s10
	s_waitcnt vmcnt(0) lgkmcnt(0)
	s_barrier
	buffer_gl0_inv
	s_and_saveexec_b32 s7, s5
	s_cbranch_execz .LBB198_38
; %bb.37:                               ;   in Loop: Header=BB198_18 Depth=1
	ds_load_b32 v2, v13 offset:5144
	s_waitcnt lgkmcnt(0)
	v_ashrrev_i32_e32 v3, 31, v2
	ds_store_b64 v13, v[2:3] offset:5120
.LBB198_38:                             ;   in Loop: Header=BB198_18 Depth=1
	s_or_b32 exec_lo, exec_lo, s7
	s_waitcnt lgkmcnt(0)
	s_mov_b32 s7, -1
	s_barrier
	s_mov_b64 s[74:75], 0
	s_and_b32 vcc_lo, exec_lo, s9
	s_cbranch_vccz .LBB198_49
.LBB198_39:                             ;   in Loop: Header=BB198_18 Depth=1
	v_mov_b32_e32 v4, 0
	s_and_saveexec_b32 s7, s4
	s_cbranch_execz .LBB198_41
; %bb.40:                               ;   in Loop: Header=BB198_18 Depth=1
	global_load_b32 v4, v[10:11], off
.LBB198_41:                             ;   in Loop: Header=BB198_18 Depth=1
	s_or_b32 exec_lo, exec_lo, s7
	s_and_saveexec_b32 s8, s4
	s_cbranch_execz .LBB198_46
; %bb.42:                               ;   in Loop: Header=BB198_18 Depth=1
	global_load_u16 v2, v13, s[72:73]
	s_mov_b32 s9, 0
	s_waitcnt vmcnt(0)
	v_dual_mov_b32 v6, v14 :: v_dual_and_b32 v5, 0xffff, v2
	v_dual_mov_b32 v3, v1 :: v_dual_mov_b32 v2, v0
	s_delay_alu instid0(VALU_DEP_2)
	v_lshlrev_b32_e32 v7, 2, v5
	s_set_inst_prefetch_distance 0x1
	s_branch .LBB198_44
	.p2align	6
.LBB198_43:                             ;   in Loop: Header=BB198_44 Depth=2
	s_or_b32 exec_lo, exec_lo, s10
	ds_store_b32 v6, v4
	v_add_nc_u32_e32 v6, v6, v7
	s_waitcnt vmcnt(0)
	v_mov_b32_e32 v4, v8
	s_and_b32 s7, exec_lo, vcc_lo
	s_delay_alu instid0(SALU_CYCLE_1) | instskip(NEXT) | instid1(SALU_CYCLE_1)
	s_or_b32 s9, s7, s9
	s_and_not1_b32 exec_lo, exec_lo, s9
	s_cbranch_execz .LBB198_46
.LBB198_44:                             ;   Parent Loop BB198_18 Depth=1
                                        ; =>  This Inner Loop Header: Depth=2
	s_delay_alu instid0(VALU_DEP_2) | instskip(SKIP_3) | instid1(VALU_DEP_2)
	v_add_co_u32 v2, vcc_lo, v2, v5
	v_add_co_ci_u32_e32 v3, vcc_lo, 0, v3, vcc_lo
	v_mov_b32_e32 v8, 0
	s_mov_b32 s10, exec_lo
	v_cmp_le_u64_e32 vcc_lo, s[36:37], v[2:3]
	v_cmpx_gt_u64_e64 s[36:37], v[2:3]
	s_cbranch_execz .LBB198_43
; %bb.45:                               ;   in Loop: Header=BB198_44 Depth=2
	v_mul_lo_u32 v12, v3, s30
	v_mul_lo_u32 v17, v2, s31
	v_mad_u64_u32 v[8:9], null, v2, s30, 0
	s_delay_alu instid0(VALU_DEP_1) | instskip(NEXT) | instid1(VALU_DEP_1)
	v_add3_u32 v9, v9, v17, v12
	v_lshlrev_b64 v[8:9], 2, v[8:9]
	s_delay_alu instid0(VALU_DEP_1) | instskip(NEXT) | instid1(VALU_DEP_1)
	v_add_co_u32 v8, s7, s29, v8
	v_add_co_ci_u32_e64 v9, s7, s33, v9, s7
	global_load_b32 v8, v[8:9], off
	s_branch .LBB198_43
.LBB198_46:                             ;   in Loop: Header=BB198_18 Depth=1
	s_set_inst_prefetch_distance 0x2
	s_or_b32 exec_lo, exec_lo, s8
	s_waitcnt vmcnt(0) lgkmcnt(0)
	s_barrier
	buffer_gl0_inv
	s_and_saveexec_b32 s7, s5
	s_cbranch_execz .LBB198_48
; %bb.47:                               ;   in Loop: Header=BB198_18 Depth=1
	v_dual_mov_b32 v2, s36 :: v_dual_mov_b32 v3, s37
	ds_store_b64 v13, v[2:3] offset:5120
.LBB198_48:                             ;   in Loop: Header=BB198_18 Depth=1
	s_or_b32 exec_lo, exec_lo, s7
	s_mov_b32 s7, -1
	s_waitcnt lgkmcnt(0)
	s_barrier
                                        ; implicit-def: $sgpr74_sgpr75
.LBB198_49:                             ;   in Loop: Header=BB198_18 Depth=1
	s_and_b32 vcc_lo, exec_lo, s7
	s_cbranch_vccz .LBB198_51
; %bb.50:                               ;   in Loop: Header=BB198_18 Depth=1
	buffer_gl0_inv
	ds_load_b64 v[2:3], v13 offset:5120
	s_waitcnt lgkmcnt(0)
	v_readfirstlane_b32 s74, v2
.LBB198_51:                             ;   in Loop: Header=BB198_18 Depth=1
	s_delay_alu instid0(VALU_DEP_1)
	s_cmp_lt_i32 s74, 1
	s_cbranch_scc0 .LBB198_66
; %bb.52:                               ;   in Loop: Header=BB198_18 Depth=1
	global_load_u16 v17, v13, s[72:73]
	s_mov_b32 s8, s71
	s_mov_b32 s9, s37
	s_waitcnt vmcnt(0)
	v_readfirstlane_b32 s7, v17
	s_delay_alu instid0(VALU_DEP_1) | instskip(NEXT) | instid1(SALU_CYCLE_1)
	s_and_b32 s7, 0xffff, s7
	s_lshl_b32 s25, s7, 2
	s_cmp_lg_u64 s[8:9], 0
	s_cbranch_scc0 .LBB198_86
; %bb.53:                               ;   in Loop: Header=BB198_18 Depth=1
	v_cvt_f32_u32_e32 v2, s25
	s_sub_u32 s9, 0, s25
	s_subb_u32 s10, 0, 0
	s_delay_alu instid0(VALU_DEP_1) | instskip(NEXT) | instid1(VALU_DEP_1)
	v_fmac_f32_e64 v2, 0, 0x4f800000
	v_rcp_f32_e32 v2, v2
	s_waitcnt_depctr 0xfff
	v_mul_f32_e32 v2, 0x5f7ffffc, v2
	s_delay_alu instid0(VALU_DEP_1) | instskip(NEXT) | instid1(VALU_DEP_1)
	v_mul_f32_e32 v3, 0x2f800000, v2
	v_trunc_f32_e32 v3, v3
	s_delay_alu instid0(VALU_DEP_1) | instskip(SKIP_1) | instid1(VALU_DEP_2)
	v_fmac_f32_e32 v2, 0xcf800000, v3
	v_cvt_u32_f32_e32 v3, v3
	v_cvt_u32_f32_e32 v2, v2
	s_delay_alu instid0(VALU_DEP_2) | instskip(NEXT) | instid1(VALU_DEP_2)
	v_readfirstlane_b32 s7, v3
	v_readfirstlane_b32 s8, v2
	s_delay_alu instid0(VALU_DEP_2) | instskip(NEXT) | instid1(VALU_DEP_1)
	s_mul_i32 s11, s9, s7
	s_mul_hi_u32 s13, s9, s8
	s_mul_i32 s12, s10, s8
	s_add_i32 s11, s13, s11
	s_mul_i32 s14, s9, s8
	s_add_i32 s11, s11, s12
	s_mul_hi_u32 s13, s8, s14
	s_mul_hi_u32 s15, s7, s14
	s_mul_i32 s12, s7, s14
	s_mul_hi_u32 s14, s8, s11
	s_mul_i32 s8, s8, s11
	s_mul_hi_u32 s16, s7, s11
	s_add_u32 s8, s13, s8
	s_addc_u32 s13, 0, s14
	s_add_u32 s8, s8, s12
	s_mul_i32 s11, s7, s11
	s_addc_u32 s8, s13, s15
	s_addc_u32 s12, s16, 0
	s_add_u32 s8, s8, s11
	s_addc_u32 s11, 0, s12
	v_add_co_u32 v2, s8, v2, s8
	s_delay_alu instid0(VALU_DEP_1) | instskip(SKIP_1) | instid1(VALU_DEP_1)
	s_cmp_lg_u32 s8, 0
	s_addc_u32 s7, s7, s11
	v_readfirstlane_b32 s8, v2
	s_mul_i32 s11, s9, s7
	s_delay_alu instid0(VALU_DEP_1)
	s_mul_hi_u32 s12, s9, s8
	s_mul_i32 s10, s10, s8
	s_add_i32 s11, s12, s11
	s_mul_i32 s9, s9, s8
	s_add_i32 s11, s11, s10
	s_mul_hi_u32 s12, s7, s9
	s_mul_i32 s13, s7, s9
	s_mul_hi_u32 s9, s8, s9
	s_mul_hi_u32 s14, s8, s11
	s_mul_i32 s8, s8, s11
	s_mul_hi_u32 s10, s7, s11
	s_add_u32 s8, s9, s8
	s_addc_u32 s9, 0, s14
	s_add_u32 s8, s8, s13
	s_mul_i32 s11, s7, s11
	s_addc_u32 s8, s9, s12
	s_addc_u32 s9, s10, 0
	s_add_u32 s8, s8, s11
	s_addc_u32 s9, 0, s9
	v_add_co_u32 v2, s8, v2, s8
	s_delay_alu instid0(VALU_DEP_1) | instskip(SKIP_1) | instid1(VALU_DEP_1)
	s_cmp_lg_u32 s8, 0
	s_addc_u32 s7, s7, s9
	v_readfirstlane_b32 s8, v2
	s_mul_i32 s10, s36, s7
	s_mul_hi_u32 s9, s36, s7
	s_mul_hi_u32 s11, s37, s7
	s_mul_i32 s7, s37, s7
	s_mul_hi_u32 s12, s36, s8
	s_mul_hi_u32 s13, s37, s8
	s_mul_i32 s8, s37, s8
	s_add_u32 s10, s12, s10
	s_addc_u32 s9, 0, s9
	s_add_u32 s8, s10, s8
	s_addc_u32 s8, s9, s13
	s_addc_u32 s9, s11, 0
	s_add_u32 s7, s8, s7
	s_addc_u32 s8, 0, s9
	s_mul_hi_u32 s9, s25, s7
	s_mul_i32 s7, s25, s7
	s_mul_i32 s8, s25, s8
	v_sub_co_u32 v2, s7, s36, s7
	s_add_i32 s9, s9, s8
	s_cmp_lg_u32 s7, 0
	s_delay_alu instid0(VALU_DEP_1) | instskip(SKIP_2) | instid1(VALU_DEP_1)
	v_sub_co_u32 v3, s7, v2, s25
	s_subb_u32 s8, s37, s9
	s_cmp_lg_u32 s7, 0
	v_cmp_le_u32_e32 vcc_lo, s25, v3
	v_sub_co_u32 v4, s7, v3, s25
	s_subb_u32 s9, s8, 0
	s_cmp_lg_u32 s7, 0
	v_cndmask_b32_e64 v5, 0, -1, vcc_lo
	s_subb_u32 s7, s9, 0
	s_cmp_eq_u32 s9, 0
	v_mov_b32_e32 v7, s7
	s_cselect_b32 vcc_lo, -1, 0
	s_cmp_eq_u32 s8, 0
	v_cndmask_b32_e32 v5, -1, v5, vcc_lo
	v_cmp_le_u32_e32 vcc_lo, s25, v2
	s_cselect_b32 s7, -1, 0
	v_cndmask_b32_e64 v6, 0, -1, vcc_lo
	s_delay_alu instid0(VALU_DEP_3) | instskip(NEXT) | instid1(VALU_DEP_2)
	v_cmp_ne_u32_e32 vcc_lo, 0, v5
	v_cndmask_b32_e64 v5, -1, v6, s7
	v_cndmask_b32_e32 v6, s9, v7, vcc_lo
	v_cndmask_b32_e32 v4, v3, v4, vcc_lo
	s_delay_alu instid0(VALU_DEP_3) | instskip(NEXT) | instid1(VALU_DEP_3)
	v_cmp_ne_u32_e32 vcc_lo, 0, v5
	v_cndmask_b32_e32 v3, s8, v6, vcc_lo
	s_delay_alu instid0(VALU_DEP_3)
	v_cndmask_b32_e32 v2, v2, v4, vcc_lo
	s_cbranch_execnz .LBB198_55
.LBB198_54:                             ;   in Loop: Header=BB198_18 Depth=1
	v_cvt_f32_u32_e32 v2, s25
	s_sub_i32 s7, 0, s25
	s_delay_alu instid0(VALU_DEP_1) | instskip(SKIP_2) | instid1(VALU_DEP_1)
	v_rcp_iflag_f32_e32 v2, v2
	s_waitcnt_depctr 0xfff
	v_mul_f32_e32 v2, 0x4f7ffffe, v2
	v_cvt_u32_f32_e32 v2, v2
	s_delay_alu instid0(VALU_DEP_1) | instskip(NEXT) | instid1(VALU_DEP_1)
	v_mul_lo_u32 v3, s7, v2
	v_mul_hi_u32 v3, v2, v3
	s_delay_alu instid0(VALU_DEP_1) | instskip(NEXT) | instid1(VALU_DEP_1)
	v_add_nc_u32_e32 v2, v2, v3
	v_mul_hi_u32 v2, s36, v2
	s_delay_alu instid0(VALU_DEP_1) | instskip(NEXT) | instid1(VALU_DEP_1)
	v_mul_lo_u32 v2, v2, s25
	v_sub_nc_u32_e32 v2, s36, v2
	s_delay_alu instid0(VALU_DEP_1) | instskip(SKIP_1) | instid1(VALU_DEP_2)
	v_subrev_nc_u32_e32 v3, s25, v2
	v_cmp_le_u32_e32 vcc_lo, s25, v2
	v_cndmask_b32_e32 v2, v2, v3, vcc_lo
	s_delay_alu instid0(VALU_DEP_1) | instskip(SKIP_1) | instid1(VALU_DEP_2)
	v_subrev_nc_u32_e32 v3, s25, v2
	v_cmp_le_u32_e32 vcc_lo, s25, v2
	v_cndmask_b32_e32 v12, v2, v3, vcc_lo
	s_delay_alu instid0(VALU_DEP_1)
	v_dual_mov_b32 v2, v12 :: v_dual_mov_b32 v3, v13
.LBB198_55:                             ;   in Loop: Header=BB198_18 Depth=1
	s_delay_alu instid0(VALU_DEP_1) | instskip(NEXT) | instid1(VALU_DEP_2)
	v_sub_co_u32 v21, vcc_lo, s36, v2
	v_sub_co_ci_u32_e32 v22, vcc_lo, s37, v3, vcc_lo
	v_mov_b32_e32 v2, 0
	v_mov_b32_e32 v3, 0
	s_mov_b64 s[76:77], 0
	s_mov_b32 s26, exec_lo
	s_delay_alu instid0(VALU_DEP_1)
	v_dual_mov_b32 v5, v3 :: v_dual_mov_b32 v4, v2
	v_dual_mov_b32 v7, v3 :: v_dual_mov_b32 v6, v2
	;; [unrolled: 1-line block ×3, first 2 shown]
	v_cmpx_gt_u64_e64 v[21:22], v[14:15]
	s_cbranch_execz .LBB198_59
; %bb.56:                               ;   in Loop: Header=BB198_18 Depth=1
	v_dual_mov_b32 v24, v15 :: v_dual_mov_b32 v23, v14
	s_and_b32 s61, s101, 0xfe
	s_mov_b32 s60, 0
	s_mov_b64 s[78:79], 0
	s_mov_b64 s[80:81], 0
	;; [unrolled: 1-line block ×3, first 2 shown]
.LBB198_57:                             ;   Parent Loop BB198_18 Depth=1
                                        ; =>  This Inner Loop Header: Depth=2
	v_mul_lo_u32 v4, v24, s30
	v_mul_lo_u32 v5, v23, s31
	v_mad_u64_u32 v[2:3], null, v23, s30, 0
	s_lshl_b64 s[8:9], s[30:31], 2
	s_delay_alu instid0(VALU_DEP_1) | instskip(NEXT) | instid1(VALU_DEP_1)
	v_add3_u32 v3, v3, v5, v4
	v_lshlrev_b64 v[2:3], 2, v[2:3]
	s_delay_alu instid0(VALU_DEP_1) | instskip(NEXT) | instid1(VALU_DEP_2)
	v_add_co_u32 v2, vcc_lo, s29, v2
	v_add_co_ci_u32_e32 v3, vcc_lo, s33, v3, vcc_lo
	s_delay_alu instid0(VALU_DEP_2) | instskip(NEXT) | instid1(VALU_DEP_2)
	v_add_co_u32 v4, vcc_lo, v2, s8
	v_add_co_ci_u32_e32 v5, vcc_lo, s9, v3, vcc_lo
	s_clause 0x1
	global_load_b32 v6, v[2:3], off
	global_load_b32 v7, v[4:5], off
	v_add_co_u32 v2, vcc_lo, v4, s8
	v_add_co_ci_u32_e32 v3, vcc_lo, s9, v5, vcc_lo
	s_delay_alu instid0(VALU_DEP_2)
	v_add_co_u32 v4, vcc_lo, v2, s8
	global_load_b32 v2, v[2:3], off
	v_add_co_ci_u32_e32 v5, vcc_lo, s9, v3, vcc_lo
	v_add_co_u32 v23, vcc_lo, v23, s25
	v_add_co_ci_u32_e32 v24, vcc_lo, 0, v24, vcc_lo
	global_load_b32 v3, v[4:5], off
	v_cmp_ge_u64_e32 vcc_lo, v[23:24], v[21:22]
	s_waitcnt vmcnt(3)
	v_cmp_lt_i32_e64 s7, -1, v6
	v_cmp_o_f32_e64 s8, v6, v6
	s_waitcnt vmcnt(2)
	v_cmp_o_f32_e64 s9, v7, v7
	s_delay_alu instid0(VALU_DEP_3) | instskip(SKIP_1) | instid1(VALU_DEP_2)
	v_cndmask_b32_e64 v4, -1, 0x80000000, s7
	v_cmp_lt_i32_e64 s7, -1, v7
	v_xor_b32_e32 v4, v4, v6
	s_waitcnt vmcnt(1)
	v_cmp_lt_i32_e64 s10, -1, v2
	s_delay_alu instid0(VALU_DEP_3) | instskip(SKIP_2) | instid1(VALU_DEP_4)
	v_cndmask_b32_e64 v5, -1, 0x80000000, s7
	v_cmp_o_f32_e64 s7, v2, v2
	v_cndmask_b32_e64 v4, -1, v4, s8
	v_cndmask_b32_e64 v6, -1, 0x80000000, s10
	s_delay_alu instid0(VALU_DEP_4)
	v_xor_b32_e32 v5, v5, v7
	s_waitcnt vmcnt(0)
	v_cmp_lt_i32_e64 s10, -1, v3
	v_cmp_o_f32_e64 s8, v3, v3
	v_and_b32_e32 v7, v4, v31
	v_xor_b32_e32 v2, v6, v2
	v_cndmask_b32_e64 v5, -1, v5, s9
	v_cndmask_b32_e64 v6, -1, 0x80000000, s10
	v_bfe_u32 v4, v4, s61, 2
	s_delay_alu instid0(VALU_DEP_4) | instskip(SKIP_1) | instid1(VALU_DEP_4)
	v_cndmask_b32_e64 v2, -1, v2, s7
	v_cmp_eq_u32_e64 s7, v7, v32
	v_xor_b32_e32 v3, v6, v3
	v_and_b32_e32 v6, v5, v31
	v_bfe_u32 v5, v5, s61, 2
	v_cmp_eq_u32_e64 s9, 0, v4
	v_cmp_eq_u32_e64 s10, 1, v4
	;; [unrolled: 1-line block ×4, first 2 shown]
	v_cndmask_b32_e64 v3, -1, v3, s8
	v_and_b32_e32 v4, v2, v31
	v_cmp_eq_u32_e64 s8, v6, v32
	v_bfe_u32 v2, v2, s61, 2
	v_cmp_eq_u32_e64 s13, 0, v5
	s_and_b32 s16, s7, s9
	v_cmp_eq_u32_e64 s9, 1, v5
	v_cmp_eq_u32_e64 s14, 2, v5
	;; [unrolled: 1-line block ×3, first 2 shown]
	v_cndmask_b32_e64 v5, 0, 1, s16
	v_cmp_eq_u32_e64 s16, v4, v32
	v_and_b32_e32 v4, v3, v31
	v_bfe_u32 v3, v3, s61, 2
	v_cmp_eq_u32_e64 s17, 0, v2
	s_and_b32 s21, s8, s13
	v_cmp_eq_u32_e64 s13, 1, v2
	v_cmp_eq_u32_e64 s18, 2, v2
	;; [unrolled: 1-line block ×3, first 2 shown]
	v_cmp_ne_u32_e64 s20, 0, v5
	v_cndmask_b32_e64 v2, 0, 1, s21
	v_cmp_eq_u32_e64 s21, v4, v32
	v_cmp_eq_u32_e64 s22, 0, v3
	s_and_b32 s62, s16, s17
	s_bcnt1_i32_b32 s63, s20
	v_cmp_ne_u32_e64 s20, 0, v2
	v_cndmask_b32_e64 v2, 0, 1, s62
	s_and_b32 s22, s21, s22
	v_cmp_eq_u32_e64 s17, 1, v3
	v_cmp_eq_u32_e64 s23, 2, v3
	;; [unrolled: 1-line block ×3, first 2 shown]
	v_cndmask_b32_e64 v3, 0, 1, s22
	s_bcnt1_i32_b32 s22, s20
	v_cmp_ne_u32_e64 s20, 0, v2
	s_add_i32 s62, s22, s63
	s_delay_alu instid0(VALU_DEP_2) | instskip(NEXT) | instid1(VALU_DEP_2)
	v_cmp_ne_u32_e64 s22, 0, v3
	s_bcnt1_i32_b32 s20, s20
	s_delay_alu instid0(SALU_CYCLE_1) | instskip(NEXT) | instid1(VALU_DEP_1)
	s_add_i32 s20, s62, s20
	s_bcnt1_i32_b32 s22, s22
	s_delay_alu instid0(SALU_CYCLE_1) | instskip(NEXT) | instid1(SALU_CYCLE_1)
	s_add_i32 s20, s20, s22
	s_add_u32 s82, s82, s20
	s_addc_u32 s83, s83, 0
	s_and_b32 s10, s7, s10
	s_and_b32 s9, s8, s9
	;; [unrolled: 1-line block ×3, first 2 shown]
	v_cndmask_b32_e64 v2, 0, 1, s10
	v_cndmask_b32_e64 v3, 0, 1, s9
	s_and_b32 s17, s21, s17
	v_cndmask_b32_e64 v4, 0, 1, s13
	v_cndmask_b32_e64 v5, 0, 1, s17
	v_cmp_ne_u32_e64 s9, 0, v2
	v_cmp_ne_u32_e64 s10, 0, v3
	s_delay_alu instid0(VALU_DEP_4) | instskip(NEXT) | instid1(VALU_DEP_4)
	v_cmp_ne_u32_e64 s13, 0, v4
	v_cmp_ne_u32_e64 s17, 0, v5
	s_delay_alu instid0(VALU_DEP_4) | instskip(NEXT) | instid1(VALU_DEP_3)
	s_bcnt1_i32_b32 s9, s9
	s_bcnt1_i32_b32 s10, s10
	s_delay_alu instid0(VALU_DEP_2) | instskip(SKIP_3) | instid1(SALU_CYCLE_1)
	s_bcnt1_i32_b32 s13, s13
	s_add_i32 s9, s10, s9
	s_bcnt1_i32_b32 s17, s17
	s_add_i32 s9, s9, s13
	s_add_i32 s9, s9, s17
	s_delay_alu instid0(SALU_CYCLE_1)
	s_add_u32 s80, s80, s9
	s_addc_u32 s81, s81, 0
	s_and_b32 s9, s7, s11
	s_and_b32 s10, s8, s14
	;; [unrolled: 1-line block ×3, first 2 shown]
	v_cndmask_b32_e64 v2, 0, 1, s9
	v_cndmask_b32_e64 v3, 0, 1, s10
	s_and_b32 s13, s21, s23
	v_cndmask_b32_e64 v4, 0, 1, s11
	v_cndmask_b32_e64 v5, 0, 1, s13
	v_cmp_ne_u32_e64 s9, 0, v2
	v_cmp_ne_u32_e64 s10, 0, v3
	s_delay_alu instid0(VALU_DEP_4) | instskip(NEXT) | instid1(VALU_DEP_4)
	v_cmp_ne_u32_e64 s11, 0, v4
	v_cmp_ne_u32_e64 s13, 0, v5
	s_delay_alu instid0(VALU_DEP_4) | instskip(NEXT) | instid1(VALU_DEP_3)
	s_bcnt1_i32_b32 s9, s9
	s_bcnt1_i32_b32 s10, s10
	s_delay_alu instid0(VALU_DEP_2) | instskip(SKIP_3) | instid1(SALU_CYCLE_1)
	s_bcnt1_i32_b32 s11, s11
	s_add_i32 s9, s10, s9
	s_bcnt1_i32_b32 s13, s13
	s_add_i32 s9, s9, s11
	s_add_i32 s9, s9, s13
	s_delay_alu instid0(SALU_CYCLE_1)
	s_add_u32 s78, s78, s9
	s_addc_u32 s79, s79, 0
	s_and_b32 s7, s7, s12
	s_and_b32 s8, s8, s15
	;; [unrolled: 1-line block ×3, first 2 shown]
	v_cndmask_b32_e64 v2, 0, 1, s7
	v_cndmask_b32_e64 v3, 0, 1, s8
	s_and_b32 s10, s21, s24
	v_cndmask_b32_e64 v4, 0, 1, s9
	v_cndmask_b32_e64 v5, 0, 1, s10
	v_cmp_ne_u32_e64 s7, 0, v2
	v_cmp_ne_u32_e64 s8, 0, v3
	v_mov_b32_e32 v2, s82
	v_cmp_ne_u32_e64 s9, 0, v4
	v_cmp_ne_u32_e64 s10, 0, v5
	s_bcnt1_i32_b32 s7, s7
	s_bcnt1_i32_b32 s8, s8
	v_dual_mov_b32 v6, s78 :: v_dual_mov_b32 v7, s79
	s_bcnt1_i32_b32 s9, s9
	s_add_i32 s7, s8, s7
	s_bcnt1_i32_b32 s8, s10
	s_add_i32 s7, s7, s9
	v_mov_b32_e32 v3, s83
	s_add_i32 s7, s7, s8
	s_delay_alu instid0(SALU_CYCLE_1)
	s_add_u32 s76, s76, s7
	s_addc_u32 s77, s77, 0
	v_mov_b32_e32 v4, s80
	v_dual_mov_b32 v8, s76 :: v_dual_mov_b32 v9, s77
	v_mov_b32_e32 v5, s81
	s_or_b32 s60, vcc_lo, s60
	s_delay_alu instid0(SALU_CYCLE_1)
	s_and_not1_b32 exec_lo, exec_lo, s60
	s_cbranch_execnz .LBB198_57
; %bb.58:                               ;   in Loop: Header=BB198_18 Depth=1
	s_or_b32 exec_lo, exec_lo, s60
.LBB198_59:                             ;   in Loop: Header=BB198_18 Depth=1
	s_delay_alu instid0(SALU_CYCLE_1) | instskip(SKIP_3) | instid1(VALU_DEP_2)
	s_or_b32 exec_lo, exec_lo, s26
	v_add_co_u32 v21, vcc_lo, v21, v0
	v_add_co_ci_u32_e32 v22, vcc_lo, 0, v22, vcc_lo
	v_dual_mov_b32 v23, 0 :: v_dual_and_b32 v12, 0xffff, v17
	v_cmp_gt_u64_e32 vcc_lo, s[36:37], v[21:22]
	s_and_saveexec_b32 s8, vcc_lo
	s_cbranch_execz .LBB198_61
; %bb.60:                               ;   in Loop: Header=BB198_18 Depth=1
	v_mul_lo_u32 v17, v22, s30
	v_mul_lo_u32 v33, v21, s31
	v_mad_u64_u32 v[23:24], null, v21, s30, 0
	s_delay_alu instid0(VALU_DEP_1) | instskip(NEXT) | instid1(VALU_DEP_1)
	v_add3_u32 v24, v24, v33, v17
	v_lshlrev_b64 v[23:24], 2, v[23:24]
	s_delay_alu instid0(VALU_DEP_1) | instskip(NEXT) | instid1(VALU_DEP_1)
	v_add_co_u32 v23, s7, s29, v23
	v_add_co_ci_u32_e64 v24, s7, s33, v24, s7
	global_load_b32 v23, v[23:24], off
.LBB198_61:                             ;   in Loop: Header=BB198_18 Depth=1
	s_or_b32 exec_lo, exec_lo, s8
	s_and_saveexec_b32 s11, vcc_lo
	s_cbranch_execz .LBB198_68
; %bb.62:                               ;   in Loop: Header=BB198_18 Depth=1
	s_and_b32 s13, s101, 0xfe
	s_mov_b32 s12, 0
	s_branch .LBB198_64
.LBB198_63:                             ;   in Loop: Header=BB198_64 Depth=2
	s_or_b32 exec_lo, exec_lo, s8
	s_waitcnt vmcnt(0)
	v_cmp_lt_i32_e64 s7, -1, v23
	s_and_b32 s8, exec_lo, vcc_lo
	s_delay_alu instid0(SALU_CYCLE_1) | instskip(NEXT) | instid1(VALU_DEP_1)
	s_or_b32 s12, s8, s12
	v_cndmask_b32_e64 v24, -1, 0x80000000, s7
	v_cmp_o_f32_e64 s7, v23, v23
	s_delay_alu instid0(VALU_DEP_2) | instskip(NEXT) | instid1(VALU_DEP_1)
	v_xor_b32_e32 v24, v24, v23
	v_cndmask_b32_e64 v23, -1, v24, s7
	s_delay_alu instid0(VALU_DEP_1) | instskip(SKIP_1) | instid1(VALU_DEP_2)
	v_and_b32_e32 v24, v23, v31
	v_bfe_u32 v23, v23, s13, 2
	v_cmp_eq_u32_e32 vcc_lo, v24, v32
	s_delay_alu instid0(VALU_DEP_2) | instskip(SKIP_3) | instid1(VALU_DEP_4)
	v_cmp_eq_u32_e64 s7, 0, v23
	v_cmp_eq_u32_e64 s8, 1, v23
	;; [unrolled: 1-line block ×4, first 2 shown]
	s_and_b32 s7, vcc_lo, s7
	s_delay_alu instid0(SALU_CYCLE_1) | instskip(SKIP_1) | instid1(SALU_CYCLE_1)
	v_cndmask_b32_e64 v23, 0, 1, s7
	s_and_b32 s7, vcc_lo, s8
	v_cndmask_b32_e64 v24, 0, 1, s7
	s_and_b32 s7, vcc_lo, s9
	s_delay_alu instid0(SALU_CYCLE_1)
	v_cndmask_b32_e64 v33, 0, 1, s7
	s_and_b32 s7, vcc_lo, s10
	v_cmp_ne_u32_e32 vcc_lo, 0, v23
	v_mov_b32_e32 v23, v17
	v_cndmask_b32_e64 v34, 0, 1, s7
	v_cmp_ne_u32_e64 s7, 0, v24
	v_cmp_ne_u32_e64 s8, 0, v33
	s_bcnt1_i32_b32 s10, vcc_lo
	s_delay_alu instid0(SALU_CYCLE_1) | instskip(NEXT) | instid1(VALU_DEP_3)
	v_add_co_u32 v2, vcc_lo, v2, s10
	s_bcnt1_i32_b32 s7, s7
	v_cmp_ne_u32_e64 s9, 0, v34
	v_add_co_ci_u32_e32 v3, vcc_lo, 0, v3, vcc_lo
	v_add_co_u32 v4, vcc_lo, v4, s7
	s_bcnt1_i32_b32 s8, s8
	v_add_co_ci_u32_e32 v5, vcc_lo, 0, v5, vcc_lo
	v_add_co_u32 v6, vcc_lo, v6, s8
	s_bcnt1_i32_b32 s7, s9
	v_add_co_ci_u32_e32 v7, vcc_lo, 0, v7, vcc_lo
	v_add_co_u32 v8, vcc_lo, v8, s7
	v_add_co_ci_u32_e32 v9, vcc_lo, 0, v9, vcc_lo
	s_and_not1_b32 exec_lo, exec_lo, s12
	s_cbranch_execz .LBB198_67
.LBB198_64:                             ;   Parent Loop BB198_18 Depth=1
                                        ; =>  This Inner Loop Header: Depth=2
	v_add_co_u32 v21, vcc_lo, v21, v12
	v_add_co_ci_u32_e32 v22, vcc_lo, 0, v22, vcc_lo
	v_mov_b32_e32 v17, 0
	s_mov_b32 s8, exec_lo
	s_delay_alu instid0(VALU_DEP_2)
	v_cmp_le_u64_e32 vcc_lo, s[36:37], v[21:22]
	v_cmpx_gt_u64_e64 s[36:37], v[21:22]
	s_cbranch_execz .LBB198_63
; %bb.65:                               ;   in Loop: Header=BB198_64 Depth=2
	v_mul_lo_u32 v17, v22, s30
	v_mul_lo_u32 v24, v21, s31
	v_mad_u64_u32 v[33:34], null, v21, s30, 0
	s_delay_alu instid0(VALU_DEP_1) | instskip(NEXT) | instid1(VALU_DEP_1)
	v_add3_u32 v34, v34, v24, v17
	v_lshlrev_b64 v[33:34], 2, v[33:34]
	s_delay_alu instid0(VALU_DEP_1) | instskip(NEXT) | instid1(VALU_DEP_1)
	v_add_co_u32 v33, s7, s29, v33
	v_add_co_ci_u32_e64 v34, s7, s33, v34, s7
	global_load_b32 v17, v[33:34], off
	s_branch .LBB198_63
.LBB198_66:                             ;   in Loop: Header=BB198_18 Depth=1
                                        ; implicit-def: $vgpr8_vgpr9
                                        ; implicit-def: $vgpr4_vgpr5
	s_cbranch_execnz .LBB198_69
	s_branch .LBB198_78
.LBB198_67:                             ;   in Loop: Header=BB198_18 Depth=1
	s_or_b32 exec_lo, exec_lo, s12
.LBB198_68:                             ;   in Loop: Header=BB198_18 Depth=1
	s_delay_alu instid0(SALU_CYCLE_1)
	s_or_b32 exec_lo, exec_lo, s11
	s_branch .LBB198_78
.LBB198_69:                             ;   in Loop: Header=BB198_18 Depth=1
	global_load_u16 v8, v13, s[72:73]
	s_mov_b64 s[76:77], 0
	s_mov_b32 s61, exec_lo
	s_waitcnt vmcnt(0)
	v_readfirstlane_b32 s7, v8
	v_and_b32_e32 v17, 0xffff, v8
	s_delay_alu instid0(VALU_DEP_2) | instskip(NEXT) | instid1(SALU_CYCLE_1)
	s_and_b32 s7, 0xffff, s7
	s_lshl_b32 s60, s7, 2
	s_delay_alu instid0(SALU_CYCLE_1) | instskip(SKIP_1) | instid1(VALU_DEP_1)
	v_cvt_f32_u32_e32 v2, s60
	s_sub_i32 s8, 0, s60
	v_rcp_iflag_f32_e32 v2, v2
	s_waitcnt_depctr 0xfff
	v_mul_f32_e32 v2, 0x4f7ffffe, v2
	s_delay_alu instid0(VALU_DEP_1) | instskip(NEXT) | instid1(VALU_DEP_1)
	v_cvt_u32_f32_e32 v2, v2
	v_readfirstlane_b32 s7, v2
	v_mov_b32_e32 v2, 0
	v_mov_b32_e32 v3, 0
	s_delay_alu instid0(VALU_DEP_3) | instskip(NEXT) | instid1(VALU_DEP_1)
	s_mul_i32 s8, s8, s7
	v_dual_mov_b32 v5, v3 :: v_dual_mov_b32 v4, v2
	s_mul_hi_u32 s8, s7, s8
	v_dual_mov_b32 v7, v3 :: v_dual_mov_b32 v6, v2
	s_add_i32 s7, s7, s8
	v_dual_mov_b32 v9, v3 :: v_dual_mov_b32 v8, v2
	s_mul_hi_u32 s7, s74, s7
	s_delay_alu instid0(SALU_CYCLE_1) | instskip(NEXT) | instid1(SALU_CYCLE_1)
	s_mul_i32 s7, s7, s60
	s_sub_i32 s7, s74, s7
	s_delay_alu instid0(SALU_CYCLE_1) | instskip(SKIP_2) | instid1(SALU_CYCLE_1)
	s_sub_i32 s8, s7, s60
	s_cmp_ge_u32 s7, s60
	s_cselect_b32 s7, s8, s7
	s_sub_i32 s8, s7, s60
	s_cmp_ge_u32 s7, s60
	s_cselect_b32 s7, s8, s7
	s_delay_alu instid0(SALU_CYCLE_1) | instskip(NEXT) | instid1(SALU_CYCLE_1)
	s_sub_i32 s70, s74, s7
	v_cmpx_gt_u32_e64 s70, v14
	s_cbranch_execz .LBB198_73
; %bb.70:                               ;   in Loop: Header=BB198_18 Depth=1
	v_dual_mov_b32 v23, v29 :: v_dual_lshlrev_b32 v12, 4, v17
	v_dual_mov_b32 v22, v15 :: v_dual_mov_b32 v21, v14
	s_and_b32 s68, s101, 0xfe
	s_mov_b32 s69, 0
	s_mov_b64 s[78:79], 0
	s_mov_b64 s[80:81], 0
	;; [unrolled: 1-line block ×3, first 2 shown]
.LBB198_71:                             ;   Parent Loop BB198_18 Depth=1
                                        ; =>  This Inner Loop Header: Depth=2
	ds_load_b128 v[2:5], v23
	s_waitcnt lgkmcnt(0)
	v_cmp_lt_i32_e32 vcc_lo, -1, v2
	v_cmp_lt_i32_e64 s7, -1, v3
	v_cmp_lt_i32_e64 s8, -1, v4
	v_cmp_lt_i32_e64 s9, -1, v5
	v_cmp_o_f32_e64 s13, v2, v2
	v_cndmask_b32_e64 v6, -1, 0x80000000, vcc_lo
	v_cndmask_b32_e64 v7, -1, 0x80000000, s7
	v_cndmask_b32_e64 v8, -1, 0x80000000, s8
	v_cmp_o_f32_e64 s10, v3, v3
	v_cmp_o_f32_e64 s11, v4, v4
	v_xor_b32_e32 v2, v6, v2
	v_cndmask_b32_e64 v6, -1, 0x80000000, s9
	v_xor_b32_e32 v3, v7, v3
	v_xor_b32_e32 v4, v8, v4
	v_cmp_o_f32_e64 s12, v5, v5
	v_cndmask_b32_e64 v2, -1, v2, s13
	v_xor_b32_e32 v5, v6, v5
	v_cndmask_b32_e64 v3, -1, v3, s10
	v_cndmask_b32_e64 v4, -1, v4, s11
	v_add_co_u32 v21, vcc_lo, v21, s60
	s_delay_alu instid0(VALU_DEP_4)
	v_cndmask_b32_e64 v5, -1, v5, s12
	v_and_b32_e32 v6, v2, v31
	v_and_b32_e32 v7, v3, v31
	v_bfe_u32 v2, v2, s68, 2
	v_bfe_u32 v3, v3, s68, 2
	v_and_b32_e32 v8, v4, v31
	v_bfe_u32 v4, v4, s68, 2
	v_cmp_eq_u32_e64 s7, v6, v32
	v_and_b32_e32 v6, v5, v31
	v_bfe_u32 v5, v5, s68, 2
	v_cmp_eq_u32_e64 s8, v7, v32
	v_cmp_eq_u32_e64 s11, 0, v2
	;; [unrolled: 1-line block ×7, first 2 shown]
	s_and_b32 s11, s7, s11
	s_and_b32 s12, s8, s12
	v_cmp_eq_u32_e64 s15, 1, v2
	v_cmp_eq_u32_e64 s16, 1, v3
	;; [unrolled: 1-line block ×6, first 2 shown]
	s_and_b32 s13, s9, s13
	v_cndmask_b32_e64 v2, 0, 1, s11
	v_cndmask_b32_e64 v3, 0, 1, s12
	v_cmp_eq_u32_e64 s17, 1, v4
	v_cmp_eq_u32_e64 s21, 2, v4
	;; [unrolled: 1-line block ×3, first 2 shown]
	s_and_b32 s14, s10, s14
	v_cndmask_b32_e64 v4, 0, 1, s13
	v_cmp_eq_u32_e64 s18, 1, v5
	v_cmp_eq_u32_e64 s22, 2, v5
	;; [unrolled: 1-line block ×3, first 2 shown]
	v_cndmask_b32_e64 v5, 0, 1, s14
	v_cmp_ne_u32_e64 s11, 0, v2
	v_cmp_ne_u32_e64 s12, 0, v3
	;; [unrolled: 1-line block ×3, first 2 shown]
	v_add_co_ci_u32_e32 v22, vcc_lo, 0, v22, vcc_lo
	v_cmp_ne_u32_e64 s14, 0, v5
	s_bcnt1_i32_b32 s11, s11
	s_bcnt1_i32_b32 s12, s12
	;; [unrolled: 1-line block ×3, first 2 shown]
	s_add_i32 s11, s12, s11
	s_bcnt1_i32_b32 s14, s14
	s_add_i32 s11, s11, s13
	v_cmp_le_u64_e32 vcc_lo, s[70:71], v[21:22]
	s_add_i32 s11, s11, s14
	s_delay_alu instid0(SALU_CYCLE_1)
	s_add_u32 s82, s82, s11
	s_addc_u32 s83, s83, 0
	s_and_b32 s11, s7, s15
	s_and_b32 s12, s8, s16
	;; [unrolled: 1-line block ×3, first 2 shown]
	v_cndmask_b32_e64 v2, 0, 1, s11
	v_cndmask_b32_e64 v3, 0, 1, s12
	s_and_b32 s14, s10, s18
	v_cndmask_b32_e64 v4, 0, 1, s13
	v_cndmask_b32_e64 v5, 0, 1, s14
	v_cmp_ne_u32_e64 s11, 0, v2
	v_cmp_ne_u32_e64 s12, 0, v3
	v_add_nc_u32_e32 v23, v23, v12
	v_cmp_ne_u32_e64 s13, 0, v4
	v_cmp_ne_u32_e64 s14, 0, v5
	s_bcnt1_i32_b32 s11, s11
	s_bcnt1_i32_b32 s12, s12
	s_delay_alu instid0(VALU_DEP_2) | instskip(SKIP_3) | instid1(SALU_CYCLE_1)
	s_bcnt1_i32_b32 s13, s13
	s_add_i32 s11, s12, s11
	s_bcnt1_i32_b32 s14, s14
	s_add_i32 s11, s11, s13
	s_add_i32 s11, s11, s14
	s_delay_alu instid0(SALU_CYCLE_1)
	s_add_u32 s80, s80, s11
	s_addc_u32 s81, s81, 0
	s_and_b32 s11, s7, s19
	s_and_b32 s12, s8, s20
	;; [unrolled: 1-line block ×3, first 2 shown]
	v_cndmask_b32_e64 v2, 0, 1, s11
	v_cndmask_b32_e64 v3, 0, 1, s12
	s_and_b32 s14, s10, s22
	v_cndmask_b32_e64 v4, 0, 1, s13
	v_cndmask_b32_e64 v5, 0, 1, s14
	v_cmp_ne_u32_e64 s11, 0, v2
	v_cmp_ne_u32_e64 s12, 0, v3
	s_delay_alu instid0(VALU_DEP_4) | instskip(NEXT) | instid1(VALU_DEP_4)
	v_cmp_ne_u32_e64 s13, 0, v4
	v_cmp_ne_u32_e64 s14, 0, v5
	s_delay_alu instid0(VALU_DEP_4) | instskip(NEXT) | instid1(VALU_DEP_3)
	s_bcnt1_i32_b32 s11, s11
	s_bcnt1_i32_b32 s12, s12
	s_delay_alu instid0(VALU_DEP_2) | instskip(SKIP_3) | instid1(SALU_CYCLE_1)
	s_bcnt1_i32_b32 s13, s13
	s_add_i32 s11, s12, s11
	s_bcnt1_i32_b32 s14, s14
	s_add_i32 s11, s11, s13
	s_add_i32 s11, s11, s14
	s_delay_alu instid0(SALU_CYCLE_1)
	s_add_u32 s78, s78, s11
	s_addc_u32 s79, s79, 0
	s_and_b32 s7, s7, s23
	s_and_b32 s8, s8, s24
	;; [unrolled: 1-line block ×3, first 2 shown]
	v_cndmask_b32_e64 v2, 0, 1, s7
	v_cndmask_b32_e64 v3, 0, 1, s8
	s_and_b32 s10, s10, s26
	v_cndmask_b32_e64 v4, 0, 1, s9
	v_cndmask_b32_e64 v5, 0, 1, s10
	v_cmp_ne_u32_e64 s7, 0, v2
	v_cmp_ne_u32_e64 s8, 0, v3
	v_mov_b32_e32 v2, s82
	v_cmp_ne_u32_e64 s9, 0, v4
	v_cmp_ne_u32_e64 s10, 0, v5
	s_bcnt1_i32_b32 s7, s7
	s_bcnt1_i32_b32 s8, s8
	v_mov_b32_e32 v4, s80
	s_bcnt1_i32_b32 s9, s9
	s_add_i32 s7, s8, s7
	s_bcnt1_i32_b32 s8, s10
	s_add_i32 s7, s7, s9
	v_mov_b32_e32 v3, s83
	s_add_i32 s7, s7, s8
	v_mov_b32_e32 v5, s81
	s_add_u32 s76, s76, s7
	s_addc_u32 s77, s77, 0
	v_mov_b32_e32 v6, s78
	v_dual_mov_b32 v8, s76 :: v_dual_mov_b32 v9, s77
	v_mov_b32_e32 v7, s79
	s_or_b32 s69, vcc_lo, s69
	s_delay_alu instid0(SALU_CYCLE_1)
	s_and_not1_b32 exec_lo, exec_lo, s69
	s_cbranch_execnz .LBB198_71
; %bb.72:                               ;   in Loop: Header=BB198_18 Depth=1
	s_or_b32 exec_lo, exec_lo, s69
.LBB198_73:                             ;   in Loop: Header=BB198_18 Depth=1
	s_delay_alu instid0(SALU_CYCLE_1) | instskip(SKIP_2) | instid1(VALU_DEP_1)
	s_or_b32 exec_lo, exec_lo, s61
	v_add_nc_u32_e32 v12, s70, v0
	s_mov_b32 s14, exec_lo
	v_cmpx_gt_u32_e64 s74, v12
	s_cbranch_execz .LBB198_77
; %bb.74:                               ;   in Loop: Header=BB198_18 Depth=1
	v_dual_mov_b32 v22, v13 :: v_dual_lshlrev_b32 v23, 2, v12
	v_mov_b32_e32 v21, v12
	s_mov_b32 s13, 0
	s_and_b32 s12, s74, 0x7fffffff
	s_and_b32 s16, s101, 0xfe
	s_mov_b32 s15, s13
.LBB198_75:                             ;   Parent Loop BB198_18 Depth=1
                                        ; =>  This Inner Loop Header: Depth=2
	ds_load_b32 v12, v23
	v_add_co_u32 v21, vcc_lo, v21, v17
	v_add_co_ci_u32_e32 v22, vcc_lo, 0, v22, vcc_lo
	v_add_nc_u32_e32 v23, s60, v23
	s_delay_alu instid0(VALU_DEP_2) | instskip(SKIP_2) | instid1(VALU_DEP_1)
	v_cmp_le_u64_e32 vcc_lo, s[12:13], v[21:22]
	s_waitcnt lgkmcnt(0)
	v_cmp_lt_i32_e64 s7, -1, v12
	v_cndmask_b32_e64 v24, -1, 0x80000000, s7
	v_cmp_o_f32_e64 s7, v12, v12
	s_delay_alu instid0(VALU_DEP_2) | instskip(NEXT) | instid1(VALU_DEP_1)
	v_xor_b32_e32 v24, v24, v12
	v_cndmask_b32_e64 v12, -1, v24, s7
	s_delay_alu instid0(VALU_DEP_1) | instskip(SKIP_1) | instid1(VALU_DEP_2)
	v_and_b32_e32 v24, v12, v31
	v_bfe_u32 v12, v12, s16, 2
	v_cmp_eq_u32_e64 s7, v24, v32
	s_delay_alu instid0(VALU_DEP_2) | instskip(SKIP_3) | instid1(VALU_DEP_4)
	v_cmp_eq_u32_e64 s8, 0, v12
	v_cmp_eq_u32_e64 s9, 1, v12
	;; [unrolled: 1-line block ×4, first 2 shown]
	s_and_b32 s8, s7, s8
	s_delay_alu instid0(SALU_CYCLE_1) | instskip(SKIP_1) | instid1(SALU_CYCLE_1)
	v_cndmask_b32_e64 v12, 0, 1, s8
	s_and_b32 s8, s7, s9
	v_cndmask_b32_e64 v24, 0, 1, s8
	s_and_b32 s8, s7, s10
	s_and_b32 s7, s7, s11
	v_cndmask_b32_e64 v33, 0, 1, s8
	v_cndmask_b32_e64 v34, 0, 1, s7
	v_cmp_ne_u32_e64 s7, 0, v12
	v_cmp_ne_u32_e64 s8, 0, v24
	s_delay_alu instid0(VALU_DEP_4) | instskip(NEXT) | instid1(VALU_DEP_4)
	v_cmp_ne_u32_e64 s9, 0, v33
	v_cmp_ne_u32_e64 s10, 0, v34
	s_delay_alu instid0(VALU_DEP_4) | instskip(NEXT) | instid1(VALU_DEP_3)
	s_bcnt1_i32_b32 s7, s7
	s_bcnt1_i32_b32 s8, s8
	v_add_co_u32 v2, s7, v2, s7
	s_delay_alu instid0(VALU_DEP_1)
	v_add_co_ci_u32_e64 v3, s7, 0, v3, s7
	v_add_co_u32 v4, s7, v4, s8
	s_bcnt1_i32_b32 s9, s9
	v_add_co_ci_u32_e64 v5, s7, 0, v5, s7
	v_add_co_u32 v6, s7, v6, s9
	s_bcnt1_i32_b32 s10, s10
	v_add_co_ci_u32_e64 v7, s7, 0, v7, s7
	v_add_co_u32 v8, s7, v8, s10
	s_delay_alu instid0(VALU_DEP_1) | instskip(SKIP_1) | instid1(SALU_CYCLE_1)
	v_add_co_ci_u32_e64 v9, s7, 0, v9, s7
	s_or_b32 s15, vcc_lo, s15
	s_and_not1_b32 exec_lo, exec_lo, s15
	s_cbranch_execnz .LBB198_75
; %bb.76:                               ;   in Loop: Header=BB198_18 Depth=1
	s_or_b32 exec_lo, exec_lo, s15
.LBB198_77:                             ;   in Loop: Header=BB198_18 Depth=1
	s_delay_alu instid0(SALU_CYCLE_1)
	s_or_b32 exec_lo, exec_lo, s14
.LBB198_78:                             ;   in Loop: Header=BB198_18 Depth=1
	s_lshl_b32 s7, s97, 7
	s_and_saveexec_b32 s8, s2
	s_cbranch_execz .LBB198_80
; %bb.79:                               ;   in Loop: Header=BB198_18 Depth=1
	v_or_b32_e32 v12, s7, v27
	s_delay_alu instid0(VALU_DEP_1)
	v_lshlrev_b32_e32 v12, 3, v12
	ds_store_b128 v12, v[2:5] offset:3072
	ds_store_b128 v12, v[6:9] offset:3088
.LBB198_80:                             ;   in Loop: Header=BB198_18 Depth=1
	s_or_b32 exec_lo, exec_lo, s8
	s_waitcnt vmcnt(0) lgkmcnt(0)
	s_barrier
	buffer_gl0_inv
	s_and_saveexec_b32 s8, s84
	s_cbranch_execz .LBB198_91
; %bb.81:                               ;   in Loop: Header=BB198_18 Depth=1
	v_mov_b32_e32 v2, 0
	v_mov_b32_e32 v3, 0
	s_and_not1_b32 vcc_lo, exec_lo, s92
	s_cbranch_vccnz .LBB198_90
; %bb.82:                               ;   in Loop: Header=BB198_18 Depth=1
	v_mov_b32_e32 v2, 0
	v_mov_b32_e32 v3, 0
	s_and_not1_b32 vcc_lo, exec_lo, s90
	s_cbranch_vccnz .LBB198_87
; %bb.83:                               ;   in Loop: Header=BB198_18 Depth=1
	v_lshl_add_u32 v4, s97, 10, v30
	s_mov_b32 s9, 0
	s_set_inst_prefetch_distance 0x1
	.p2align	6
.LBB198_84:                             ;   Parent Loop BB198_18 Depth=1
                                        ; =>  This Inner Loop Header: Depth=2
	ds_load_2addr_b64 v[5:8], v4 offset1:4
	ds_load_2addr_b64 v[21:24], v4 offset0:8 offset1:12
	ds_load_2addr_b64 v[33:36], v4 offset0:16 offset1:20
	s_add_i32 s9, s9, 8
	s_delay_alu instid0(SALU_CYCLE_1) | instskip(SKIP_3) | instid1(VALU_DEP_2)
	s_cmp_eq_u32 s91, s9
	s_waitcnt lgkmcnt(2)
	v_add_co_u32 v2, vcc_lo, v5, v2
	v_add_co_ci_u32_e32 v3, vcc_lo, v6, v3, vcc_lo
	v_add_co_u32 v2, vcc_lo, v7, v2
	s_delay_alu instid0(VALU_DEP_2)
	v_add_co_ci_u32_e32 v3, vcc_lo, v8, v3, vcc_lo
	ds_load_2addr_b64 v[5:8], v4 offset0:24 offset1:28
	s_waitcnt lgkmcnt(2)
	v_add_co_u32 v2, vcc_lo, v21, v2
	v_add_co_ci_u32_e32 v3, vcc_lo, v22, v3, vcc_lo
	v_add_nc_u32_e32 v4, 0x100, v4
	s_delay_alu instid0(VALU_DEP_3) | instskip(NEXT) | instid1(VALU_DEP_3)
	v_add_co_u32 v2, vcc_lo, v23, v2
	v_add_co_ci_u32_e32 v3, vcc_lo, v24, v3, vcc_lo
	s_waitcnt lgkmcnt(1)
	s_delay_alu instid0(VALU_DEP_2) | instskip(NEXT) | instid1(VALU_DEP_2)
	v_add_co_u32 v2, vcc_lo, v33, v2
	v_add_co_ci_u32_e32 v3, vcc_lo, v34, v3, vcc_lo
	s_delay_alu instid0(VALU_DEP_2) | instskip(NEXT) | instid1(VALU_DEP_2)
	v_add_co_u32 v2, vcc_lo, v35, v2
	v_add_co_ci_u32_e32 v3, vcc_lo, v36, v3, vcc_lo
	s_waitcnt lgkmcnt(0)
	s_delay_alu instid0(VALU_DEP_2) | instskip(NEXT) | instid1(VALU_DEP_2)
	v_add_co_u32 v2, vcc_lo, v5, v2
	v_add_co_ci_u32_e32 v3, vcc_lo, v6, v3, vcc_lo
	s_delay_alu instid0(VALU_DEP_2) | instskip(NEXT) | instid1(VALU_DEP_2)
	v_add_co_u32 v2, vcc_lo, v7, v2
	v_add_co_ci_u32_e32 v3, vcc_lo, v8, v3, vcc_lo
	s_cbranch_scc0 .LBB198_84
; %bb.85:                               ;   in Loop: Header=BB198_18 Depth=1
	s_set_inst_prefetch_distance 0x2
	s_mov_b32 s9, s91
	s_and_not1_b32 vcc_lo, exec_lo, s93
	s_cbranch_vccz .LBB198_88
	s_branch .LBB198_90
.LBB198_86:                             ;   in Loop: Header=BB198_18 Depth=1
                                        ; implicit-def: $vgpr2_vgpr3
	s_branch .LBB198_54
.LBB198_87:                             ;   in Loop: Header=BB198_18 Depth=1
	s_mov_b32 s9, 0
	s_and_not1_b32 vcc_lo, exec_lo, s93
	s_cbranch_vccnz .LBB198_90
.LBB198_88:                             ;   in Loop: Header=BB198_18 Depth=1
	s_lshl_b32 s10, s97, 10
	s_lshl_b32 s9, s9, 5
	s_delay_alu instid0(SALU_CYCLE_1)
	v_add3_u32 v4, s10, s9, v30
	s_mov_b32 s9, s89
.LBB198_89:                             ;   Parent Loop BB198_18 Depth=1
                                        ; =>  This Inner Loop Header: Depth=2
	ds_load_b64 v[5:6], v4
	v_add_nc_u32_e32 v4, 32, v4
	s_add_i32 s9, s9, -1
	s_delay_alu instid0(SALU_CYCLE_1)
	s_cmp_lg_u32 s9, 0
	s_waitcnt lgkmcnt(0)
	v_add_co_u32 v2, vcc_lo, v5, v2
	v_add_co_ci_u32_e32 v3, vcc_lo, v6, v3, vcc_lo
	s_cbranch_scc1 .LBB198_89
.LBB198_90:                             ;   in Loop: Header=BB198_18 Depth=1
	v_add_lshl_u32 v4, s7, v26, 3
	ds_store_b64 v4, v[2:3] offset:3072
.LBB198_91:                             ;   in Loop: Header=BB198_18 Depth=1
	s_or_b32 exec_lo, exec_lo, s8
	s_lshl_b32 s7, s7, 3
	s_waitcnt lgkmcnt(0)
	v_mov_b32_e32 v6, s7
	s_barrier
	buffer_gl0_inv
	s_and_b32 s22, s101, 0xfe
	v_cmp_eq_u64_e64 s7, 1, v[19:20]
	ds_load_b128 v[2:5], v6 offset:3072
	ds_load_b128 v[6:9], v6 offset:3088
	s_lshl_b32 s20, 3, s22
	s_and_not1_b32 vcc_lo, exec_lo, s59
	s_not_b32 s21, s20
	s_waitcnt lgkmcnt(1)
	v_readfirstlane_b32 s11, v3
	v_readfirstlane_b32 s10, v2
	;; [unrolled: 1-line block ×4, first 2 shown]
	s_waitcnt lgkmcnt(0)
	v_readfirstlane_b32 s15, v7
	v_readfirstlane_b32 s14, v6
	;; [unrolled: 1-line block ×4, first 2 shown]
	s_cbranch_vccnz .LBB198_107
; %bb.92:                               ;   in Loop: Header=BB198_18 Depth=1
	s_cmp_eq_u64 s[10:11], 1
	v_dual_mov_b32 v21, v32 :: v_dual_mov_b32 v22, v31
	v_mov_b32_e32 v5, v18
	s_cselect_b32 s8, -1, 0
                                        ; implicit-def: $sgpr23
                                        ; implicit-def: $sgpr74
                                        ; implicit-def: $sgpr70
	s_delay_alu instid0(SALU_CYCLE_1)
	s_and_b32 s60, s8, s7
	s_mov_b32 s8, -1
	s_and_saveexec_b32 s24, s60
	s_cbranch_execz .LBB198_126
; %bb.93:                               ;   in Loop: Header=BB198_18 Depth=1
	ds_load_b64 v[2:3], v13 offset:5120
	s_waitcnt lgkmcnt(0)
	s_barrier
	buffer_gl0_inv
	v_readfirstlane_b32 s18, v2
	v_readfirstlane_b32 s19, v3
	s_and_saveexec_b32 s8, s6
	s_cbranch_execz .LBB198_95
; %bb.94:                               ;   in Loop: Header=BB198_18 Depth=1
	ds_store_b32 v28, v13
.LBB198_95:                             ;   in Loop: Header=BB198_18 Depth=1
	s_or_b32 exec_lo, exec_lo, s8
	v_and_b32_e32 v21, s21, v32
	v_or_b32_e32 v22, s20, v31
	s_cmp_eq_u64 s[18:19], 0
	s_waitcnt lgkmcnt(0)
	s_barrier
	buffer_gl0_inv
	s_cbranch_scc1 .LBB198_109
; %bb.96:                               ;   in Loop: Header=BB198_18 Depth=1
	s_add_u32 s23, s86, s18
	s_addc_u32 s9, s87, s19
	s_mov_b32 s8, s71
	s_delay_alu instid0(SALU_CYCLE_1)
	s_cmp_lg_u64 s[8:9], 0
	s_cbranch_scc0 .LBB198_153
; %bb.97:                               ;   in Loop: Header=BB198_18 Depth=1
	v_cvt_f32_u32_e32 v2, s35
	s_sub_u32 s26, 0, s35
	s_subb_u32 s48, 0, 0
	s_delay_alu instid0(VALU_DEP_1) | instskip(NEXT) | instid1(VALU_DEP_1)
	v_fmac_f32_e64 v2, 0, 0x4f800000
	v_rcp_f32_e32 v2, v2
	s_waitcnt_depctr 0xfff
	v_mul_f32_e32 v2, 0x5f7ffffc, v2
	s_delay_alu instid0(VALU_DEP_1) | instskip(NEXT) | instid1(VALU_DEP_1)
	v_mul_f32_e32 v3, 0x2f800000, v2
	v_trunc_f32_e32 v3, v3
	s_delay_alu instid0(VALU_DEP_1) | instskip(SKIP_1) | instid1(VALU_DEP_2)
	v_fmac_f32_e32 v2, 0xcf800000, v3
	v_cvt_u32_f32_e32 v3, v3
	v_cvt_u32_f32_e32 v2, v2
	s_delay_alu instid0(VALU_DEP_2) | instskip(NEXT) | instid1(VALU_DEP_2)
	v_readfirstlane_b32 s8, v3
	v_readfirstlane_b32 s25, v2
	s_delay_alu instid0(VALU_DEP_2) | instskip(NEXT) | instid1(VALU_DEP_1)
	s_mul_i32 s49, s26, s8
	s_mul_hi_u32 s51, s26, s25
	s_mul_i32 s50, s48, s25
	s_add_i32 s49, s51, s49
	s_mul_i32 s52, s26, s25
	s_add_i32 s49, s49, s50
	s_mul_hi_u32 s51, s25, s52
	s_mul_hi_u32 s53, s8, s52
	s_mul_i32 s50, s8, s52
	s_mul_hi_u32 s52, s25, s49
	s_mul_i32 s25, s25, s49
	s_mul_hi_u32 s54, s8, s49
	s_add_u32 s25, s51, s25
	s_addc_u32 s51, 0, s52
	s_add_u32 s25, s25, s50
	s_mul_i32 s49, s8, s49
	s_addc_u32 s25, s51, s53
	s_addc_u32 s50, s54, 0
	s_add_u32 s25, s25, s49
	s_addc_u32 s49, 0, s50
	v_add_co_u32 v2, s25, v2, s25
	s_delay_alu instid0(VALU_DEP_1) | instskip(SKIP_1) | instid1(VALU_DEP_1)
	s_cmp_lg_u32 s25, 0
	s_addc_u32 s8, s8, s49
	v_readfirstlane_b32 s25, v2
	s_mul_i32 s49, s26, s8
	s_delay_alu instid0(VALU_DEP_1)
	s_mul_hi_u32 s50, s26, s25
	s_mul_i32 s48, s48, s25
	s_add_i32 s49, s50, s49
	s_mul_i32 s26, s26, s25
	s_add_i32 s49, s49, s48
	s_mul_hi_u32 s50, s8, s26
	s_mul_i32 s51, s8, s26
	s_mul_hi_u32 s26, s25, s26
	s_mul_hi_u32 s52, s25, s49
	s_mul_i32 s25, s25, s49
	s_mul_hi_u32 s48, s8, s49
	s_add_u32 s25, s26, s25
	s_addc_u32 s26, 0, s52
	s_add_u32 s25, s25, s51
	s_mul_i32 s49, s8, s49
	s_addc_u32 s25, s26, s50
	s_addc_u32 s26, s48, 0
	s_add_u32 s25, s25, s49
	s_addc_u32 s26, 0, s26
	v_add_co_u32 v2, s25, v2, s25
	s_delay_alu instid0(VALU_DEP_1) | instskip(SKIP_1) | instid1(VALU_DEP_1)
	s_cmp_lg_u32 s25, 0
	s_addc_u32 s8, s8, s26
	v_readfirstlane_b32 s25, v2
	s_mul_i32 s48, s23, s8
	s_mul_hi_u32 s26, s23, s8
	s_mul_hi_u32 s49, s9, s8
	s_mul_i32 s8, s9, s8
	s_mul_hi_u32 s50, s23, s25
	s_mul_hi_u32 s51, s9, s25
	s_mul_i32 s25, s9, s25
	s_add_u32 s48, s50, s48
	s_addc_u32 s26, 0, s26
	s_add_u32 s25, s48, s25
	s_addc_u32 s25, s26, s51
	s_addc_u32 s26, s49, 0
	s_add_u32 s8, s25, s8
	s_addc_u32 s25, 0, s26
	s_mul_hi_u32 s26, s35, s8
	s_mul_i32 s8, s35, s8
	s_mul_i32 s25, s35, s25
	v_sub_co_u32 v2, s8, s23, s8
	s_add_i32 s26, s26, s25
	s_cmp_lg_u32 s8, 0
	s_delay_alu instid0(VALU_DEP_1) | instskip(SKIP_2) | instid1(VALU_DEP_1)
	v_sub_co_u32 v3, s8, v2, s35
	s_subb_u32 s25, s9, s26
	s_cmp_lg_u32 s8, 0
	v_cmp_le_u32_e32 vcc_lo, s35, v3
	v_sub_co_u32 v4, s8, v3, s35
	s_subb_u32 s26, s25, 0
	s_cmp_lg_u32 s8, 0
	v_cndmask_b32_e64 v5, 0, -1, vcc_lo
	s_subb_u32 s8, s26, 0
	s_cmp_eq_u32 s26, 0
	v_mov_b32_e32 v7, s8
	s_cselect_b32 vcc_lo, -1, 0
	s_cmp_eq_u32 s25, 0
	v_cndmask_b32_e32 v5, -1, v5, vcc_lo
	v_cmp_le_u32_e32 vcc_lo, s35, v2
	s_cselect_b32 s8, -1, 0
	v_cndmask_b32_e64 v6, 0, -1, vcc_lo
	s_delay_alu instid0(VALU_DEP_3) | instskip(NEXT) | instid1(VALU_DEP_2)
	v_cmp_ne_u32_e32 vcc_lo, 0, v5
	v_cndmask_b32_e64 v5, -1, v6, s8
	v_cndmask_b32_e32 v6, s26, v7, vcc_lo
	v_cndmask_b32_e32 v4, v3, v4, vcc_lo
	s_delay_alu instid0(VALU_DEP_3) | instskip(NEXT) | instid1(VALU_DEP_3)
	v_cmp_ne_u32_e32 vcc_lo, 0, v5
	v_cndmask_b32_e32 v3, s25, v6, vcc_lo
	s_delay_alu instid0(VALU_DEP_3)
	v_cndmask_b32_e32 v2, v2, v4, vcc_lo
	s_cbranch_execnz .LBB198_99
.LBB198_98:                             ;   in Loop: Header=BB198_18 Depth=1
	v_cvt_f32_u32_e32 v2, s35
	s_sub_i32 s8, 0, s35
	s_delay_alu instid0(VALU_DEP_1) | instskip(SKIP_2) | instid1(VALU_DEP_1)
	v_rcp_iflag_f32_e32 v2, v2
	s_waitcnt_depctr 0xfff
	v_mul_f32_e32 v2, 0x4f7ffffe, v2
	v_cvt_u32_f32_e32 v2, v2
	s_delay_alu instid0(VALU_DEP_1) | instskip(NEXT) | instid1(VALU_DEP_1)
	v_mul_lo_u32 v3, s8, v2
	v_mul_hi_u32 v3, v2, v3
	s_delay_alu instid0(VALU_DEP_1) | instskip(NEXT) | instid1(VALU_DEP_1)
	v_add_nc_u32_e32 v2, v2, v3
	v_mul_hi_u32 v2, s23, v2
	s_delay_alu instid0(VALU_DEP_1) | instskip(NEXT) | instid1(VALU_DEP_1)
	v_mul_lo_u32 v2, v2, s35
	v_sub_nc_u32_e32 v2, s23, v2
	s_delay_alu instid0(VALU_DEP_1) | instskip(SKIP_1) | instid1(VALU_DEP_2)
	v_subrev_nc_u32_e32 v3, s35, v2
	v_cmp_le_u32_e32 vcc_lo, s35, v2
	v_cndmask_b32_e32 v2, v2, v3, vcc_lo
	s_delay_alu instid0(VALU_DEP_1) | instskip(SKIP_1) | instid1(VALU_DEP_2)
	v_subrev_nc_u32_e32 v3, s35, v2
	v_cmp_le_u32_e32 vcc_lo, s35, v2
	v_cndmask_b32_e32 v12, v2, v3, vcc_lo
	s_delay_alu instid0(VALU_DEP_1)
	v_dual_mov_b32 v2, v12 :: v_dual_mov_b32 v3, v13
.LBB198_99:                             ;   in Loop: Header=BB198_18 Depth=1
	s_delay_alu instid0(VALU_DEP_1) | instskip(NEXT) | instid1(VALU_DEP_2)
	v_sub_co_u32 v2, vcc_lo, s23, v2
	v_sub_co_ci_u32_e32 v3, vcc_lo, s9, v3, vcc_lo
	s_mov_b32 s8, 0
	s_mov_b32 s9, exec_lo
                                        ; implicit-def: $vgpr5
	s_delay_alu instid0(VALU_DEP_1)
	v_cmpx_gt_u64_e64 v[2:3], v[0:1]
	s_cbranch_execz .LBB198_111
; %bb.100:                              ;   in Loop: Header=BB198_18 Depth=1
	v_dual_mov_b32 v8, v14 :: v_dual_mov_b32 v7, v1
	v_mov_b32_e32 v6, v0
	s_mov_b32 s23, 0
                                        ; implicit-def: $sgpr25
	s_set_inst_prefetch_distance 0x1
	s_branch .LBB198_102
	.p2align	6
.LBB198_101:                            ;   in Loop: Header=BB198_102 Depth=2
	s_or_b32 exec_lo, exec_lo, s8
	s_waitcnt lgkmcnt(0)
	s_barrier
	buffer_gl0_inv
	ds_load_b64 v[4:5], v13 offset:3072
	v_add_co_u32 v6, vcc_lo, v6, s35
	v_add_co_ci_u32_e32 v7, vcc_lo, 0, v7, vcc_lo
	v_add_nc_u32_e32 v8, s94, v8
	s_waitcnt lgkmcnt(0)
	s_barrier
	s_delay_alu instid0(VALU_DEP_2) | instskip(SKIP_2) | instid1(VALU_DEP_1)
	v_cmp_ge_u64_e32 vcc_lo, v[6:7], v[2:3]
	buffer_gl0_inv
	v_cmp_neq_f32_e64 s8, 0, v4
	s_or_b32 s26, vcc_lo, s8
	s_delay_alu instid0(SALU_CYCLE_1) | instskip(NEXT) | instid1(SALU_CYCLE_1)
	s_and_b32 s26, exec_lo, s26
	s_or_b32 s23, s26, s23
	s_and_not1_b32 s25, s25, exec_lo
	s_and_b32 s8, s8, exec_lo
	s_delay_alu instid0(SALU_CYCLE_1)
	s_or_b32 s25, s25, s8
	s_and_not1_b32 exec_lo, exec_lo, s23
	s_cbranch_execz .LBB198_110
.LBB198_102:                            ;   Parent Loop BB198_18 Depth=1
                                        ; =>  This Inner Loop Header: Depth=2
	s_delay_alu instid0(VALU_DEP_1)
	v_cmp_gt_u64_e32 vcc_lo, s[18:19], v[6:7]
	v_mov_b32_e32 v17, 0
	s_and_saveexec_b32 s8, vcc_lo
	s_cbranch_execz .LBB198_104
; %bb.103:                              ;   in Loop: Header=BB198_102 Depth=2
	ds_load_b32 v17, v8
.LBB198_104:                            ;   in Loop: Header=BB198_102 Depth=2
	s_or_b32 exec_lo, exec_lo, s8
	s_and_saveexec_b32 s8, vcc_lo
	s_cbranch_execz .LBB198_101
; %bb.105:                              ;   in Loop: Header=BB198_102 Depth=2
	s_waitcnt lgkmcnt(0)
	v_cmp_lt_i32_e32 vcc_lo, -1, v17
	v_cndmask_b32_e64 v4, -1, 0x80000000, vcc_lo
	v_cmp_o_f32_e32 vcc_lo, v17, v17
	s_delay_alu instid0(VALU_DEP_2) | instskip(NEXT) | instid1(VALU_DEP_1)
	v_xor_b32_e32 v4, v4, v17
	v_cndmask_b32_e32 v4, -1, v4, vcc_lo
	s_delay_alu instid0(VALU_DEP_1) | instskip(NEXT) | instid1(VALU_DEP_1)
	v_and_b32_e32 v4, v4, v22
	v_cmp_eq_u32_e32 vcc_lo, v4, v21
	s_and_b32 exec_lo, exec_lo, vcc_lo
	s_cbranch_execz .LBB198_101
; %bb.106:                              ;   in Loop: Header=BB198_102 Depth=2
	ds_store_b64 v13, v[16:17] offset:3072
	s_branch .LBB198_101
.LBB198_107:                            ;   in Loop: Header=BB198_18 Depth=1
	s_mov_b32 s25, 0
	s_mov_b32 s24, 0
                                        ; implicit-def: $sgpr70
                                        ; implicit-def: $sgpr74
                                        ; implicit-def: $sgpr23
                                        ; implicit-def: $vgpr8
                                        ; implicit-def: $vgpr2_vgpr3
                                        ; implicit-def: $vgpr21
                                        ; implicit-def: $vgpr22
                                        ; implicit-def: $vgpr5
	s_cbranch_execnz .LBB198_290
.LBB198_108:                            ;   in Loop: Header=BB198_18 Depth=1
	s_mov_b32 s18, s23
	s_mov_b32 s19, s23
	s_and_saveexec_b32 s7, s25
	s_cbranch_execnz .LBB198_486
	s_branch .LBB198_487
.LBB198_109:                            ;   in Loop: Header=BB198_18 Depth=1
	s_mov_b32 s23, -1
	s_mov_b32 s8, 0
                                        ; implicit-def: $sgpr70
                                        ; implicit-def: $vgpr5
	s_mov_b32 s74, s23
	s_cbranch_execnz .LBB198_112
	s_branch .LBB198_125
.LBB198_110:                            ;   in Loop: Header=BB198_18 Depth=1
	s_set_inst_prefetch_distance 0x2
	s_or_b32 exec_lo, exec_lo, s23
	s_delay_alu instid0(SALU_CYCLE_1)
	s_and_b32 s8, s25, exec_lo
.LBB198_111:                            ;   in Loop: Header=BB198_18 Depth=1
	s_or_b32 exec_lo, exec_lo, s9
	s_mov_b32 s70, -1
	s_mov_b32 s23, 0
	s_delay_alu instid0(SALU_CYCLE_1)
	s_mov_b32 s74, s23
	s_branch .LBB198_125
.LBB198_112:                            ;   in Loop: Header=BB198_18 Depth=1
	s_mov_b32 s26, s71
	s_delay_alu instid0(SALU_CYCLE_1)
	s_cmp_lg_u64 s[26:27], 0
	s_cbranch_scc0 .LBB198_154
; %bb.113:                              ;   in Loop: Header=BB198_18 Depth=1
	v_cvt_f32_u32_e32 v2, s35
	s_sub_u32 s18, 0, s35
	s_subb_u32 s19, 0, 0
	s_delay_alu instid0(VALU_DEP_1) | instskip(NEXT) | instid1(VALU_DEP_1)
	v_fmac_f32_e64 v2, 0, 0x4f800000
	v_rcp_f32_e32 v2, v2
	s_waitcnt_depctr 0xfff
	v_mul_f32_e32 v2, 0x5f7ffffc, v2
	s_delay_alu instid0(VALU_DEP_1) | instskip(NEXT) | instid1(VALU_DEP_1)
	v_mul_f32_e32 v3, 0x2f800000, v2
	v_trunc_f32_e32 v3, v3
	s_delay_alu instid0(VALU_DEP_1) | instskip(SKIP_1) | instid1(VALU_DEP_2)
	v_fmac_f32_e32 v2, 0xcf800000, v3
	v_cvt_u32_f32_e32 v3, v3
	v_cvt_u32_f32_e32 v2, v2
	s_delay_alu instid0(VALU_DEP_2) | instskip(NEXT) | instid1(VALU_DEP_2)
	v_readfirstlane_b32 s8, v3
	v_readfirstlane_b32 s9, v2
	s_delay_alu instid0(VALU_DEP_2) | instskip(NEXT) | instid1(VALU_DEP_1)
	s_mul_i32 s23, s18, s8
	s_mul_hi_u32 s26, s18, s9
	s_mul_i32 s25, s19, s9
	s_add_i32 s23, s26, s23
	s_mul_i32 s48, s18, s9
	s_add_i32 s23, s23, s25
	s_mul_hi_u32 s26, s9, s48
	s_mul_hi_u32 s49, s8, s48
	s_mul_i32 s25, s8, s48
	s_mul_hi_u32 s48, s9, s23
	s_mul_i32 s9, s9, s23
	s_mul_hi_u32 s50, s8, s23
	s_add_u32 s9, s26, s9
	s_addc_u32 s26, 0, s48
	s_add_u32 s9, s9, s25
	s_mul_i32 s23, s8, s23
	s_addc_u32 s9, s26, s49
	s_addc_u32 s25, s50, 0
	s_add_u32 s9, s9, s23
	s_addc_u32 s23, 0, s25
	v_add_co_u32 v2, s9, v2, s9
	s_delay_alu instid0(VALU_DEP_1) | instskip(SKIP_1) | instid1(VALU_DEP_1)
	s_cmp_lg_u32 s9, 0
	s_addc_u32 s8, s8, s23
	v_readfirstlane_b32 s9, v2
	s_mul_i32 s23, s18, s8
	s_delay_alu instid0(VALU_DEP_1)
	s_mul_hi_u32 s25, s18, s9
	s_mul_i32 s19, s19, s9
	s_add_i32 s23, s25, s23
	s_mul_i32 s18, s18, s9
	s_add_i32 s23, s23, s19
	s_mul_hi_u32 s25, s8, s18
	s_mul_i32 s26, s8, s18
	s_mul_hi_u32 s18, s9, s18
	s_mul_hi_u32 s48, s9, s23
	s_mul_i32 s9, s9, s23
	s_mul_hi_u32 s19, s8, s23
	s_add_u32 s9, s18, s9
	s_addc_u32 s18, 0, s48
	s_add_u32 s9, s9, s26
	s_mul_i32 s23, s8, s23
	s_addc_u32 s9, s18, s25
	s_addc_u32 s18, s19, 0
	s_add_u32 s9, s9, s23
	s_addc_u32 s18, 0, s18
	v_add_co_u32 v2, s9, v2, s9
	s_delay_alu instid0(VALU_DEP_1) | instskip(SKIP_1) | instid1(VALU_DEP_1)
	s_cmp_lg_u32 s9, 0
	s_addc_u32 s8, s8, s18
	v_readfirstlane_b32 s9, v2
	s_mul_i32 s19, s88, s8
	s_mul_hi_u32 s18, s88, s8
	s_mul_hi_u32 s23, s27, s8
	s_mul_i32 s8, s27, s8
	s_mul_hi_u32 s25, s88, s9
	s_mul_hi_u32 s26, s27, s9
	s_mul_i32 s9, s27, s9
	s_add_u32 s19, s25, s19
	s_addc_u32 s18, 0, s18
	s_add_u32 s9, s19, s9
	s_addc_u32 s9, s18, s26
	s_addc_u32 s18, s23, 0
	s_add_u32 s8, s9, s8
	s_addc_u32 s9, 0, s18
	s_mul_hi_u32 s18, s35, s8
	s_mul_i32 s8, s35, s8
	s_mul_i32 s9, s35, s9
	v_sub_co_u32 v2, s8, s88, s8
	s_add_i32 s18, s18, s9
	s_cmp_lg_u32 s8, 0
	s_delay_alu instid0(VALU_DEP_1) | instskip(SKIP_2) | instid1(VALU_DEP_1)
	v_sub_co_u32 v3, s8, v2, s35
	s_subb_u32 s9, s27, s18
	s_cmp_lg_u32 s8, 0
	v_cmp_le_u32_e32 vcc_lo, s35, v3
	v_sub_co_u32 v4, s8, v3, s35
	s_subb_u32 s18, s9, 0
	s_cmp_lg_u32 s8, 0
	v_cndmask_b32_e64 v5, 0, -1, vcc_lo
	s_subb_u32 s8, s18, 0
	s_cmp_eq_u32 s18, 0
	v_mov_b32_e32 v7, s8
	s_cselect_b32 vcc_lo, -1, 0
	s_cmp_eq_u32 s9, 0
	v_cndmask_b32_e32 v5, -1, v5, vcc_lo
	v_cmp_le_u32_e32 vcc_lo, s35, v2
	s_cselect_b32 s8, -1, 0
	v_cndmask_b32_e64 v6, 0, -1, vcc_lo
	s_delay_alu instid0(VALU_DEP_3) | instskip(NEXT) | instid1(VALU_DEP_2)
	v_cmp_ne_u32_e32 vcc_lo, 0, v5
	v_cndmask_b32_e64 v5, -1, v6, s8
	v_cndmask_b32_e32 v6, s18, v7, vcc_lo
	v_cndmask_b32_e32 v4, v3, v4, vcc_lo
	s_delay_alu instid0(VALU_DEP_3) | instskip(NEXT) | instid1(VALU_DEP_3)
	v_cmp_ne_u32_e32 vcc_lo, 0, v5
	v_cndmask_b32_e32 v3, s9, v6, vcc_lo
	s_delay_alu instid0(VALU_DEP_3)
	v_cndmask_b32_e32 v2, v2, v4, vcc_lo
	s_cbranch_execnz .LBB198_115
.LBB198_114:                            ;   in Loop: Header=BB198_18 Depth=1
	v_cvt_f32_u32_e32 v2, s35
	s_sub_i32 s8, 0, s35
	s_delay_alu instid0(VALU_DEP_1) | instskip(SKIP_2) | instid1(VALU_DEP_1)
	v_rcp_iflag_f32_e32 v2, v2
	s_waitcnt_depctr 0xfff
	v_mul_f32_e32 v2, 0x4f7ffffe, v2
	v_cvt_u32_f32_e32 v2, v2
	s_delay_alu instid0(VALU_DEP_1) | instskip(NEXT) | instid1(VALU_DEP_1)
	v_mul_lo_u32 v3, s8, v2
	v_mul_hi_u32 v3, v2, v3
	s_delay_alu instid0(VALU_DEP_1) | instskip(NEXT) | instid1(VALU_DEP_1)
	v_add_nc_u32_e32 v2, v2, v3
	v_mul_hi_u32 v2, s88, v2
	s_delay_alu instid0(VALU_DEP_1) | instskip(NEXT) | instid1(VALU_DEP_1)
	v_mul_lo_u32 v2, v2, s35
	v_sub_nc_u32_e32 v2, s88, v2
	s_delay_alu instid0(VALU_DEP_1) | instskip(SKIP_1) | instid1(VALU_DEP_2)
	v_subrev_nc_u32_e32 v3, s35, v2
	v_cmp_le_u32_e32 vcc_lo, s35, v2
	v_cndmask_b32_e32 v2, v2, v3, vcc_lo
	s_delay_alu instid0(VALU_DEP_1) | instskip(SKIP_1) | instid1(VALU_DEP_2)
	v_subrev_nc_u32_e32 v3, s35, v2
	v_cmp_le_u32_e32 vcc_lo, s35, v2
	v_cndmask_b32_e32 v12, v2, v3, vcc_lo
	s_delay_alu instid0(VALU_DEP_1)
	v_dual_mov_b32 v2, v12 :: v_dual_mov_b32 v3, v13
.LBB198_115:                            ;   in Loop: Header=BB198_18 Depth=1
	s_delay_alu instid0(VALU_DEP_1) | instskip(NEXT) | instid1(VALU_DEP_2)
	v_sub_co_u32 v2, vcc_lo, s88, v2
	v_sub_co_ci_u32_e32 v3, vcc_lo, s27, v3, vcc_lo
	s_mov_b32 s8, 0
	s_mov_b32 s9, exec_lo
                                        ; implicit-def: $vgpr5
	s_delay_alu instid0(VALU_DEP_1)
	v_cmpx_gt_u64_e64 v[2:3], v[0:1]
	s_cbranch_execz .LBB198_124
; %bb.116:                              ;   in Loop: Header=BB198_18 Depth=1
	v_dual_mov_b32 v7, v1 :: v_dual_mov_b32 v6, v0
	s_mov_b32 s18, 0
                                        ; implicit-def: $sgpr19
	s_branch .LBB198_118
.LBB198_117:                            ;   in Loop: Header=BB198_118 Depth=2
	s_or_b32 exec_lo, exec_lo, s8
	s_waitcnt vmcnt(0) lgkmcnt(0)
	s_barrier
	buffer_gl0_inv
	ds_load_b64 v[4:5], v13 offset:3072
	v_add_co_u32 v6, vcc_lo, v6, s35
	v_add_co_ci_u32_e32 v7, vcc_lo, 0, v7, vcc_lo
	s_waitcnt lgkmcnt(0)
	s_barrier
	buffer_gl0_inv
	v_cmp_ge_u64_e32 vcc_lo, v[6:7], v[2:3]
	v_cmp_neq_f32_e64 s8, 0, v4
	s_delay_alu instid0(VALU_DEP_1) | instskip(NEXT) | instid1(SALU_CYCLE_1)
	s_or_b32 s23, vcc_lo, s8
	s_and_b32 s23, exec_lo, s23
	s_delay_alu instid0(SALU_CYCLE_1) | instskip(SKIP_2) | instid1(SALU_CYCLE_1)
	s_or_b32 s18, s23, s18
	s_and_not1_b32 s19, s19, exec_lo
	s_and_b32 s8, s8, exec_lo
	s_or_b32 s19, s19, s8
	s_and_not1_b32 exec_lo, exec_lo, s18
	s_cbranch_execz .LBB198_123
.LBB198_118:                            ;   Parent Loop BB198_18 Depth=1
                                        ; =>  This Inner Loop Header: Depth=2
	s_delay_alu instid0(VALU_DEP_1)
	v_cmp_gt_u64_e32 vcc_lo, s[36:37], v[6:7]
	v_mov_b32_e32 v17, 0
	s_and_saveexec_b32 s23, vcc_lo
	s_cbranch_execz .LBB198_120
; %bb.119:                              ;   in Loop: Header=BB198_118 Depth=2
	v_mul_lo_u32 v8, v7, s30
	v_mul_lo_u32 v9, v6, s31
	v_mad_u64_u32 v[4:5], null, v6, s30, 0
	s_delay_alu instid0(VALU_DEP_1) | instskip(NEXT) | instid1(VALU_DEP_1)
	v_add3_u32 v5, v5, v9, v8
	v_lshlrev_b64 v[4:5], 2, v[4:5]
	s_delay_alu instid0(VALU_DEP_1) | instskip(NEXT) | instid1(VALU_DEP_1)
	v_add_co_u32 v4, s8, s29, v4
	v_add_co_ci_u32_e64 v5, s8, s33, v5, s8
	global_load_b32 v17, v[4:5], off
.LBB198_120:                            ;   in Loop: Header=BB198_118 Depth=2
	s_or_b32 exec_lo, exec_lo, s23
	s_and_saveexec_b32 s8, vcc_lo
	s_cbranch_execz .LBB198_117
; %bb.121:                              ;   in Loop: Header=BB198_118 Depth=2
	s_waitcnt vmcnt(0)
	v_cmp_lt_i32_e32 vcc_lo, -1, v17
	v_cndmask_b32_e64 v4, -1, 0x80000000, vcc_lo
	v_cmp_o_f32_e32 vcc_lo, v17, v17
	s_delay_alu instid0(VALU_DEP_2) | instskip(NEXT) | instid1(VALU_DEP_1)
	v_xor_b32_e32 v4, v4, v17
	v_cndmask_b32_e32 v4, -1, v4, vcc_lo
	s_delay_alu instid0(VALU_DEP_1) | instskip(NEXT) | instid1(VALU_DEP_1)
	v_and_b32_e32 v4, v4, v22
	v_cmp_eq_u32_e32 vcc_lo, v4, v21
	s_and_b32 exec_lo, exec_lo, vcc_lo
	s_cbranch_execz .LBB198_117
; %bb.122:                              ;   in Loop: Header=BB198_118 Depth=2
	ds_store_b64 v13, v[16:17] offset:3072
	s_branch .LBB198_117
.LBB198_123:                            ;   in Loop: Header=BB198_18 Depth=1
	s_or_b32 exec_lo, exec_lo, s18
	s_delay_alu instid0(SALU_CYCLE_1)
	s_and_b32 s8, s19, exec_lo
.LBB198_124:                            ;   in Loop: Header=BB198_18 Depth=1
	s_or_b32 exec_lo, exec_lo, s9
	s_mov_b32 s74, -1
	s_mov_b32 s23, 0
	s_mov_b32 s70, 0
.LBB198_125:                            ;   in Loop: Header=BB198_18 Depth=1
	s_or_not1_b32 s8, s8, exec_lo
.LBB198_126:                            ;   in Loop: Header=BB198_18 Depth=1
	s_or_b32 exec_lo, exec_lo, s24
	s_mov_b32 s75, 0
	s_mov_b32 s25, 0
	;; [unrolled: 1-line block ×3, first 2 shown]
                                        ; implicit-def: $vgpr8
                                        ; implicit-def: $vgpr2_vgpr3
	s_and_saveexec_b32 s76, s8
	s_cbranch_execz .LBB198_289
; %bb.127:                              ;   in Loop: Header=BB198_18 Depth=1
	v_mov_b32_e32 v2, 1
	v_dual_mov_b32 v3, 0 :: v_dual_mov_b32 v8, 1
	s_xor_b32 s9, s60, -1
	s_delay_alu instid0(SALU_CYCLE_1)
	s_and_saveexec_b32 s8, s9
	s_cbranch_execz .LBB198_137
; %bb.128:                              ;   in Loop: Header=BB198_18 Depth=1
	s_mov_b32 s18, exec_lo
                                        ; implicit-def: $sgpr19
                                        ; implicit-def: $sgpr9
	v_cmpx_ge_u64_e64 s[10:11], v[19:20]
	s_xor_b32 s18, exec_lo, s18
	s_cbranch_execz .LBB198_134
; %bb.129:                              ;   in Loop: Header=BB198_18 Depth=1
	ds_load_b64 v[2:3], v13 offset:5120
	s_waitcnt lgkmcnt(0)
	v_cmp_ne_u64_e32 vcc_lo, 0, v[2:3]
	s_cbranch_vccnz .LBB198_133
; %bb.130:                              ;   in Loop: Header=BB198_18 Depth=1
	s_and_saveexec_b32 s9, s5
	s_cbranch_execz .LBB198_132
; %bb.131:                              ;   in Loop: Header=BB198_18 Depth=1
	v_dual_mov_b32 v2, s10 :: v_dual_mov_b32 v3, s11
	ds_store_b64 v13, v[2:3] offset:5128
.LBB198_132:                            ;   in Loop: Header=BB198_18 Depth=1
	s_or_b32 exec_lo, exec_lo, s9
	s_waitcnt lgkmcnt(0)
	s_barrier
	buffer_gl0_inv
.LBB198_133:                            ;   in Loop: Header=BB198_18 Depth=1
	v_and_b32_e32 v21, s21, v21
	v_or_b32_e32 v22, s20, v22
	s_mov_b32 s9, 0
	s_mov_b32 s19, 8
.LBB198_134:                            ;   in Loop: Header=BB198_18 Depth=1
	s_or_saveexec_b32 s18, s18
	v_mov_b32_e32 v2, v19
	v_dual_mov_b32 v8, s19 :: v_dual_mov_b32 v3, v20
	s_xor_b32 exec_lo, exec_lo, s18
; %bb.135:                              ;   in Loop: Header=BB198_18 Depth=1
	v_sub_co_u32 v2, vcc_lo, v19, s10
	v_subrev_co_ci_u32_e32 v3, vcc_lo, s11, v20, vcc_lo
	v_mov_b32_e32 v8, 0
	s_or_b32 s9, s9, exec_lo
; %bb.136:                              ;   in Loop: Header=BB198_18 Depth=1
	s_or_b32 exec_lo, exec_lo, s18
	s_delay_alu instid0(SALU_CYCLE_1)
	s_and_b32 s24, s9, exec_lo
.LBB198_137:                            ;   in Loop: Header=BB198_18 Depth=1
	s_or_b32 exec_lo, exec_lo, s8
	s_mov_b32 s25, -1
                                        ; implicit-def: $sgpr9
                                        ; implicit-def: $sgpr18
                                        ; implicit-def: $sgpr19
	s_and_saveexec_b32 s8, s24
	s_delay_alu instid0(SALU_CYCLE_1)
	s_xor_b32 s24, exec_lo, s8
	s_cbranch_execz .LBB198_286
; %bb.138:                              ;   in Loop: Header=BB198_18 Depth=1
	v_cmp_eq_u64_e32 vcc_lo, 1, v[2:3]
	s_cmp_eq_u64 s[12:13], 1
                                        ; implicit-def: $sgpr25
                                        ; implicit-def: $sgpr78
                                        ; implicit-def: $sgpr77
	s_cselect_b32 s8, -1, 0
	s_delay_alu instid0(SALU_CYCLE_1)
	s_and_b32 s68, s8, vcc_lo
	s_mov_b32 s8, -1
	s_and_saveexec_b32 s60, s68
	s_cbranch_execz .LBB198_172
; %bb.139:                              ;   in Loop: Header=BB198_18 Depth=1
	ds_load_b64 v[4:5], v13 offset:5120
	s_waitcnt lgkmcnt(0)
	s_barrier
	buffer_gl0_inv
	v_readfirstlane_b32 s18, v4
	v_readfirstlane_b32 s19, v5
	s_and_saveexec_b32 s8, s6
	s_cbranch_execz .LBB198_141
; %bb.140:                              ;   in Loop: Header=BB198_18 Depth=1
	ds_store_b32 v28, v13
.LBB198_141:                            ;   in Loop: Header=BB198_18 Depth=1
	s_or_b32 exec_lo, exec_lo, s8
	s_lshl_b32 s8, 1, s22
	v_or_b32_e32 v22, s20, v22
	v_and_or_b32 v21, v21, s21, s8
	s_cmp_eq_u64 s[18:19], 0
	s_waitcnt lgkmcnt(0)
	s_barrier
	buffer_gl0_inv
	s_cbranch_scc1 .LBB198_155
; %bb.142:                              ;   in Loop: Header=BB198_18 Depth=1
	s_add_u32 s25, s86, s18
	s_addc_u32 s9, s87, s19
	s_mov_b32 s8, s71
	s_delay_alu instid0(SALU_CYCLE_1)
	s_cmp_lg_u64 s[8:9], 0
	s_cbranch_scc0 .LBB198_199
; %bb.143:                              ;   in Loop: Header=BB198_18 Depth=1
	v_cvt_f32_u32_e32 v4, s35
	s_sub_u32 s61, 0, s35
	s_subb_u32 s62, 0, 0
	s_delay_alu instid0(VALU_DEP_1) | instskip(NEXT) | instid1(VALU_DEP_1)
	v_fmac_f32_e64 v4, 0, 0x4f800000
	v_rcp_f32_e32 v4, v4
	s_waitcnt_depctr 0xfff
	v_mul_f32_e32 v4, 0x5f7ffffc, v4
	s_delay_alu instid0(VALU_DEP_1) | instskip(NEXT) | instid1(VALU_DEP_1)
	v_mul_f32_e32 v5, 0x2f800000, v4
	v_trunc_f32_e32 v5, v5
	s_delay_alu instid0(VALU_DEP_1) | instskip(SKIP_1) | instid1(VALU_DEP_2)
	v_fmac_f32_e32 v4, 0xcf800000, v5
	v_cvt_u32_f32_e32 v5, v5
	v_cvt_u32_f32_e32 v4, v4
	s_delay_alu instid0(VALU_DEP_2) | instskip(NEXT) | instid1(VALU_DEP_2)
	v_readfirstlane_b32 s8, v5
	v_readfirstlane_b32 s26, v4
	s_delay_alu instid0(VALU_DEP_2) | instskip(NEXT) | instid1(VALU_DEP_1)
	s_mul_i32 s63, s61, s8
	s_mul_hi_u32 s77, s61, s26
	s_mul_i32 s69, s62, s26
	s_add_i32 s63, s77, s63
	s_mul_i32 s78, s61, s26
	s_add_i32 s63, s63, s69
	s_mul_hi_u32 s77, s26, s78
	s_mul_hi_u32 s79, s8, s78
	s_mul_i32 s69, s8, s78
	s_mul_hi_u32 s78, s26, s63
	s_mul_i32 s26, s26, s63
	s_mul_hi_u32 s80, s8, s63
	s_add_u32 s26, s77, s26
	s_addc_u32 s77, 0, s78
	s_add_u32 s26, s26, s69
	s_mul_i32 s63, s8, s63
	s_addc_u32 s26, s77, s79
	s_addc_u32 s69, s80, 0
	s_add_u32 s26, s26, s63
	s_addc_u32 s63, 0, s69
	v_add_co_u32 v4, s26, v4, s26
	s_delay_alu instid0(VALU_DEP_1) | instskip(SKIP_1) | instid1(VALU_DEP_1)
	s_cmp_lg_u32 s26, 0
	s_addc_u32 s8, s8, s63
	v_readfirstlane_b32 s26, v4
	s_mul_i32 s63, s61, s8
	s_delay_alu instid0(VALU_DEP_1)
	s_mul_hi_u32 s69, s61, s26
	s_mul_i32 s62, s62, s26
	s_add_i32 s63, s69, s63
	s_mul_i32 s61, s61, s26
	s_add_i32 s63, s63, s62
	s_mul_hi_u32 s69, s8, s61
	s_mul_i32 s77, s8, s61
	s_mul_hi_u32 s61, s26, s61
	s_mul_hi_u32 s78, s26, s63
	s_mul_i32 s26, s26, s63
	s_mul_hi_u32 s62, s8, s63
	s_add_u32 s26, s61, s26
	s_addc_u32 s61, 0, s78
	s_add_u32 s26, s26, s77
	s_mul_i32 s63, s8, s63
	s_addc_u32 s26, s61, s69
	s_addc_u32 s61, s62, 0
	s_add_u32 s26, s26, s63
	s_addc_u32 s61, 0, s61
	v_add_co_u32 v4, s26, v4, s26
	s_delay_alu instid0(VALU_DEP_1) | instskip(SKIP_1) | instid1(VALU_DEP_1)
	s_cmp_lg_u32 s26, 0
	s_addc_u32 s8, s8, s61
	v_readfirstlane_b32 s26, v4
	s_mul_i32 s62, s25, s8
	s_mul_hi_u32 s61, s25, s8
	s_mul_hi_u32 s63, s9, s8
	s_mul_i32 s8, s9, s8
	s_mul_hi_u32 s69, s25, s26
	s_mul_hi_u32 s77, s9, s26
	s_mul_i32 s26, s9, s26
	s_add_u32 s62, s69, s62
	s_addc_u32 s61, 0, s61
	s_add_u32 s26, s62, s26
	s_addc_u32 s26, s61, s77
	s_addc_u32 s61, s63, 0
	s_add_u32 s8, s26, s8
	s_addc_u32 s26, 0, s61
	s_mul_hi_u32 s61, s35, s8
	s_mul_i32 s8, s35, s8
	s_mul_i32 s26, s35, s26
	v_sub_co_u32 v4, s8, s25, s8
	s_add_i32 s61, s61, s26
	s_cmp_lg_u32 s8, 0
	s_delay_alu instid0(VALU_DEP_1) | instskip(SKIP_3) | instid1(VALU_DEP_2)
	v_sub_co_u32 v5, s8, v4, s35
	s_subb_u32 s26, s9, s61
	s_cmp_lg_u32 s8, 0
	v_cmp_le_u32_e32 vcc_lo, s35, v4
	v_cmp_le_u32_e64 s8, s35, v5
	v_sub_co_u32 v6, s61, v5, s35
	s_subb_u32 s62, s26, 0
	s_cmp_lg_u32 s61, 0
	s_delay_alu instid0(VALU_DEP_2)
	v_cndmask_b32_e64 v7, 0, -1, s8
	s_subb_u32 s61, s62, 0
	s_cmp_eq_u32 s62, 0
	v_mov_b32_e32 v9, s61
	v_cndmask_b32_e64 v8, 0, -1, vcc_lo
	s_cselect_b32 vcc_lo, -1, 0
	s_cmp_eq_u32 s26, 0
	v_cndmask_b32_e32 v7, -1, v7, vcc_lo
	s_cselect_b32 vcc_lo, -1, 0
	v_cndmask_b32_e32 v8, -1, v8, vcc_lo
	s_delay_alu instid0(VALU_DEP_2) | instskip(NEXT) | instid1(VALU_DEP_2)
	v_cmp_ne_u32_e32 vcc_lo, 0, v7
	v_cmp_ne_u32_e64 s8, 0, v8
	v_cndmask_b32_e32 v7, s62, v9, vcc_lo
	v_cndmask_b32_e32 v6, v5, v6, vcc_lo
	s_delay_alu instid0(VALU_DEP_2) | instskip(NEXT) | instid1(VALU_DEP_2)
	v_cndmask_b32_e64 v5, s26, v7, s8
	v_cndmask_b32_e64 v4, v4, v6, s8
	s_cbranch_execnz .LBB198_145
.LBB198_144:                            ;   in Loop: Header=BB198_18 Depth=1
	v_cvt_f32_u32_e32 v4, s35
	s_sub_i32 s8, 0, s35
	s_delay_alu instid0(VALU_DEP_1) | instskip(SKIP_2) | instid1(VALU_DEP_1)
	v_rcp_iflag_f32_e32 v4, v4
	s_waitcnt_depctr 0xfff
	v_mul_f32_e32 v4, 0x4f7ffffe, v4
	v_cvt_u32_f32_e32 v4, v4
	s_delay_alu instid0(VALU_DEP_1) | instskip(NEXT) | instid1(VALU_DEP_1)
	v_mul_lo_u32 v5, s8, v4
	v_mul_hi_u32 v5, v4, v5
	s_delay_alu instid0(VALU_DEP_1) | instskip(NEXT) | instid1(VALU_DEP_1)
	v_add_nc_u32_e32 v4, v4, v5
	v_mul_hi_u32 v4, s25, v4
	s_delay_alu instid0(VALU_DEP_1) | instskip(NEXT) | instid1(VALU_DEP_1)
	v_mul_lo_u32 v4, v4, s35
	v_sub_nc_u32_e32 v4, s25, v4
	s_delay_alu instid0(VALU_DEP_1) | instskip(SKIP_1) | instid1(VALU_DEP_2)
	v_subrev_nc_u32_e32 v5, s35, v4
	v_cmp_le_u32_e32 vcc_lo, s35, v4
	v_cndmask_b32_e32 v4, v4, v5, vcc_lo
	s_delay_alu instid0(VALU_DEP_1) | instskip(SKIP_1) | instid1(VALU_DEP_2)
	v_subrev_nc_u32_e32 v5, s35, v4
	v_cmp_le_u32_e32 vcc_lo, s35, v4
	v_cndmask_b32_e32 v12, v4, v5, vcc_lo
	s_delay_alu instid0(VALU_DEP_1)
	v_dual_mov_b32 v4, v12 :: v_dual_mov_b32 v5, v13
.LBB198_145:                            ;   in Loop: Header=BB198_18 Depth=1
	s_delay_alu instid0(VALU_DEP_1) | instskip(NEXT) | instid1(VALU_DEP_2)
	v_sub_co_u32 v6, vcc_lo, s25, v4
	v_sub_co_ci_u32_e32 v7, vcc_lo, s9, v5, vcc_lo
	s_mov_b32 s8, 0
	s_mov_b32 s9, exec_lo
                                        ; implicit-def: $vgpr5
	s_delay_alu instid0(VALU_DEP_1)
	v_cmpx_gt_u64_e64 v[6:7], v[0:1]
	s_cbranch_execz .LBB198_157
; %bb.146:                              ;   in Loop: Header=BB198_18 Depth=1
	v_dual_mov_b32 v12, v14 :: v_dual_mov_b32 v9, v1
	v_mov_b32_e32 v8, v0
	s_mov_b32 s25, 0
                                        ; implicit-def: $sgpr26
	s_set_inst_prefetch_distance 0x1
	s_branch .LBB198_148
	.p2align	6
.LBB198_147:                            ;   in Loop: Header=BB198_148 Depth=2
	s_or_b32 exec_lo, exec_lo, s8
	s_waitcnt lgkmcnt(0)
	s_barrier
	buffer_gl0_inv
	ds_load_b64 v[4:5], v13 offset:3072
	v_add_co_u32 v8, vcc_lo, v8, s35
	v_add_co_ci_u32_e32 v9, vcc_lo, 0, v9, vcc_lo
	v_add_nc_u32_e32 v12, s94, v12
	s_waitcnt lgkmcnt(0)
	s_barrier
	s_delay_alu instid0(VALU_DEP_2) | instskip(SKIP_2) | instid1(VALU_DEP_1)
	v_cmp_ge_u64_e32 vcc_lo, v[8:9], v[6:7]
	buffer_gl0_inv
	v_cmp_neq_f32_e64 s8, 0, v4
	s_or_b32 s61, vcc_lo, s8
	s_delay_alu instid0(SALU_CYCLE_1) | instskip(NEXT) | instid1(SALU_CYCLE_1)
	s_and_b32 s61, exec_lo, s61
	s_or_b32 s25, s61, s25
	s_and_not1_b32 s26, s26, exec_lo
	s_and_b32 s8, s8, exec_lo
	s_delay_alu instid0(SALU_CYCLE_1)
	s_or_b32 s26, s26, s8
	s_and_not1_b32 exec_lo, exec_lo, s25
	s_cbranch_execz .LBB198_156
.LBB198_148:                            ;   Parent Loop BB198_18 Depth=1
                                        ; =>  This Inner Loop Header: Depth=2
	s_delay_alu instid0(VALU_DEP_1)
	v_cmp_gt_u64_e32 vcc_lo, s[18:19], v[8:9]
	v_mov_b32_e32 v17, 0
	s_and_saveexec_b32 s8, vcc_lo
	s_cbranch_execz .LBB198_150
; %bb.149:                              ;   in Loop: Header=BB198_148 Depth=2
	ds_load_b32 v17, v12
.LBB198_150:                            ;   in Loop: Header=BB198_148 Depth=2
	s_or_b32 exec_lo, exec_lo, s8
	s_and_saveexec_b32 s8, vcc_lo
	s_cbranch_execz .LBB198_147
; %bb.151:                              ;   in Loop: Header=BB198_148 Depth=2
	s_waitcnt lgkmcnt(0)
	v_cmp_lt_i32_e32 vcc_lo, -1, v17
	v_cndmask_b32_e64 v4, -1, 0x80000000, vcc_lo
	v_cmp_o_f32_e32 vcc_lo, v17, v17
	s_delay_alu instid0(VALU_DEP_2) | instskip(NEXT) | instid1(VALU_DEP_1)
	v_xor_b32_e32 v4, v4, v17
	v_cndmask_b32_e32 v4, -1, v4, vcc_lo
	s_delay_alu instid0(VALU_DEP_1) | instskip(NEXT) | instid1(VALU_DEP_1)
	v_and_b32_e32 v4, v4, v22
	v_cmp_eq_u32_e32 vcc_lo, v4, v21
	s_and_b32 exec_lo, exec_lo, vcc_lo
	s_cbranch_execz .LBB198_147
; %bb.152:                              ;   in Loop: Header=BB198_148 Depth=2
	ds_store_b64 v13, v[16:17] offset:3072
	s_branch .LBB198_147
.LBB198_153:                            ;   in Loop: Header=BB198_18 Depth=1
                                        ; implicit-def: $vgpr2_vgpr3
	s_branch .LBB198_98
.LBB198_154:                            ;   in Loop: Header=BB198_18 Depth=1
                                        ; implicit-def: $vgpr2_vgpr3
	s_branch .LBB198_114
.LBB198_155:                            ;   in Loop: Header=BB198_18 Depth=1
	s_mov_b32 s25, -1
	s_mov_b32 s8, 0
                                        ; implicit-def: $sgpr77
                                        ; implicit-def: $vgpr5
	s_mov_b32 s78, s25
	s_cbranch_execnz .LBB198_158
	s_branch .LBB198_171
.LBB198_156:                            ;   in Loop: Header=BB198_18 Depth=1
	s_set_inst_prefetch_distance 0x2
	s_or_b32 exec_lo, exec_lo, s25
	s_delay_alu instid0(SALU_CYCLE_1)
	s_and_b32 s8, s26, exec_lo
.LBB198_157:                            ;   in Loop: Header=BB198_18 Depth=1
	s_or_b32 exec_lo, exec_lo, s9
	s_mov_b32 s77, -1
	s_mov_b32 s25, 0
	s_delay_alu instid0(SALU_CYCLE_1)
	s_mov_b32 s78, s25
	s_branch .LBB198_171
.LBB198_158:                            ;   in Loop: Header=BB198_18 Depth=1
	s_mov_b32 s26, s71
	s_delay_alu instid0(SALU_CYCLE_1)
	s_cmp_lg_u64 s[26:27], 0
	s_cbranch_scc0 .LBB198_200
; %bb.159:                              ;   in Loop: Header=BB198_18 Depth=1
	v_cvt_f32_u32_e32 v4, s35
	s_sub_u32 s18, 0, s35
	s_subb_u32 s19, 0, 0
	s_delay_alu instid0(VALU_DEP_1) | instskip(NEXT) | instid1(VALU_DEP_1)
	v_fmac_f32_e64 v4, 0, 0x4f800000
	v_rcp_f32_e32 v4, v4
	s_waitcnt_depctr 0xfff
	v_mul_f32_e32 v4, 0x5f7ffffc, v4
	s_delay_alu instid0(VALU_DEP_1) | instskip(NEXT) | instid1(VALU_DEP_1)
	v_mul_f32_e32 v5, 0x2f800000, v4
	v_trunc_f32_e32 v5, v5
	s_delay_alu instid0(VALU_DEP_1) | instskip(SKIP_1) | instid1(VALU_DEP_2)
	v_fmac_f32_e32 v4, 0xcf800000, v5
	v_cvt_u32_f32_e32 v5, v5
	v_cvt_u32_f32_e32 v4, v4
	s_delay_alu instid0(VALU_DEP_2) | instskip(NEXT) | instid1(VALU_DEP_2)
	v_readfirstlane_b32 s8, v5
	v_readfirstlane_b32 s9, v4
	s_delay_alu instid0(VALU_DEP_2) | instskip(NEXT) | instid1(VALU_DEP_1)
	s_mul_i32 s25, s18, s8
	s_mul_hi_u32 s61, s18, s9
	s_mul_i32 s26, s19, s9
	s_add_i32 s25, s61, s25
	s_mul_i32 s62, s18, s9
	s_add_i32 s25, s25, s26
	s_mul_hi_u32 s61, s9, s62
	s_mul_hi_u32 s63, s8, s62
	s_mul_i32 s26, s8, s62
	s_mul_hi_u32 s62, s9, s25
	s_mul_i32 s9, s9, s25
	s_mul_hi_u32 s69, s8, s25
	s_add_u32 s9, s61, s9
	s_addc_u32 s61, 0, s62
	s_add_u32 s9, s9, s26
	s_mul_i32 s25, s8, s25
	s_addc_u32 s9, s61, s63
	s_addc_u32 s26, s69, 0
	s_add_u32 s9, s9, s25
	s_addc_u32 s25, 0, s26
	v_add_co_u32 v4, s9, v4, s9
	s_delay_alu instid0(VALU_DEP_1) | instskip(SKIP_1) | instid1(VALU_DEP_1)
	s_cmp_lg_u32 s9, 0
	s_addc_u32 s8, s8, s25
	v_readfirstlane_b32 s9, v4
	s_mul_i32 s25, s18, s8
	s_delay_alu instid0(VALU_DEP_1)
	s_mul_hi_u32 s26, s18, s9
	s_mul_i32 s19, s19, s9
	s_add_i32 s25, s26, s25
	s_mul_i32 s18, s18, s9
	s_add_i32 s25, s25, s19
	s_mul_hi_u32 s26, s8, s18
	s_mul_i32 s61, s8, s18
	s_mul_hi_u32 s18, s9, s18
	s_mul_hi_u32 s62, s9, s25
	s_mul_i32 s9, s9, s25
	s_mul_hi_u32 s19, s8, s25
	s_add_u32 s9, s18, s9
	s_addc_u32 s18, 0, s62
	s_add_u32 s9, s9, s61
	s_mul_i32 s25, s8, s25
	s_addc_u32 s9, s18, s26
	s_addc_u32 s18, s19, 0
	s_add_u32 s9, s9, s25
	s_addc_u32 s18, 0, s18
	v_add_co_u32 v4, s9, v4, s9
	s_delay_alu instid0(VALU_DEP_1) | instskip(SKIP_1) | instid1(VALU_DEP_1)
	s_cmp_lg_u32 s9, 0
	s_addc_u32 s8, s8, s18
	v_readfirstlane_b32 s9, v4
	s_mul_i32 s19, s88, s8
	s_mul_hi_u32 s18, s88, s8
	s_mul_hi_u32 s25, s27, s8
	s_mul_i32 s8, s27, s8
	s_mul_hi_u32 s26, s88, s9
	s_mul_hi_u32 s61, s27, s9
	s_mul_i32 s9, s27, s9
	s_add_u32 s19, s26, s19
	s_addc_u32 s18, 0, s18
	s_add_u32 s9, s19, s9
	s_addc_u32 s9, s18, s61
	s_addc_u32 s18, s25, 0
	s_add_u32 s8, s9, s8
	s_addc_u32 s9, 0, s18
	s_mul_hi_u32 s18, s35, s8
	s_mul_i32 s8, s35, s8
	s_mul_i32 s9, s35, s9
	v_sub_co_u32 v4, s8, s88, s8
	s_add_i32 s18, s18, s9
	s_cmp_lg_u32 s8, 0
	s_delay_alu instid0(VALU_DEP_1) | instskip(SKIP_3) | instid1(VALU_DEP_2)
	v_sub_co_u32 v5, s8, v4, s35
	s_subb_u32 s9, s27, s18
	s_cmp_lg_u32 s8, 0
	v_cmp_le_u32_e32 vcc_lo, s35, v4
	v_cmp_le_u32_e64 s8, s35, v5
	v_sub_co_u32 v6, s18, v5, s35
	s_subb_u32 s19, s9, 0
	s_cmp_lg_u32 s18, 0
	s_delay_alu instid0(VALU_DEP_2)
	v_cndmask_b32_e64 v7, 0, -1, s8
	s_subb_u32 s18, s19, 0
	s_cmp_eq_u32 s19, 0
	v_mov_b32_e32 v9, s18
	v_cndmask_b32_e64 v8, 0, -1, vcc_lo
	s_cselect_b32 vcc_lo, -1, 0
	s_cmp_eq_u32 s9, 0
	v_cndmask_b32_e32 v7, -1, v7, vcc_lo
	s_cselect_b32 vcc_lo, -1, 0
	v_cndmask_b32_e32 v8, -1, v8, vcc_lo
	s_delay_alu instid0(VALU_DEP_2) | instskip(NEXT) | instid1(VALU_DEP_2)
	v_cmp_ne_u32_e32 vcc_lo, 0, v7
	v_cmp_ne_u32_e64 s8, 0, v8
	v_cndmask_b32_e32 v7, s19, v9, vcc_lo
	v_cndmask_b32_e32 v6, v5, v6, vcc_lo
	s_delay_alu instid0(VALU_DEP_2) | instskip(NEXT) | instid1(VALU_DEP_2)
	v_cndmask_b32_e64 v5, s9, v7, s8
	v_cndmask_b32_e64 v4, v4, v6, s8
	s_cbranch_execnz .LBB198_161
.LBB198_160:                            ;   in Loop: Header=BB198_18 Depth=1
	v_cvt_f32_u32_e32 v4, s35
	s_sub_i32 s8, 0, s35
	s_delay_alu instid0(VALU_DEP_1) | instskip(SKIP_2) | instid1(VALU_DEP_1)
	v_rcp_iflag_f32_e32 v4, v4
	s_waitcnt_depctr 0xfff
	v_mul_f32_e32 v4, 0x4f7ffffe, v4
	v_cvt_u32_f32_e32 v4, v4
	s_delay_alu instid0(VALU_DEP_1) | instskip(NEXT) | instid1(VALU_DEP_1)
	v_mul_lo_u32 v5, s8, v4
	v_mul_hi_u32 v5, v4, v5
	s_delay_alu instid0(VALU_DEP_1) | instskip(NEXT) | instid1(VALU_DEP_1)
	v_add_nc_u32_e32 v4, v4, v5
	v_mul_hi_u32 v4, s88, v4
	s_delay_alu instid0(VALU_DEP_1) | instskip(NEXT) | instid1(VALU_DEP_1)
	v_mul_lo_u32 v4, v4, s35
	v_sub_nc_u32_e32 v4, s88, v4
	s_delay_alu instid0(VALU_DEP_1) | instskip(SKIP_1) | instid1(VALU_DEP_2)
	v_subrev_nc_u32_e32 v5, s35, v4
	v_cmp_le_u32_e32 vcc_lo, s35, v4
	v_cndmask_b32_e32 v4, v4, v5, vcc_lo
	s_delay_alu instid0(VALU_DEP_1) | instskip(SKIP_1) | instid1(VALU_DEP_2)
	v_subrev_nc_u32_e32 v5, s35, v4
	v_cmp_le_u32_e32 vcc_lo, s35, v4
	v_cndmask_b32_e32 v12, v4, v5, vcc_lo
	s_delay_alu instid0(VALU_DEP_1)
	v_dual_mov_b32 v4, v12 :: v_dual_mov_b32 v5, v13
.LBB198_161:                            ;   in Loop: Header=BB198_18 Depth=1
	s_delay_alu instid0(VALU_DEP_1) | instskip(NEXT) | instid1(VALU_DEP_2)
	v_sub_co_u32 v6, vcc_lo, s88, v4
	v_sub_co_ci_u32_e32 v7, vcc_lo, s27, v5, vcc_lo
	s_mov_b32 s8, 0
	s_mov_b32 s9, exec_lo
                                        ; implicit-def: $vgpr5
	s_delay_alu instid0(VALU_DEP_1)
	v_cmpx_gt_u64_e64 v[6:7], v[0:1]
	s_cbranch_execz .LBB198_170
; %bb.162:                              ;   in Loop: Header=BB198_18 Depth=1
	v_dual_mov_b32 v9, v1 :: v_dual_mov_b32 v8, v0
	s_mov_b32 s18, 0
                                        ; implicit-def: $sgpr19
	s_branch .LBB198_164
.LBB198_163:                            ;   in Loop: Header=BB198_164 Depth=2
	s_or_b32 exec_lo, exec_lo, s8
	s_waitcnt vmcnt(0) lgkmcnt(0)
	s_barrier
	buffer_gl0_inv
	ds_load_b64 v[4:5], v13 offset:3072
	v_add_co_u32 v8, vcc_lo, v8, s35
	v_add_co_ci_u32_e32 v9, vcc_lo, 0, v9, vcc_lo
	s_waitcnt lgkmcnt(0)
	s_barrier
	buffer_gl0_inv
	v_cmp_ge_u64_e32 vcc_lo, v[8:9], v[6:7]
	v_cmp_neq_f32_e64 s8, 0, v4
	s_delay_alu instid0(VALU_DEP_1) | instskip(NEXT) | instid1(SALU_CYCLE_1)
	s_or_b32 s25, vcc_lo, s8
	s_and_b32 s25, exec_lo, s25
	s_delay_alu instid0(SALU_CYCLE_1) | instskip(SKIP_2) | instid1(SALU_CYCLE_1)
	s_or_b32 s18, s25, s18
	s_and_not1_b32 s19, s19, exec_lo
	s_and_b32 s8, s8, exec_lo
	s_or_b32 s19, s19, s8
	s_and_not1_b32 exec_lo, exec_lo, s18
	s_cbranch_execz .LBB198_169
.LBB198_164:                            ;   Parent Loop BB198_18 Depth=1
                                        ; =>  This Inner Loop Header: Depth=2
	s_delay_alu instid0(VALU_DEP_1)
	v_cmp_gt_u64_e32 vcc_lo, s[36:37], v[8:9]
	v_mov_b32_e32 v17, 0
	s_and_saveexec_b32 s25, vcc_lo
	s_cbranch_execz .LBB198_166
; %bb.165:                              ;   in Loop: Header=BB198_164 Depth=2
	v_mul_lo_u32 v12, v9, s30
	v_mul_lo_u32 v17, v8, s31
	v_mad_u64_u32 v[4:5], null, v8, s30, 0
	s_delay_alu instid0(VALU_DEP_1) | instskip(NEXT) | instid1(VALU_DEP_1)
	v_add3_u32 v5, v5, v17, v12
	v_lshlrev_b64 v[4:5], 2, v[4:5]
	s_delay_alu instid0(VALU_DEP_1) | instskip(NEXT) | instid1(VALU_DEP_1)
	v_add_co_u32 v4, s8, s29, v4
	v_add_co_ci_u32_e64 v5, s8, s33, v5, s8
	global_load_b32 v17, v[4:5], off
.LBB198_166:                            ;   in Loop: Header=BB198_164 Depth=2
	s_or_b32 exec_lo, exec_lo, s25
	s_and_saveexec_b32 s8, vcc_lo
	s_cbranch_execz .LBB198_163
; %bb.167:                              ;   in Loop: Header=BB198_164 Depth=2
	s_waitcnt vmcnt(0)
	v_cmp_lt_i32_e32 vcc_lo, -1, v17
	v_cndmask_b32_e64 v4, -1, 0x80000000, vcc_lo
	v_cmp_o_f32_e32 vcc_lo, v17, v17
	s_delay_alu instid0(VALU_DEP_2) | instskip(NEXT) | instid1(VALU_DEP_1)
	v_xor_b32_e32 v4, v4, v17
	v_cndmask_b32_e32 v4, -1, v4, vcc_lo
	s_delay_alu instid0(VALU_DEP_1) | instskip(NEXT) | instid1(VALU_DEP_1)
	v_and_b32_e32 v4, v4, v22
	v_cmp_eq_u32_e32 vcc_lo, v4, v21
	s_and_b32 exec_lo, exec_lo, vcc_lo
	s_cbranch_execz .LBB198_163
; %bb.168:                              ;   in Loop: Header=BB198_164 Depth=2
	ds_store_b64 v13, v[16:17] offset:3072
	s_branch .LBB198_163
.LBB198_169:                            ;   in Loop: Header=BB198_18 Depth=1
	s_or_b32 exec_lo, exec_lo, s18
	s_delay_alu instid0(SALU_CYCLE_1)
	s_and_b32 s8, s19, exec_lo
.LBB198_170:                            ;   in Loop: Header=BB198_18 Depth=1
	s_or_b32 exec_lo, exec_lo, s9
	s_mov_b32 s78, -1
	s_mov_b32 s25, 0
	s_mov_b32 s77, 0
.LBB198_171:                            ;   in Loop: Header=BB198_18 Depth=1
	s_or_not1_b32 s8, s8, exec_lo
.LBB198_172:                            ;   in Loop: Header=BB198_18 Depth=1
	s_or_b32 exec_lo, exec_lo, s60
	s_mov_b32 s26, 0
                                        ; implicit-def: $vgpr8
	s_and_saveexec_b32 s79, s8
	s_cbranch_execz .LBB198_285
; %bb.173:                              ;   in Loop: Header=BB198_18 Depth=1
	v_mov_b32_e32 v6, 1
	v_dual_mov_b32 v7, 0 :: v_dual_mov_b32 v8, 1
	s_xor_b32 s9, s68, -1
	s_delay_alu instid0(SALU_CYCLE_1)
	s_and_saveexec_b32 s8, s9
	s_cbranch_execz .LBB198_183
; %bb.174:                              ;   in Loop: Header=BB198_18 Depth=1
	s_mov_b32 s18, exec_lo
                                        ; implicit-def: $sgpr19
                                        ; implicit-def: $sgpr9
	v_cmpx_ge_u64_e64 s[12:13], v[2:3]
	s_xor_b32 s18, exec_lo, s18
	s_cbranch_execz .LBB198_180
; %bb.175:                              ;   in Loop: Header=BB198_18 Depth=1
	ds_load_b64 v[6:7], v13 offset:5120
	s_waitcnt lgkmcnt(0)
	v_cmp_ne_u64_e32 vcc_lo, 0, v[6:7]
	s_cbranch_vccnz .LBB198_179
; %bb.176:                              ;   in Loop: Header=BB198_18 Depth=1
	s_and_saveexec_b32 s9, s5
	s_cbranch_execz .LBB198_178
; %bb.177:                              ;   in Loop: Header=BB198_18 Depth=1
	v_dual_mov_b32 v6, s12 :: v_dual_mov_b32 v7, s13
	ds_store_b64 v13, v[6:7] offset:5128
.LBB198_178:                            ;   in Loop: Header=BB198_18 Depth=1
	s_or_b32 exec_lo, exec_lo, s9
	s_waitcnt lgkmcnt(0)
	s_barrier
	buffer_gl0_inv
.LBB198_179:                            ;   in Loop: Header=BB198_18 Depth=1
	s_lshl_b32 s9, 1, s22
	v_or_b32_e32 v22, s20, v22
	v_and_or_b32 v21, v21, s21, s9
	s_mov_b32 s9, 0
	s_mov_b32 s19, 8
.LBB198_180:                            ;   in Loop: Header=BB198_18 Depth=1
	s_or_saveexec_b32 s18, s18
	v_mov_b32_e32 v8, s19
	s_xor_b32 exec_lo, exec_lo, s18
; %bb.181:                              ;   in Loop: Header=BB198_18 Depth=1
	v_sub_co_u32 v2, vcc_lo, v2, s12
	v_subrev_co_ci_u32_e32 v3, vcc_lo, s13, v3, vcc_lo
	v_mov_b32_e32 v8, 0
	s_or_b32 s9, s9, exec_lo
; %bb.182:                              ;   in Loop: Header=BB198_18 Depth=1
	s_or_b32 exec_lo, exec_lo, s18
	s_delay_alu instid0(VALU_DEP_2)
	v_dual_mov_b32 v7, v3 :: v_dual_mov_b32 v6, v2
	s_and_b32 s26, s9, exec_lo
.LBB198_183:                            ;   in Loop: Header=BB198_18 Depth=1
	s_or_b32 exec_lo, exec_lo, s8
	s_mov_b32 s8, -1
                                        ; implicit-def: $sgpr9
                                        ; implicit-def: $sgpr18
                                        ; implicit-def: $sgpr19
	s_and_saveexec_b32 s80, s26
	s_cbranch_execz .LBB198_284
; %bb.184:                              ;   in Loop: Header=BB198_18 Depth=1
	v_cmp_eq_u64_e32 vcc_lo, 1, v[6:7]
	s_cmp_eq_u64 s[14:15], 1
                                        ; implicit-def: $sgpr81
                                        ; implicit-def: $sgpr83
                                        ; implicit-def: $sgpr82
	s_cselect_b32 s8, -1, 0
	s_delay_alu instid0(SALU_CYCLE_1)
	s_and_b32 s69, s8, vcc_lo
	s_mov_b32 s8, -1
	s_and_saveexec_b32 s60, s69
	s_cbranch_execz .LBB198_218
; %bb.185:                              ;   in Loop: Header=BB198_18 Depth=1
	ds_load_b64 v[2:3], v13 offset:5120
	s_waitcnt lgkmcnt(0)
	s_barrier
	buffer_gl0_inv
	v_readfirstlane_b32 s18, v2
	v_readfirstlane_b32 s19, v3
	s_and_saveexec_b32 s8, s6
	s_cbranch_execz .LBB198_187
; %bb.186:                              ;   in Loop: Header=BB198_18 Depth=1
	ds_store_b32 v28, v13
.LBB198_187:                            ;   in Loop: Header=BB198_18 Depth=1
	s_or_b32 exec_lo, exec_lo, s8
	s_lshl_b32 s8, 2, s22
	v_or_b32_e32 v22, s20, v22
	v_and_or_b32 v21, v21, s21, s8
	s_cmp_eq_u64 s[18:19], 0
	s_waitcnt lgkmcnt(0)
	s_barrier
	buffer_gl0_inv
	s_cbranch_scc1 .LBB198_201
; %bb.188:                              ;   in Loop: Header=BB198_18 Depth=1
	s_add_u32 s26, s86, s18
	s_addc_u32 s9, s87, s19
	s_mov_b32 s8, s71
	s_delay_alu instid0(SALU_CYCLE_1)
	s_cmp_lg_u64 s[8:9], 0
	s_cbranch_scc0 .LBB198_236
; %bb.189:                              ;   in Loop: Header=BB198_18 Depth=1
	v_cvt_f32_u32_e32 v2, s35
	s_sub_u32 s62, 0, s35
	s_subb_u32 s63, 0, 0
	s_delay_alu instid0(VALU_DEP_1) | instskip(NEXT) | instid1(VALU_DEP_1)
	v_fmac_f32_e64 v2, 0, 0x4f800000
	v_rcp_f32_e32 v2, v2
	s_waitcnt_depctr 0xfff
	v_mul_f32_e32 v2, 0x5f7ffffc, v2
	s_delay_alu instid0(VALU_DEP_1) | instskip(NEXT) | instid1(VALU_DEP_1)
	v_mul_f32_e32 v3, 0x2f800000, v2
	v_trunc_f32_e32 v3, v3
	s_delay_alu instid0(VALU_DEP_1) | instskip(SKIP_1) | instid1(VALU_DEP_2)
	v_fmac_f32_e32 v2, 0xcf800000, v3
	v_cvt_u32_f32_e32 v3, v3
	v_cvt_u32_f32_e32 v2, v2
	s_delay_alu instid0(VALU_DEP_2) | instskip(NEXT) | instid1(VALU_DEP_2)
	v_readfirstlane_b32 s8, v3
	v_readfirstlane_b32 s61, v2
	s_delay_alu instid0(VALU_DEP_2) | instskip(NEXT) | instid1(VALU_DEP_1)
	s_mul_i32 s68, s62, s8
	s_mul_hi_u32 s82, s62, s61
	s_mul_i32 s81, s63, s61
	s_add_i32 s68, s82, s68
	s_mul_i32 s83, s62, s61
	s_add_i32 s68, s68, s81
	s_mul_hi_u32 s82, s61, s83
	s_mul_hi_u32 vcc_lo, s8, s83
	s_mul_i32 s81, s8, s83
	s_mul_hi_u32 s83, s61, s68
	s_mul_i32 s61, s61, s68
	s_mul_hi_u32 s48, s8, s68
	s_add_u32 s50, s82, s61
	s_addc_u32 s51, 0, s83
	s_add_u32 s50, s50, s81
	s_mul_i32 s49, s8, s68
	s_addc_u32 s50, s51, vcc_lo
	s_addc_u32 s48, s48, 0
	s_add_u32 s49, s50, s49
	s_addc_u32 s48, 0, s48
	v_add_co_u32 v2, s49, v2, s49
	s_delay_alu instid0(VALU_DEP_1) | instskip(SKIP_1) | instid1(VALU_DEP_1)
	s_cmp_lg_u32 s49, 0
	s_addc_u32 s8, s8, s48
	v_readfirstlane_b32 s49, v2
	s_mul_i32 s48, s62, s8
	s_delay_alu instid0(VALU_DEP_1)
	s_mul_hi_u32 s50, s62, s49
	s_mul_i32 s63, s63, s49
	s_add_i32 s48, s50, s48
	s_mul_i32 s62, s62, s49
	s_add_i32 s48, s48, s63
	s_mul_hi_u32 s61, s49, s62
	s_mul_hi_u32 s63, s49, s48
	s_mul_i32 s49, s49, s48
	s_mul_i32 s51, s8, s62
	s_add_u32 s49, s61, s49
	s_mul_hi_u32 s50, s8, s62
	s_addc_u32 s61, 0, s63
	s_mul_hi_u32 s62, s8, s48
	s_add_u32 s49, s49, s51
	s_mul_i32 s48, s8, s48
	s_addc_u32 s49, s61, s50
	s_addc_u32 s50, s62, 0
	s_add_u32 s48, s49, s48
	s_addc_u32 s49, 0, s50
	v_add_co_u32 v2, s48, v2, s48
	s_delay_alu instid0(VALU_DEP_1) | instskip(SKIP_1) | instid1(VALU_DEP_1)
	s_cmp_lg_u32 s48, 0
	s_addc_u32 s8, s8, s49
	v_readfirstlane_b32 s48, v2
	s_mul_i32 s50, s26, s8
	s_mul_hi_u32 s49, s26, s8
	s_mul_hi_u32 s51, s9, s8
	s_mul_i32 s8, s9, s8
	s_mul_hi_u32 s61, s26, s48
	s_mul_hi_u32 s62, s9, s48
	s_mul_i32 s48, s9, s48
	s_add_u32 s50, s61, s50
	s_addc_u32 s49, 0, s49
	s_add_u32 s48, s50, s48
	s_addc_u32 s48, s49, s62
	s_addc_u32 s49, s51, 0
	s_add_u32 s8, s48, s8
	s_addc_u32 s48, 0, s49
	s_mul_hi_u32 s49, s35, s8
	s_mul_i32 s8, s35, s8
	s_mul_i32 s48, s35, s48
	v_sub_co_u32 v2, s8, s26, s8
	s_add_i32 s49, s49, s48
	s_cmp_lg_u32 s8, 0
	s_delay_alu instid0(VALU_DEP_1) | instskip(SKIP_3) | instid1(VALU_DEP_2)
	v_sub_co_u32 v3, s8, v2, s35
	s_subb_u32 s48, s9, s49
	s_cmp_lg_u32 s8, 0
	v_cmp_le_u32_e32 vcc_lo, s35, v2
	v_cmp_le_u32_e64 s8, s35, v3
	v_sub_co_u32 v4, s49, v3, s35
	s_subb_u32 s50, s48, 0
	s_cmp_lg_u32 s49, 0
	s_delay_alu instid0(VALU_DEP_2)
	v_cndmask_b32_e64 v5, 0, -1, s8
	s_subb_u32 s49, s50, 0
	s_cmp_eq_u32 s50, 0
	v_mov_b32_e32 v9, s49
	v_cndmask_b32_e64 v8, 0, -1, vcc_lo
	s_cselect_b32 vcc_lo, -1, 0
	s_cmp_eq_u32 s48, 0
	v_cndmask_b32_e32 v5, -1, v5, vcc_lo
	s_cselect_b32 vcc_lo, -1, 0
	v_cndmask_b32_e32 v8, -1, v8, vcc_lo
	s_delay_alu instid0(VALU_DEP_2) | instskip(NEXT) | instid1(VALU_DEP_2)
	v_cmp_ne_u32_e32 vcc_lo, 0, v5
	v_cmp_ne_u32_e64 s8, 0, v8
	v_cndmask_b32_e32 v5, s50, v9, vcc_lo
	v_cndmask_b32_e32 v4, v3, v4, vcc_lo
	s_delay_alu instid0(VALU_DEP_2) | instskip(NEXT) | instid1(VALU_DEP_2)
	v_cndmask_b32_e64 v3, s48, v5, s8
	v_cndmask_b32_e64 v2, v2, v4, s8
	s_cbranch_execnz .LBB198_191
.LBB198_190:                            ;   in Loop: Header=BB198_18 Depth=1
	v_cvt_f32_u32_e32 v2, s35
	s_sub_i32 s8, 0, s35
	s_delay_alu instid0(VALU_DEP_1) | instskip(SKIP_2) | instid1(VALU_DEP_1)
	v_rcp_iflag_f32_e32 v2, v2
	s_waitcnt_depctr 0xfff
	v_mul_f32_e32 v2, 0x4f7ffffe, v2
	v_cvt_u32_f32_e32 v2, v2
	s_delay_alu instid0(VALU_DEP_1) | instskip(NEXT) | instid1(VALU_DEP_1)
	v_mul_lo_u32 v3, s8, v2
	v_mul_hi_u32 v3, v2, v3
	s_delay_alu instid0(VALU_DEP_1) | instskip(NEXT) | instid1(VALU_DEP_1)
	v_add_nc_u32_e32 v2, v2, v3
	v_mul_hi_u32 v2, s26, v2
	s_delay_alu instid0(VALU_DEP_1) | instskip(NEXT) | instid1(VALU_DEP_1)
	v_mul_lo_u32 v2, v2, s35
	v_sub_nc_u32_e32 v2, s26, v2
	s_delay_alu instid0(VALU_DEP_1) | instskip(SKIP_1) | instid1(VALU_DEP_2)
	v_subrev_nc_u32_e32 v3, s35, v2
	v_cmp_le_u32_e32 vcc_lo, s35, v2
	v_cndmask_b32_e32 v2, v2, v3, vcc_lo
	s_delay_alu instid0(VALU_DEP_1) | instskip(SKIP_1) | instid1(VALU_DEP_2)
	v_subrev_nc_u32_e32 v3, s35, v2
	v_cmp_le_u32_e32 vcc_lo, s35, v2
	v_cndmask_b32_e32 v12, v2, v3, vcc_lo
	s_delay_alu instid0(VALU_DEP_1)
	v_dual_mov_b32 v2, v12 :: v_dual_mov_b32 v3, v13
.LBB198_191:                            ;   in Loop: Header=BB198_18 Depth=1
	s_delay_alu instid0(VALU_DEP_1) | instskip(NEXT) | instid1(VALU_DEP_2)
	v_sub_co_u32 v2, vcc_lo, s26, v2
	v_sub_co_ci_u32_e32 v3, vcc_lo, s9, v3, vcc_lo
	s_mov_b32 s8, 0
	s_mov_b32 s9, exec_lo
                                        ; implicit-def: $vgpr5
	s_delay_alu instid0(VALU_DEP_1)
	v_cmpx_gt_u64_e64 v[2:3], v[0:1]
	s_cbranch_execz .LBB198_203
; %bb.192:                              ;   in Loop: Header=BB198_18 Depth=1
	v_dual_mov_b32 v12, v14 :: v_dual_mov_b32 v9, v1
	v_mov_b32_e32 v8, v0
	s_mov_b32 s26, 0
                                        ; implicit-def: $sgpr61
	s_set_inst_prefetch_distance 0x1
	s_branch .LBB198_194
	.p2align	6
.LBB198_193:                            ;   in Loop: Header=BB198_194 Depth=2
	s_or_b32 exec_lo, exec_lo, s8
	s_waitcnt lgkmcnt(0)
	s_barrier
	buffer_gl0_inv
	ds_load_b64 v[4:5], v13 offset:3072
	v_add_co_u32 v8, vcc_lo, v8, s35
	v_add_co_ci_u32_e32 v9, vcc_lo, 0, v9, vcc_lo
	v_add_nc_u32_e32 v12, s94, v12
	s_waitcnt lgkmcnt(0)
	s_barrier
	s_delay_alu instid0(VALU_DEP_2) | instskip(SKIP_2) | instid1(VALU_DEP_1)
	v_cmp_ge_u64_e32 vcc_lo, v[8:9], v[2:3]
	buffer_gl0_inv
	v_cmp_neq_f32_e64 s8, 0, v4
	s_or_b32 s48, vcc_lo, s8
	s_delay_alu instid0(SALU_CYCLE_1) | instskip(NEXT) | instid1(SALU_CYCLE_1)
	s_and_b32 s48, exec_lo, s48
	s_or_b32 s26, s48, s26
	s_and_not1_b32 s48, s61, exec_lo
	s_and_b32 s8, s8, exec_lo
	s_delay_alu instid0(SALU_CYCLE_1)
	s_or_b32 s61, s48, s8
	s_and_not1_b32 exec_lo, exec_lo, s26
	s_cbranch_execz .LBB198_202
.LBB198_194:                            ;   Parent Loop BB198_18 Depth=1
                                        ; =>  This Inner Loop Header: Depth=2
	s_delay_alu instid0(VALU_DEP_1)
	v_cmp_gt_u64_e32 vcc_lo, s[18:19], v[8:9]
	v_mov_b32_e32 v17, 0
	s_and_saveexec_b32 s8, vcc_lo
	s_cbranch_execz .LBB198_196
; %bb.195:                              ;   in Loop: Header=BB198_194 Depth=2
	ds_load_b32 v17, v12
.LBB198_196:                            ;   in Loop: Header=BB198_194 Depth=2
	s_or_b32 exec_lo, exec_lo, s8
	s_and_saveexec_b32 s8, vcc_lo
	s_cbranch_execz .LBB198_193
; %bb.197:                              ;   in Loop: Header=BB198_194 Depth=2
	s_waitcnt lgkmcnt(0)
	v_cmp_lt_i32_e32 vcc_lo, -1, v17
	v_cndmask_b32_e64 v4, -1, 0x80000000, vcc_lo
	v_cmp_o_f32_e32 vcc_lo, v17, v17
	s_delay_alu instid0(VALU_DEP_2) | instskip(NEXT) | instid1(VALU_DEP_1)
	v_xor_b32_e32 v4, v4, v17
	v_cndmask_b32_e32 v4, -1, v4, vcc_lo
	s_delay_alu instid0(VALU_DEP_1) | instskip(NEXT) | instid1(VALU_DEP_1)
	v_and_b32_e32 v4, v4, v22
	v_cmp_eq_u32_e32 vcc_lo, v4, v21
	s_and_b32 exec_lo, exec_lo, vcc_lo
	s_cbranch_execz .LBB198_193
; %bb.198:                              ;   in Loop: Header=BB198_194 Depth=2
	ds_store_b64 v13, v[16:17] offset:3072
	s_branch .LBB198_193
.LBB198_199:                            ;   in Loop: Header=BB198_18 Depth=1
                                        ; implicit-def: $vgpr4_vgpr5
	s_branch .LBB198_144
.LBB198_200:                            ;   in Loop: Header=BB198_18 Depth=1
                                        ; implicit-def: $vgpr4_vgpr5
	s_branch .LBB198_160
.LBB198_201:                            ;   in Loop: Header=BB198_18 Depth=1
	s_mov_b32 s81, -1
	s_mov_b32 s8, 0
                                        ; implicit-def: $sgpr82
                                        ; implicit-def: $vgpr5
	s_mov_b32 s83, s81
	s_cbranch_execnz .LBB198_204
	s_branch .LBB198_217
.LBB198_202:                            ;   in Loop: Header=BB198_18 Depth=1
	s_set_inst_prefetch_distance 0x2
	s_or_b32 exec_lo, exec_lo, s26
	s_delay_alu instid0(SALU_CYCLE_1)
	s_and_b32 s8, s61, exec_lo
.LBB198_203:                            ;   in Loop: Header=BB198_18 Depth=1
	s_or_b32 exec_lo, exec_lo, s9
	s_mov_b32 s82, -1
	s_mov_b32 s81, 0
	s_delay_alu instid0(SALU_CYCLE_1)
	s_mov_b32 s83, s81
	s_branch .LBB198_217
.LBB198_204:                            ;   in Loop: Header=BB198_18 Depth=1
	s_mov_b32 s26, s71
	s_delay_alu instid0(SALU_CYCLE_1)
	s_cmp_lg_u64 s[26:27], 0
	s_cbranch_scc0 .LBB198_237
; %bb.205:                              ;   in Loop: Header=BB198_18 Depth=1
	v_cvt_f32_u32_e32 v2, s35
	s_sub_u32 s18, 0, s35
	s_subb_u32 s19, 0, 0
	s_delay_alu instid0(VALU_DEP_1) | instskip(NEXT) | instid1(VALU_DEP_1)
	v_fmac_f32_e64 v2, 0, 0x4f800000
	v_rcp_f32_e32 v2, v2
	s_waitcnt_depctr 0xfff
	v_mul_f32_e32 v2, 0x5f7ffffc, v2
	s_delay_alu instid0(VALU_DEP_1) | instskip(NEXT) | instid1(VALU_DEP_1)
	v_mul_f32_e32 v3, 0x2f800000, v2
	v_trunc_f32_e32 v3, v3
	s_delay_alu instid0(VALU_DEP_1) | instskip(SKIP_1) | instid1(VALU_DEP_2)
	v_fmac_f32_e32 v2, 0xcf800000, v3
	v_cvt_u32_f32_e32 v3, v3
	v_cvt_u32_f32_e32 v2, v2
	s_delay_alu instid0(VALU_DEP_2) | instskip(NEXT) | instid1(VALU_DEP_2)
	v_readfirstlane_b32 s8, v3
	v_readfirstlane_b32 s9, v2
	s_delay_alu instid0(VALU_DEP_2) | instskip(NEXT) | instid1(VALU_DEP_1)
	s_mul_i32 s26, s18, s8
	s_mul_hi_u32 s49, s18, s9
	s_mul_i32 s48, s19, s9
	s_add_i32 s26, s49, s26
	s_mul_i32 s50, s18, s9
	s_add_i32 s26, s26, s48
	s_mul_hi_u32 s49, s9, s50
	s_mul_hi_u32 s51, s8, s50
	s_mul_i32 s48, s8, s50
	s_mul_hi_u32 s50, s9, s26
	s_mul_i32 s9, s9, s26
	s_mul_hi_u32 s61, s8, s26
	s_add_u32 s9, s49, s9
	s_addc_u32 s49, 0, s50
	s_add_u32 s9, s9, s48
	s_mul_i32 s26, s8, s26
	s_addc_u32 s9, s49, s51
	s_addc_u32 s48, s61, 0
	s_add_u32 s9, s9, s26
	s_addc_u32 s26, 0, s48
	v_add_co_u32 v2, s9, v2, s9
	s_delay_alu instid0(VALU_DEP_1) | instskip(SKIP_1) | instid1(VALU_DEP_1)
	s_cmp_lg_u32 s9, 0
	s_addc_u32 s8, s8, s26
	v_readfirstlane_b32 s9, v2
	s_mul_i32 s26, s18, s8
	s_delay_alu instid0(VALU_DEP_1)
	s_mul_hi_u32 s48, s18, s9
	s_mul_i32 s19, s19, s9
	s_add_i32 s26, s48, s26
	s_mul_i32 s18, s18, s9
	s_add_i32 s26, s26, s19
	s_mul_hi_u32 s48, s8, s18
	s_mul_i32 s49, s8, s18
	s_mul_hi_u32 s18, s9, s18
	s_mul_hi_u32 s50, s9, s26
	s_mul_i32 s9, s9, s26
	s_mul_hi_u32 s19, s8, s26
	s_add_u32 s9, s18, s9
	s_addc_u32 s18, 0, s50
	s_add_u32 s9, s9, s49
	s_mul_i32 s26, s8, s26
	s_addc_u32 s9, s18, s48
	s_addc_u32 s18, s19, 0
	s_add_u32 s9, s9, s26
	s_addc_u32 s18, 0, s18
	v_add_co_u32 v2, s9, v2, s9
	s_delay_alu instid0(VALU_DEP_1) | instskip(SKIP_1) | instid1(VALU_DEP_1)
	s_cmp_lg_u32 s9, 0
	s_addc_u32 s8, s8, s18
	v_readfirstlane_b32 s9, v2
	s_mul_i32 s19, s88, s8
	s_mul_hi_u32 s18, s88, s8
	s_mul_hi_u32 s26, s27, s8
	s_mul_i32 s8, s27, s8
	s_mul_hi_u32 s48, s88, s9
	s_mul_hi_u32 s49, s27, s9
	s_mul_i32 s9, s27, s9
	s_add_u32 s19, s48, s19
	s_addc_u32 s18, 0, s18
	s_add_u32 s9, s19, s9
	s_addc_u32 s9, s18, s49
	s_addc_u32 s18, s26, 0
	s_add_u32 s8, s9, s8
	s_addc_u32 s9, 0, s18
	s_mul_hi_u32 s18, s35, s8
	s_mul_i32 s8, s35, s8
	s_mul_i32 s9, s35, s9
	v_sub_co_u32 v2, s8, s88, s8
	s_add_i32 s18, s18, s9
	s_cmp_lg_u32 s8, 0
	s_delay_alu instid0(VALU_DEP_1) | instskip(SKIP_3) | instid1(VALU_DEP_2)
	v_sub_co_u32 v3, s8, v2, s35
	s_subb_u32 s9, s27, s18
	s_cmp_lg_u32 s8, 0
	v_cmp_le_u32_e32 vcc_lo, s35, v2
	v_cmp_le_u32_e64 s8, s35, v3
	v_sub_co_u32 v4, s18, v3, s35
	s_subb_u32 s19, s9, 0
	s_cmp_lg_u32 s18, 0
	s_delay_alu instid0(VALU_DEP_2)
	v_cndmask_b32_e64 v5, 0, -1, s8
	s_subb_u32 s18, s19, 0
	s_cmp_eq_u32 s19, 0
	v_mov_b32_e32 v9, s18
	v_cndmask_b32_e64 v8, 0, -1, vcc_lo
	s_cselect_b32 vcc_lo, -1, 0
	s_cmp_eq_u32 s9, 0
	v_cndmask_b32_e32 v5, -1, v5, vcc_lo
	s_cselect_b32 vcc_lo, -1, 0
	v_cndmask_b32_e32 v8, -1, v8, vcc_lo
	s_delay_alu instid0(VALU_DEP_2) | instskip(NEXT) | instid1(VALU_DEP_2)
	v_cmp_ne_u32_e32 vcc_lo, 0, v5
	v_cmp_ne_u32_e64 s8, 0, v8
	v_cndmask_b32_e32 v5, s19, v9, vcc_lo
	v_cndmask_b32_e32 v4, v3, v4, vcc_lo
	s_delay_alu instid0(VALU_DEP_2) | instskip(NEXT) | instid1(VALU_DEP_2)
	v_cndmask_b32_e64 v3, s9, v5, s8
	v_cndmask_b32_e64 v2, v2, v4, s8
	s_cbranch_execnz .LBB198_207
.LBB198_206:                            ;   in Loop: Header=BB198_18 Depth=1
	v_cvt_f32_u32_e32 v2, s35
	s_sub_i32 s8, 0, s35
	s_delay_alu instid0(VALU_DEP_1) | instskip(SKIP_2) | instid1(VALU_DEP_1)
	v_rcp_iflag_f32_e32 v2, v2
	s_waitcnt_depctr 0xfff
	v_mul_f32_e32 v2, 0x4f7ffffe, v2
	v_cvt_u32_f32_e32 v2, v2
	s_delay_alu instid0(VALU_DEP_1) | instskip(NEXT) | instid1(VALU_DEP_1)
	v_mul_lo_u32 v3, s8, v2
	v_mul_hi_u32 v3, v2, v3
	s_delay_alu instid0(VALU_DEP_1) | instskip(NEXT) | instid1(VALU_DEP_1)
	v_add_nc_u32_e32 v2, v2, v3
	v_mul_hi_u32 v2, s88, v2
	s_delay_alu instid0(VALU_DEP_1) | instskip(NEXT) | instid1(VALU_DEP_1)
	v_mul_lo_u32 v2, v2, s35
	v_sub_nc_u32_e32 v2, s88, v2
	s_delay_alu instid0(VALU_DEP_1) | instskip(SKIP_1) | instid1(VALU_DEP_2)
	v_subrev_nc_u32_e32 v3, s35, v2
	v_cmp_le_u32_e32 vcc_lo, s35, v2
	v_cndmask_b32_e32 v2, v2, v3, vcc_lo
	s_delay_alu instid0(VALU_DEP_1) | instskip(SKIP_1) | instid1(VALU_DEP_2)
	v_subrev_nc_u32_e32 v3, s35, v2
	v_cmp_le_u32_e32 vcc_lo, s35, v2
	v_cndmask_b32_e32 v12, v2, v3, vcc_lo
	s_delay_alu instid0(VALU_DEP_1)
	v_dual_mov_b32 v2, v12 :: v_dual_mov_b32 v3, v13
.LBB198_207:                            ;   in Loop: Header=BB198_18 Depth=1
	s_delay_alu instid0(VALU_DEP_1) | instskip(NEXT) | instid1(VALU_DEP_2)
	v_sub_co_u32 v2, vcc_lo, s88, v2
	v_sub_co_ci_u32_e32 v3, vcc_lo, s27, v3, vcc_lo
	s_mov_b32 s8, 0
	s_mov_b32 s9, exec_lo
                                        ; implicit-def: $vgpr5
	s_delay_alu instid0(VALU_DEP_1)
	v_cmpx_gt_u64_e64 v[2:3], v[0:1]
	s_cbranch_execz .LBB198_216
; %bb.208:                              ;   in Loop: Header=BB198_18 Depth=1
	v_dual_mov_b32 v9, v1 :: v_dual_mov_b32 v8, v0
	s_mov_b32 s18, 0
                                        ; implicit-def: $sgpr19
	s_branch .LBB198_210
.LBB198_209:                            ;   in Loop: Header=BB198_210 Depth=2
	s_or_b32 exec_lo, exec_lo, s8
	s_waitcnt vmcnt(0) lgkmcnt(0)
	s_barrier
	buffer_gl0_inv
	ds_load_b64 v[4:5], v13 offset:3072
	v_add_co_u32 v8, vcc_lo, v8, s35
	v_add_co_ci_u32_e32 v9, vcc_lo, 0, v9, vcc_lo
	s_waitcnt lgkmcnt(0)
	s_barrier
	buffer_gl0_inv
	v_cmp_ge_u64_e32 vcc_lo, v[8:9], v[2:3]
	v_cmp_neq_f32_e64 s8, 0, v4
	s_delay_alu instid0(VALU_DEP_1) | instskip(NEXT) | instid1(SALU_CYCLE_1)
	s_or_b32 s26, vcc_lo, s8
	s_and_b32 s26, exec_lo, s26
	s_delay_alu instid0(SALU_CYCLE_1) | instskip(SKIP_2) | instid1(SALU_CYCLE_1)
	s_or_b32 s18, s26, s18
	s_and_not1_b32 s19, s19, exec_lo
	s_and_b32 s8, s8, exec_lo
	s_or_b32 s19, s19, s8
	s_and_not1_b32 exec_lo, exec_lo, s18
	s_cbranch_execz .LBB198_215
.LBB198_210:                            ;   Parent Loop BB198_18 Depth=1
                                        ; =>  This Inner Loop Header: Depth=2
	s_delay_alu instid0(VALU_DEP_1)
	v_cmp_gt_u64_e32 vcc_lo, s[36:37], v[8:9]
	v_mov_b32_e32 v17, 0
	s_and_saveexec_b32 s26, vcc_lo
	s_cbranch_execz .LBB198_212
; %bb.211:                              ;   in Loop: Header=BB198_210 Depth=2
	v_mul_lo_u32 v12, v9, s30
	v_mul_lo_u32 v17, v8, s31
	v_mad_u64_u32 v[4:5], null, v8, s30, 0
	s_delay_alu instid0(VALU_DEP_1) | instskip(NEXT) | instid1(VALU_DEP_1)
	v_add3_u32 v5, v5, v17, v12
	v_lshlrev_b64 v[4:5], 2, v[4:5]
	s_delay_alu instid0(VALU_DEP_1) | instskip(NEXT) | instid1(VALU_DEP_1)
	v_add_co_u32 v4, s8, s29, v4
	v_add_co_ci_u32_e64 v5, s8, s33, v5, s8
	global_load_b32 v17, v[4:5], off
.LBB198_212:                            ;   in Loop: Header=BB198_210 Depth=2
	s_or_b32 exec_lo, exec_lo, s26
	s_and_saveexec_b32 s8, vcc_lo
	s_cbranch_execz .LBB198_209
; %bb.213:                              ;   in Loop: Header=BB198_210 Depth=2
	s_waitcnt vmcnt(0)
	v_cmp_lt_i32_e32 vcc_lo, -1, v17
	v_cndmask_b32_e64 v4, -1, 0x80000000, vcc_lo
	v_cmp_o_f32_e32 vcc_lo, v17, v17
	s_delay_alu instid0(VALU_DEP_2) | instskip(NEXT) | instid1(VALU_DEP_1)
	v_xor_b32_e32 v4, v4, v17
	v_cndmask_b32_e32 v4, -1, v4, vcc_lo
	s_delay_alu instid0(VALU_DEP_1) | instskip(NEXT) | instid1(VALU_DEP_1)
	v_and_b32_e32 v4, v4, v22
	v_cmp_eq_u32_e32 vcc_lo, v4, v21
	s_and_b32 exec_lo, exec_lo, vcc_lo
	s_cbranch_execz .LBB198_209
; %bb.214:                              ;   in Loop: Header=BB198_210 Depth=2
	ds_store_b64 v13, v[16:17] offset:3072
	s_branch .LBB198_209
.LBB198_215:                            ;   in Loop: Header=BB198_18 Depth=1
	s_or_b32 exec_lo, exec_lo, s18
	s_delay_alu instid0(SALU_CYCLE_1)
	s_and_b32 s8, s19, exec_lo
.LBB198_216:                            ;   in Loop: Header=BB198_18 Depth=1
	s_or_b32 exec_lo, exec_lo, s9
	s_mov_b32 s83, -1
	s_mov_b32 s81, 0
	s_mov_b32 s82, 0
.LBB198_217:                            ;   in Loop: Header=BB198_18 Depth=1
	s_or_not1_b32 s8, s8, exec_lo
.LBB198_218:                            ;   in Loop: Header=BB198_18 Depth=1
	s_or_b32 exec_lo, exec_lo, s60
	s_mov_b32 s26, 0
                                        ; implicit-def: $vgpr8
	s_and_saveexec_b32 s68, s8
	s_cbranch_execz .LBB198_283
; %bb.219:                              ;   in Loop: Header=BB198_18 Depth=1
	v_mov_b32_e32 v2, 1
	v_dual_mov_b32 v3, 0 :: v_dual_mov_b32 v8, 1
	s_xor_b32 s9, s69, -1
	s_delay_alu instid0(SALU_CYCLE_1)
	s_and_saveexec_b32 s8, s9
	s_cbranch_execz .LBB198_229
; %bb.220:                              ;   in Loop: Header=BB198_18 Depth=1
	s_mov_b32 s18, exec_lo
                                        ; implicit-def: $sgpr19
                                        ; implicit-def: $sgpr9
	v_cmpx_ge_u64_e64 s[14:15], v[6:7]
	s_xor_b32 s18, exec_lo, s18
	s_cbranch_execz .LBB198_226
; %bb.221:                              ;   in Loop: Header=BB198_18 Depth=1
	ds_load_b64 v[2:3], v13 offset:5120
	s_waitcnt lgkmcnt(0)
	v_cmp_ne_u64_e32 vcc_lo, 0, v[2:3]
	s_cbranch_vccnz .LBB198_225
; %bb.222:                              ;   in Loop: Header=BB198_18 Depth=1
	s_and_saveexec_b32 s9, s5
	s_cbranch_execz .LBB198_224
; %bb.223:                              ;   in Loop: Header=BB198_18 Depth=1
	v_dual_mov_b32 v2, s14 :: v_dual_mov_b32 v3, s15
	ds_store_b64 v13, v[2:3] offset:5128
.LBB198_224:                            ;   in Loop: Header=BB198_18 Depth=1
	s_or_b32 exec_lo, exec_lo, s9
	s_waitcnt lgkmcnt(0)
	s_barrier
	buffer_gl0_inv
.LBB198_225:                            ;   in Loop: Header=BB198_18 Depth=1
	s_lshl_b32 s9, 2, s22
	v_or_b32_e32 v22, s20, v22
	v_and_or_b32 v21, v21, s21, s9
	s_mov_b32 s9, 0
	s_mov_b32 s19, 8
.LBB198_226:                            ;   in Loop: Header=BB198_18 Depth=1
	s_or_saveexec_b32 s18, s18
	v_mov_b32_e32 v8, s19
	s_xor_b32 exec_lo, exec_lo, s18
; %bb.227:                              ;   in Loop: Header=BB198_18 Depth=1
	v_sub_co_u32 v6, vcc_lo, v6, s14
	v_subrev_co_ci_u32_e32 v7, vcc_lo, s15, v7, vcc_lo
	v_mov_b32_e32 v8, 0
	s_or_b32 s9, s9, exec_lo
; %bb.228:                              ;   in Loop: Header=BB198_18 Depth=1
	s_or_b32 exec_lo, exec_lo, s18
	s_delay_alu instid0(VALU_DEP_2)
	v_dual_mov_b32 v2, v6 :: v_dual_mov_b32 v3, v7
	s_and_b32 s26, s9, exec_lo
.LBB198_229:                            ;   in Loop: Header=BB198_18 Depth=1
	s_or_b32 exec_lo, exec_lo, s8
	s_mov_b32 s19, -1
                                        ; implicit-def: $sgpr8
                                        ; implicit-def: $sgpr18
                                        ; implicit-def: $sgpr9
	s_and_saveexec_b32 s69, s26
	s_cbranch_execz .LBB198_282
; %bb.230:                              ;   in Loop: Header=BB198_18 Depth=1
	v_cmp_eq_u64_e32 vcc_lo, 1, v[2:3]
	s_cmp_eq_u64 s[16:17], 1
	s_mov_b32 s26, -1
	s_cselect_b32 s8, -1, 0
                                        ; implicit-def: $sgpr18
                                        ; implicit-def: $sgpr9
	s_delay_alu instid0(SALU_CYCLE_1) | instskip(NEXT) | instid1(SALU_CYCLE_1)
	s_and_b32 s60, s8, vcc_lo
                                        ; implicit-def: $sgpr8
	s_and_saveexec_b32 s61, s60
	s_cbranch_execz .LBB198_269
; %bb.231:                              ;   in Loop: Header=BB198_18 Depth=1
	ds_load_b64 v[4:5], v13 offset:5120
	s_waitcnt lgkmcnt(0)
	s_barrier
	buffer_gl0_inv
	v_readfirstlane_b32 s18, v4
	v_readfirstlane_b32 s19, v5
	s_and_saveexec_b32 s8, s6
	s_cbranch_execz .LBB198_233
; %bb.232:                              ;   in Loop: Header=BB198_18 Depth=1
	ds_store_b32 v28, v13
.LBB198_233:                            ;   in Loop: Header=BB198_18 Depth=1
	s_or_b32 exec_lo, exec_lo, s8
	v_or_b32_e32 v21, s20, v21
	v_or_b32_e32 v22, s20, v22
	s_cmp_eq_u64 s[18:19], 0
	s_waitcnt lgkmcnt(0)
	s_barrier
	buffer_gl0_inv
	s_cbranch_scc1 .LBB198_238
; %bb.234:                              ;   in Loop: Header=BB198_18 Depth=1
	s_add_u32 s26, s86, s18
	s_addc_u32 s9, s87, s19
	s_mov_b32 s8, s71
	s_delay_alu instid0(SALU_CYCLE_1)
	s_cmp_lg_u64 s[8:9], 0
	s_cbranch_scc0 .LBB198_239
; %bb.235:                              ;   in Loop: Header=BB198_18 Depth=1
	v_cvt_f32_u32_e32 v4, s35
	s_sub_u32 s49, 0, s35
	s_subb_u32 s50, 0, 0
	s_delay_alu instid0(VALU_DEP_1) | instskip(NEXT) | instid1(VALU_DEP_1)
	v_fmac_f32_e64 v4, 0, 0x4f800000
	v_rcp_f32_e32 v4, v4
	s_waitcnt_depctr 0xfff
	v_mul_f32_e32 v4, 0x5f7ffffc, v4
	s_delay_alu instid0(VALU_DEP_1) | instskip(NEXT) | instid1(VALU_DEP_1)
	v_mul_f32_e32 v5, 0x2f800000, v4
	v_trunc_f32_e32 v5, v5
	s_delay_alu instid0(VALU_DEP_1) | instskip(SKIP_1) | instid1(VALU_DEP_2)
	v_fmac_f32_e32 v4, 0xcf800000, v5
	v_cvt_u32_f32_e32 v5, v5
	v_cvt_u32_f32_e32 v4, v4
	s_delay_alu instid0(VALU_DEP_2) | instskip(NEXT) | instid1(VALU_DEP_2)
	v_readfirstlane_b32 s8, v5
	v_readfirstlane_b32 s48, v4
	s_delay_alu instid0(VALU_DEP_2) | instskip(NEXT) | instid1(VALU_DEP_1)
	s_mul_i32 s51, s49, s8
	s_mul_hi_u32 s63, s49, s48
	s_mul_i32 s62, s50, s48
	s_add_i32 s51, s63, s51
	s_mul_i32 vcc_lo, s49, s48
	s_add_i32 s51, s51, s62
	s_mul_hi_u32 s63, s48, vcc_lo
	s_mul_hi_u32 s54, s48, s51
	s_mul_i32 s48, s48, s51
	s_mul_i32 s53, s8, vcc_lo
	s_add_u32 s48, s63, s48
	s_mul_hi_u32 s52, s8, vcc_lo
	s_addc_u32 s54, 0, s54
	s_mul_hi_u32 s55, s8, s51
	s_add_u32 s48, s48, s53
	s_mul_i32 s51, s8, s51
	s_addc_u32 s48, s54, s52
	s_addc_u32 s52, s55, 0
	s_add_u32 s48, s48, s51
	s_addc_u32 s51, 0, s52
	v_add_co_u32 v4, s48, v4, s48
	s_delay_alu instid0(VALU_DEP_1) | instskip(SKIP_1) | instid1(VALU_DEP_1)
	s_cmp_lg_u32 s48, 0
	s_addc_u32 s8, s8, s51
	v_readfirstlane_b32 s48, v4
	s_mul_i32 s51, s49, s8
	s_delay_alu instid0(VALU_DEP_1)
	s_mul_hi_u32 s52, s49, s48
	s_mul_i32 s50, s50, s48
	s_add_i32 s51, s52, s51
	s_mul_i32 s49, s49, s48
	s_add_i32 s51, s51, s50
	s_mul_hi_u32 s52, s8, s49
	s_mul_i32 s53, s8, s49
	s_mul_hi_u32 s49, s48, s49
	s_mul_hi_u32 s54, s48, s51
	s_mul_i32 s48, s48, s51
	s_mul_hi_u32 s50, s8, s51
	s_add_u32 s48, s49, s48
	s_addc_u32 s49, 0, s54
	s_add_u32 s48, s48, s53
	s_mul_i32 s51, s8, s51
	s_addc_u32 s48, s49, s52
	s_addc_u32 s49, s50, 0
	s_add_u32 s48, s48, s51
	s_addc_u32 s49, 0, s49
	v_add_co_u32 v4, s48, v4, s48
	s_delay_alu instid0(VALU_DEP_1) | instskip(SKIP_1) | instid1(VALU_DEP_1)
	s_cmp_lg_u32 s48, 0
	s_addc_u32 s8, s8, s49
	v_readfirstlane_b32 s48, v4
	s_mul_i32 s50, s26, s8
	s_mul_hi_u32 s49, s26, s8
	s_mul_hi_u32 s51, s9, s8
	s_mul_i32 s8, s9, s8
	s_mul_hi_u32 s52, s26, s48
	s_mul_hi_u32 s53, s9, s48
	s_mul_i32 s48, s9, s48
	s_add_u32 s50, s52, s50
	s_addc_u32 s49, 0, s49
	s_add_u32 s48, s50, s48
	s_addc_u32 s48, s49, s53
	s_addc_u32 s49, s51, 0
	s_add_u32 s8, s48, s8
	s_addc_u32 s48, 0, s49
	s_mul_hi_u32 s49, s35, s8
	s_mul_i32 s8, s35, s8
	s_mul_i32 s48, s35, s48
	v_sub_co_u32 v4, s8, s26, s8
	s_add_i32 s49, s49, s48
	s_cmp_lg_u32 s8, 0
	s_delay_alu instid0(VALU_DEP_1) | instskip(SKIP_3) | instid1(VALU_DEP_2)
	v_sub_co_u32 v5, s8, v4, s35
	s_subb_u32 s48, s9, s49
	s_cmp_lg_u32 s8, 0
	v_cmp_le_u32_e32 vcc_lo, s35, v4
	v_cmp_le_u32_e64 s8, s35, v5
	v_sub_co_u32 v6, s49, v5, s35
	s_subb_u32 s50, s48, 0
	s_cmp_lg_u32 s49, 0
	s_delay_alu instid0(VALU_DEP_2)
	v_cndmask_b32_e64 v7, 0, -1, s8
	s_subb_u32 s49, s50, 0
	s_cmp_eq_u32 s50, 0
	v_mov_b32_e32 v9, s49
	v_cndmask_b32_e64 v8, 0, -1, vcc_lo
	s_cselect_b32 vcc_lo, -1, 0
	s_cmp_eq_u32 s48, 0
	v_cndmask_b32_e32 v7, -1, v7, vcc_lo
	s_cselect_b32 vcc_lo, -1, 0
	v_cndmask_b32_e32 v8, -1, v8, vcc_lo
	s_delay_alu instid0(VALU_DEP_2) | instskip(NEXT) | instid1(VALU_DEP_2)
	v_cmp_ne_u32_e32 vcc_lo, 0, v7
	v_cmp_ne_u32_e64 s8, 0, v8
	v_cndmask_b32_e32 v7, s50, v9, vcc_lo
	v_cndmask_b32_e32 v6, v5, v6, vcc_lo
	s_delay_alu instid0(VALU_DEP_2) | instskip(NEXT) | instid1(VALU_DEP_2)
	v_cndmask_b32_e64 v5, s48, v7, s8
	v_cndmask_b32_e64 v4, v4, v6, s8
	s_mov_b32 s8, 0
	s_branch .LBB198_240
.LBB198_236:                            ;   in Loop: Header=BB198_18 Depth=1
                                        ; implicit-def: $vgpr2_vgpr3
	s_branch .LBB198_190
.LBB198_237:                            ;   in Loop: Header=BB198_18 Depth=1
                                        ; implicit-def: $vgpr2_vgpr3
	s_branch .LBB198_206
.LBB198_238:                            ;   in Loop: Header=BB198_18 Depth=1
	s_mov_b32 s8, -1
	s_mov_b32 s26, 0
                                        ; implicit-def: $sgpr9
                                        ; implicit-def: $vgpr5
	s_branch .LBB198_252
.LBB198_239:                            ;   in Loop: Header=BB198_18 Depth=1
	s_mov_b32 s8, -1
                                        ; implicit-def: $vgpr4_vgpr5
.LBB198_240:                            ;   in Loop: Header=BB198_18 Depth=1
	s_delay_alu instid0(SALU_CYCLE_1)
	s_and_not1_b32 vcc_lo, exec_lo, s8
	s_cbranch_vccnz .LBB198_242
; %bb.241:                              ;   in Loop: Header=BB198_18 Depth=1
	v_cvt_f32_u32_e32 v4, s35
	s_sub_i32 s8, 0, s35
	s_delay_alu instid0(VALU_DEP_1) | instskip(SKIP_2) | instid1(VALU_DEP_1)
	v_rcp_iflag_f32_e32 v4, v4
	s_waitcnt_depctr 0xfff
	v_mul_f32_e32 v4, 0x4f7ffffe, v4
	v_cvt_u32_f32_e32 v4, v4
	s_delay_alu instid0(VALU_DEP_1) | instskip(NEXT) | instid1(VALU_DEP_1)
	v_mul_lo_u32 v5, s8, v4
	v_mul_hi_u32 v5, v4, v5
	s_delay_alu instid0(VALU_DEP_1) | instskip(NEXT) | instid1(VALU_DEP_1)
	v_add_nc_u32_e32 v4, v4, v5
	v_mul_hi_u32 v4, s26, v4
	s_delay_alu instid0(VALU_DEP_1) | instskip(NEXT) | instid1(VALU_DEP_1)
	v_mul_lo_u32 v4, v4, s35
	v_sub_nc_u32_e32 v4, s26, v4
	s_delay_alu instid0(VALU_DEP_1) | instskip(SKIP_1) | instid1(VALU_DEP_2)
	v_subrev_nc_u32_e32 v5, s35, v4
	v_cmp_le_u32_e32 vcc_lo, s35, v4
	v_cndmask_b32_e32 v4, v4, v5, vcc_lo
	s_delay_alu instid0(VALU_DEP_1) | instskip(SKIP_1) | instid1(VALU_DEP_2)
	v_subrev_nc_u32_e32 v5, s35, v4
	v_cmp_le_u32_e32 vcc_lo, s35, v4
	v_cndmask_b32_e32 v12, v4, v5, vcc_lo
	s_delay_alu instid0(VALU_DEP_1)
	v_dual_mov_b32 v4, v12 :: v_dual_mov_b32 v5, v13
.LBB198_242:                            ;   in Loop: Header=BB198_18 Depth=1
	s_delay_alu instid0(VALU_DEP_1) | instskip(NEXT) | instid1(VALU_DEP_2)
	v_sub_co_u32 v6, vcc_lo, s26, v4
	v_sub_co_ci_u32_e32 v7, vcc_lo, s9, v5, vcc_lo
	s_mov_b32 s26, 0
	s_mov_b32 s9, exec_lo
                                        ; implicit-def: $vgpr5
	s_delay_alu instid0(VALU_DEP_1)
	v_cmpx_gt_u64_e64 v[6:7], v[0:1]
	s_cbranch_execz .LBB198_251
; %bb.243:                              ;   in Loop: Header=BB198_18 Depth=1
	v_dual_mov_b32 v12, v14 :: v_dual_mov_b32 v9, v1
	v_mov_b32_e32 v8, v0
                                        ; implicit-def: $sgpr62
	s_set_inst_prefetch_distance 0x1
	s_branch .LBB198_245
	.p2align	6
.LBB198_244:                            ;   in Loop: Header=BB198_245 Depth=2
	s_or_b32 exec_lo, exec_lo, s8
	s_waitcnt lgkmcnt(0)
	s_barrier
	buffer_gl0_inv
	ds_load_b64 v[4:5], v13 offset:3072
	v_add_co_u32 v8, vcc_lo, v8, s35
	v_add_co_ci_u32_e32 v9, vcc_lo, 0, v9, vcc_lo
	v_add_nc_u32_e32 v12, s94, v12
	s_waitcnt lgkmcnt(0)
	s_barrier
	s_delay_alu instid0(VALU_DEP_2) | instskip(SKIP_2) | instid1(VALU_DEP_1)
	v_cmp_ge_u64_e32 vcc_lo, v[8:9], v[6:7]
	buffer_gl0_inv
	v_cmp_neq_f32_e64 s8, 0, v4
	s_or_b32 s48, vcc_lo, s8
	s_delay_alu instid0(SALU_CYCLE_1) | instskip(NEXT) | instid1(SALU_CYCLE_1)
	s_and_b32 s48, exec_lo, s48
	s_or_b32 s26, s48, s26
	s_and_not1_b32 s48, s62, exec_lo
	s_and_b32 s8, s8, exec_lo
	s_delay_alu instid0(SALU_CYCLE_1)
	s_or_b32 s62, s48, s8
	s_and_not1_b32 exec_lo, exec_lo, s26
	s_cbranch_execz .LBB198_250
.LBB198_245:                            ;   Parent Loop BB198_18 Depth=1
                                        ; =>  This Inner Loop Header: Depth=2
	s_delay_alu instid0(VALU_DEP_1)
	v_cmp_gt_u64_e32 vcc_lo, s[18:19], v[8:9]
	v_mov_b32_e32 v17, 0
	s_and_saveexec_b32 s8, vcc_lo
	s_cbranch_execz .LBB198_247
; %bb.246:                              ;   in Loop: Header=BB198_245 Depth=2
	ds_load_b32 v17, v12
.LBB198_247:                            ;   in Loop: Header=BB198_245 Depth=2
	s_or_b32 exec_lo, exec_lo, s8
	s_and_saveexec_b32 s8, vcc_lo
	s_cbranch_execz .LBB198_244
; %bb.248:                              ;   in Loop: Header=BB198_245 Depth=2
	s_waitcnt lgkmcnt(0)
	v_cmp_lt_i32_e32 vcc_lo, -1, v17
	v_cndmask_b32_e64 v4, -1, 0x80000000, vcc_lo
	v_cmp_o_f32_e32 vcc_lo, v17, v17
	s_delay_alu instid0(VALU_DEP_2) | instskip(NEXT) | instid1(VALU_DEP_1)
	v_xor_b32_e32 v4, v4, v17
	v_cndmask_b32_e32 v4, -1, v4, vcc_lo
	s_delay_alu instid0(VALU_DEP_1) | instskip(NEXT) | instid1(VALU_DEP_1)
	v_and_b32_e32 v4, v4, v22
	v_cmp_eq_u32_e32 vcc_lo, v4, v21
	s_and_b32 exec_lo, exec_lo, vcc_lo
	s_cbranch_execz .LBB198_244
; %bb.249:                              ;   in Loop: Header=BB198_245 Depth=2
	ds_store_b64 v13, v[16:17] offset:3072
	s_branch .LBB198_244
.LBB198_250:                            ;   in Loop: Header=BB198_18 Depth=1
	s_set_inst_prefetch_distance 0x2
	s_or_b32 exec_lo, exec_lo, s26
	s_delay_alu instid0(SALU_CYCLE_1)
	s_and_b32 s26, s62, exec_lo
.LBB198_251:                            ;   in Loop: Header=BB198_18 Depth=1
	s_or_b32 exec_lo, exec_lo, s9
	s_mov_b32 s9, -1
	s_mov_b32 s8, 0
.LBB198_252:                            ;   in Loop: Header=BB198_18 Depth=1
	s_delay_alu instid0(SALU_CYCLE_1)
	s_and_b32 vcc_lo, exec_lo, s8
	s_mov_b32 s18, s8
	s_cbranch_vccz .LBB198_268
; %bb.253:                              ;   in Loop: Header=BB198_18 Depth=1
	s_mov_b32 s26, s71
	s_delay_alu instid0(SALU_CYCLE_1)
	s_cmp_lg_u64 s[26:27], 0
	s_cbranch_scc0 .LBB198_255
; %bb.254:                              ;   in Loop: Header=BB198_18 Depth=1
	v_cvt_f32_u32_e32 v4, s35
	s_sub_u32 s18, 0, s35
	s_subb_u32 s19, 0, 0
	s_delay_alu instid0(VALU_DEP_1) | instskip(NEXT) | instid1(VALU_DEP_1)
	v_fmac_f32_e64 v4, 0, 0x4f800000
	v_rcp_f32_e32 v4, v4
	s_waitcnt_depctr 0xfff
	v_mul_f32_e32 v4, 0x5f7ffffc, v4
	s_delay_alu instid0(VALU_DEP_1) | instskip(NEXT) | instid1(VALU_DEP_1)
	v_mul_f32_e32 v5, 0x2f800000, v4
	v_trunc_f32_e32 v5, v5
	s_delay_alu instid0(VALU_DEP_1) | instskip(SKIP_1) | instid1(VALU_DEP_2)
	v_fmac_f32_e32 v4, 0xcf800000, v5
	v_cvt_u32_f32_e32 v5, v5
	v_cvt_u32_f32_e32 v4, v4
	s_delay_alu instid0(VALU_DEP_2) | instskip(NEXT) | instid1(VALU_DEP_2)
	v_readfirstlane_b32 s8, v5
	v_readfirstlane_b32 s9, v4
	s_delay_alu instid0(VALU_DEP_2) | instskip(NEXT) | instid1(VALU_DEP_1)
	s_mul_i32 s26, s18, s8
	s_mul_hi_u32 s49, s18, s9
	s_mul_i32 s48, s19, s9
	s_add_i32 s26, s49, s26
	s_mul_i32 s50, s18, s9
	s_add_i32 s26, s26, s48
	s_mul_hi_u32 s49, s9, s50
	s_mul_hi_u32 s51, s8, s50
	s_mul_i32 s48, s8, s50
	s_mul_hi_u32 s50, s9, s26
	s_mul_i32 s9, s9, s26
	s_mul_hi_u32 s52, s8, s26
	s_add_u32 s9, s49, s9
	s_addc_u32 s49, 0, s50
	s_add_u32 s9, s9, s48
	s_mul_i32 s26, s8, s26
	s_addc_u32 s9, s49, s51
	s_addc_u32 s48, s52, 0
	s_add_u32 s9, s9, s26
	s_addc_u32 s26, 0, s48
	v_add_co_u32 v4, s9, v4, s9
	s_delay_alu instid0(VALU_DEP_1) | instskip(SKIP_1) | instid1(VALU_DEP_1)
	s_cmp_lg_u32 s9, 0
	s_addc_u32 s8, s8, s26
	v_readfirstlane_b32 s9, v4
	s_mul_i32 s26, s18, s8
	s_delay_alu instid0(VALU_DEP_1)
	s_mul_hi_u32 s48, s18, s9
	s_mul_i32 s19, s19, s9
	s_add_i32 s26, s48, s26
	s_mul_i32 s18, s18, s9
	s_add_i32 s26, s26, s19
	s_mul_hi_u32 s48, s8, s18
	s_mul_i32 s49, s8, s18
	s_mul_hi_u32 s18, s9, s18
	s_mul_hi_u32 s50, s9, s26
	s_mul_i32 s9, s9, s26
	s_mul_hi_u32 s19, s8, s26
	s_add_u32 s9, s18, s9
	s_addc_u32 s18, 0, s50
	s_add_u32 s9, s9, s49
	s_mul_i32 s26, s8, s26
	s_addc_u32 s9, s18, s48
	s_addc_u32 s18, s19, 0
	s_add_u32 s9, s9, s26
	s_addc_u32 s18, 0, s18
	v_add_co_u32 v4, s9, v4, s9
	s_delay_alu instid0(VALU_DEP_1) | instskip(SKIP_1) | instid1(VALU_DEP_1)
	s_cmp_lg_u32 s9, 0
	s_addc_u32 s8, s8, s18
	v_readfirstlane_b32 s9, v4
	s_mul_i32 s19, s88, s8
	s_mul_hi_u32 s18, s88, s8
	s_mul_hi_u32 s26, s27, s8
	s_mul_i32 s8, s27, s8
	s_mul_hi_u32 s48, s88, s9
	s_mul_hi_u32 s49, s27, s9
	s_mul_i32 s9, s27, s9
	s_add_u32 s19, s48, s19
	s_addc_u32 s18, 0, s18
	s_add_u32 s9, s19, s9
	s_addc_u32 s9, s18, s49
	s_addc_u32 s18, s26, 0
	s_add_u32 s8, s9, s8
	s_addc_u32 s9, 0, s18
	s_mul_hi_u32 s18, s35, s8
	s_mul_i32 s8, s35, s8
	s_mul_i32 s9, s35, s9
	v_sub_co_u32 v4, s8, s88, s8
	s_add_i32 s18, s18, s9
	s_cmp_lg_u32 s8, 0
	s_delay_alu instid0(VALU_DEP_1) | instskip(SKIP_3) | instid1(VALU_DEP_2)
	v_sub_co_u32 v5, s8, v4, s35
	s_subb_u32 s9, s27, s18
	s_cmp_lg_u32 s8, 0
	v_cmp_le_u32_e32 vcc_lo, s35, v4
	v_cmp_le_u32_e64 s8, s35, v5
	v_sub_co_u32 v6, s18, v5, s35
	s_subb_u32 s19, s9, 0
	s_cmp_lg_u32 s18, 0
	s_delay_alu instid0(VALU_DEP_2)
	v_cndmask_b32_e64 v7, 0, -1, s8
	s_subb_u32 s18, s19, 0
	s_cmp_eq_u32 s19, 0
	v_mov_b32_e32 v9, s18
	v_cndmask_b32_e64 v8, 0, -1, vcc_lo
	s_cselect_b32 vcc_lo, -1, 0
	s_cmp_eq_u32 s9, 0
	v_cndmask_b32_e32 v7, -1, v7, vcc_lo
	s_cselect_b32 vcc_lo, -1, 0
	v_cndmask_b32_e32 v8, -1, v8, vcc_lo
	s_delay_alu instid0(VALU_DEP_2) | instskip(NEXT) | instid1(VALU_DEP_2)
	v_cmp_ne_u32_e32 vcc_lo, 0, v7
	v_cmp_ne_u32_e64 s8, 0, v8
	v_cndmask_b32_e32 v7, s19, v9, vcc_lo
	v_cndmask_b32_e32 v6, v5, v6, vcc_lo
	s_delay_alu instid0(VALU_DEP_2) | instskip(NEXT) | instid1(VALU_DEP_2)
	v_cndmask_b32_e64 v5, s9, v7, s8
	v_cndmask_b32_e64 v4, v4, v6, s8
	s_mov_b32 s8, 0
	s_branch .LBB198_256
.LBB198_255:                            ;   in Loop: Header=BB198_18 Depth=1
	s_mov_b32 s8, -1
                                        ; implicit-def: $vgpr4_vgpr5
.LBB198_256:                            ;   in Loop: Header=BB198_18 Depth=1
	s_delay_alu instid0(SALU_CYCLE_1)
	s_and_not1_b32 vcc_lo, exec_lo, s8
	s_cbranch_vccnz .LBB198_258
; %bb.257:                              ;   in Loop: Header=BB198_18 Depth=1
	v_cvt_f32_u32_e32 v4, s35
	s_sub_i32 s8, 0, s35
	s_delay_alu instid0(VALU_DEP_1) | instskip(SKIP_2) | instid1(VALU_DEP_1)
	v_rcp_iflag_f32_e32 v4, v4
	s_waitcnt_depctr 0xfff
	v_mul_f32_e32 v4, 0x4f7ffffe, v4
	v_cvt_u32_f32_e32 v4, v4
	s_delay_alu instid0(VALU_DEP_1) | instskip(NEXT) | instid1(VALU_DEP_1)
	v_mul_lo_u32 v5, s8, v4
	v_mul_hi_u32 v5, v4, v5
	s_delay_alu instid0(VALU_DEP_1) | instskip(NEXT) | instid1(VALU_DEP_1)
	v_add_nc_u32_e32 v4, v4, v5
	v_mul_hi_u32 v4, s88, v4
	s_delay_alu instid0(VALU_DEP_1) | instskip(NEXT) | instid1(VALU_DEP_1)
	v_mul_lo_u32 v4, v4, s35
	v_sub_nc_u32_e32 v4, s88, v4
	s_delay_alu instid0(VALU_DEP_1) | instskip(SKIP_1) | instid1(VALU_DEP_2)
	v_subrev_nc_u32_e32 v5, s35, v4
	v_cmp_le_u32_e32 vcc_lo, s35, v4
	v_cndmask_b32_e32 v4, v4, v5, vcc_lo
	s_delay_alu instid0(VALU_DEP_1) | instskip(SKIP_1) | instid1(VALU_DEP_2)
	v_subrev_nc_u32_e32 v5, s35, v4
	v_cmp_le_u32_e32 vcc_lo, s35, v4
	v_cndmask_b32_e32 v12, v4, v5, vcc_lo
	s_delay_alu instid0(VALU_DEP_1)
	v_dual_mov_b32 v4, v12 :: v_dual_mov_b32 v5, v13
.LBB198_258:                            ;   in Loop: Header=BB198_18 Depth=1
	s_delay_alu instid0(VALU_DEP_1) | instskip(NEXT) | instid1(VALU_DEP_2)
	v_sub_co_u32 v6, vcc_lo, s88, v4
	v_sub_co_ci_u32_e32 v7, vcc_lo, s27, v5, vcc_lo
	s_mov_b32 s26, 0
	s_mov_b32 s9, exec_lo
                                        ; implicit-def: $vgpr5
	s_delay_alu instid0(VALU_DEP_1)
	v_cmpx_gt_u64_e64 v[6:7], v[0:1]
	s_cbranch_execz .LBB198_267
; %bb.259:                              ;   in Loop: Header=BB198_18 Depth=1
	v_dual_mov_b32 v9, v1 :: v_dual_mov_b32 v8, v0
	s_mov_b32 s18, 0
                                        ; implicit-def: $sgpr19
	s_branch .LBB198_261
.LBB198_260:                            ;   in Loop: Header=BB198_261 Depth=2
	s_or_b32 exec_lo, exec_lo, s8
	s_waitcnt vmcnt(0) lgkmcnt(0)
	s_barrier
	buffer_gl0_inv
	ds_load_b64 v[4:5], v13 offset:3072
	v_add_co_u32 v8, vcc_lo, v8, s35
	v_add_co_ci_u32_e32 v9, vcc_lo, 0, v9, vcc_lo
	s_waitcnt lgkmcnt(0)
	s_barrier
	buffer_gl0_inv
	v_cmp_ge_u64_e32 vcc_lo, v[8:9], v[6:7]
	v_cmp_neq_f32_e64 s8, 0, v4
	s_delay_alu instid0(VALU_DEP_1) | instskip(NEXT) | instid1(SALU_CYCLE_1)
	s_or_b32 s26, vcc_lo, s8
	s_and_b32 s26, exec_lo, s26
	s_delay_alu instid0(SALU_CYCLE_1) | instskip(SKIP_2) | instid1(SALU_CYCLE_1)
	s_or_b32 s18, s26, s18
	s_and_not1_b32 s19, s19, exec_lo
	s_and_b32 s8, s8, exec_lo
	s_or_b32 s19, s19, s8
	s_and_not1_b32 exec_lo, exec_lo, s18
	s_cbranch_execz .LBB198_266
.LBB198_261:                            ;   Parent Loop BB198_18 Depth=1
                                        ; =>  This Inner Loop Header: Depth=2
	s_delay_alu instid0(VALU_DEP_1)
	v_cmp_gt_u64_e32 vcc_lo, s[36:37], v[8:9]
	v_mov_b32_e32 v17, 0
	s_and_saveexec_b32 s26, vcc_lo
	s_cbranch_execz .LBB198_263
; %bb.262:                              ;   in Loop: Header=BB198_261 Depth=2
	v_mul_lo_u32 v12, v9, s30
	v_mul_lo_u32 v17, v8, s31
	v_mad_u64_u32 v[4:5], null, v8, s30, 0
	s_delay_alu instid0(VALU_DEP_1) | instskip(NEXT) | instid1(VALU_DEP_1)
	v_add3_u32 v5, v5, v17, v12
	v_lshlrev_b64 v[4:5], 2, v[4:5]
	s_delay_alu instid0(VALU_DEP_1) | instskip(NEXT) | instid1(VALU_DEP_1)
	v_add_co_u32 v4, s8, s29, v4
	v_add_co_ci_u32_e64 v5, s8, s33, v5, s8
	global_load_b32 v17, v[4:5], off
.LBB198_263:                            ;   in Loop: Header=BB198_261 Depth=2
	s_or_b32 exec_lo, exec_lo, s26
	s_and_saveexec_b32 s8, vcc_lo
	s_cbranch_execz .LBB198_260
; %bb.264:                              ;   in Loop: Header=BB198_261 Depth=2
	s_waitcnt vmcnt(0)
	v_cmp_lt_i32_e32 vcc_lo, -1, v17
	v_cndmask_b32_e64 v4, -1, 0x80000000, vcc_lo
	v_cmp_o_f32_e32 vcc_lo, v17, v17
	s_delay_alu instid0(VALU_DEP_2) | instskip(NEXT) | instid1(VALU_DEP_1)
	v_xor_b32_e32 v4, v4, v17
	v_cndmask_b32_e32 v4, -1, v4, vcc_lo
	s_delay_alu instid0(VALU_DEP_1) | instskip(NEXT) | instid1(VALU_DEP_1)
	v_and_b32_e32 v4, v4, v22
	v_cmp_eq_u32_e32 vcc_lo, v4, v21
	s_and_b32 exec_lo, exec_lo, vcc_lo
	s_cbranch_execz .LBB198_260
; %bb.265:                              ;   in Loop: Header=BB198_261 Depth=2
	ds_store_b64 v13, v[16:17] offset:3072
	s_branch .LBB198_260
.LBB198_266:                            ;   in Loop: Header=BB198_18 Depth=1
	s_or_b32 exec_lo, exec_lo, s18
	s_delay_alu instid0(SALU_CYCLE_1)
	s_and_b32 s26, s19, exec_lo
.LBB198_267:                            ;   in Loop: Header=BB198_18 Depth=1
	s_or_b32 exec_lo, exec_lo, s9
	s_mov_b32 s18, -1
	s_mov_b32 s8, 0
	s_mov_b32 s9, 0
.LBB198_268:                            ;   in Loop: Header=BB198_18 Depth=1
	s_or_not1_b32 s26, s26, exec_lo
.LBB198_269:                            ;   in Loop: Header=BB198_18 Depth=1
	s_or_b32 exec_lo, exec_lo, s61
	s_mov_b32 s61, 0
                                        ; implicit-def: $vgpr8
                                        ; implicit-def: $vgpr6_vgpr7
	s_and_saveexec_b32 s19, s26
	s_cbranch_execz .LBB198_281
; %bb.270:                              ;   in Loop: Header=BB198_18 Depth=1
	v_mov_b32_e32 v6, 1
	v_dual_mov_b32 v7, 0 :: v_dual_mov_b32 v8, 1
	s_xor_b32 s48, s60, -1
	s_delay_alu instid0(SALU_CYCLE_1)
	s_and_saveexec_b32 s26, s48
	s_cbranch_execz .LBB198_280
; %bb.271:                              ;   in Loop: Header=BB198_18 Depth=1
                                        ; implicit-def: $sgpr61
	s_mov_b32 s48, exec_lo
	v_cmpx_ge_u64_e64 s[16:17], v[2:3]
	s_xor_b32 s60, exec_lo, s48
	s_cbranch_execz .LBB198_277
; %bb.272:                              ;   in Loop: Header=BB198_18 Depth=1
	ds_load_b64 v[6:7], v13 offset:5120
	s_waitcnt lgkmcnt(0)
	v_cmp_ne_u64_e32 vcc_lo, 0, v[6:7]
	s_cbranch_vccnz .LBB198_276
; %bb.273:                              ;   in Loop: Header=BB198_18 Depth=1
	s_and_saveexec_b32 s61, s5
	s_cbranch_execz .LBB198_275
; %bb.274:                              ;   in Loop: Header=BB198_18 Depth=1
	v_dual_mov_b32 v6, s16 :: v_dual_mov_b32 v7, s17
	ds_store_b64 v13, v[6:7] offset:5128
.LBB198_275:                            ;   in Loop: Header=BB198_18 Depth=1
	s_or_b32 exec_lo, exec_lo, s61
	s_waitcnt lgkmcnt(0)
	s_barrier
	buffer_gl0_inv
.LBB198_276:                            ;   in Loop: Header=BB198_18 Depth=1
	v_or_b32_e32 v21, s20, v21
	v_or_b32_e32 v22, s20, v22
	s_mov_b32 s61, 8
.LBB198_277:                            ;   in Loop: Header=BB198_18 Depth=1
	s_or_saveexec_b32 s60, s60
	v_mov_b32_e32 v8, s61
	s_xor_b32 exec_lo, exec_lo, s60
; %bb.278:                              ;   in Loop: Header=BB198_18 Depth=1
	v_sub_co_u32 v2, vcc_lo, v2, s16
	v_subrev_co_ci_u32_e32 v3, vcc_lo, s17, v3, vcc_lo
	v_mov_b32_e32 v8, 8
; %bb.279:                              ;   in Loop: Header=BB198_18 Depth=1
	s_or_b32 exec_lo, exec_lo, s60
	s_delay_alu instid0(VALU_DEP_2)
	v_dual_mov_b32 v7, v3 :: v_dual_mov_b32 v6, v2
.LBB198_280:                            ;   in Loop: Header=BB198_18 Depth=1
	s_or_b32 exec_lo, exec_lo, s26
	s_delay_alu instid0(SALU_CYCLE_1)
	s_mov_b32 s61, exec_lo
.LBB198_281:                            ;   in Loop: Header=BB198_18 Depth=1
	s_or_b32 exec_lo, exec_lo, s19
	s_delay_alu instid0(VALU_DEP_1)
	v_dual_mov_b32 v2, v6 :: v_dual_mov_b32 v3, v7
	s_or_not1_b32 s19, s61, exec_lo
.LBB198_282:                            ;   in Loop: Header=BB198_18 Depth=1
	s_or_b32 exec_lo, exec_lo, s69
	s_delay_alu instid0(SALU_CYCLE_1)
	s_and_not1_b32 s26, s81, exec_lo
	s_and_b32 s8, s8, exec_lo
	v_dual_mov_b32 v7, v3 :: v_dual_mov_b32 v6, v2
	s_or_b32 s81, s26, s8
	s_and_not1_b32 s8, s83, exec_lo
	s_and_b32 s18, s18, exec_lo
	s_and_not1_b32 s26, s82, exec_lo
	s_and_b32 s9, s9, exec_lo
	s_or_b32 s83, s8, s18
	s_or_b32 s82, s26, s9
	s_and_b32 s26, s19, exec_lo
.LBB198_283:                            ;   in Loop: Header=BB198_18 Depth=1
	s_or_b32 exec_lo, exec_lo, s68
	s_delay_alu instid0(SALU_CYCLE_1)
	s_and_b32 s19, s81, exec_lo
	s_and_b32 s18, s83, exec_lo
	;; [unrolled: 1-line block ×3, first 2 shown]
	s_or_not1_b32 s8, s26, exec_lo
.LBB198_284:                            ;   in Loop: Header=BB198_18 Depth=1
	s_or_b32 exec_lo, exec_lo, s80
	s_delay_alu instid0(SALU_CYCLE_1)
	s_and_not1_b32 s25, s25, exec_lo
	s_and_b32 s19, s19, exec_lo
	v_dual_mov_b32 v2, v6 :: v_dual_mov_b32 v3, v7
	s_or_b32 s25, s25, s19
	s_and_not1_b32 s19, s78, exec_lo
	s_and_b32 s18, s18, exec_lo
	s_and_not1_b32 s26, s77, exec_lo
	s_and_b32 s9, s9, exec_lo
	s_or_b32 s78, s19, s18
	s_or_b32 s77, s26, s9
	s_and_b32 s26, s8, exec_lo
.LBB198_285:                            ;   in Loop: Header=BB198_18 Depth=1
	s_or_b32 exec_lo, exec_lo, s79
	s_delay_alu instid0(SALU_CYCLE_1)
	s_and_b32 s19, s25, exec_lo
	s_and_b32 s18, s78, exec_lo
	;; [unrolled: 1-line block ×3, first 2 shown]
	s_or_not1_b32 s25, s26, exec_lo
.LBB198_286:                            ;   in Loop: Header=BB198_18 Depth=1
	s_or_b32 exec_lo, exec_lo, s24
	s_mov_b32 s8, 0
	s_mov_b32 s24, 0
	s_and_saveexec_b32 s26, s25
	s_delay_alu instid0(SALU_CYCLE_1)
	s_xor_b32 s25, exec_lo, s26
; %bb.287:                              ;   in Loop: Header=BB198_18 Depth=1
	v_cmp_ne_u32_e32 vcc_lo, 8, v8
	v_cmp_eq_u32_e64 s8, 8, v8
	s_and_not1_b32 s19, s19, exec_lo
	s_and_not1_b32 s18, s18, exec_lo
	;; [unrolled: 1-line block ×3, first 2 shown]
	s_and_b32 s24, vcc_lo, exec_lo
	s_and_b32 s8, s8, exec_lo
; %bb.288:                              ;   in Loop: Header=BB198_18 Depth=1
	s_or_b32 exec_lo, exec_lo, s25
	s_delay_alu instid0(SALU_CYCLE_1)
	s_and_not1_b32 s23, s23, exec_lo
	s_and_b32 s19, s19, exec_lo
	s_and_b32 s18, s18, exec_lo
	s_or_b32 s23, s23, s19
	s_and_not1_b32 s19, s74, exec_lo
	s_and_not1_b32 s25, s70, exec_lo
	s_and_b32 s9, s9, exec_lo
	s_or_b32 s74, s19, s18
	s_or_b32 s70, s25, s9
	s_and_b32 s24, s24, exec_lo
	s_and_b32 s25, s8, exec_lo
.LBB198_289:                            ;   in Loop: Header=BB198_18 Depth=1
	s_or_b32 exec_lo, exec_lo, s76
	s_delay_alu instid0(SALU_CYCLE_1)
	s_and_b32 vcc_lo, exec_lo, s75
	s_cbranch_vccz .LBB198_108
.LBB198_290:                            ;   in Loop: Header=BB198_18 Depth=1
	s_cmp_eq_u64 s[16:17], 1
                                        ; implicit-def: $sgpr18
                                        ; implicit-def: $sgpr19
                                        ; implicit-def: $sgpr23
	s_cselect_b32 s8, -1, 0
	s_delay_alu instid0(SALU_CYCLE_1)
	s_and_b32 s60, s8, s7
	s_mov_b32 s7, -1
	s_and_saveexec_b32 s61, s60
	s_cbranch_execz .LBB198_322
; %bb.291:                              ;   in Loop: Header=BB198_18 Depth=1
	ds_load_b64 v[2:3], v13 offset:5120
	s_waitcnt lgkmcnt(0)
	s_barrier
	buffer_gl0_inv
	v_readfirstlane_b32 s8, v2
	v_readfirstlane_b32 s9, v3
	s_and_saveexec_b32 s7, s6
	s_cbranch_execz .LBB198_293
; %bb.292:                              ;   in Loop: Header=BB198_18 Depth=1
	ds_store_b32 v28, v13
.LBB198_293:                            ;   in Loop: Header=BB198_18 Depth=1
	s_or_b32 exec_lo, exec_lo, s7
	v_or_b32_e32 v32, s20, v32
	v_or_b32_e32 v31, s20, v31
	s_cmp_eq_u64 s[8:9], 0
	s_waitcnt lgkmcnt(0)
	s_barrier
	buffer_gl0_inv
	s_cbranch_scc1 .LBB198_305
; %bb.294:                              ;   in Loop: Header=BB198_18 Depth=1
	s_add_u32 s23, s86, s8
	s_addc_u32 s19, s87, s9
	s_mov_b32 s18, s71
	s_delay_alu instid0(SALU_CYCLE_1)
	s_cmp_lg_u64 s[18:19], 0
	s_cbranch_scc0 .LBB198_349
; %bb.295:                              ;   in Loop: Header=BB198_18 Depth=1
	v_cvt_f32_u32_e32 v2, s35
	s_sub_u32 s26, 0, s35
	s_subb_u32 s62, 0, 0
	s_delay_alu instid0(VALU_DEP_1) | instskip(NEXT) | instid1(VALU_DEP_1)
	v_fmac_f32_e64 v2, 0, 0x4f800000
	v_rcp_f32_e32 v2, v2
	s_waitcnt_depctr 0xfff
	v_mul_f32_e32 v2, 0x5f7ffffc, v2
	s_delay_alu instid0(VALU_DEP_1) | instskip(NEXT) | instid1(VALU_DEP_1)
	v_mul_f32_e32 v3, 0x2f800000, v2
	v_trunc_f32_e32 v3, v3
	s_delay_alu instid0(VALU_DEP_1) | instskip(SKIP_1) | instid1(VALU_DEP_2)
	v_fmac_f32_e32 v2, 0xcf800000, v3
	v_cvt_u32_f32_e32 v3, v3
	v_cvt_u32_f32_e32 v2, v2
	s_delay_alu instid0(VALU_DEP_2) | instskip(NEXT) | instid1(VALU_DEP_2)
	v_readfirstlane_b32 s7, v3
	v_readfirstlane_b32 s18, v2
	s_delay_alu instid0(VALU_DEP_2) | instskip(NEXT) | instid1(VALU_DEP_1)
	s_mul_i32 s63, s26, s7
	s_mul_hi_u32 s69, s26, s18
	s_mul_i32 s68, s62, s18
	s_add_i32 s63, s69, s63
	s_mul_i32 s70, s26, s18
	s_add_i32 s63, s63, s68
	s_mul_hi_u32 s69, s18, s70
	s_mul_hi_u32 s74, s7, s70
	s_mul_i32 s68, s7, s70
	s_mul_hi_u32 s70, s18, s63
	s_mul_i32 s18, s18, s63
	s_mul_hi_u32 s75, s7, s63
	s_add_u32 s18, s69, s18
	s_addc_u32 s69, 0, s70
	s_add_u32 s18, s18, s68
	s_mul_i32 s63, s7, s63
	s_addc_u32 s18, s69, s74
	s_addc_u32 s68, s75, 0
	s_add_u32 s18, s18, s63
	s_addc_u32 s63, 0, s68
	v_add_co_u32 v2, s18, v2, s18
	s_delay_alu instid0(VALU_DEP_1) | instskip(SKIP_1) | instid1(VALU_DEP_1)
	s_cmp_lg_u32 s18, 0
	s_addc_u32 s7, s7, s63
	v_readfirstlane_b32 s18, v2
	s_mul_i32 s63, s26, s7
	s_delay_alu instid0(VALU_DEP_1)
	s_mul_hi_u32 s68, s26, s18
	s_mul_i32 s62, s62, s18
	s_add_i32 s63, s68, s63
	s_mul_i32 s26, s26, s18
	s_add_i32 s63, s63, s62
	s_mul_hi_u32 s68, s7, s26
	s_mul_i32 s69, s7, s26
	s_mul_hi_u32 s26, s18, s26
	s_mul_hi_u32 s70, s18, s63
	s_mul_i32 s18, s18, s63
	s_mul_hi_u32 s62, s7, s63
	s_add_u32 s18, s26, s18
	s_addc_u32 s26, 0, s70
	s_add_u32 s18, s18, s69
	s_mul_i32 s63, s7, s63
	s_addc_u32 s18, s26, s68
	s_addc_u32 s26, s62, 0
	s_add_u32 s18, s18, s63
	s_addc_u32 s26, 0, s26
	v_add_co_u32 v2, s18, v2, s18
	s_delay_alu instid0(VALU_DEP_1) | instskip(SKIP_1) | instid1(VALU_DEP_1)
	s_cmp_lg_u32 s18, 0
	s_addc_u32 s7, s7, s26
	v_readfirstlane_b32 s18, v2
	s_mul_i32 s62, s23, s7
	s_mul_hi_u32 s26, s23, s7
	s_mul_hi_u32 s63, s19, s7
	s_mul_i32 s7, s19, s7
	s_mul_hi_u32 s68, s23, s18
	s_mul_hi_u32 s69, s19, s18
	s_mul_i32 s18, s19, s18
	s_add_u32 s62, s68, s62
	s_addc_u32 s26, 0, s26
	s_add_u32 s18, s62, s18
	s_addc_u32 s18, s26, s69
	s_addc_u32 s26, s63, 0
	s_add_u32 s7, s18, s7
	s_addc_u32 s18, 0, s26
	s_mul_hi_u32 s26, s35, s7
	s_mul_i32 s7, s35, s7
	s_mul_i32 s18, s35, s18
	v_sub_co_u32 v2, s7, s23, s7
	s_add_i32 s26, s26, s18
	s_cmp_lg_u32 s7, 0
	s_delay_alu instid0(VALU_DEP_1) | instskip(SKIP_2) | instid1(VALU_DEP_1)
	v_sub_co_u32 v3, s7, v2, s35
	s_subb_u32 s18, s19, s26
	s_cmp_lg_u32 s7, 0
	v_cmp_le_u32_e32 vcc_lo, s35, v3
	v_sub_co_u32 v4, s7, v3, s35
	s_subb_u32 s26, s18, 0
	s_cmp_lg_u32 s7, 0
	v_cndmask_b32_e64 v5, 0, -1, vcc_lo
	s_subb_u32 s7, s26, 0
	s_cmp_eq_u32 s26, 0
	v_mov_b32_e32 v7, s7
	s_cselect_b32 vcc_lo, -1, 0
	s_cmp_eq_u32 s18, 0
	v_cndmask_b32_e32 v5, -1, v5, vcc_lo
	v_cmp_le_u32_e32 vcc_lo, s35, v2
	s_cselect_b32 s7, -1, 0
	v_cndmask_b32_e64 v6, 0, -1, vcc_lo
	s_delay_alu instid0(VALU_DEP_3) | instskip(NEXT) | instid1(VALU_DEP_2)
	v_cmp_ne_u32_e32 vcc_lo, 0, v5
	v_cndmask_b32_e64 v5, -1, v6, s7
	v_cndmask_b32_e32 v6, s26, v7, vcc_lo
	v_cndmask_b32_e32 v4, v3, v4, vcc_lo
	s_delay_alu instid0(VALU_DEP_3) | instskip(NEXT) | instid1(VALU_DEP_3)
	v_cmp_ne_u32_e32 vcc_lo, 0, v5
	v_cndmask_b32_e32 v3, s18, v6, vcc_lo
	s_delay_alu instid0(VALU_DEP_3)
	v_cndmask_b32_e32 v2, v2, v4, vcc_lo
	s_cbranch_execnz .LBB198_297
.LBB198_296:                            ;   in Loop: Header=BB198_18 Depth=1
	v_cvt_f32_u32_e32 v2, s35
	s_sub_i32 s7, 0, s35
	s_delay_alu instid0(VALU_DEP_1) | instskip(SKIP_2) | instid1(VALU_DEP_1)
	v_rcp_iflag_f32_e32 v2, v2
	s_waitcnt_depctr 0xfff
	v_mul_f32_e32 v2, 0x4f7ffffe, v2
	v_cvt_u32_f32_e32 v2, v2
	s_delay_alu instid0(VALU_DEP_1) | instskip(NEXT) | instid1(VALU_DEP_1)
	v_mul_lo_u32 v3, s7, v2
	v_mul_hi_u32 v3, v2, v3
	s_delay_alu instid0(VALU_DEP_1) | instskip(NEXT) | instid1(VALU_DEP_1)
	v_add_nc_u32_e32 v2, v2, v3
	v_mul_hi_u32 v2, s23, v2
	s_delay_alu instid0(VALU_DEP_1) | instskip(NEXT) | instid1(VALU_DEP_1)
	v_mul_lo_u32 v2, v2, s35
	v_sub_nc_u32_e32 v2, s23, v2
	s_delay_alu instid0(VALU_DEP_1) | instskip(SKIP_1) | instid1(VALU_DEP_2)
	v_subrev_nc_u32_e32 v3, s35, v2
	v_cmp_le_u32_e32 vcc_lo, s35, v2
	v_cndmask_b32_e32 v2, v2, v3, vcc_lo
	s_delay_alu instid0(VALU_DEP_1) | instskip(SKIP_1) | instid1(VALU_DEP_2)
	v_subrev_nc_u32_e32 v3, s35, v2
	v_cmp_le_u32_e32 vcc_lo, s35, v2
	v_cndmask_b32_e32 v12, v2, v3, vcc_lo
	s_delay_alu instid0(VALU_DEP_1)
	v_dual_mov_b32 v2, v12 :: v_dual_mov_b32 v3, v13
.LBB198_297:                            ;   in Loop: Header=BB198_18 Depth=1
	s_delay_alu instid0(VALU_DEP_1) | instskip(NEXT) | instid1(VALU_DEP_2)
	v_sub_co_u32 v2, vcc_lo, s23, v2
	v_sub_co_ci_u32_e32 v3, vcc_lo, s19, v3, vcc_lo
	s_mov_b32 s7, 0
	s_mov_b32 s18, exec_lo
                                        ; implicit-def: $vgpr18
	s_delay_alu instid0(VALU_DEP_1)
	v_cmpx_gt_u64_e64 v[2:3], v[0:1]
	s_cbranch_execz .LBB198_307
; %bb.298:                              ;   in Loop: Header=BB198_18 Depth=1
	v_dual_mov_b32 v6, v14 :: v_dual_mov_b32 v5, v1
	v_mov_b32_e32 v4, v0
	s_mov_b32 s19, 0
                                        ; implicit-def: $sgpr23
	s_set_inst_prefetch_distance 0x1
	s_branch .LBB198_300
	.p2align	6
.LBB198_299:                            ;   in Loop: Header=BB198_300 Depth=2
	s_or_b32 exec_lo, exec_lo, s7
	s_waitcnt lgkmcnt(0)
	s_barrier
	buffer_gl0_inv
	ds_load_b64 v[17:18], v13 offset:3072
	v_add_co_u32 v4, vcc_lo, v4, s35
	v_add_co_ci_u32_e32 v5, vcc_lo, 0, v5, vcc_lo
	v_add_nc_u32_e32 v6, s94, v6
	s_waitcnt lgkmcnt(0)
	s_barrier
	s_delay_alu instid0(VALU_DEP_2) | instskip(SKIP_2) | instid1(VALU_DEP_1)
	v_cmp_ge_u64_e32 vcc_lo, v[4:5], v[2:3]
	buffer_gl0_inv
	v_cmp_neq_f32_e64 s7, 0, v17
	s_or_b32 s26, vcc_lo, s7
	s_delay_alu instid0(SALU_CYCLE_1) | instskip(NEXT) | instid1(SALU_CYCLE_1)
	s_and_b32 s26, exec_lo, s26
	s_or_b32 s19, s26, s19
	s_and_not1_b32 s23, s23, exec_lo
	s_and_b32 s7, s7, exec_lo
	s_delay_alu instid0(SALU_CYCLE_1)
	s_or_b32 s23, s23, s7
	s_and_not1_b32 exec_lo, exec_lo, s19
	s_cbranch_execz .LBB198_306
.LBB198_300:                            ;   Parent Loop BB198_18 Depth=1
                                        ; =>  This Inner Loop Header: Depth=2
	s_delay_alu instid0(VALU_DEP_1)
	v_cmp_gt_u64_e32 vcc_lo, s[8:9], v[4:5]
	v_mov_b32_e32 v17, 0
	s_and_saveexec_b32 s7, vcc_lo
	s_cbranch_execz .LBB198_302
; %bb.301:                              ;   in Loop: Header=BB198_300 Depth=2
	ds_load_b32 v17, v6
.LBB198_302:                            ;   in Loop: Header=BB198_300 Depth=2
	s_or_b32 exec_lo, exec_lo, s7
	s_and_saveexec_b32 s7, vcc_lo
	s_cbranch_execz .LBB198_299
; %bb.303:                              ;   in Loop: Header=BB198_300 Depth=2
	s_waitcnt lgkmcnt(0)
	v_cmp_lt_i32_e32 vcc_lo, -1, v17
	v_cndmask_b32_e64 v7, -1, 0x80000000, vcc_lo
	v_cmp_o_f32_e32 vcc_lo, v17, v17
	s_delay_alu instid0(VALU_DEP_2) | instskip(NEXT) | instid1(VALU_DEP_1)
	v_xor_b32_e32 v7, v7, v17
	v_cndmask_b32_e32 v7, -1, v7, vcc_lo
	s_delay_alu instid0(VALU_DEP_1) | instskip(NEXT) | instid1(VALU_DEP_1)
	v_and_b32_e32 v7, v7, v31
	v_cmp_eq_u32_e32 vcc_lo, v7, v32
	s_and_b32 exec_lo, exec_lo, vcc_lo
	s_cbranch_execz .LBB198_299
; %bb.304:                              ;   in Loop: Header=BB198_300 Depth=2
	ds_store_b64 v13, v[16:17] offset:3072
	s_branch .LBB198_299
.LBB198_305:                            ;   in Loop: Header=BB198_18 Depth=1
	s_mov_b32 s18, -1
	s_mov_b32 s7, 0
                                        ; implicit-def: $sgpr19
                                        ; implicit-def: $vgpr18
	s_mov_b32 s23, s18
	s_cbranch_execnz .LBB198_308
	s_branch .LBB198_321
.LBB198_306:                            ;   in Loop: Header=BB198_18 Depth=1
	s_set_inst_prefetch_distance 0x2
	s_or_b32 exec_lo, exec_lo, s19
	s_delay_alu instid0(SALU_CYCLE_1)
	s_and_b32 s7, s23, exec_lo
.LBB198_307:                            ;   in Loop: Header=BB198_18 Depth=1
	s_or_b32 exec_lo, exec_lo, s18
	s_mov_b32 s18, 0
	s_mov_b32 s19, -1
	s_mov_b32 s23, s18
	s_branch .LBB198_321
.LBB198_308:                            ;   in Loop: Header=BB198_18 Depth=1
	s_mov_b32 s26, s71
	s_delay_alu instid0(SALU_CYCLE_1)
	s_cmp_lg_u64 s[26:27], 0
	s_cbranch_scc0 .LBB198_350
; %bb.309:                              ;   in Loop: Header=BB198_18 Depth=1
	v_cvt_f32_u32_e32 v2, s35
	s_sub_u32 s9, 0, s35
	s_subb_u32 s18, 0, 0
	s_delay_alu instid0(VALU_DEP_1) | instskip(NEXT) | instid1(VALU_DEP_1)
	v_fmac_f32_e64 v2, 0, 0x4f800000
	v_rcp_f32_e32 v2, v2
	s_waitcnt_depctr 0xfff
	v_mul_f32_e32 v2, 0x5f7ffffc, v2
	s_delay_alu instid0(VALU_DEP_1) | instskip(NEXT) | instid1(VALU_DEP_1)
	v_mul_f32_e32 v3, 0x2f800000, v2
	v_trunc_f32_e32 v3, v3
	s_delay_alu instid0(VALU_DEP_1) | instskip(SKIP_1) | instid1(VALU_DEP_2)
	v_fmac_f32_e32 v2, 0xcf800000, v3
	v_cvt_u32_f32_e32 v3, v3
	v_cvt_u32_f32_e32 v2, v2
	s_delay_alu instid0(VALU_DEP_2) | instskip(NEXT) | instid1(VALU_DEP_2)
	v_readfirstlane_b32 s7, v3
	v_readfirstlane_b32 s8, v2
	s_delay_alu instid0(VALU_DEP_2) | instskip(NEXT) | instid1(VALU_DEP_1)
	s_mul_i32 s19, s9, s7
	s_mul_hi_u32 s26, s9, s8
	s_mul_i32 s23, s18, s8
	s_add_i32 s19, s26, s19
	s_mul_i32 s62, s9, s8
	s_add_i32 s19, s19, s23
	s_mul_hi_u32 s26, s8, s62
	s_mul_hi_u32 s63, s7, s62
	s_mul_i32 s23, s7, s62
	s_mul_hi_u32 s62, s8, s19
	s_mul_i32 s8, s8, s19
	s_mul_hi_u32 s68, s7, s19
	s_add_u32 s8, s26, s8
	s_addc_u32 s26, 0, s62
	s_add_u32 s8, s8, s23
	s_mul_i32 s19, s7, s19
	s_addc_u32 s8, s26, s63
	s_addc_u32 s23, s68, 0
	s_add_u32 s8, s8, s19
	s_addc_u32 s19, 0, s23
	v_add_co_u32 v2, s8, v2, s8
	s_delay_alu instid0(VALU_DEP_1) | instskip(SKIP_1) | instid1(VALU_DEP_1)
	s_cmp_lg_u32 s8, 0
	s_addc_u32 s7, s7, s19
	v_readfirstlane_b32 s8, v2
	s_mul_i32 s19, s9, s7
	s_delay_alu instid0(VALU_DEP_1)
	s_mul_hi_u32 s23, s9, s8
	s_mul_i32 s18, s18, s8
	s_add_i32 s19, s23, s19
	s_mul_i32 s9, s9, s8
	s_add_i32 s19, s19, s18
	s_mul_hi_u32 s23, s7, s9
	s_mul_i32 s26, s7, s9
	s_mul_hi_u32 s9, s8, s9
	s_mul_hi_u32 s62, s8, s19
	s_mul_i32 s8, s8, s19
	s_mul_hi_u32 s18, s7, s19
	s_add_u32 s8, s9, s8
	s_addc_u32 s9, 0, s62
	s_add_u32 s8, s8, s26
	s_mul_i32 s19, s7, s19
	s_addc_u32 s8, s9, s23
	s_addc_u32 s9, s18, 0
	s_add_u32 s8, s8, s19
	s_addc_u32 s9, 0, s9
	v_add_co_u32 v2, s8, v2, s8
	s_delay_alu instid0(VALU_DEP_1) | instskip(SKIP_1) | instid1(VALU_DEP_1)
	s_cmp_lg_u32 s8, 0
	s_addc_u32 s7, s7, s9
	v_readfirstlane_b32 s8, v2
	s_mul_i32 s18, s88, s7
	s_mul_hi_u32 s9, s88, s7
	s_mul_hi_u32 s19, s27, s7
	s_mul_i32 s7, s27, s7
	s_mul_hi_u32 s23, s88, s8
	s_mul_hi_u32 s26, s27, s8
	s_mul_i32 s8, s27, s8
	s_add_u32 s18, s23, s18
	s_addc_u32 s9, 0, s9
	s_add_u32 s8, s18, s8
	s_addc_u32 s8, s9, s26
	s_addc_u32 s9, s19, 0
	s_add_u32 s7, s8, s7
	s_addc_u32 s8, 0, s9
	s_mul_hi_u32 s9, s35, s7
	s_mul_i32 s7, s35, s7
	s_mul_i32 s8, s35, s8
	v_sub_co_u32 v2, s7, s88, s7
	s_add_i32 s9, s9, s8
	s_cmp_lg_u32 s7, 0
	s_delay_alu instid0(VALU_DEP_1) | instskip(SKIP_2) | instid1(VALU_DEP_1)
	v_sub_co_u32 v3, s7, v2, s35
	s_subb_u32 s8, s27, s9
	s_cmp_lg_u32 s7, 0
	v_cmp_le_u32_e32 vcc_lo, s35, v3
	v_sub_co_u32 v4, s7, v3, s35
	s_subb_u32 s9, s8, 0
	s_cmp_lg_u32 s7, 0
	v_cndmask_b32_e64 v5, 0, -1, vcc_lo
	s_subb_u32 s7, s9, 0
	s_cmp_eq_u32 s9, 0
	v_mov_b32_e32 v7, s7
	s_cselect_b32 vcc_lo, -1, 0
	s_cmp_eq_u32 s8, 0
	v_cndmask_b32_e32 v5, -1, v5, vcc_lo
	v_cmp_le_u32_e32 vcc_lo, s35, v2
	s_cselect_b32 s7, -1, 0
	v_cndmask_b32_e64 v6, 0, -1, vcc_lo
	s_delay_alu instid0(VALU_DEP_3) | instskip(NEXT) | instid1(VALU_DEP_2)
	v_cmp_ne_u32_e32 vcc_lo, 0, v5
	v_cndmask_b32_e64 v5, -1, v6, s7
	v_cndmask_b32_e32 v6, s9, v7, vcc_lo
	v_cndmask_b32_e32 v4, v3, v4, vcc_lo
	s_delay_alu instid0(VALU_DEP_3) | instskip(NEXT) | instid1(VALU_DEP_3)
	v_cmp_ne_u32_e32 vcc_lo, 0, v5
	v_cndmask_b32_e32 v3, s8, v6, vcc_lo
	s_delay_alu instid0(VALU_DEP_3)
	v_cndmask_b32_e32 v2, v2, v4, vcc_lo
	s_cbranch_execnz .LBB198_311
.LBB198_310:                            ;   in Loop: Header=BB198_18 Depth=1
	v_cvt_f32_u32_e32 v2, s35
	s_sub_i32 s7, 0, s35
	s_delay_alu instid0(VALU_DEP_1) | instskip(SKIP_2) | instid1(VALU_DEP_1)
	v_rcp_iflag_f32_e32 v2, v2
	s_waitcnt_depctr 0xfff
	v_mul_f32_e32 v2, 0x4f7ffffe, v2
	v_cvt_u32_f32_e32 v2, v2
	s_delay_alu instid0(VALU_DEP_1) | instskip(NEXT) | instid1(VALU_DEP_1)
	v_mul_lo_u32 v3, s7, v2
	v_mul_hi_u32 v3, v2, v3
	s_delay_alu instid0(VALU_DEP_1) | instskip(NEXT) | instid1(VALU_DEP_1)
	v_add_nc_u32_e32 v2, v2, v3
	v_mul_hi_u32 v2, s88, v2
	s_delay_alu instid0(VALU_DEP_1) | instskip(NEXT) | instid1(VALU_DEP_1)
	v_mul_lo_u32 v2, v2, s35
	v_sub_nc_u32_e32 v2, s88, v2
	s_delay_alu instid0(VALU_DEP_1) | instskip(SKIP_1) | instid1(VALU_DEP_2)
	v_subrev_nc_u32_e32 v3, s35, v2
	v_cmp_le_u32_e32 vcc_lo, s35, v2
	v_cndmask_b32_e32 v2, v2, v3, vcc_lo
	s_delay_alu instid0(VALU_DEP_1) | instskip(SKIP_1) | instid1(VALU_DEP_2)
	v_subrev_nc_u32_e32 v3, s35, v2
	v_cmp_le_u32_e32 vcc_lo, s35, v2
	v_cndmask_b32_e32 v12, v2, v3, vcc_lo
	s_delay_alu instid0(VALU_DEP_1)
	v_dual_mov_b32 v2, v12 :: v_dual_mov_b32 v3, v13
.LBB198_311:                            ;   in Loop: Header=BB198_18 Depth=1
	s_delay_alu instid0(VALU_DEP_1) | instskip(NEXT) | instid1(VALU_DEP_2)
	v_sub_co_u32 v2, vcc_lo, s88, v2
	v_sub_co_ci_u32_e32 v3, vcc_lo, s27, v3, vcc_lo
	s_mov_b32 s7, 0
	s_mov_b32 s8, exec_lo
                                        ; implicit-def: $vgpr18
	s_delay_alu instid0(VALU_DEP_1)
	v_cmpx_gt_u64_e64 v[2:3], v[0:1]
	s_cbranch_execz .LBB198_320
; %bb.312:                              ;   in Loop: Header=BB198_18 Depth=1
	v_dual_mov_b32 v5, v1 :: v_dual_mov_b32 v4, v0
	s_mov_b32 s9, 0
                                        ; implicit-def: $sgpr18
	s_branch .LBB198_314
.LBB198_313:                            ;   in Loop: Header=BB198_314 Depth=2
	s_or_b32 exec_lo, exec_lo, s7
	s_waitcnt vmcnt(0) lgkmcnt(0)
	s_barrier
	buffer_gl0_inv
	ds_load_b64 v[17:18], v13 offset:3072
	v_add_co_u32 v4, vcc_lo, v4, s35
	v_add_co_ci_u32_e32 v5, vcc_lo, 0, v5, vcc_lo
	s_waitcnt lgkmcnt(0)
	s_barrier
	buffer_gl0_inv
	v_cmp_ge_u64_e32 vcc_lo, v[4:5], v[2:3]
	v_cmp_neq_f32_e64 s7, 0, v17
	s_delay_alu instid0(VALU_DEP_1) | instskip(NEXT) | instid1(SALU_CYCLE_1)
	s_or_b32 s19, vcc_lo, s7
	s_and_b32 s19, exec_lo, s19
	s_delay_alu instid0(SALU_CYCLE_1) | instskip(SKIP_2) | instid1(SALU_CYCLE_1)
	s_or_b32 s9, s19, s9
	s_and_not1_b32 s18, s18, exec_lo
	s_and_b32 s7, s7, exec_lo
	s_or_b32 s18, s18, s7
	s_and_not1_b32 exec_lo, exec_lo, s9
	s_cbranch_execz .LBB198_319
.LBB198_314:                            ;   Parent Loop BB198_18 Depth=1
                                        ; =>  This Inner Loop Header: Depth=2
	s_delay_alu instid0(VALU_DEP_1)
	v_cmp_gt_u64_e32 vcc_lo, s[36:37], v[4:5]
	v_mov_b32_e32 v17, 0
	s_and_saveexec_b32 s19, vcc_lo
	s_cbranch_execz .LBB198_316
; %bb.315:                              ;   in Loop: Header=BB198_314 Depth=2
	v_mul_lo_u32 v8, v5, s30
	v_mul_lo_u32 v9, v4, s31
	v_mad_u64_u32 v[6:7], null, v4, s30, 0
	s_delay_alu instid0(VALU_DEP_1) | instskip(NEXT) | instid1(VALU_DEP_1)
	v_add3_u32 v7, v7, v9, v8
	v_lshlrev_b64 v[6:7], 2, v[6:7]
	s_delay_alu instid0(VALU_DEP_1) | instskip(NEXT) | instid1(VALU_DEP_1)
	v_add_co_u32 v6, s7, s29, v6
	v_add_co_ci_u32_e64 v7, s7, s33, v7, s7
	global_load_b32 v17, v[6:7], off
.LBB198_316:                            ;   in Loop: Header=BB198_314 Depth=2
	s_or_b32 exec_lo, exec_lo, s19
	s_and_saveexec_b32 s7, vcc_lo
	s_cbranch_execz .LBB198_313
; %bb.317:                              ;   in Loop: Header=BB198_314 Depth=2
	s_waitcnt vmcnt(0)
	v_cmp_lt_i32_e32 vcc_lo, -1, v17
	v_cndmask_b32_e64 v6, -1, 0x80000000, vcc_lo
	v_cmp_o_f32_e32 vcc_lo, v17, v17
	s_delay_alu instid0(VALU_DEP_2) | instskip(NEXT) | instid1(VALU_DEP_1)
	v_xor_b32_e32 v6, v6, v17
	v_cndmask_b32_e32 v6, -1, v6, vcc_lo
	s_delay_alu instid0(VALU_DEP_1) | instskip(NEXT) | instid1(VALU_DEP_1)
	v_and_b32_e32 v6, v6, v31
	v_cmp_eq_u32_e32 vcc_lo, v6, v32
	s_and_b32 exec_lo, exec_lo, vcc_lo
	s_cbranch_execz .LBB198_313
; %bb.318:                              ;   in Loop: Header=BB198_314 Depth=2
	ds_store_b64 v13, v[16:17] offset:3072
	s_branch .LBB198_313
.LBB198_319:                            ;   in Loop: Header=BB198_18 Depth=1
	s_or_b32 exec_lo, exec_lo, s9
	s_delay_alu instid0(SALU_CYCLE_1)
	s_and_b32 s7, s18, exec_lo
.LBB198_320:                            ;   in Loop: Header=BB198_18 Depth=1
	s_or_b32 exec_lo, exec_lo, s8
	s_mov_b32 s19, 0
	s_mov_b32 s18, -1
	s_mov_b32 s23, 0
.LBB198_321:                            ;   in Loop: Header=BB198_18 Depth=1
	s_or_not1_b32 s7, s7, exec_lo
.LBB198_322:                            ;   in Loop: Header=BB198_18 Depth=1
	s_or_b32 exec_lo, exec_lo, s61
                                        ; implicit-def: $vgpr8
                                        ; implicit-def: $vgpr2_vgpr3
                                        ; implicit-def: $vgpr21
                                        ; implicit-def: $vgpr22
                                        ; implicit-def: $vgpr5
	s_and_saveexec_b32 s70, s7
	s_cbranch_execz .LBB198_485
; %bb.323:                              ;   in Loop: Header=BB198_18 Depth=1
	v_mov_b32_e32 v2, 1
	v_dual_mov_b32 v3, 0 :: v_dual_mov_b32 v8, 1
	s_xor_b32 s8, s60, -1
	s_mov_b32 s26, 0
	s_and_saveexec_b32 s7, s8
	s_cbranch_execz .LBB198_333
; %bb.324:                              ;   in Loop: Header=BB198_18 Depth=1
	s_mov_b32 s9, exec_lo
                                        ; implicit-def: $sgpr26
                                        ; implicit-def: $sgpr8
	v_cmpx_ge_u64_e64 s[16:17], v[19:20]
	s_xor_b32 s9, exec_lo, s9
	s_cbranch_execz .LBB198_330
; %bb.325:                              ;   in Loop: Header=BB198_18 Depth=1
	ds_load_b64 v[2:3], v13 offset:5120
	s_waitcnt lgkmcnt(0)
	v_cmp_ne_u64_e32 vcc_lo, 0, v[2:3]
	s_cbranch_vccnz .LBB198_329
; %bb.326:                              ;   in Loop: Header=BB198_18 Depth=1
	s_and_saveexec_b32 s8, s5
	s_cbranch_execz .LBB198_328
; %bb.327:                              ;   in Loop: Header=BB198_18 Depth=1
	v_dual_mov_b32 v2, s16 :: v_dual_mov_b32 v3, s17
	ds_store_b64 v13, v[2:3] offset:5128
.LBB198_328:                            ;   in Loop: Header=BB198_18 Depth=1
	s_or_b32 exec_lo, exec_lo, s8
	s_waitcnt lgkmcnt(0)
	s_barrier
	buffer_gl0_inv
.LBB198_329:                            ;   in Loop: Header=BB198_18 Depth=1
	v_or_b32_e32 v32, s20, v32
	v_or_b32_e32 v31, s20, v31
	s_mov_b32 s8, 0
	s_mov_b32 s26, 5
.LBB198_330:                            ;   in Loop: Header=BB198_18 Depth=1
	s_or_saveexec_b32 s9, s9
	v_mov_b32_e32 v8, s26
	s_xor_b32 exec_lo, exec_lo, s9
; %bb.331:                              ;   in Loop: Header=BB198_18 Depth=1
	v_sub_co_u32 v19, vcc_lo, v19, s16
	v_subrev_co_ci_u32_e32 v20, vcc_lo, s17, v20, vcc_lo
	v_mov_b32_e32 v8, 0
	s_or_b32 s8, s8, exec_lo
; %bb.332:                              ;   in Loop: Header=BB198_18 Depth=1
	s_or_b32 exec_lo, exec_lo, s9
	s_delay_alu instid0(VALU_DEP_2)
	v_dual_mov_b32 v2, v19 :: v_dual_mov_b32 v3, v20
	s_and_b32 s26, s8, exec_lo
.LBB198_333:                            ;   in Loop: Header=BB198_18 Depth=1
	s_or_b32 exec_lo, exec_lo, s7
	s_mov_b32 s17, -1
                                        ; implicit-def: $sgpr8
                                        ; implicit-def: $sgpr9
                                        ; implicit-def: $sgpr16
	s_and_saveexec_b32 s7, s26
	s_delay_alu instid0(SALU_CYCLE_1)
	s_xor_b32 s74, exec_lo, s7
	s_cbranch_execz .LBB198_482
; %bb.334:                              ;   in Loop: Header=BB198_18 Depth=1
	v_cmp_eq_u64_e32 vcc_lo, 1, v[2:3]
	s_cmp_eq_u64 s[14:15], 1
                                        ; implicit-def: $sgpr16
                                        ; implicit-def: $sgpr17
                                        ; implicit-def: $sgpr75
	s_cselect_b32 s7, -1, 0
	s_delay_alu instid0(SALU_CYCLE_1)
	s_and_b32 s60, s7, vcc_lo
	s_mov_b32 s7, -1
	s_and_saveexec_b32 s61, s60
	s_cbranch_execz .LBB198_368
; %bb.335:                              ;   in Loop: Header=BB198_18 Depth=1
	ds_load_b64 v[4:5], v13 offset:5120
	s_waitcnt lgkmcnt(0)
	s_barrier
	buffer_gl0_inv
	v_readfirstlane_b32 s8, v4
	v_readfirstlane_b32 s9, v5
	s_and_saveexec_b32 s7, s6
	s_cbranch_execz .LBB198_337
; %bb.336:                              ;   in Loop: Header=BB198_18 Depth=1
	ds_store_b32 v28, v13
.LBB198_337:                            ;   in Loop: Header=BB198_18 Depth=1
	s_or_b32 exec_lo, exec_lo, s7
	s_lshl_b32 s7, 2, s22
	v_or_b32_e32 v31, s20, v31
	v_and_or_b32 v32, v32, s21, s7
	s_cmp_eq_u64 s[8:9], 0
	s_waitcnt lgkmcnt(0)
	s_barrier
	buffer_gl0_inv
	s_cbranch_scc1 .LBB198_351
; %bb.338:                              ;   in Loop: Header=BB198_18 Depth=1
	s_add_u32 s26, s86, s8
	s_addc_u32 s17, s87, s9
	s_mov_b32 s16, s71
	s_delay_alu instid0(SALU_CYCLE_1)
	s_cmp_lg_u64 s[16:17], 0
	s_cbranch_scc0 .LBB198_395
; %bb.339:                              ;   in Loop: Header=BB198_18 Depth=1
	v_cvt_f32_u32_e32 v4, s35
	s_sub_u32 s62, 0, s35
	s_subb_u32 s63, 0, 0
	s_delay_alu instid0(VALU_DEP_1) | instskip(NEXT) | instid1(VALU_DEP_1)
	v_fmac_f32_e64 v4, 0, 0x4f800000
	v_rcp_f32_e32 v4, v4
	s_waitcnt_depctr 0xfff
	v_mul_f32_e32 v4, 0x5f7ffffc, v4
	s_delay_alu instid0(VALU_DEP_1) | instskip(NEXT) | instid1(VALU_DEP_1)
	v_mul_f32_e32 v5, 0x2f800000, v4
	v_trunc_f32_e32 v5, v5
	s_delay_alu instid0(VALU_DEP_1) | instskip(SKIP_1) | instid1(VALU_DEP_2)
	v_fmac_f32_e32 v4, 0xcf800000, v5
	v_cvt_u32_f32_e32 v5, v5
	v_cvt_u32_f32_e32 v4, v4
	s_delay_alu instid0(VALU_DEP_2) | instskip(NEXT) | instid1(VALU_DEP_2)
	v_readfirstlane_b32 s7, v5
	v_readfirstlane_b32 s16, v4
	s_delay_alu instid0(VALU_DEP_2) | instskip(NEXT) | instid1(VALU_DEP_1)
	s_mul_i32 s68, s62, s7
	s_mul_hi_u32 s75, s62, s16
	s_mul_i32 s69, s63, s16
	s_add_i32 s68, s75, s68
	s_mul_i32 s76, s62, s16
	s_add_i32 s68, s68, s69
	s_mul_hi_u32 s75, s16, s76
	s_mul_hi_u32 s77, s7, s76
	s_mul_i32 s69, s7, s76
	s_mul_hi_u32 s76, s16, s68
	s_mul_i32 s16, s16, s68
	s_mul_hi_u32 s78, s7, s68
	s_add_u32 s16, s75, s16
	s_addc_u32 s75, 0, s76
	s_add_u32 s16, s16, s69
	s_mul_i32 s68, s7, s68
	s_addc_u32 s16, s75, s77
	s_addc_u32 s69, s78, 0
	s_add_u32 s16, s16, s68
	s_addc_u32 s68, 0, s69
	v_add_co_u32 v4, s16, v4, s16
	s_delay_alu instid0(VALU_DEP_1) | instskip(SKIP_1) | instid1(VALU_DEP_1)
	s_cmp_lg_u32 s16, 0
	s_addc_u32 s7, s7, s68
	v_readfirstlane_b32 s16, v4
	s_mul_i32 s68, s62, s7
	s_delay_alu instid0(VALU_DEP_1)
	s_mul_hi_u32 s69, s62, s16
	s_mul_i32 s63, s63, s16
	s_add_i32 s68, s69, s68
	s_mul_i32 s62, s62, s16
	s_add_i32 s68, s68, s63
	s_mul_hi_u32 s69, s7, s62
	s_mul_i32 s75, s7, s62
	s_mul_hi_u32 s62, s16, s62
	s_mul_hi_u32 s76, s16, s68
	s_mul_i32 s16, s16, s68
	s_mul_hi_u32 s63, s7, s68
	s_add_u32 s16, s62, s16
	s_addc_u32 s62, 0, s76
	s_add_u32 s16, s16, s75
	s_mul_i32 s68, s7, s68
	s_addc_u32 s16, s62, s69
	s_addc_u32 s62, s63, 0
	s_add_u32 s16, s16, s68
	s_addc_u32 s62, 0, s62
	v_add_co_u32 v4, s16, v4, s16
	s_delay_alu instid0(VALU_DEP_1) | instskip(SKIP_1) | instid1(VALU_DEP_1)
	s_cmp_lg_u32 s16, 0
	s_addc_u32 s7, s7, s62
	v_readfirstlane_b32 s16, v4
	s_mul_i32 s63, s26, s7
	s_mul_hi_u32 s62, s26, s7
	s_mul_hi_u32 s68, s17, s7
	s_mul_i32 s7, s17, s7
	s_mul_hi_u32 s69, s26, s16
	s_mul_hi_u32 s75, s17, s16
	s_mul_i32 s16, s17, s16
	s_add_u32 s63, s69, s63
	s_addc_u32 s62, 0, s62
	s_add_u32 s16, s63, s16
	s_addc_u32 s16, s62, s75
	s_addc_u32 s62, s68, 0
	s_add_u32 s7, s16, s7
	s_addc_u32 s16, 0, s62
	s_mul_hi_u32 s62, s35, s7
	s_mul_i32 s7, s35, s7
	s_mul_i32 s16, s35, s16
	v_sub_co_u32 v4, s7, s26, s7
	s_add_i32 s62, s62, s16
	s_cmp_lg_u32 s7, 0
	s_delay_alu instid0(VALU_DEP_1) | instskip(SKIP_3) | instid1(VALU_DEP_2)
	v_sub_co_u32 v5, s7, v4, s35
	s_subb_u32 s16, s17, s62
	s_cmp_lg_u32 s7, 0
	v_cmp_le_u32_e32 vcc_lo, s35, v4
	v_cmp_le_u32_e64 s7, s35, v5
	v_sub_co_u32 v6, s62, v5, s35
	s_subb_u32 s63, s16, 0
	s_cmp_lg_u32 s62, 0
	s_delay_alu instid0(VALU_DEP_2)
	v_cndmask_b32_e64 v7, 0, -1, s7
	s_subb_u32 s62, s63, 0
	s_cmp_eq_u32 s63, 0
	v_mov_b32_e32 v9, s62
	v_cndmask_b32_e64 v8, 0, -1, vcc_lo
	s_cselect_b32 vcc_lo, -1, 0
	s_cmp_eq_u32 s16, 0
	v_cndmask_b32_e32 v7, -1, v7, vcc_lo
	s_cselect_b32 vcc_lo, -1, 0
	v_cndmask_b32_e32 v8, -1, v8, vcc_lo
	s_delay_alu instid0(VALU_DEP_2) | instskip(NEXT) | instid1(VALU_DEP_2)
	v_cmp_ne_u32_e32 vcc_lo, 0, v7
	v_cmp_ne_u32_e64 s7, 0, v8
	v_cndmask_b32_e32 v7, s63, v9, vcc_lo
	v_cndmask_b32_e32 v6, v5, v6, vcc_lo
	s_delay_alu instid0(VALU_DEP_2) | instskip(NEXT) | instid1(VALU_DEP_2)
	v_cndmask_b32_e64 v5, s16, v7, s7
	v_cndmask_b32_e64 v4, v4, v6, s7
	s_cbranch_execnz .LBB198_341
.LBB198_340:                            ;   in Loop: Header=BB198_18 Depth=1
	v_cvt_f32_u32_e32 v4, s35
	s_sub_i32 s7, 0, s35
	s_delay_alu instid0(VALU_DEP_1) | instskip(SKIP_2) | instid1(VALU_DEP_1)
	v_rcp_iflag_f32_e32 v4, v4
	s_waitcnt_depctr 0xfff
	v_mul_f32_e32 v4, 0x4f7ffffe, v4
	v_cvt_u32_f32_e32 v4, v4
	s_delay_alu instid0(VALU_DEP_1) | instskip(NEXT) | instid1(VALU_DEP_1)
	v_mul_lo_u32 v5, s7, v4
	v_mul_hi_u32 v5, v4, v5
	s_delay_alu instid0(VALU_DEP_1) | instskip(NEXT) | instid1(VALU_DEP_1)
	v_add_nc_u32_e32 v4, v4, v5
	v_mul_hi_u32 v4, s26, v4
	s_delay_alu instid0(VALU_DEP_1) | instskip(NEXT) | instid1(VALU_DEP_1)
	v_mul_lo_u32 v4, v4, s35
	v_sub_nc_u32_e32 v4, s26, v4
	s_delay_alu instid0(VALU_DEP_1) | instskip(SKIP_1) | instid1(VALU_DEP_2)
	v_subrev_nc_u32_e32 v5, s35, v4
	v_cmp_le_u32_e32 vcc_lo, s35, v4
	v_cndmask_b32_e32 v4, v4, v5, vcc_lo
	s_delay_alu instid0(VALU_DEP_1) | instskip(SKIP_1) | instid1(VALU_DEP_2)
	v_subrev_nc_u32_e32 v5, s35, v4
	v_cmp_le_u32_e32 vcc_lo, s35, v4
	v_cndmask_b32_e32 v12, v4, v5, vcc_lo
	s_delay_alu instid0(VALU_DEP_1)
	v_dual_mov_b32 v4, v12 :: v_dual_mov_b32 v5, v13
.LBB198_341:                            ;   in Loop: Header=BB198_18 Depth=1
	s_delay_alu instid0(VALU_DEP_1) | instskip(NEXT) | instid1(VALU_DEP_2)
	v_sub_co_u32 v4, vcc_lo, s26, v4
	v_sub_co_ci_u32_e32 v5, vcc_lo, s17, v5, vcc_lo
	s_mov_b32 s7, 0
	s_mov_b32 s16, exec_lo
                                        ; implicit-def: $vgpr18
	s_delay_alu instid0(VALU_DEP_1)
	v_cmpx_gt_u64_e64 v[4:5], v[0:1]
	s_cbranch_execz .LBB198_353
; %bb.342:                              ;   in Loop: Header=BB198_18 Depth=1
	v_dual_mov_b32 v8, v14 :: v_dual_mov_b32 v7, v1
	v_mov_b32_e32 v6, v0
	s_mov_b32 s17, 0
                                        ; implicit-def: $sgpr26
	s_set_inst_prefetch_distance 0x1
	s_branch .LBB198_344
	.p2align	6
.LBB198_343:                            ;   in Loop: Header=BB198_344 Depth=2
	s_or_b32 exec_lo, exec_lo, s7
	s_waitcnt lgkmcnt(0)
	s_barrier
	buffer_gl0_inv
	ds_load_b64 v[17:18], v13 offset:3072
	v_add_co_u32 v6, vcc_lo, v6, s35
	v_add_co_ci_u32_e32 v7, vcc_lo, 0, v7, vcc_lo
	v_add_nc_u32_e32 v8, s94, v8
	s_waitcnt lgkmcnt(0)
	s_barrier
	s_delay_alu instid0(VALU_DEP_2) | instskip(SKIP_2) | instid1(VALU_DEP_1)
	v_cmp_ge_u64_e32 vcc_lo, v[6:7], v[4:5]
	buffer_gl0_inv
	v_cmp_neq_f32_e64 s7, 0, v17
	s_or_b32 s62, vcc_lo, s7
	s_delay_alu instid0(SALU_CYCLE_1) | instskip(NEXT) | instid1(SALU_CYCLE_1)
	s_and_b32 s62, exec_lo, s62
	s_or_b32 s17, s62, s17
	s_and_not1_b32 s26, s26, exec_lo
	s_and_b32 s7, s7, exec_lo
	s_delay_alu instid0(SALU_CYCLE_1)
	s_or_b32 s26, s26, s7
	s_and_not1_b32 exec_lo, exec_lo, s17
	s_cbranch_execz .LBB198_352
.LBB198_344:                            ;   Parent Loop BB198_18 Depth=1
                                        ; =>  This Inner Loop Header: Depth=2
	s_delay_alu instid0(VALU_DEP_1)
	v_cmp_gt_u64_e32 vcc_lo, s[8:9], v[6:7]
	v_mov_b32_e32 v17, 0
	s_and_saveexec_b32 s7, vcc_lo
	s_cbranch_execz .LBB198_346
; %bb.345:                              ;   in Loop: Header=BB198_344 Depth=2
	ds_load_b32 v17, v8
.LBB198_346:                            ;   in Loop: Header=BB198_344 Depth=2
	s_or_b32 exec_lo, exec_lo, s7
	s_and_saveexec_b32 s7, vcc_lo
	s_cbranch_execz .LBB198_343
; %bb.347:                              ;   in Loop: Header=BB198_344 Depth=2
	s_waitcnt lgkmcnt(0)
	v_cmp_lt_i32_e32 vcc_lo, -1, v17
	v_cndmask_b32_e64 v9, -1, 0x80000000, vcc_lo
	v_cmp_o_f32_e32 vcc_lo, v17, v17
	s_delay_alu instid0(VALU_DEP_2) | instskip(NEXT) | instid1(VALU_DEP_1)
	v_xor_b32_e32 v9, v9, v17
	v_cndmask_b32_e32 v9, -1, v9, vcc_lo
	s_delay_alu instid0(VALU_DEP_1) | instskip(NEXT) | instid1(VALU_DEP_1)
	v_and_b32_e32 v9, v9, v31
	v_cmp_eq_u32_e32 vcc_lo, v9, v32
	s_and_b32 exec_lo, exec_lo, vcc_lo
	s_cbranch_execz .LBB198_343
; %bb.348:                              ;   in Loop: Header=BB198_344 Depth=2
	ds_store_b64 v13, v[16:17] offset:3072
	s_branch .LBB198_343
.LBB198_349:                            ;   in Loop: Header=BB198_18 Depth=1
                                        ; implicit-def: $vgpr2_vgpr3
	s_branch .LBB198_296
.LBB198_350:                            ;   in Loop: Header=BB198_18 Depth=1
                                        ; implicit-def: $vgpr2_vgpr3
	s_branch .LBB198_310
.LBB198_351:                            ;   in Loop: Header=BB198_18 Depth=1
	s_mov_b32 s16, -1
	s_mov_b32 s7, 0
                                        ; implicit-def: $sgpr17
                                        ; implicit-def: $vgpr18
	s_mov_b32 s75, s16
	s_cbranch_execnz .LBB198_354
	s_branch .LBB198_367
.LBB198_352:                            ;   in Loop: Header=BB198_18 Depth=1
	s_set_inst_prefetch_distance 0x2
	s_or_b32 exec_lo, exec_lo, s17
	s_delay_alu instid0(SALU_CYCLE_1)
	s_and_b32 s7, s26, exec_lo
.LBB198_353:                            ;   in Loop: Header=BB198_18 Depth=1
	s_or_b32 exec_lo, exec_lo, s16
	s_mov_b32 s16, 0
	s_mov_b32 s17, -1
	s_mov_b32 s75, s16
	s_branch .LBB198_367
.LBB198_354:                            ;   in Loop: Header=BB198_18 Depth=1
	s_mov_b32 s26, s71
	s_delay_alu instid0(SALU_CYCLE_1)
	s_cmp_lg_u64 s[26:27], 0
	s_cbranch_scc0 .LBB198_396
; %bb.355:                              ;   in Loop: Header=BB198_18 Depth=1
	v_cvt_f32_u32_e32 v4, s35
	s_sub_u32 s9, 0, s35
	s_subb_u32 s16, 0, 0
	s_delay_alu instid0(VALU_DEP_1) | instskip(NEXT) | instid1(VALU_DEP_1)
	v_fmac_f32_e64 v4, 0, 0x4f800000
	v_rcp_f32_e32 v4, v4
	s_waitcnt_depctr 0xfff
	v_mul_f32_e32 v4, 0x5f7ffffc, v4
	s_delay_alu instid0(VALU_DEP_1) | instskip(NEXT) | instid1(VALU_DEP_1)
	v_mul_f32_e32 v5, 0x2f800000, v4
	v_trunc_f32_e32 v5, v5
	s_delay_alu instid0(VALU_DEP_1) | instskip(SKIP_1) | instid1(VALU_DEP_2)
	v_fmac_f32_e32 v4, 0xcf800000, v5
	v_cvt_u32_f32_e32 v5, v5
	v_cvt_u32_f32_e32 v4, v4
	s_delay_alu instid0(VALU_DEP_2) | instskip(NEXT) | instid1(VALU_DEP_2)
	v_readfirstlane_b32 s7, v5
	v_readfirstlane_b32 s8, v4
	s_delay_alu instid0(VALU_DEP_2) | instskip(NEXT) | instid1(VALU_DEP_1)
	s_mul_i32 s17, s9, s7
	s_mul_hi_u32 s62, s9, s8
	s_mul_i32 s26, s16, s8
	s_add_i32 s17, s62, s17
	s_mul_i32 s63, s9, s8
	s_add_i32 s17, s17, s26
	s_mul_hi_u32 s62, s8, s63
	s_mul_hi_u32 s68, s7, s63
	s_mul_i32 s26, s7, s63
	s_mul_hi_u32 s63, s8, s17
	s_mul_i32 s8, s8, s17
	s_mul_hi_u32 s69, s7, s17
	s_add_u32 s8, s62, s8
	s_addc_u32 s62, 0, s63
	s_add_u32 s8, s8, s26
	s_mul_i32 s17, s7, s17
	s_addc_u32 s8, s62, s68
	s_addc_u32 s26, s69, 0
	s_add_u32 s8, s8, s17
	s_addc_u32 s17, 0, s26
	v_add_co_u32 v4, s8, v4, s8
	s_delay_alu instid0(VALU_DEP_1) | instskip(SKIP_1) | instid1(VALU_DEP_1)
	s_cmp_lg_u32 s8, 0
	s_addc_u32 s7, s7, s17
	v_readfirstlane_b32 s8, v4
	s_mul_i32 s17, s9, s7
	s_delay_alu instid0(VALU_DEP_1)
	s_mul_hi_u32 s26, s9, s8
	s_mul_i32 s16, s16, s8
	s_add_i32 s17, s26, s17
	s_mul_i32 s9, s9, s8
	s_add_i32 s17, s17, s16
	s_mul_hi_u32 s26, s7, s9
	s_mul_i32 s62, s7, s9
	s_mul_hi_u32 s9, s8, s9
	s_mul_hi_u32 s63, s8, s17
	s_mul_i32 s8, s8, s17
	s_mul_hi_u32 s16, s7, s17
	s_add_u32 s8, s9, s8
	s_addc_u32 s9, 0, s63
	s_add_u32 s8, s8, s62
	s_mul_i32 s17, s7, s17
	s_addc_u32 s8, s9, s26
	s_addc_u32 s9, s16, 0
	s_add_u32 s8, s8, s17
	s_addc_u32 s9, 0, s9
	v_add_co_u32 v4, s8, v4, s8
	s_delay_alu instid0(VALU_DEP_1) | instskip(SKIP_1) | instid1(VALU_DEP_1)
	s_cmp_lg_u32 s8, 0
	s_addc_u32 s7, s7, s9
	v_readfirstlane_b32 s8, v4
	s_mul_i32 s16, s88, s7
	s_mul_hi_u32 s9, s88, s7
	s_mul_hi_u32 s17, s27, s7
	s_mul_i32 s7, s27, s7
	s_mul_hi_u32 s26, s88, s8
	s_mul_hi_u32 s62, s27, s8
	s_mul_i32 s8, s27, s8
	s_add_u32 s16, s26, s16
	s_addc_u32 s9, 0, s9
	s_add_u32 s8, s16, s8
	s_addc_u32 s8, s9, s62
	s_addc_u32 s9, s17, 0
	s_add_u32 s7, s8, s7
	s_addc_u32 s8, 0, s9
	s_mul_hi_u32 s9, s35, s7
	s_mul_i32 s7, s35, s7
	s_mul_i32 s8, s35, s8
	v_sub_co_u32 v4, s7, s88, s7
	s_add_i32 s9, s9, s8
	s_cmp_lg_u32 s7, 0
	s_delay_alu instid0(VALU_DEP_1) | instskip(SKIP_2) | instid1(VALU_DEP_1)
	v_sub_co_u32 v5, s7, v4, s35
	s_subb_u32 s8, s27, s9
	s_cmp_lg_u32 s7, 0
	v_cmp_le_u32_e32 vcc_lo, s35, v5
	v_sub_co_u32 v6, s7, v5, s35
	s_subb_u32 s9, s8, 0
	s_cmp_lg_u32 s7, 0
	v_cndmask_b32_e64 v7, 0, -1, vcc_lo
	s_subb_u32 s7, s9, 0
	s_cmp_eq_u32 s9, 0
	v_mov_b32_e32 v9, s7
	s_cselect_b32 vcc_lo, -1, 0
	s_cmp_eq_u32 s8, 0
	v_cndmask_b32_e32 v7, -1, v7, vcc_lo
	v_cmp_le_u32_e32 vcc_lo, s35, v4
	s_cselect_b32 s7, -1, 0
	v_cndmask_b32_e64 v8, 0, -1, vcc_lo
	s_delay_alu instid0(VALU_DEP_3) | instskip(NEXT) | instid1(VALU_DEP_2)
	v_cmp_ne_u32_e32 vcc_lo, 0, v7
	v_cndmask_b32_e64 v7, -1, v8, s7
	v_cndmask_b32_e32 v8, s9, v9, vcc_lo
	v_cndmask_b32_e32 v6, v5, v6, vcc_lo
	s_delay_alu instid0(VALU_DEP_3) | instskip(NEXT) | instid1(VALU_DEP_3)
	v_cmp_ne_u32_e32 vcc_lo, 0, v7
	v_cndmask_b32_e32 v5, s8, v8, vcc_lo
	s_delay_alu instid0(VALU_DEP_3)
	v_cndmask_b32_e32 v4, v4, v6, vcc_lo
	s_cbranch_execnz .LBB198_357
.LBB198_356:                            ;   in Loop: Header=BB198_18 Depth=1
	v_cvt_f32_u32_e32 v4, s35
	s_sub_i32 s7, 0, s35
	s_delay_alu instid0(VALU_DEP_1) | instskip(SKIP_2) | instid1(VALU_DEP_1)
	v_rcp_iflag_f32_e32 v4, v4
	s_waitcnt_depctr 0xfff
	v_mul_f32_e32 v4, 0x4f7ffffe, v4
	v_cvt_u32_f32_e32 v4, v4
	s_delay_alu instid0(VALU_DEP_1) | instskip(NEXT) | instid1(VALU_DEP_1)
	v_mul_lo_u32 v5, s7, v4
	v_mul_hi_u32 v5, v4, v5
	s_delay_alu instid0(VALU_DEP_1) | instskip(NEXT) | instid1(VALU_DEP_1)
	v_add_nc_u32_e32 v4, v4, v5
	v_mul_hi_u32 v4, s88, v4
	s_delay_alu instid0(VALU_DEP_1) | instskip(NEXT) | instid1(VALU_DEP_1)
	v_mul_lo_u32 v4, v4, s35
	v_sub_nc_u32_e32 v4, s88, v4
	s_delay_alu instid0(VALU_DEP_1) | instskip(SKIP_1) | instid1(VALU_DEP_2)
	v_subrev_nc_u32_e32 v5, s35, v4
	v_cmp_le_u32_e32 vcc_lo, s35, v4
	v_cndmask_b32_e32 v4, v4, v5, vcc_lo
	s_delay_alu instid0(VALU_DEP_1) | instskip(SKIP_1) | instid1(VALU_DEP_2)
	v_subrev_nc_u32_e32 v5, s35, v4
	v_cmp_le_u32_e32 vcc_lo, s35, v4
	v_cndmask_b32_e32 v12, v4, v5, vcc_lo
	s_delay_alu instid0(VALU_DEP_1)
	v_dual_mov_b32 v4, v12 :: v_dual_mov_b32 v5, v13
.LBB198_357:                            ;   in Loop: Header=BB198_18 Depth=1
	s_delay_alu instid0(VALU_DEP_1) | instskip(NEXT) | instid1(VALU_DEP_2)
	v_sub_co_u32 v4, vcc_lo, s88, v4
	v_sub_co_ci_u32_e32 v5, vcc_lo, s27, v5, vcc_lo
	s_mov_b32 s7, 0
	s_mov_b32 s8, exec_lo
                                        ; implicit-def: $vgpr18
	s_delay_alu instid0(VALU_DEP_1)
	v_cmpx_gt_u64_e64 v[4:5], v[0:1]
	s_cbranch_execz .LBB198_366
; %bb.358:                              ;   in Loop: Header=BB198_18 Depth=1
	v_dual_mov_b32 v7, v1 :: v_dual_mov_b32 v6, v0
	s_mov_b32 s9, 0
                                        ; implicit-def: $sgpr16
	s_branch .LBB198_360
.LBB198_359:                            ;   in Loop: Header=BB198_360 Depth=2
	s_or_b32 exec_lo, exec_lo, s7
	s_waitcnt vmcnt(0) lgkmcnt(0)
	s_barrier
	buffer_gl0_inv
	ds_load_b64 v[17:18], v13 offset:3072
	v_add_co_u32 v6, vcc_lo, v6, s35
	v_add_co_ci_u32_e32 v7, vcc_lo, 0, v7, vcc_lo
	s_waitcnt lgkmcnt(0)
	s_barrier
	buffer_gl0_inv
	v_cmp_ge_u64_e32 vcc_lo, v[6:7], v[4:5]
	v_cmp_neq_f32_e64 s7, 0, v17
	s_delay_alu instid0(VALU_DEP_1) | instskip(NEXT) | instid1(SALU_CYCLE_1)
	s_or_b32 s17, vcc_lo, s7
	s_and_b32 s17, exec_lo, s17
	s_delay_alu instid0(SALU_CYCLE_1) | instskip(SKIP_2) | instid1(SALU_CYCLE_1)
	s_or_b32 s9, s17, s9
	s_and_not1_b32 s16, s16, exec_lo
	s_and_b32 s7, s7, exec_lo
	s_or_b32 s16, s16, s7
	s_and_not1_b32 exec_lo, exec_lo, s9
	s_cbranch_execz .LBB198_365
.LBB198_360:                            ;   Parent Loop BB198_18 Depth=1
                                        ; =>  This Inner Loop Header: Depth=2
	s_delay_alu instid0(VALU_DEP_1)
	v_cmp_gt_u64_e32 vcc_lo, s[36:37], v[6:7]
	v_mov_b32_e32 v17, 0
	s_and_saveexec_b32 s17, vcc_lo
	s_cbranch_execz .LBB198_362
; %bb.361:                              ;   in Loop: Header=BB198_360 Depth=2
	v_mul_lo_u32 v12, v7, s30
	v_mul_lo_u32 v17, v6, s31
	v_mad_u64_u32 v[8:9], null, v6, s30, 0
	s_delay_alu instid0(VALU_DEP_1) | instskip(NEXT) | instid1(VALU_DEP_1)
	v_add3_u32 v9, v9, v17, v12
	v_lshlrev_b64 v[8:9], 2, v[8:9]
	s_delay_alu instid0(VALU_DEP_1) | instskip(NEXT) | instid1(VALU_DEP_1)
	v_add_co_u32 v8, s7, s29, v8
	v_add_co_ci_u32_e64 v9, s7, s33, v9, s7
	global_load_b32 v17, v[8:9], off
.LBB198_362:                            ;   in Loop: Header=BB198_360 Depth=2
	s_or_b32 exec_lo, exec_lo, s17
	s_and_saveexec_b32 s7, vcc_lo
	s_cbranch_execz .LBB198_359
; %bb.363:                              ;   in Loop: Header=BB198_360 Depth=2
	s_waitcnt vmcnt(0)
	v_cmp_lt_i32_e32 vcc_lo, -1, v17
	v_cndmask_b32_e64 v8, -1, 0x80000000, vcc_lo
	v_cmp_o_f32_e32 vcc_lo, v17, v17
	s_delay_alu instid0(VALU_DEP_2) | instskip(NEXT) | instid1(VALU_DEP_1)
	v_xor_b32_e32 v8, v8, v17
	v_cndmask_b32_e32 v8, -1, v8, vcc_lo
	s_delay_alu instid0(VALU_DEP_1) | instskip(NEXT) | instid1(VALU_DEP_1)
	v_and_b32_e32 v8, v8, v31
	v_cmp_eq_u32_e32 vcc_lo, v8, v32
	s_and_b32 exec_lo, exec_lo, vcc_lo
	s_cbranch_execz .LBB198_359
; %bb.364:                              ;   in Loop: Header=BB198_360 Depth=2
	ds_store_b64 v13, v[16:17] offset:3072
	s_branch .LBB198_359
.LBB198_365:                            ;   in Loop: Header=BB198_18 Depth=1
	s_or_b32 exec_lo, exec_lo, s9
	s_delay_alu instid0(SALU_CYCLE_1)
	s_and_b32 s7, s16, exec_lo
.LBB198_366:                            ;   in Loop: Header=BB198_18 Depth=1
	s_or_b32 exec_lo, exec_lo, s8
	s_mov_b32 s17, 0
	s_mov_b32 s16, -1
	s_mov_b32 s75, 0
.LBB198_367:                            ;   in Loop: Header=BB198_18 Depth=1
	s_or_not1_b32 s7, s7, exec_lo
.LBB198_368:                            ;   in Loop: Header=BB198_18 Depth=1
	s_or_b32 exec_lo, exec_lo, s61
	s_mov_b32 s26, 0
                                        ; implicit-def: $vgpr8
	s_and_saveexec_b32 s76, s7
	s_cbranch_execz .LBB198_481
; %bb.369:                              ;   in Loop: Header=BB198_18 Depth=1
	v_mov_b32_e32 v4, 1
	v_dual_mov_b32 v5, 0 :: v_dual_mov_b32 v8, 1
	s_xor_b32 s8, s60, -1
	s_delay_alu instid0(SALU_CYCLE_1)
	s_and_saveexec_b32 s7, s8
	s_cbranch_execz .LBB198_379
; %bb.370:                              ;   in Loop: Header=BB198_18 Depth=1
	s_mov_b32 s9, exec_lo
                                        ; implicit-def: $sgpr26
                                        ; implicit-def: $sgpr8
	v_cmpx_ge_u64_e64 s[14:15], v[2:3]
	s_xor_b32 s9, exec_lo, s9
	s_cbranch_execz .LBB198_376
; %bb.371:                              ;   in Loop: Header=BB198_18 Depth=1
	ds_load_b64 v[4:5], v13 offset:5120
	s_waitcnt lgkmcnt(0)
	v_cmp_ne_u64_e32 vcc_lo, 0, v[4:5]
	s_cbranch_vccnz .LBB198_375
; %bb.372:                              ;   in Loop: Header=BB198_18 Depth=1
	s_and_saveexec_b32 s8, s5
	s_cbranch_execz .LBB198_374
; %bb.373:                              ;   in Loop: Header=BB198_18 Depth=1
	v_dual_mov_b32 v4, s14 :: v_dual_mov_b32 v5, s15
	ds_store_b64 v13, v[4:5] offset:5128
.LBB198_374:                            ;   in Loop: Header=BB198_18 Depth=1
	s_or_b32 exec_lo, exec_lo, s8
	s_waitcnt lgkmcnt(0)
	s_barrier
	buffer_gl0_inv
.LBB198_375:                            ;   in Loop: Header=BB198_18 Depth=1
	s_lshl_b32 s8, 2, s22
	v_or_b32_e32 v31, s20, v31
	v_and_or_b32 v32, v32, s21, s8
	s_mov_b32 s8, 0
	s_mov_b32 s26, 5
.LBB198_376:                            ;   in Loop: Header=BB198_18 Depth=1
	s_or_saveexec_b32 s9, s9
	v_mov_b32_e32 v8, s26
	s_xor_b32 exec_lo, exec_lo, s9
; %bb.377:                              ;   in Loop: Header=BB198_18 Depth=1
	v_sub_co_u32 v2, vcc_lo, v2, s14
	v_subrev_co_ci_u32_e32 v3, vcc_lo, s15, v3, vcc_lo
	v_mov_b32_e32 v8, 0
	s_or_b32 s8, s8, exec_lo
; %bb.378:                              ;   in Loop: Header=BB198_18 Depth=1
	s_or_b32 exec_lo, exec_lo, s9
	s_delay_alu instid0(VALU_DEP_2)
	v_dual_mov_b32 v5, v3 :: v_dual_mov_b32 v4, v2
	s_and_b32 s26, s8, exec_lo
.LBB198_379:                            ;   in Loop: Header=BB198_18 Depth=1
	s_or_b32 exec_lo, exec_lo, s7
	s_mov_b32 s7, -1
                                        ; implicit-def: $sgpr8
                                        ; implicit-def: $sgpr9
                                        ; implicit-def: $sgpr14
	s_and_saveexec_b32 s77, s26
	s_cbranch_execz .LBB198_480
; %bb.380:                              ;   in Loop: Header=BB198_18 Depth=1
	v_cmp_eq_u64_e32 vcc_lo, 1, v[4:5]
	s_cmp_eq_u64 s[12:13], 1
                                        ; implicit-def: $sgpr14
                                        ; implicit-def: $sgpr15
                                        ; implicit-def: $sgpr78
	s_cselect_b32 s7, -1, 0
	s_delay_alu instid0(SALU_CYCLE_1)
	s_and_b32 s68, s7, vcc_lo
	s_mov_b32 s7, -1
	s_and_saveexec_b32 s60, s68
	s_cbranch_execz .LBB198_414
; %bb.381:                              ;   in Loop: Header=BB198_18 Depth=1
	ds_load_b64 v[2:3], v13 offset:5120
	s_waitcnt lgkmcnt(0)
	s_barrier
	buffer_gl0_inv
	v_readfirstlane_b32 s8, v2
	v_readfirstlane_b32 s9, v3
	s_and_saveexec_b32 s7, s6
	s_cbranch_execz .LBB198_383
; %bb.382:                              ;   in Loop: Header=BB198_18 Depth=1
	ds_store_b32 v28, v13
.LBB198_383:                            ;   in Loop: Header=BB198_18 Depth=1
	s_or_b32 exec_lo, exec_lo, s7
	s_lshl_b32 s7, 1, s22
	v_or_b32_e32 v31, s20, v31
	v_and_or_b32 v32, v32, s21, s7
	s_cmp_eq_u64 s[8:9], 0
	s_waitcnt lgkmcnt(0)
	s_barrier
	buffer_gl0_inv
	s_cbranch_scc1 .LBB198_397
; %bb.384:                              ;   in Loop: Header=BB198_18 Depth=1
	s_add_u32 s26, s86, s8
	s_addc_u32 s15, s87, s9
	s_mov_b32 s14, s71
	s_delay_alu instid0(SALU_CYCLE_1)
	s_cmp_lg_u64 s[14:15], 0
	s_cbranch_scc0 .LBB198_432
; %bb.385:                              ;   in Loop: Header=BB198_18 Depth=1
	v_cvt_f32_u32_e32 v2, s35
	s_sub_u32 s61, 0, s35
	s_subb_u32 s62, 0, 0
	s_delay_alu instid0(VALU_DEP_1) | instskip(NEXT) | instid1(VALU_DEP_1)
	v_fmac_f32_e64 v2, 0, 0x4f800000
	v_rcp_f32_e32 v2, v2
	s_waitcnt_depctr 0xfff
	v_mul_f32_e32 v2, 0x5f7ffffc, v2
	s_delay_alu instid0(VALU_DEP_1) | instskip(NEXT) | instid1(VALU_DEP_1)
	v_mul_f32_e32 v3, 0x2f800000, v2
	v_trunc_f32_e32 v3, v3
	s_delay_alu instid0(VALU_DEP_1) | instskip(SKIP_1) | instid1(VALU_DEP_2)
	v_fmac_f32_e32 v2, 0xcf800000, v3
	v_cvt_u32_f32_e32 v3, v3
	v_cvt_u32_f32_e32 v2, v2
	s_delay_alu instid0(VALU_DEP_2) | instskip(NEXT) | instid1(VALU_DEP_2)
	v_readfirstlane_b32 s7, v3
	v_readfirstlane_b32 s14, v2
	s_delay_alu instid0(VALU_DEP_2) | instskip(NEXT) | instid1(VALU_DEP_1)
	s_mul_i32 s63, s61, s7
	s_mul_hi_u32 s78, s61, s14
	s_mul_i32 s69, s62, s14
	s_add_i32 s63, s78, s63
	s_mul_i32 s79, s61, s14
	s_add_i32 s63, s63, s69
	s_mul_hi_u32 s78, s14, s79
	s_mul_hi_u32 s80, s7, s79
	s_mul_i32 s69, s7, s79
	s_mul_hi_u32 s79, s14, s63
	s_mul_i32 s14, s14, s63
	s_mul_hi_u32 s81, s7, s63
	s_add_u32 s14, s78, s14
	s_addc_u32 s78, 0, s79
	s_add_u32 s14, s14, s69
	s_mul_i32 s63, s7, s63
	s_addc_u32 s14, s78, s80
	s_addc_u32 s69, s81, 0
	s_add_u32 s14, s14, s63
	s_addc_u32 s63, 0, s69
	v_add_co_u32 v2, s14, v2, s14
	s_delay_alu instid0(VALU_DEP_1) | instskip(SKIP_1) | instid1(VALU_DEP_1)
	s_cmp_lg_u32 s14, 0
	s_addc_u32 s7, s7, s63
	v_readfirstlane_b32 s14, v2
	s_mul_i32 s63, s61, s7
	s_delay_alu instid0(VALU_DEP_1)
	s_mul_hi_u32 s69, s61, s14
	s_mul_i32 s62, s62, s14
	s_add_i32 s63, s69, s63
	s_mul_i32 s61, s61, s14
	s_add_i32 s63, s63, s62
	s_mul_hi_u32 s69, s7, s61
	s_mul_i32 s78, s7, s61
	s_mul_hi_u32 s61, s14, s61
	s_mul_hi_u32 s79, s14, s63
	s_mul_i32 s14, s14, s63
	s_mul_hi_u32 s62, s7, s63
	s_add_u32 s14, s61, s14
	s_addc_u32 s61, 0, s79
	s_add_u32 s14, s14, s78
	s_mul_i32 s63, s7, s63
	s_addc_u32 s14, s61, s69
	s_addc_u32 s61, s62, 0
	s_add_u32 s14, s14, s63
	s_addc_u32 s61, 0, s61
	v_add_co_u32 v2, s14, v2, s14
	s_delay_alu instid0(VALU_DEP_1) | instskip(SKIP_1) | instid1(VALU_DEP_1)
	s_cmp_lg_u32 s14, 0
	s_addc_u32 s7, s7, s61
	v_readfirstlane_b32 s14, v2
	s_mul_i32 s62, s26, s7
	s_mul_hi_u32 s61, s26, s7
	s_mul_hi_u32 s63, s15, s7
	s_mul_i32 s7, s15, s7
	s_mul_hi_u32 s69, s26, s14
	s_mul_hi_u32 s78, s15, s14
	s_mul_i32 s14, s15, s14
	s_add_u32 s62, s69, s62
	s_addc_u32 s61, 0, s61
	s_add_u32 s14, s62, s14
	s_addc_u32 s14, s61, s78
	s_addc_u32 s61, s63, 0
	s_add_u32 s7, s14, s7
	s_addc_u32 s14, 0, s61
	s_mul_hi_u32 s61, s35, s7
	s_mul_i32 s7, s35, s7
	s_mul_i32 s14, s35, s14
	v_sub_co_u32 v2, s7, s26, s7
	s_add_i32 s61, s61, s14
	s_cmp_lg_u32 s7, 0
	s_delay_alu instid0(VALU_DEP_1) | instskip(SKIP_3) | instid1(VALU_DEP_2)
	v_sub_co_u32 v3, s7, v2, s35
	s_subb_u32 s14, s15, s61
	s_cmp_lg_u32 s7, 0
	v_cmp_le_u32_e32 vcc_lo, s35, v2
	v_cmp_le_u32_e64 s7, s35, v3
	v_sub_co_u32 v6, s61, v3, s35
	s_subb_u32 s62, s14, 0
	s_cmp_lg_u32 s61, 0
	s_delay_alu instid0(VALU_DEP_2)
	v_cndmask_b32_e64 v7, 0, -1, s7
	s_subb_u32 s61, s62, 0
	s_cmp_eq_u32 s62, 0
	v_mov_b32_e32 v9, s61
	v_cndmask_b32_e64 v8, 0, -1, vcc_lo
	s_cselect_b32 vcc_lo, -1, 0
	s_cmp_eq_u32 s14, 0
	v_cndmask_b32_e32 v7, -1, v7, vcc_lo
	s_cselect_b32 vcc_lo, -1, 0
	v_cndmask_b32_e32 v8, -1, v8, vcc_lo
	s_delay_alu instid0(VALU_DEP_2) | instskip(NEXT) | instid1(VALU_DEP_2)
	v_cmp_ne_u32_e32 vcc_lo, 0, v7
	v_cmp_ne_u32_e64 s7, 0, v8
	v_cndmask_b32_e32 v7, s62, v9, vcc_lo
	v_cndmask_b32_e32 v6, v3, v6, vcc_lo
	s_delay_alu instid0(VALU_DEP_2) | instskip(NEXT) | instid1(VALU_DEP_2)
	v_cndmask_b32_e64 v3, s14, v7, s7
	v_cndmask_b32_e64 v2, v2, v6, s7
	s_cbranch_execnz .LBB198_387
.LBB198_386:                            ;   in Loop: Header=BB198_18 Depth=1
	v_cvt_f32_u32_e32 v2, s35
	s_sub_i32 s7, 0, s35
	s_delay_alu instid0(VALU_DEP_1) | instskip(SKIP_2) | instid1(VALU_DEP_1)
	v_rcp_iflag_f32_e32 v2, v2
	s_waitcnt_depctr 0xfff
	v_mul_f32_e32 v2, 0x4f7ffffe, v2
	v_cvt_u32_f32_e32 v2, v2
	s_delay_alu instid0(VALU_DEP_1) | instskip(NEXT) | instid1(VALU_DEP_1)
	v_mul_lo_u32 v3, s7, v2
	v_mul_hi_u32 v3, v2, v3
	s_delay_alu instid0(VALU_DEP_1) | instskip(NEXT) | instid1(VALU_DEP_1)
	v_add_nc_u32_e32 v2, v2, v3
	v_mul_hi_u32 v2, s26, v2
	s_delay_alu instid0(VALU_DEP_1) | instskip(NEXT) | instid1(VALU_DEP_1)
	v_mul_lo_u32 v2, v2, s35
	v_sub_nc_u32_e32 v2, s26, v2
	s_delay_alu instid0(VALU_DEP_1) | instskip(SKIP_1) | instid1(VALU_DEP_2)
	v_subrev_nc_u32_e32 v3, s35, v2
	v_cmp_le_u32_e32 vcc_lo, s35, v2
	v_cndmask_b32_e32 v2, v2, v3, vcc_lo
	s_delay_alu instid0(VALU_DEP_1) | instskip(SKIP_1) | instid1(VALU_DEP_2)
	v_subrev_nc_u32_e32 v3, s35, v2
	v_cmp_le_u32_e32 vcc_lo, s35, v2
	v_cndmask_b32_e32 v12, v2, v3, vcc_lo
	s_delay_alu instid0(VALU_DEP_1)
	v_dual_mov_b32 v2, v12 :: v_dual_mov_b32 v3, v13
.LBB198_387:                            ;   in Loop: Header=BB198_18 Depth=1
	s_delay_alu instid0(VALU_DEP_1) | instskip(NEXT) | instid1(VALU_DEP_2)
	v_sub_co_u32 v2, vcc_lo, s26, v2
	v_sub_co_ci_u32_e32 v3, vcc_lo, s15, v3, vcc_lo
	s_mov_b32 s7, 0
	s_mov_b32 s14, exec_lo
                                        ; implicit-def: $vgpr18
	s_delay_alu instid0(VALU_DEP_1)
	v_cmpx_gt_u64_e64 v[2:3], v[0:1]
	s_cbranch_execz .LBB198_399
; %bb.388:                              ;   in Loop: Header=BB198_18 Depth=1
	v_dual_mov_b32 v8, v14 :: v_dual_mov_b32 v7, v1
	v_mov_b32_e32 v6, v0
	s_mov_b32 s15, 0
                                        ; implicit-def: $sgpr26
	s_set_inst_prefetch_distance 0x1
	s_branch .LBB198_390
	.p2align	6
.LBB198_389:                            ;   in Loop: Header=BB198_390 Depth=2
	s_or_b32 exec_lo, exec_lo, s7
	s_waitcnt lgkmcnt(0)
	s_barrier
	buffer_gl0_inv
	ds_load_b64 v[17:18], v13 offset:3072
	v_add_co_u32 v6, vcc_lo, v6, s35
	v_add_co_ci_u32_e32 v7, vcc_lo, 0, v7, vcc_lo
	v_add_nc_u32_e32 v8, s94, v8
	s_waitcnt lgkmcnt(0)
	s_barrier
	s_delay_alu instid0(VALU_DEP_2) | instskip(SKIP_2) | instid1(VALU_DEP_1)
	v_cmp_ge_u64_e32 vcc_lo, v[6:7], v[2:3]
	buffer_gl0_inv
	v_cmp_neq_f32_e64 s7, 0, v17
	s_or_b32 s61, vcc_lo, s7
	s_delay_alu instid0(SALU_CYCLE_1) | instskip(NEXT) | instid1(SALU_CYCLE_1)
	s_and_b32 s61, exec_lo, s61
	s_or_b32 s15, s61, s15
	s_and_not1_b32 s26, s26, exec_lo
	s_and_b32 s7, s7, exec_lo
	s_delay_alu instid0(SALU_CYCLE_1)
	s_or_b32 s26, s26, s7
	s_and_not1_b32 exec_lo, exec_lo, s15
	s_cbranch_execz .LBB198_398
.LBB198_390:                            ;   Parent Loop BB198_18 Depth=1
                                        ; =>  This Inner Loop Header: Depth=2
	s_delay_alu instid0(VALU_DEP_1)
	v_cmp_gt_u64_e32 vcc_lo, s[8:9], v[6:7]
	v_mov_b32_e32 v17, 0
	s_and_saveexec_b32 s7, vcc_lo
	s_cbranch_execz .LBB198_392
; %bb.391:                              ;   in Loop: Header=BB198_390 Depth=2
	ds_load_b32 v17, v8
.LBB198_392:                            ;   in Loop: Header=BB198_390 Depth=2
	s_or_b32 exec_lo, exec_lo, s7
	s_and_saveexec_b32 s7, vcc_lo
	s_cbranch_execz .LBB198_389
; %bb.393:                              ;   in Loop: Header=BB198_390 Depth=2
	s_waitcnt lgkmcnt(0)
	v_cmp_lt_i32_e32 vcc_lo, -1, v17
	v_cndmask_b32_e64 v9, -1, 0x80000000, vcc_lo
	v_cmp_o_f32_e32 vcc_lo, v17, v17
	s_delay_alu instid0(VALU_DEP_2) | instskip(NEXT) | instid1(VALU_DEP_1)
	v_xor_b32_e32 v9, v9, v17
	v_cndmask_b32_e32 v9, -1, v9, vcc_lo
	s_delay_alu instid0(VALU_DEP_1) | instskip(NEXT) | instid1(VALU_DEP_1)
	v_and_b32_e32 v9, v9, v31
	v_cmp_eq_u32_e32 vcc_lo, v9, v32
	s_and_b32 exec_lo, exec_lo, vcc_lo
	s_cbranch_execz .LBB198_389
; %bb.394:                              ;   in Loop: Header=BB198_390 Depth=2
	ds_store_b64 v13, v[16:17] offset:3072
	s_branch .LBB198_389
.LBB198_395:                            ;   in Loop: Header=BB198_18 Depth=1
                                        ; implicit-def: $vgpr4_vgpr5
	s_branch .LBB198_340
.LBB198_396:                            ;   in Loop: Header=BB198_18 Depth=1
                                        ; implicit-def: $vgpr4_vgpr5
	s_branch .LBB198_356
.LBB198_397:                            ;   in Loop: Header=BB198_18 Depth=1
	s_mov_b32 s14, -1
	s_mov_b32 s7, 0
                                        ; implicit-def: $sgpr15
                                        ; implicit-def: $vgpr18
	s_mov_b32 s78, s14
	s_cbranch_execnz .LBB198_400
	s_branch .LBB198_413
.LBB198_398:                            ;   in Loop: Header=BB198_18 Depth=1
	s_set_inst_prefetch_distance 0x2
	s_or_b32 exec_lo, exec_lo, s15
	s_delay_alu instid0(SALU_CYCLE_1)
	s_and_b32 s7, s26, exec_lo
.LBB198_399:                            ;   in Loop: Header=BB198_18 Depth=1
	s_or_b32 exec_lo, exec_lo, s14
	s_mov_b32 s14, 0
	s_mov_b32 s15, -1
	s_mov_b32 s78, s14
	s_branch .LBB198_413
.LBB198_400:                            ;   in Loop: Header=BB198_18 Depth=1
	s_mov_b32 s26, s71
	s_delay_alu instid0(SALU_CYCLE_1)
	s_cmp_lg_u64 s[26:27], 0
	s_cbranch_scc0 .LBB198_433
; %bb.401:                              ;   in Loop: Header=BB198_18 Depth=1
	v_cvt_f32_u32_e32 v2, s35
	s_sub_u32 s9, 0, s35
	s_subb_u32 s14, 0, 0
	s_delay_alu instid0(VALU_DEP_1) | instskip(NEXT) | instid1(VALU_DEP_1)
	v_fmac_f32_e64 v2, 0, 0x4f800000
	v_rcp_f32_e32 v2, v2
	s_waitcnt_depctr 0xfff
	v_mul_f32_e32 v2, 0x5f7ffffc, v2
	s_delay_alu instid0(VALU_DEP_1) | instskip(NEXT) | instid1(VALU_DEP_1)
	v_mul_f32_e32 v3, 0x2f800000, v2
	v_trunc_f32_e32 v3, v3
	s_delay_alu instid0(VALU_DEP_1) | instskip(SKIP_1) | instid1(VALU_DEP_2)
	v_fmac_f32_e32 v2, 0xcf800000, v3
	v_cvt_u32_f32_e32 v3, v3
	v_cvt_u32_f32_e32 v2, v2
	s_delay_alu instid0(VALU_DEP_2) | instskip(NEXT) | instid1(VALU_DEP_2)
	v_readfirstlane_b32 s7, v3
	v_readfirstlane_b32 s8, v2
	s_delay_alu instid0(VALU_DEP_2) | instskip(NEXT) | instid1(VALU_DEP_1)
	s_mul_i32 s15, s9, s7
	s_mul_hi_u32 s61, s9, s8
	s_mul_i32 s26, s14, s8
	s_add_i32 s15, s61, s15
	s_mul_i32 s62, s9, s8
	s_add_i32 s15, s15, s26
	s_mul_hi_u32 s61, s8, s62
	s_mul_hi_u32 s63, s7, s62
	s_mul_i32 s26, s7, s62
	s_mul_hi_u32 s62, s8, s15
	s_mul_i32 s8, s8, s15
	s_mul_hi_u32 s69, s7, s15
	s_add_u32 s8, s61, s8
	s_addc_u32 s61, 0, s62
	s_add_u32 s8, s8, s26
	s_mul_i32 s15, s7, s15
	s_addc_u32 s8, s61, s63
	s_addc_u32 s26, s69, 0
	s_add_u32 s8, s8, s15
	s_addc_u32 s15, 0, s26
	v_add_co_u32 v2, s8, v2, s8
	s_delay_alu instid0(VALU_DEP_1) | instskip(SKIP_1) | instid1(VALU_DEP_1)
	s_cmp_lg_u32 s8, 0
	s_addc_u32 s7, s7, s15
	v_readfirstlane_b32 s8, v2
	s_mul_i32 s15, s9, s7
	s_delay_alu instid0(VALU_DEP_1)
	s_mul_hi_u32 s26, s9, s8
	s_mul_i32 s14, s14, s8
	s_add_i32 s15, s26, s15
	s_mul_i32 s9, s9, s8
	s_add_i32 s15, s15, s14
	s_mul_hi_u32 s26, s7, s9
	s_mul_i32 s61, s7, s9
	s_mul_hi_u32 s9, s8, s9
	s_mul_hi_u32 s62, s8, s15
	s_mul_i32 s8, s8, s15
	s_mul_hi_u32 s14, s7, s15
	s_add_u32 s8, s9, s8
	s_addc_u32 s9, 0, s62
	s_add_u32 s8, s8, s61
	s_mul_i32 s15, s7, s15
	s_addc_u32 s8, s9, s26
	s_addc_u32 s9, s14, 0
	s_add_u32 s8, s8, s15
	s_addc_u32 s9, 0, s9
	v_add_co_u32 v2, s8, v2, s8
	s_delay_alu instid0(VALU_DEP_1) | instskip(SKIP_1) | instid1(VALU_DEP_1)
	s_cmp_lg_u32 s8, 0
	s_addc_u32 s7, s7, s9
	v_readfirstlane_b32 s8, v2
	s_mul_i32 s14, s88, s7
	s_mul_hi_u32 s9, s88, s7
	s_mul_hi_u32 s15, s27, s7
	s_mul_i32 s7, s27, s7
	s_mul_hi_u32 s26, s88, s8
	s_mul_hi_u32 s61, s27, s8
	s_mul_i32 s8, s27, s8
	s_add_u32 s14, s26, s14
	s_addc_u32 s9, 0, s9
	s_add_u32 s8, s14, s8
	s_addc_u32 s8, s9, s61
	s_addc_u32 s9, s15, 0
	s_add_u32 s7, s8, s7
	s_addc_u32 s8, 0, s9
	s_mul_hi_u32 s9, s35, s7
	s_mul_i32 s7, s35, s7
	s_mul_i32 s8, s35, s8
	v_sub_co_u32 v2, s7, s88, s7
	s_add_i32 s9, s9, s8
	s_cmp_lg_u32 s7, 0
	s_delay_alu instid0(VALU_DEP_1) | instskip(SKIP_3) | instid1(VALU_DEP_2)
	v_sub_co_u32 v3, s7, v2, s35
	s_subb_u32 s8, s27, s9
	s_cmp_lg_u32 s7, 0
	v_cmp_le_u32_e32 vcc_lo, s35, v2
	v_cmp_le_u32_e64 s7, s35, v3
	v_sub_co_u32 v6, s9, v3, s35
	s_subb_u32 s14, s8, 0
	s_cmp_lg_u32 s9, 0
	s_delay_alu instid0(VALU_DEP_2)
	v_cndmask_b32_e64 v7, 0, -1, s7
	s_subb_u32 s9, s14, 0
	s_cmp_eq_u32 s14, 0
	v_mov_b32_e32 v9, s9
	v_cndmask_b32_e64 v8, 0, -1, vcc_lo
	s_cselect_b32 vcc_lo, -1, 0
	s_cmp_eq_u32 s8, 0
	v_cndmask_b32_e32 v7, -1, v7, vcc_lo
	s_cselect_b32 vcc_lo, -1, 0
	v_cndmask_b32_e32 v8, -1, v8, vcc_lo
	s_delay_alu instid0(VALU_DEP_2) | instskip(NEXT) | instid1(VALU_DEP_2)
	v_cmp_ne_u32_e32 vcc_lo, 0, v7
	v_cmp_ne_u32_e64 s7, 0, v8
	v_cndmask_b32_e32 v7, s14, v9, vcc_lo
	v_cndmask_b32_e32 v6, v3, v6, vcc_lo
	s_delay_alu instid0(VALU_DEP_2) | instskip(NEXT) | instid1(VALU_DEP_2)
	v_cndmask_b32_e64 v3, s8, v7, s7
	v_cndmask_b32_e64 v2, v2, v6, s7
	s_cbranch_execnz .LBB198_403
.LBB198_402:                            ;   in Loop: Header=BB198_18 Depth=1
	v_cvt_f32_u32_e32 v2, s35
	s_sub_i32 s7, 0, s35
	s_delay_alu instid0(VALU_DEP_1) | instskip(SKIP_2) | instid1(VALU_DEP_1)
	v_rcp_iflag_f32_e32 v2, v2
	s_waitcnt_depctr 0xfff
	v_mul_f32_e32 v2, 0x4f7ffffe, v2
	v_cvt_u32_f32_e32 v2, v2
	s_delay_alu instid0(VALU_DEP_1) | instskip(NEXT) | instid1(VALU_DEP_1)
	v_mul_lo_u32 v3, s7, v2
	v_mul_hi_u32 v3, v2, v3
	s_delay_alu instid0(VALU_DEP_1) | instskip(NEXT) | instid1(VALU_DEP_1)
	v_add_nc_u32_e32 v2, v2, v3
	v_mul_hi_u32 v2, s88, v2
	s_delay_alu instid0(VALU_DEP_1) | instskip(NEXT) | instid1(VALU_DEP_1)
	v_mul_lo_u32 v2, v2, s35
	v_sub_nc_u32_e32 v2, s88, v2
	s_delay_alu instid0(VALU_DEP_1) | instskip(SKIP_1) | instid1(VALU_DEP_2)
	v_subrev_nc_u32_e32 v3, s35, v2
	v_cmp_le_u32_e32 vcc_lo, s35, v2
	v_cndmask_b32_e32 v2, v2, v3, vcc_lo
	s_delay_alu instid0(VALU_DEP_1) | instskip(SKIP_1) | instid1(VALU_DEP_2)
	v_subrev_nc_u32_e32 v3, s35, v2
	v_cmp_le_u32_e32 vcc_lo, s35, v2
	v_cndmask_b32_e32 v12, v2, v3, vcc_lo
	s_delay_alu instid0(VALU_DEP_1)
	v_dual_mov_b32 v2, v12 :: v_dual_mov_b32 v3, v13
.LBB198_403:                            ;   in Loop: Header=BB198_18 Depth=1
	s_delay_alu instid0(VALU_DEP_1) | instskip(NEXT) | instid1(VALU_DEP_2)
	v_sub_co_u32 v2, vcc_lo, s88, v2
	v_sub_co_ci_u32_e32 v3, vcc_lo, s27, v3, vcc_lo
	s_mov_b32 s7, 0
	s_mov_b32 s8, exec_lo
                                        ; implicit-def: $vgpr18
	s_delay_alu instid0(VALU_DEP_1)
	v_cmpx_gt_u64_e64 v[2:3], v[0:1]
	s_cbranch_execz .LBB198_412
; %bb.404:                              ;   in Loop: Header=BB198_18 Depth=1
	v_dual_mov_b32 v7, v1 :: v_dual_mov_b32 v6, v0
	s_mov_b32 s9, 0
                                        ; implicit-def: $sgpr14
	s_branch .LBB198_406
.LBB198_405:                            ;   in Loop: Header=BB198_406 Depth=2
	s_or_b32 exec_lo, exec_lo, s7
	s_waitcnt vmcnt(0) lgkmcnt(0)
	s_barrier
	buffer_gl0_inv
	ds_load_b64 v[17:18], v13 offset:3072
	v_add_co_u32 v6, vcc_lo, v6, s35
	v_add_co_ci_u32_e32 v7, vcc_lo, 0, v7, vcc_lo
	s_waitcnt lgkmcnt(0)
	s_barrier
	buffer_gl0_inv
	v_cmp_ge_u64_e32 vcc_lo, v[6:7], v[2:3]
	v_cmp_neq_f32_e64 s7, 0, v17
	s_delay_alu instid0(VALU_DEP_1) | instskip(NEXT) | instid1(SALU_CYCLE_1)
	s_or_b32 s15, vcc_lo, s7
	s_and_b32 s15, exec_lo, s15
	s_delay_alu instid0(SALU_CYCLE_1) | instskip(SKIP_2) | instid1(SALU_CYCLE_1)
	s_or_b32 s9, s15, s9
	s_and_not1_b32 s14, s14, exec_lo
	s_and_b32 s7, s7, exec_lo
	s_or_b32 s14, s14, s7
	s_and_not1_b32 exec_lo, exec_lo, s9
	s_cbranch_execz .LBB198_411
.LBB198_406:                            ;   Parent Loop BB198_18 Depth=1
                                        ; =>  This Inner Loop Header: Depth=2
	s_delay_alu instid0(VALU_DEP_1)
	v_cmp_gt_u64_e32 vcc_lo, s[36:37], v[6:7]
	v_mov_b32_e32 v17, 0
	s_and_saveexec_b32 s15, vcc_lo
	s_cbranch_execz .LBB198_408
; %bb.407:                              ;   in Loop: Header=BB198_406 Depth=2
	v_mul_lo_u32 v12, v7, s30
	v_mul_lo_u32 v17, v6, s31
	v_mad_u64_u32 v[8:9], null, v6, s30, 0
	s_delay_alu instid0(VALU_DEP_1) | instskip(NEXT) | instid1(VALU_DEP_1)
	v_add3_u32 v9, v9, v17, v12
	v_lshlrev_b64 v[8:9], 2, v[8:9]
	s_delay_alu instid0(VALU_DEP_1) | instskip(NEXT) | instid1(VALU_DEP_1)
	v_add_co_u32 v8, s7, s29, v8
	v_add_co_ci_u32_e64 v9, s7, s33, v9, s7
	global_load_b32 v17, v[8:9], off
.LBB198_408:                            ;   in Loop: Header=BB198_406 Depth=2
	s_or_b32 exec_lo, exec_lo, s15
	s_and_saveexec_b32 s7, vcc_lo
	s_cbranch_execz .LBB198_405
; %bb.409:                              ;   in Loop: Header=BB198_406 Depth=2
	s_waitcnt vmcnt(0)
	v_cmp_lt_i32_e32 vcc_lo, -1, v17
	v_cndmask_b32_e64 v8, -1, 0x80000000, vcc_lo
	v_cmp_o_f32_e32 vcc_lo, v17, v17
	s_delay_alu instid0(VALU_DEP_2) | instskip(NEXT) | instid1(VALU_DEP_1)
	v_xor_b32_e32 v8, v8, v17
	v_cndmask_b32_e32 v8, -1, v8, vcc_lo
	s_delay_alu instid0(VALU_DEP_1) | instskip(NEXT) | instid1(VALU_DEP_1)
	v_and_b32_e32 v8, v8, v31
	v_cmp_eq_u32_e32 vcc_lo, v8, v32
	s_and_b32 exec_lo, exec_lo, vcc_lo
	s_cbranch_execz .LBB198_405
; %bb.410:                              ;   in Loop: Header=BB198_406 Depth=2
	ds_store_b64 v13, v[16:17] offset:3072
	s_branch .LBB198_405
.LBB198_411:                            ;   in Loop: Header=BB198_18 Depth=1
	s_or_b32 exec_lo, exec_lo, s9
	s_delay_alu instid0(SALU_CYCLE_1)
	s_and_b32 s7, s14, exec_lo
.LBB198_412:                            ;   in Loop: Header=BB198_18 Depth=1
	s_or_b32 exec_lo, exec_lo, s8
	s_mov_b32 s15, 0
	s_mov_b32 s14, -1
	s_mov_b32 s78, 0
.LBB198_413:                            ;   in Loop: Header=BB198_18 Depth=1
	s_or_not1_b32 s7, s7, exec_lo
.LBB198_414:                            ;   in Loop: Header=BB198_18 Depth=1
	s_or_b32 exec_lo, exec_lo, s60
	s_mov_b32 s26, 0
                                        ; implicit-def: $vgpr8
	s_and_saveexec_b32 s79, s7
	s_cbranch_execz .LBB198_479
; %bb.415:                              ;   in Loop: Header=BB198_18 Depth=1
	v_mov_b32_e32 v2, 1
	v_dual_mov_b32 v3, 0 :: v_dual_mov_b32 v8, 1
	s_xor_b32 s8, s68, -1
	s_delay_alu instid0(SALU_CYCLE_1)
	s_and_saveexec_b32 s7, s8
	s_cbranch_execz .LBB198_425
; %bb.416:                              ;   in Loop: Header=BB198_18 Depth=1
	s_mov_b32 s9, exec_lo
                                        ; implicit-def: $sgpr26
                                        ; implicit-def: $sgpr8
	v_cmpx_ge_u64_e64 s[12:13], v[4:5]
	s_xor_b32 s9, exec_lo, s9
	s_cbranch_execz .LBB198_422
; %bb.417:                              ;   in Loop: Header=BB198_18 Depth=1
	ds_load_b64 v[2:3], v13 offset:5120
	s_waitcnt lgkmcnt(0)
	v_cmp_ne_u64_e32 vcc_lo, 0, v[2:3]
	s_cbranch_vccnz .LBB198_421
; %bb.418:                              ;   in Loop: Header=BB198_18 Depth=1
	s_and_saveexec_b32 s8, s5
	s_cbranch_execz .LBB198_420
; %bb.419:                              ;   in Loop: Header=BB198_18 Depth=1
	v_dual_mov_b32 v2, s12 :: v_dual_mov_b32 v3, s13
	ds_store_b64 v13, v[2:3] offset:5128
.LBB198_420:                            ;   in Loop: Header=BB198_18 Depth=1
	s_or_b32 exec_lo, exec_lo, s8
	s_waitcnt lgkmcnt(0)
	s_barrier
	buffer_gl0_inv
.LBB198_421:                            ;   in Loop: Header=BB198_18 Depth=1
	s_lshl_b32 s8, 1, s22
	v_or_b32_e32 v31, s20, v31
	v_and_or_b32 v32, v32, s21, s8
	s_mov_b32 s8, 0
	s_mov_b32 s26, 5
.LBB198_422:                            ;   in Loop: Header=BB198_18 Depth=1
	s_or_saveexec_b32 s9, s9
	v_mov_b32_e32 v8, s26
	s_xor_b32 exec_lo, exec_lo, s9
; %bb.423:                              ;   in Loop: Header=BB198_18 Depth=1
	v_sub_co_u32 v4, vcc_lo, v4, s12
	v_subrev_co_ci_u32_e32 v5, vcc_lo, s13, v5, vcc_lo
	v_mov_b32_e32 v8, 0
	s_or_b32 s8, s8, exec_lo
; %bb.424:                              ;   in Loop: Header=BB198_18 Depth=1
	s_or_b32 exec_lo, exec_lo, s9
	s_delay_alu instid0(VALU_DEP_2)
	v_dual_mov_b32 v2, v4 :: v_dual_mov_b32 v3, v5
	s_and_b32 s26, s8, exec_lo
.LBB198_425:                            ;   in Loop: Header=BB198_18 Depth=1
	s_or_b32 exec_lo, exec_lo, s7
	s_mov_b32 s12, -1
                                        ; implicit-def: $sgpr7
                                        ; implicit-def: $sgpr8
                                        ; implicit-def: $sgpr9
	s_and_saveexec_b32 s22, s26
	s_cbranch_execz .LBB198_478
; %bb.426:                              ;   in Loop: Header=BB198_18 Depth=1
	v_cmp_eq_u64_e32 vcc_lo, 1, v[2:3]
	s_cmp_eq_u64 s[10:11], 1
	s_mov_b32 s13, -1
	s_cselect_b32 s7, -1, 0
                                        ; implicit-def: $sgpr8
                                        ; implicit-def: $sgpr9
	s_delay_alu instid0(SALU_CYCLE_1) | instskip(NEXT) | instid1(SALU_CYCLE_1)
	s_and_b32 s60, s7, vcc_lo
                                        ; implicit-def: $sgpr7
	s_and_saveexec_b32 s61, s60
	s_cbranch_execz .LBB198_465
; %bb.427:                              ;   in Loop: Header=BB198_18 Depth=1
	ds_load_b64 v[4:5], v13 offset:5120
	s_waitcnt lgkmcnt(0)
	s_barrier
	buffer_gl0_inv
	v_readfirstlane_b32 s8, v4
	v_readfirstlane_b32 s9, v5
	s_and_saveexec_b32 s7, s6
	s_cbranch_execz .LBB198_429
; %bb.428:                              ;   in Loop: Header=BB198_18 Depth=1
	ds_store_b32 v28, v13
.LBB198_429:                            ;   in Loop: Header=BB198_18 Depth=1
	s_or_b32 exec_lo, exec_lo, s7
	v_and_b32_e32 v32, s21, v32
	v_or_b32_e32 v31, s20, v31
	s_cmp_eq_u64 s[8:9], 0
	s_waitcnt lgkmcnt(0)
	s_barrier
	buffer_gl0_inv
	s_cbranch_scc1 .LBB198_434
; %bb.430:                              ;   in Loop: Header=BB198_18 Depth=1
	s_add_u32 s26, s86, s8
	s_addc_u32 s13, s87, s9
	s_mov_b32 s12, s71
	s_delay_alu instid0(SALU_CYCLE_1)
	s_cmp_lg_u64 s[12:13], 0
	s_cbranch_scc0 .LBB198_435
; %bb.431:                              ;   in Loop: Header=BB198_18 Depth=1
	v_cvt_f32_u32_e32 v4, s35
	s_sub_u32 s62, 0, s35
	s_subb_u32 s63, 0, 0
	s_delay_alu instid0(VALU_DEP_1) | instskip(NEXT) | instid1(VALU_DEP_1)
	v_fmac_f32_e64 v4, 0, 0x4f800000
	v_rcp_f32_e32 v4, v4
	s_waitcnt_depctr 0xfff
	v_mul_f32_e32 v4, 0x5f7ffffc, v4
	s_delay_alu instid0(VALU_DEP_1) | instskip(NEXT) | instid1(VALU_DEP_1)
	v_mul_f32_e32 v5, 0x2f800000, v4
	v_trunc_f32_e32 v5, v5
	s_delay_alu instid0(VALU_DEP_1) | instskip(SKIP_1) | instid1(VALU_DEP_2)
	v_fmac_f32_e32 v4, 0xcf800000, v5
	v_cvt_u32_f32_e32 v5, v5
	v_cvt_u32_f32_e32 v4, v4
	s_delay_alu instid0(VALU_DEP_2) | instskip(NEXT) | instid1(VALU_DEP_2)
	v_readfirstlane_b32 s7, v5
	v_readfirstlane_b32 s12, v4
	s_delay_alu instid0(VALU_DEP_2) | instskip(NEXT) | instid1(VALU_DEP_1)
	s_mul_i32 s68, s62, s7
	s_mul_hi_u32 s80, s62, s12
	s_mul_i32 s69, s63, s12
	s_add_i32 s68, s80, s68
	s_mul_i32 s81, s62, s12
	s_add_i32 s68, s68, s69
	s_mul_hi_u32 s80, s12, s81
	s_mul_hi_u32 s82, s7, s81
	s_mul_i32 s69, s7, s81
	s_mul_hi_u32 s81, s12, s68
	s_mul_i32 s12, s12, s68
	s_mul_hi_u32 s83, s7, s68
	s_add_u32 s12, s80, s12
	s_addc_u32 s80, 0, s81
	s_add_u32 s12, s12, s69
	s_mul_i32 s68, s7, s68
	s_addc_u32 s12, s80, s82
	s_addc_u32 s69, s83, 0
	s_add_u32 s12, s12, s68
	s_addc_u32 s68, 0, s69
	v_add_co_u32 v4, s12, v4, s12
	s_delay_alu instid0(VALU_DEP_1) | instskip(SKIP_1) | instid1(VALU_DEP_1)
	s_cmp_lg_u32 s12, 0
	s_addc_u32 s7, s7, s68
	v_readfirstlane_b32 s12, v4
	s_mul_i32 s68, s62, s7
	s_delay_alu instid0(VALU_DEP_1)
	s_mul_hi_u32 s69, s62, s12
	s_mul_i32 s63, s63, s12
	s_add_i32 s68, s69, s68
	s_mul_i32 s62, s62, s12
	s_add_i32 s68, s68, s63
	s_mul_hi_u32 s69, s7, s62
	s_mul_i32 s80, s7, s62
	s_mul_hi_u32 s62, s12, s62
	s_mul_hi_u32 s81, s12, s68
	s_mul_i32 s12, s12, s68
	s_mul_hi_u32 s63, s7, s68
	s_add_u32 s12, s62, s12
	s_addc_u32 s62, 0, s81
	s_add_u32 s12, s12, s80
	s_mul_i32 s68, s7, s68
	s_addc_u32 s12, s62, s69
	s_addc_u32 s62, s63, 0
	s_add_u32 s12, s12, s68
	s_addc_u32 s62, 0, s62
	v_add_co_u32 v4, s12, v4, s12
	s_delay_alu instid0(VALU_DEP_1) | instskip(SKIP_1) | instid1(VALU_DEP_1)
	s_cmp_lg_u32 s12, 0
	s_addc_u32 s7, s7, s62
	v_readfirstlane_b32 s12, v4
	s_mul_i32 s63, s26, s7
	s_mul_hi_u32 s62, s26, s7
	s_mul_hi_u32 s68, s13, s7
	s_mul_i32 s7, s13, s7
	s_mul_hi_u32 s69, s26, s12
	s_mul_hi_u32 s80, s13, s12
	s_mul_i32 s12, s13, s12
	s_add_u32 s63, s69, s63
	s_addc_u32 s62, 0, s62
	s_add_u32 s12, s63, s12
	s_addc_u32 s12, s62, s80
	s_addc_u32 s62, s68, 0
	s_add_u32 s7, s12, s7
	s_addc_u32 s12, 0, s62
	s_mul_hi_u32 s62, s35, s7
	s_mul_i32 s7, s35, s7
	s_mul_i32 s12, s35, s12
	v_sub_co_u32 v4, s7, s26, s7
	s_add_i32 s62, s62, s12
	s_cmp_lg_u32 s7, 0
	s_delay_alu instid0(VALU_DEP_1) | instskip(SKIP_3) | instid1(VALU_DEP_2)
	v_sub_co_u32 v5, s7, v4, s35
	s_subb_u32 s12, s13, s62
	s_cmp_lg_u32 s7, 0
	v_cmp_le_u32_e32 vcc_lo, s35, v4
	v_cmp_le_u32_e64 s7, s35, v5
	v_sub_co_u32 v6, s62, v5, s35
	s_subb_u32 s63, s12, 0
	s_cmp_lg_u32 s62, 0
	s_delay_alu instid0(VALU_DEP_2)
	v_cndmask_b32_e64 v7, 0, -1, s7
	s_subb_u32 s62, s63, 0
	s_cmp_eq_u32 s63, 0
	v_mov_b32_e32 v9, s62
	v_cndmask_b32_e64 v8, 0, -1, vcc_lo
	s_cselect_b32 vcc_lo, -1, 0
	s_cmp_eq_u32 s12, 0
	v_cndmask_b32_e32 v7, -1, v7, vcc_lo
	s_cselect_b32 vcc_lo, -1, 0
	v_cndmask_b32_e32 v8, -1, v8, vcc_lo
	s_delay_alu instid0(VALU_DEP_2) | instskip(NEXT) | instid1(VALU_DEP_2)
	v_cmp_ne_u32_e32 vcc_lo, 0, v7
	v_cmp_ne_u32_e64 s7, 0, v8
	v_cndmask_b32_e32 v7, s63, v9, vcc_lo
	v_cndmask_b32_e32 v6, v5, v6, vcc_lo
	s_delay_alu instid0(VALU_DEP_2) | instskip(NEXT) | instid1(VALU_DEP_2)
	v_cndmask_b32_e64 v5, s12, v7, s7
	v_cndmask_b32_e64 v4, v4, v6, s7
	s_mov_b32 s7, 0
	s_branch .LBB198_436
.LBB198_432:                            ;   in Loop: Header=BB198_18 Depth=1
                                        ; implicit-def: $vgpr2_vgpr3
	s_branch .LBB198_386
.LBB198_433:                            ;   in Loop: Header=BB198_18 Depth=1
                                        ; implicit-def: $vgpr2_vgpr3
	s_branch .LBB198_402
.LBB198_434:                            ;   in Loop: Header=BB198_18 Depth=1
	s_mov_b32 s7, -1
	s_mov_b32 s13, 0
                                        ; implicit-def: $sgpr8
                                        ; implicit-def: $vgpr18
	s_branch .LBB198_448
.LBB198_435:                            ;   in Loop: Header=BB198_18 Depth=1
	s_mov_b32 s7, -1
                                        ; implicit-def: $vgpr4_vgpr5
.LBB198_436:                            ;   in Loop: Header=BB198_18 Depth=1
	s_delay_alu instid0(SALU_CYCLE_1)
	s_and_not1_b32 vcc_lo, exec_lo, s7
	s_cbranch_vccnz .LBB198_438
; %bb.437:                              ;   in Loop: Header=BB198_18 Depth=1
	v_cvt_f32_u32_e32 v4, s35
	s_sub_i32 s7, 0, s35
	s_delay_alu instid0(VALU_DEP_1) | instskip(SKIP_2) | instid1(VALU_DEP_1)
	v_rcp_iflag_f32_e32 v4, v4
	s_waitcnt_depctr 0xfff
	v_mul_f32_e32 v4, 0x4f7ffffe, v4
	v_cvt_u32_f32_e32 v4, v4
	s_delay_alu instid0(VALU_DEP_1) | instskip(NEXT) | instid1(VALU_DEP_1)
	v_mul_lo_u32 v5, s7, v4
	v_mul_hi_u32 v5, v4, v5
	s_delay_alu instid0(VALU_DEP_1) | instskip(NEXT) | instid1(VALU_DEP_1)
	v_add_nc_u32_e32 v4, v4, v5
	v_mul_hi_u32 v4, s26, v4
	s_delay_alu instid0(VALU_DEP_1) | instskip(NEXT) | instid1(VALU_DEP_1)
	v_mul_lo_u32 v4, v4, s35
	v_sub_nc_u32_e32 v4, s26, v4
	s_delay_alu instid0(VALU_DEP_1) | instskip(SKIP_1) | instid1(VALU_DEP_2)
	v_subrev_nc_u32_e32 v5, s35, v4
	v_cmp_le_u32_e32 vcc_lo, s35, v4
	v_cndmask_b32_e32 v4, v4, v5, vcc_lo
	s_delay_alu instid0(VALU_DEP_1) | instskip(SKIP_1) | instid1(VALU_DEP_2)
	v_subrev_nc_u32_e32 v5, s35, v4
	v_cmp_le_u32_e32 vcc_lo, s35, v4
	v_cndmask_b32_e32 v12, v4, v5, vcc_lo
	s_delay_alu instid0(VALU_DEP_1)
	v_dual_mov_b32 v4, v12 :: v_dual_mov_b32 v5, v13
.LBB198_438:                            ;   in Loop: Header=BB198_18 Depth=1
	s_delay_alu instid0(VALU_DEP_1) | instskip(NEXT) | instid1(VALU_DEP_2)
	v_sub_co_u32 v4, vcc_lo, s26, v4
	v_sub_co_ci_u32_e32 v5, vcc_lo, s13, v5, vcc_lo
	s_mov_b32 s13, 0
	s_mov_b32 s12, exec_lo
                                        ; implicit-def: $vgpr18
	s_delay_alu instid0(VALU_DEP_1)
	v_cmpx_gt_u64_e64 v[4:5], v[0:1]
	s_cbranch_execz .LBB198_447
; %bb.439:                              ;   in Loop: Header=BB198_18 Depth=1
	v_dual_mov_b32 v8, v14 :: v_dual_mov_b32 v7, v1
	v_mov_b32_e32 v6, v0
                                        ; implicit-def: $sgpr26
	s_set_inst_prefetch_distance 0x1
	s_branch .LBB198_441
	.p2align	6
.LBB198_440:                            ;   in Loop: Header=BB198_441 Depth=2
	s_or_b32 exec_lo, exec_lo, s7
	s_waitcnt lgkmcnt(0)
	s_barrier
	buffer_gl0_inv
	ds_load_b64 v[17:18], v13 offset:3072
	v_add_co_u32 v6, vcc_lo, v6, s35
	v_add_co_ci_u32_e32 v7, vcc_lo, 0, v7, vcc_lo
	v_add_nc_u32_e32 v8, s94, v8
	s_waitcnt lgkmcnt(0)
	s_barrier
	s_delay_alu instid0(VALU_DEP_2) | instskip(SKIP_2) | instid1(VALU_DEP_1)
	v_cmp_ge_u64_e32 vcc_lo, v[6:7], v[4:5]
	buffer_gl0_inv
	v_cmp_neq_f32_e64 s7, 0, v17
	s_or_b32 s62, vcc_lo, s7
	s_delay_alu instid0(SALU_CYCLE_1) | instskip(NEXT) | instid1(SALU_CYCLE_1)
	s_and_b32 s62, exec_lo, s62
	s_or_b32 s13, s62, s13
	s_and_not1_b32 s26, s26, exec_lo
	s_and_b32 s7, s7, exec_lo
	s_delay_alu instid0(SALU_CYCLE_1)
	s_or_b32 s26, s26, s7
	s_and_not1_b32 exec_lo, exec_lo, s13
	s_cbranch_execz .LBB198_446
.LBB198_441:                            ;   Parent Loop BB198_18 Depth=1
                                        ; =>  This Inner Loop Header: Depth=2
	s_delay_alu instid0(VALU_DEP_1)
	v_cmp_gt_u64_e32 vcc_lo, s[8:9], v[6:7]
	v_mov_b32_e32 v17, 0
	s_and_saveexec_b32 s7, vcc_lo
	s_cbranch_execz .LBB198_443
; %bb.442:                              ;   in Loop: Header=BB198_441 Depth=2
	ds_load_b32 v17, v8
.LBB198_443:                            ;   in Loop: Header=BB198_441 Depth=2
	s_or_b32 exec_lo, exec_lo, s7
	s_and_saveexec_b32 s7, vcc_lo
	s_cbranch_execz .LBB198_440
; %bb.444:                              ;   in Loop: Header=BB198_441 Depth=2
	s_waitcnt lgkmcnt(0)
	v_cmp_lt_i32_e32 vcc_lo, -1, v17
	v_cndmask_b32_e64 v9, -1, 0x80000000, vcc_lo
	v_cmp_o_f32_e32 vcc_lo, v17, v17
	s_delay_alu instid0(VALU_DEP_2) | instskip(NEXT) | instid1(VALU_DEP_1)
	v_xor_b32_e32 v9, v9, v17
	v_cndmask_b32_e32 v9, -1, v9, vcc_lo
	s_delay_alu instid0(VALU_DEP_1) | instskip(NEXT) | instid1(VALU_DEP_1)
	v_and_b32_e32 v9, v9, v31
	v_cmp_eq_u32_e32 vcc_lo, v9, v32
	s_and_b32 exec_lo, exec_lo, vcc_lo
	s_cbranch_execz .LBB198_440
; %bb.445:                              ;   in Loop: Header=BB198_441 Depth=2
	ds_store_b64 v13, v[16:17] offset:3072
	s_branch .LBB198_440
.LBB198_446:                            ;   in Loop: Header=BB198_18 Depth=1
	s_set_inst_prefetch_distance 0x2
	s_or_b32 exec_lo, exec_lo, s13
	s_delay_alu instid0(SALU_CYCLE_1)
	s_and_b32 s13, s26, exec_lo
.LBB198_447:                            ;   in Loop: Header=BB198_18 Depth=1
	s_or_b32 exec_lo, exec_lo, s12
	s_mov_b32 s7, 0
	s_mov_b32 s8, -1
.LBB198_448:                            ;   in Loop: Header=BB198_18 Depth=1
	s_and_b32 vcc_lo, exec_lo, s7
	s_mov_b32 s9, s7
	s_cbranch_vccz .LBB198_464
; %bb.449:                              ;   in Loop: Header=BB198_18 Depth=1
	s_mov_b32 s26, s71
	s_delay_alu instid0(SALU_CYCLE_1)
	s_cmp_lg_u64 s[26:27], 0
	s_cbranch_scc0 .LBB198_451
; %bb.450:                              ;   in Loop: Header=BB198_18 Depth=1
	v_cvt_f32_u32_e32 v4, s35
	s_sub_u32 s9, 0, s35
	s_subb_u32 s12, 0, 0
	s_delay_alu instid0(VALU_DEP_1) | instskip(NEXT) | instid1(VALU_DEP_1)
	v_fmac_f32_e64 v4, 0, 0x4f800000
	v_rcp_f32_e32 v4, v4
	s_waitcnt_depctr 0xfff
	v_mul_f32_e32 v4, 0x5f7ffffc, v4
	s_delay_alu instid0(VALU_DEP_1) | instskip(NEXT) | instid1(VALU_DEP_1)
	v_mul_f32_e32 v5, 0x2f800000, v4
	v_trunc_f32_e32 v5, v5
	s_delay_alu instid0(VALU_DEP_1) | instskip(SKIP_1) | instid1(VALU_DEP_2)
	v_fmac_f32_e32 v4, 0xcf800000, v5
	v_cvt_u32_f32_e32 v5, v5
	v_cvt_u32_f32_e32 v4, v4
	s_delay_alu instid0(VALU_DEP_2) | instskip(NEXT) | instid1(VALU_DEP_2)
	v_readfirstlane_b32 s7, v5
	v_readfirstlane_b32 s8, v4
	s_delay_alu instid0(VALU_DEP_2) | instskip(NEXT) | instid1(VALU_DEP_1)
	s_mul_i32 s13, s9, s7
	s_mul_hi_u32 s62, s9, s8
	s_mul_i32 s26, s12, s8
	s_add_i32 s13, s62, s13
	s_mul_i32 s63, s9, s8
	s_add_i32 s13, s13, s26
	s_mul_hi_u32 s62, s8, s63
	s_mul_hi_u32 s68, s7, s63
	s_mul_i32 s26, s7, s63
	s_mul_hi_u32 s63, s8, s13
	s_mul_i32 s8, s8, s13
	s_mul_hi_u32 s69, s7, s13
	s_add_u32 s8, s62, s8
	s_addc_u32 s62, 0, s63
	s_add_u32 s8, s8, s26
	s_mul_i32 s13, s7, s13
	s_addc_u32 s8, s62, s68
	s_addc_u32 s26, s69, 0
	s_add_u32 s8, s8, s13
	s_addc_u32 s13, 0, s26
	v_add_co_u32 v4, s8, v4, s8
	s_delay_alu instid0(VALU_DEP_1) | instskip(SKIP_1) | instid1(VALU_DEP_1)
	s_cmp_lg_u32 s8, 0
	s_addc_u32 s7, s7, s13
	v_readfirstlane_b32 s8, v4
	s_mul_i32 s13, s9, s7
	s_delay_alu instid0(VALU_DEP_1)
	s_mul_hi_u32 s26, s9, s8
	s_mul_i32 s12, s12, s8
	s_add_i32 s13, s26, s13
	s_mul_i32 s9, s9, s8
	s_add_i32 s13, s13, s12
	s_mul_hi_u32 s26, s7, s9
	s_mul_i32 s62, s7, s9
	s_mul_hi_u32 s9, s8, s9
	s_mul_hi_u32 s63, s8, s13
	s_mul_i32 s8, s8, s13
	s_mul_hi_u32 s12, s7, s13
	s_add_u32 s8, s9, s8
	s_addc_u32 s9, 0, s63
	s_add_u32 s8, s8, s62
	s_mul_i32 s13, s7, s13
	s_addc_u32 s8, s9, s26
	s_addc_u32 s9, s12, 0
	s_add_u32 s8, s8, s13
	s_addc_u32 s9, 0, s9
	v_add_co_u32 v4, s8, v4, s8
	s_delay_alu instid0(VALU_DEP_1) | instskip(SKIP_1) | instid1(VALU_DEP_1)
	s_cmp_lg_u32 s8, 0
	s_addc_u32 s7, s7, s9
	v_readfirstlane_b32 s8, v4
	s_mul_i32 s12, s88, s7
	s_mul_hi_u32 s9, s88, s7
	s_mul_hi_u32 s13, s27, s7
	s_mul_i32 s7, s27, s7
	s_mul_hi_u32 s26, s88, s8
	s_mul_hi_u32 s62, s27, s8
	s_mul_i32 s8, s27, s8
	s_add_u32 s12, s26, s12
	s_addc_u32 s9, 0, s9
	s_add_u32 s8, s12, s8
	s_addc_u32 s8, s9, s62
	s_addc_u32 s9, s13, 0
	s_add_u32 s7, s8, s7
	s_addc_u32 s8, 0, s9
	s_mul_hi_u32 s9, s35, s7
	s_mul_i32 s7, s35, s7
	s_mul_i32 s8, s35, s8
	v_sub_co_u32 v4, s7, s88, s7
	s_add_i32 s9, s9, s8
	s_cmp_lg_u32 s7, 0
	s_delay_alu instid0(VALU_DEP_1) | instskip(SKIP_3) | instid1(VALU_DEP_2)
	v_sub_co_u32 v5, s7, v4, s35
	s_subb_u32 s8, s27, s9
	s_cmp_lg_u32 s7, 0
	v_cmp_le_u32_e32 vcc_lo, s35, v4
	v_cmp_le_u32_e64 s7, s35, v5
	v_sub_co_u32 v6, s9, v5, s35
	s_subb_u32 s12, s8, 0
	s_cmp_lg_u32 s9, 0
	s_delay_alu instid0(VALU_DEP_2)
	v_cndmask_b32_e64 v7, 0, -1, s7
	s_subb_u32 s9, s12, 0
	s_cmp_eq_u32 s12, 0
	v_mov_b32_e32 v9, s9
	v_cndmask_b32_e64 v8, 0, -1, vcc_lo
	s_cselect_b32 vcc_lo, -1, 0
	s_cmp_eq_u32 s8, 0
	v_cndmask_b32_e32 v7, -1, v7, vcc_lo
	s_cselect_b32 vcc_lo, -1, 0
	v_cndmask_b32_e32 v8, -1, v8, vcc_lo
	s_delay_alu instid0(VALU_DEP_2) | instskip(NEXT) | instid1(VALU_DEP_2)
	v_cmp_ne_u32_e32 vcc_lo, 0, v7
	v_cmp_ne_u32_e64 s7, 0, v8
	v_cndmask_b32_e32 v7, s12, v9, vcc_lo
	v_cndmask_b32_e32 v6, v5, v6, vcc_lo
	s_delay_alu instid0(VALU_DEP_2) | instskip(NEXT) | instid1(VALU_DEP_2)
	v_cndmask_b32_e64 v5, s8, v7, s7
	v_cndmask_b32_e64 v4, v4, v6, s7
	s_mov_b32 s7, 0
	s_branch .LBB198_452
.LBB198_451:                            ;   in Loop: Header=BB198_18 Depth=1
	s_mov_b32 s7, -1
                                        ; implicit-def: $vgpr4_vgpr5
.LBB198_452:                            ;   in Loop: Header=BB198_18 Depth=1
	s_delay_alu instid0(SALU_CYCLE_1)
	s_and_not1_b32 vcc_lo, exec_lo, s7
	s_cbranch_vccnz .LBB198_454
; %bb.453:                              ;   in Loop: Header=BB198_18 Depth=1
	v_cvt_f32_u32_e32 v4, s35
	s_sub_i32 s7, 0, s35
	s_delay_alu instid0(VALU_DEP_1) | instskip(SKIP_2) | instid1(VALU_DEP_1)
	v_rcp_iflag_f32_e32 v4, v4
	s_waitcnt_depctr 0xfff
	v_mul_f32_e32 v4, 0x4f7ffffe, v4
	v_cvt_u32_f32_e32 v4, v4
	s_delay_alu instid0(VALU_DEP_1) | instskip(NEXT) | instid1(VALU_DEP_1)
	v_mul_lo_u32 v5, s7, v4
	v_mul_hi_u32 v5, v4, v5
	s_delay_alu instid0(VALU_DEP_1) | instskip(NEXT) | instid1(VALU_DEP_1)
	v_add_nc_u32_e32 v4, v4, v5
	v_mul_hi_u32 v4, s88, v4
	s_delay_alu instid0(VALU_DEP_1) | instskip(NEXT) | instid1(VALU_DEP_1)
	v_mul_lo_u32 v4, v4, s35
	v_sub_nc_u32_e32 v4, s88, v4
	s_delay_alu instid0(VALU_DEP_1) | instskip(SKIP_1) | instid1(VALU_DEP_2)
	v_subrev_nc_u32_e32 v5, s35, v4
	v_cmp_le_u32_e32 vcc_lo, s35, v4
	v_cndmask_b32_e32 v4, v4, v5, vcc_lo
	s_delay_alu instid0(VALU_DEP_1) | instskip(SKIP_1) | instid1(VALU_DEP_2)
	v_subrev_nc_u32_e32 v5, s35, v4
	v_cmp_le_u32_e32 vcc_lo, s35, v4
	v_cndmask_b32_e32 v12, v4, v5, vcc_lo
	s_delay_alu instid0(VALU_DEP_1)
	v_dual_mov_b32 v4, v12 :: v_dual_mov_b32 v5, v13
.LBB198_454:                            ;   in Loop: Header=BB198_18 Depth=1
	s_delay_alu instid0(VALU_DEP_1) | instskip(NEXT) | instid1(VALU_DEP_2)
	v_sub_co_u32 v4, vcc_lo, s88, v4
	v_sub_co_ci_u32_e32 v5, vcc_lo, s27, v5, vcc_lo
	s_mov_b32 s13, 0
	s_mov_b32 s8, exec_lo
                                        ; implicit-def: $vgpr18
	s_delay_alu instid0(VALU_DEP_1)
	v_cmpx_gt_u64_e64 v[4:5], v[0:1]
	s_cbranch_execz .LBB198_463
; %bb.455:                              ;   in Loop: Header=BB198_18 Depth=1
	v_dual_mov_b32 v7, v1 :: v_dual_mov_b32 v6, v0
	s_mov_b32 s9, 0
                                        ; implicit-def: $sgpr12
	s_branch .LBB198_457
.LBB198_456:                            ;   in Loop: Header=BB198_457 Depth=2
	s_or_b32 exec_lo, exec_lo, s7
	s_waitcnt vmcnt(0) lgkmcnt(0)
	s_barrier
	buffer_gl0_inv
	ds_load_b64 v[17:18], v13 offset:3072
	v_add_co_u32 v6, vcc_lo, v6, s35
	v_add_co_ci_u32_e32 v7, vcc_lo, 0, v7, vcc_lo
	s_waitcnt lgkmcnt(0)
	s_barrier
	buffer_gl0_inv
	v_cmp_ge_u64_e32 vcc_lo, v[6:7], v[4:5]
	v_cmp_neq_f32_e64 s7, 0, v17
	s_delay_alu instid0(VALU_DEP_1) | instskip(NEXT) | instid1(SALU_CYCLE_1)
	s_or_b32 s13, vcc_lo, s7
	s_and_b32 s13, exec_lo, s13
	s_delay_alu instid0(SALU_CYCLE_1) | instskip(SKIP_2) | instid1(SALU_CYCLE_1)
	s_or_b32 s9, s13, s9
	s_and_not1_b32 s12, s12, exec_lo
	s_and_b32 s7, s7, exec_lo
	s_or_b32 s12, s12, s7
	s_and_not1_b32 exec_lo, exec_lo, s9
	s_cbranch_execz .LBB198_462
.LBB198_457:                            ;   Parent Loop BB198_18 Depth=1
                                        ; =>  This Inner Loop Header: Depth=2
	s_delay_alu instid0(VALU_DEP_1)
	v_cmp_gt_u64_e32 vcc_lo, s[36:37], v[6:7]
	v_mov_b32_e32 v17, 0
	s_and_saveexec_b32 s13, vcc_lo
	s_cbranch_execz .LBB198_459
; %bb.458:                              ;   in Loop: Header=BB198_457 Depth=2
	v_mul_lo_u32 v12, v7, s30
	v_mul_lo_u32 v17, v6, s31
	v_mad_u64_u32 v[8:9], null, v6, s30, 0
	s_delay_alu instid0(VALU_DEP_1) | instskip(NEXT) | instid1(VALU_DEP_1)
	v_add3_u32 v9, v9, v17, v12
	v_lshlrev_b64 v[8:9], 2, v[8:9]
	s_delay_alu instid0(VALU_DEP_1) | instskip(NEXT) | instid1(VALU_DEP_1)
	v_add_co_u32 v8, s7, s29, v8
	v_add_co_ci_u32_e64 v9, s7, s33, v9, s7
	global_load_b32 v17, v[8:9], off
.LBB198_459:                            ;   in Loop: Header=BB198_457 Depth=2
	s_or_b32 exec_lo, exec_lo, s13
	s_and_saveexec_b32 s7, vcc_lo
	s_cbranch_execz .LBB198_456
; %bb.460:                              ;   in Loop: Header=BB198_457 Depth=2
	s_waitcnt vmcnt(0)
	v_cmp_lt_i32_e32 vcc_lo, -1, v17
	v_cndmask_b32_e64 v8, -1, 0x80000000, vcc_lo
	v_cmp_o_f32_e32 vcc_lo, v17, v17
	s_delay_alu instid0(VALU_DEP_2) | instskip(NEXT) | instid1(VALU_DEP_1)
	v_xor_b32_e32 v8, v8, v17
	v_cndmask_b32_e32 v8, -1, v8, vcc_lo
	s_delay_alu instid0(VALU_DEP_1) | instskip(NEXT) | instid1(VALU_DEP_1)
	v_and_b32_e32 v8, v8, v31
	v_cmp_eq_u32_e32 vcc_lo, v8, v32
	s_and_b32 exec_lo, exec_lo, vcc_lo
	s_cbranch_execz .LBB198_456
; %bb.461:                              ;   in Loop: Header=BB198_457 Depth=2
	ds_store_b64 v13, v[16:17] offset:3072
	s_branch .LBB198_456
.LBB198_462:                            ;   in Loop: Header=BB198_18 Depth=1
	s_or_b32 exec_lo, exec_lo, s9
	s_delay_alu instid0(SALU_CYCLE_1)
	s_and_b32 s13, s12, exec_lo
.LBB198_463:                            ;   in Loop: Header=BB198_18 Depth=1
	s_or_b32 exec_lo, exec_lo, s8
	s_mov_b32 s8, 0
	s_mov_b32 s7, -1
	s_mov_b32 s9, 0
.LBB198_464:                            ;   in Loop: Header=BB198_18 Depth=1
	s_or_not1_b32 s13, s13, exec_lo
.LBB198_465:                            ;   in Loop: Header=BB198_18 Depth=1
	s_or_b32 exec_lo, exec_lo, s61
	s_mov_b32 s26, 0
                                        ; implicit-def: $vgpr8
                                        ; implicit-def: $vgpr4_vgpr5
	s_and_saveexec_b32 s12, s13
	s_cbranch_execz .LBB198_477
; %bb.466:                              ;   in Loop: Header=BB198_18 Depth=1
	v_mov_b32_e32 v4, 1
	v_dual_mov_b32 v5, 0 :: v_dual_mov_b32 v8, 1
	s_xor_b32 s26, s60, -1
	s_delay_alu instid0(SALU_CYCLE_1)
	s_and_saveexec_b32 s13, s26
	s_cbranch_execz .LBB198_476
; %bb.467:                              ;   in Loop: Header=BB198_18 Depth=1
	s_mov_b32 s26, exec_lo
                                        ; implicit-def: $sgpr60
	v_cmpx_ge_u64_e64 s[10:11], v[2:3]
	s_xor_b32 s26, exec_lo, s26
	s_cbranch_execz .LBB198_473
; %bb.468:                              ;   in Loop: Header=BB198_18 Depth=1
	ds_load_b64 v[4:5], v13 offset:5120
	s_waitcnt lgkmcnt(0)
	v_cmp_ne_u64_e32 vcc_lo, 0, v[4:5]
	s_cbranch_vccnz .LBB198_472
; %bb.469:                              ;   in Loop: Header=BB198_18 Depth=1
	s_and_saveexec_b32 s60, s5
	s_cbranch_execz .LBB198_471
; %bb.470:                              ;   in Loop: Header=BB198_18 Depth=1
	v_dual_mov_b32 v4, s10 :: v_dual_mov_b32 v5, s11
	ds_store_b64 v13, v[4:5] offset:5128
.LBB198_471:                            ;   in Loop: Header=BB198_18 Depth=1
	s_or_b32 exec_lo, exec_lo, s60
	s_waitcnt lgkmcnt(0)
	s_barrier
	buffer_gl0_inv
.LBB198_472:                            ;   in Loop: Header=BB198_18 Depth=1
	v_and_b32_e32 v32, s21, v32
	v_or_b32_e32 v31, s20, v31
	s_mov_b32 s60, 5
.LBB198_473:                            ;   in Loop: Header=BB198_18 Depth=1
	s_or_saveexec_b32 s20, s26
	v_mov_b32_e32 v8, s60
	s_xor_b32 exec_lo, exec_lo, s20
; %bb.474:                              ;   in Loop: Header=BB198_18 Depth=1
	v_sub_co_u32 v2, vcc_lo, v2, s10
	v_subrev_co_ci_u32_e32 v3, vcc_lo, s11, v3, vcc_lo
	v_mov_b32_e32 v8, 5
; %bb.475:                              ;   in Loop: Header=BB198_18 Depth=1
	s_or_b32 exec_lo, exec_lo, s20
	s_delay_alu instid0(VALU_DEP_2)
	v_dual_mov_b32 v5, v3 :: v_dual_mov_b32 v4, v2
.LBB198_476:                            ;   in Loop: Header=BB198_18 Depth=1
	s_or_b32 exec_lo, exec_lo, s13
	s_delay_alu instid0(SALU_CYCLE_1)
	s_mov_b32 s26, exec_lo
.LBB198_477:                            ;   in Loop: Header=BB198_18 Depth=1
	s_or_b32 exec_lo, exec_lo, s12
	s_delay_alu instid0(VALU_DEP_1)
	v_dual_mov_b32 v2, v4 :: v_dual_mov_b32 v3, v5
	s_or_not1_b32 s12, s26, exec_lo
.LBB198_478:                            ;   in Loop: Header=BB198_18 Depth=1
	s_or_b32 exec_lo, exec_lo, s22
	s_delay_alu instid0(SALU_CYCLE_1)
	s_and_not1_b32 s10, s14, exec_lo
	s_and_b32 s7, s7, exec_lo
	s_and_b32 s8, s8, exec_lo
	s_or_b32 s14, s10, s7
	s_and_not1_b32 s7, s15, exec_lo
	s_and_not1_b32 s10, s78, exec_lo
	s_and_b32 s9, s9, exec_lo
	v_dual_mov_b32 v5, v3 :: v_dual_mov_b32 v4, v2
	s_or_b32 s15, s7, s8
	s_or_b32 s78, s10, s9
	s_and_b32 s26, s12, exec_lo
.LBB198_479:                            ;   in Loop: Header=BB198_18 Depth=1
	s_or_b32 exec_lo, exec_lo, s79
	s_delay_alu instid0(SALU_CYCLE_1)
	s_and_b32 s14, s14, exec_lo
	s_and_b32 s9, s15, exec_lo
	;; [unrolled: 1-line block ×3, first 2 shown]
	s_or_not1_b32 s7, s26, exec_lo
.LBB198_480:                            ;   in Loop: Header=BB198_18 Depth=1
	s_or_b32 exec_lo, exec_lo, s77
	s_delay_alu instid0(SALU_CYCLE_1)
	s_and_not1_b32 s10, s16, exec_lo
	s_and_b32 s11, s14, exec_lo
	s_and_b32 s9, s9, exec_lo
	s_or_b32 s16, s10, s11
	s_and_not1_b32 s10, s17, exec_lo
	s_and_not1_b32 s11, s75, exec_lo
	s_and_b32 s8, s8, exec_lo
	v_dual_mov_b32 v2, v4 :: v_dual_mov_b32 v3, v5
	s_or_b32 s17, s10, s9
	s_or_b32 s75, s11, s8
	s_and_b32 s26, s7, exec_lo
.LBB198_481:                            ;   in Loop: Header=BB198_18 Depth=1
	s_or_b32 exec_lo, exec_lo, s76
	s_delay_alu instid0(SALU_CYCLE_1)
	s_and_b32 s16, s16, exec_lo
	s_and_b32 s9, s17, exec_lo
	;; [unrolled: 1-line block ×3, first 2 shown]
	s_or_not1_b32 s17, s26, exec_lo
.LBB198_482:                            ;   in Loop: Header=BB198_18 Depth=1
	s_or_b32 exec_lo, exec_lo, s74
	s_mov_b32 s7, s25
	s_mov_b32 s10, s24
	s_and_saveexec_b32 s11, s17
; %bb.483:                              ;   in Loop: Header=BB198_18 Depth=1
	v_cmp_eq_u32_e32 vcc_lo, 5, v8
	v_cmp_ne_u32_e64 s7, 5, v8
	s_and_not1_b32 s10, s24, exec_lo
	s_and_not1_b32 s12, s25, exec_lo
	;; [unrolled: 1-line block ×3, first 2 shown]
	s_and_b32 s13, vcc_lo, exec_lo
	s_and_b32 s7, s7, exec_lo
	s_and_not1_b32 s9, s9, exec_lo
	s_and_not1_b32 s8, s8, exec_lo
	s_or_b32 s10, s10, s7
	s_or_b32 s7, s12, s13
; %bb.484:                              ;   in Loop: Header=BB198_18 Depth=1
	s_or_b32 exec_lo, exec_lo, s11
	s_delay_alu instid0(SALU_CYCLE_1)
	s_and_not1_b32 s11, s18, exec_lo
	s_and_b32 s12, s16, exec_lo
	s_and_b32 s9, s9, exec_lo
	s_or_b32 s18, s11, s12
	s_and_not1_b32 s11, s19, exec_lo
	s_and_not1_b32 s12, s23, exec_lo
	s_and_b32 s8, s8, exec_lo
	v_dual_mov_b32 v21, v32 :: v_dual_mov_b32 v22, v31
	v_mov_b32_e32 v5, v18
	s_or_b32 s19, s11, s9
	s_or_b32 s23, s12, s8
	s_and_not1_b32 s8, s24, exec_lo
	s_and_b32 s9, s10, exec_lo
	s_and_not1_b32 s10, s25, exec_lo
	s_and_b32 s7, s7, exec_lo
	s_or_b32 s24, s8, s9
	s_or_b32 s25, s10, s7
.LBB198_485:                            ;   in Loop: Header=BB198_18 Depth=1
	s_or_b32 exec_lo, exec_lo, s70
	s_mov_b32 s74, s23
	s_mov_b32 s70, s23
	s_and_saveexec_b32 s7, s25
.LBB198_486:                            ;   in Loop: Header=BB198_18 Depth=1
	v_mov_b32_e32 v8, 0
	s_and_not1_b32 s23, s23, exec_lo
	s_and_not1_b32 s18, s18, exec_lo
	;; [unrolled: 1-line block ×5, first 2 shown]
	s_or_b32 s24, s24, exec_lo
.LBB198_487:                            ;   in Loop: Header=BB198_18 Depth=1
	s_or_b32 exec_lo, exec_lo, s7
	s_delay_alu instid0(SALU_CYCLE_1)
	s_and_not1_b32 s7, s67, exec_lo
	s_and_b32 s9, s23, exec_lo
	s_and_not1_b32 s10, s104, exec_lo
	s_or_b32 s67, s7, s9
	s_and_not1_b32 s7, s66, exec_lo
	s_and_b32 s9, s18, exec_lo
	s_and_b32 s11, s19, exec_lo
	s_or_b32 s66, s7, s9
	s_or_b32 s104, s10, s11
	s_and_not1_b32 s7, vcc_hi, exec_lo
	s_and_b32 s9, s74, exec_lo
	s_and_not1_b32 s10, s103, exec_lo
	s_and_b32 s11, s70, exec_lo
	s_mov_b32 s8, -1
	s_or_b32 vcc_hi, s7, s9
	s_or_b32 s103, s10, s11
                                        ; implicit-def: $vgpr31
                                        ; implicit-def: $vgpr32
                                        ; implicit-def: $vgpr19_vgpr20
                                        ; implicit-def: $vgpr18
	s_and_saveexec_b32 s7, s24
	s_delay_alu instid0(SALU_CYCLE_1)
	s_xor_b32 s7, exec_lo, s7
	s_cbranch_execz .LBB198_17
; %bb.488:                              ;   in Loop: Header=BB198_18 Depth=1
	s_mov_b32 s9, -1
	s_mov_b32 s10, exec_lo
	v_cmpx_eq_u32_e32 0, v8
	s_cbranch_execz .LBB198_16
; %bb.489:                              ;   in Loop: Header=BB198_18 Depth=1
	s_xor_b32 s97, s97, 1
	s_add_i32 s11, s101, -2
	s_cmp_eq_u32 s101, 0
	s_mov_b32 s101, s11
	s_cselect_b32 s8, -1, 0
	s_xor_b32 s9, exec_lo, -1
	s_or_not1_b32 s8, s8, exec_lo
	s_branch .LBB198_16
.LBB198_490:
	s_or_b32 exec_lo, exec_lo, s95
	s_xor_b32 s7, s102, -1
	s_xor_b32 s9, s99, -1
	;; [unrolled: 1-line block ×5, first 2 shown]
	s_mov_b32 s8, 0
	s_and_saveexec_b32 s12, s11
	s_delay_alu instid0(SALU_CYCLE_1)
	s_xor_b32 s14, exec_lo, s12
	s_cbranch_execz .LBB198_549
; %bb.491:
	s_and_saveexec_b32 s11, s10
	s_delay_alu instid0(SALU_CYCLE_1)
	s_xor_b32 s15, exec_lo, s11
	s_cbranch_execz .LBB198_547
; %bb.492:
	;; [unrolled: 5-line block ×4, first 2 shown]
	s_and_saveexec_b32 s7, s6
	s_delay_alu instid0(SALU_CYCLE_1)
	s_xor_b32 s6, exec_lo, s7
; %bb.495:
	v_cmp_lt_i32_e32 vcc_lo, -1, v21
	v_cndmask_b32_e64 v2, 0x80000000, -1, vcc_lo
	s_delay_alu instid0(VALU_DEP_1)
	v_xor_b32_e32 v5, v2, v21
; %bb.496:
	s_or_b32 exec_lo, exec_lo, s6
	s_and_saveexec_b32 s6, s5
	s_cbranch_execz .LBB198_498
; %bb.497:
	v_mov_b32_e32 v2, 0
	s_delay_alu instid0(VALU_DEP_1)
	v_mov_b32_e32 v3, v2
	ds_store_b64 v2, v[2:3] offset:5136
.LBB198_498:
	s_or_b32 exec_lo, exec_lo, s6
	v_mov_b32_e32 v15, 0
	s_waitcnt lgkmcnt(0)
	s_barrier
	buffer_gl0_inv
	s_and_saveexec_b32 s5, s4
	s_cbranch_execz .LBB198_500
; %bb.499:
	global_load_b32 v15, v[10:11], off
.LBB198_500:
	s_or_b32 exec_lo, exec_lo, s5
	s_clause 0x2
	s_load_b64 s[26:27], s[0:1], 0x450
	s_load_b128 s[48:51], s[0:1], 0x298
	s_load_b64 s[24:25], s[0:1], 0x2a8
	s_add_u32 s5, s36, 31
	s_addc_u32 s7, s37, 0
	s_and_b32 s6, s5, 0xffffffe0
	s_mul_i32 s5, s64, s47
	s_mul_hi_u32 s8, s64, s46
	s_mul_i32 s9, s64, s46
	s_add_i32 s8, s8, s5
	s_sub_u32 s12, s34, s9
	s_subb_u32 s8, 0, s8
	s_mul_i32 s18, s56, s42
	s_mul_i32 s20, s58, s44
	v_cmp_lt_i32_e32 vcc_lo, -1, v5
	s_mov_b32 s21, -1
	v_cndmask_b32_e64 v2, -1, 0x80000000, vcc_lo
	s_waitcnt lgkmcnt(0)
	s_mul_i32 s5, s12, s27
	s_mul_hi_u32 s9, s12, s26
	s_mul_i32 s8, s8, s26
	s_add_i32 s5, s9, s5
	s_mul_i32 s9, s28, s40
	s_add_i32 s13, s5, s8
	s_mul_i32 s5, s28, s41
	s_mul_hi_u32 s8, s28, s40
	s_mul_hi_u32 s11, s28, s48
	s_add_i32 s8, s8, s5
	s_sub_u32 s5, s56, s9
	s_subb_u32 s8, s57, s8
	s_mul_i32 s9, s5, s51
	s_mul_hi_u32 s10, s5, s50
	s_mul_i32 s8, s8, s50
	s_add_i32 s9, s10, s9
	s_mul_i32 s10, s28, s49
	s_add_i32 s9, s9, s8
	s_add_i32 s11, s11, s10
	s_mul_i32 s8, s56, s43
	s_mul_hi_u32 s10, s56, s42
	s_load_b128 s[40:43], s[0:1], 0x440
	s_add_i32 s10, s10, s8
	s_sub_u32 s18, s34, s18
	s_subb_u32 s10, 0, s10
	s_mul_i32 s8, s18, s25
	s_mul_hi_u32 s19, s18, s24
	s_mul_i32 s10, s10, s24
	s_add_i32 s8, s19, s8
	s_mul_i32 s18, s18, s24
	s_add_i32 s19, s8, s10
	s_mul_i32 s8, s58, s45
	s_mul_hi_u32 s10, s58, s44
	s_load_b64 s[44:45], s[0:1], 0x1c8
	s_add_i32 s10, s10, s8
	s_sub_u32 s20, s64, s20
	s_mul_i32 s8, s5, s50
	s_subb_u32 s10, s65, s10
	v_xor_b32_e32 v2, v2, v5
	v_cmp_o_f32_e32 vcc_lo, v5, v5
	s_mul_i32 s12, s12, s26
	s_waitcnt lgkmcnt(0)
	s_mul_i32 s5, s20, s43
	s_mul_hi_u32 s22, s20, s42
	s_mul_i32 s24, s58, s40
	s_add_i32 s5, s22, s5
	s_mul_i32 s22, s10, s42
	s_mul_i32 s10, s28, s48
	s_add_i32 s23, s5, s22
	s_mul_i32 s5, s58, s41
	s_mul_hi_u32 s22, s58, s40
	s_lshl_b64 s[10:11], s[10:11], 2
	s_add_i32 s25, s22, s5
	v_cndmask_b32_e32 v14, -1, v2, vcc_lo
	s_add_u32 s5, s44, s10
	s_addc_u32 s10, s45, s11
	s_lshl_b64 s[8:9], s[8:9], 2
	s_delay_alu instid0(SALU_CYCLE_1)
	s_add_u32 s5, s5, s8
	s_addc_u32 s22, s10, s9
	s_clause 0x1
	s_load_b64 s[8:9], s[0:1], 0x368
	s_load_b64 s[10:11], s[0:1], 0x510
	s_lshl_b64 s[18:19], s[18:19], 2
	s_delay_alu instid0(SALU_CYCLE_1)
	s_add_u32 s1, s5, s18
	s_addc_u32 s5, s22, s19
	s_lshl_b64 s[18:19], s[24:25], 3
	v_readlane_b32 s24, v37, 0
	v_readlane_b32 s25, v37, 1
	s_mul_i32 s22, s20, s42
	s_delay_alu instid0(VALU_DEP_2) | instskip(NEXT) | instid1(VALU_DEP_1)
	s_add_u32 s0, s24, s18
	s_addc_u32 s20, s25, s19
	s_lshl_b64 s[18:19], s[22:23], 3
	s_delay_alu instid0(SALU_CYCLE_1)
	s_add_u32 s0, s0, s18
	s_addc_u32 s18, s20, s19
	s_lshl_b64 s[12:13], s[12:13], 3
	s_mov_b32 s19, 0
	s_add_u32 s12, s0, s12
	s_addc_u32 s13, s18, s13
	s_mov_b32 s18, 0
	s_mov_b32 s20, exec_lo
	v_cmpx_gt_u64_e64 s[6:7], v[0:1]
	s_cbranch_execz .LBB198_518
; %bb.501:
	v_mov_b32_e32 v9, v1
	v_dual_mov_b32 v3, 0 :: v_dual_mov_b32 v8, v0
                                        ; implicit-def: $sgpr21
                                        ; implicit-def: $vgpr6_vgpr7
	s_branch .LBB198_503
.LBB198_502:                            ;   in Loop: Header=BB198_503 Depth=1
	s_or_b32 exec_lo, exec_lo, s22
	s_xor_b32 s22, s24, -1
	s_and_b32 s0, exec_lo, s0
	s_waitcnt vmcnt(0)
	v_mov_b32_e32 v15, v16
	s_or_b32 s18, s0, s18
	v_dual_mov_b32 v9, v5 :: v_dual_mov_b32 v8, v4
	s_and_not1_b32 s0, s21, exec_lo
	s_and_b32 s21, s22, exec_lo
	s_delay_alu instid0(SALU_CYCLE_1)
	s_or_b32 s21, s0, s21
	s_and_not1_b32 exec_lo, exec_lo, s18
	s_cbranch_execz .LBB198_517
.LBB198_503:                            ; =>This Inner Loop Header: Depth=1
	s_delay_alu instid0(VALU_DEP_1) | instskip(NEXT) | instid1(VALU_DEP_3)
	v_add_co_u32 v4, vcc_lo, v8, s35
	v_add_co_ci_u32_e32 v5, vcc_lo, 0, v9, vcc_lo
	v_mov_b32_e32 v16, 0
	s_mov_b32 s0, exec_lo
	s_delay_alu instid0(VALU_DEP_2)
	v_cmpx_gt_u64_e64 s[36:37], v[4:5]
	s_cbranch_execz .LBB198_505
; %bb.504:                              ;   in Loop: Header=BB198_503 Depth=1
	v_mul_lo_u32 v2, v5, s30
	v_mul_lo_u32 v16, v4, s31
	v_mad_u64_u32 v[12:13], null, v4, s30, 0
	s_delay_alu instid0(VALU_DEP_1) | instskip(NEXT) | instid1(VALU_DEP_1)
	v_add3_u32 v13, v13, v16, v2
	v_lshlrev_b64 v[12:13], 2, v[12:13]
	s_delay_alu instid0(VALU_DEP_1) | instskip(NEXT) | instid1(VALU_DEP_2)
	v_add_co_u32 v12, vcc_lo, s29, v12
	v_add_co_ci_u32_e32 v13, vcc_lo, s33, v13, vcc_lo
	global_load_b32 v16, v[12:13], off
.LBB198_505:                            ;   in Loop: Header=BB198_503 Depth=1
	s_or_b32 exec_lo, exec_lo, s0
	s_mov_b32 s22, 0
	s_mov_b32 s0, exec_lo
	v_cmpx_gt_u64_e64 s[36:37], v[8:9]
	s_cbranch_execz .LBB198_507
; %bb.506:                              ;   in Loop: Header=BB198_503 Depth=1
	s_waitcnt vmcnt(0)
	v_cmp_lt_i32_e32 vcc_lo, -1, v15
	v_cndmask_b32_e64 v2, -1, 0x80000000, vcc_lo
	v_cmp_o_f32_e32 vcc_lo, v15, v15
	s_delay_alu instid0(VALU_DEP_2) | instskip(NEXT) | instid1(VALU_DEP_1)
	v_xor_b32_e32 v2, v2, v15
	v_cndmask_b32_e32 v2, -1, v2, vcc_lo
	s_delay_alu instid0(VALU_DEP_1) | instskip(SKIP_3) | instid1(VALU_DEP_1)
	v_cmp_gt_u32_e32 vcc_lo, v2, v14
	v_cndmask_b32_e64 v12, 0, 1, vcc_lo
	v_cmp_lt_u32_e32 vcc_lo, v2, v14
	v_cndmask_b32_e64 v2, 0, 1, vcc_lo
	v_cndmask_b32_e64 v2, v2, v12, s3
	s_delay_alu instid0(VALU_DEP_1) | instskip(NEXT) | instid1(VALU_DEP_1)
	v_and_b32_e32 v2, 1, v2
	v_cmp_eq_u32_e32 vcc_lo, 1, v2
	s_and_b32 s22, vcc_lo, exec_lo
.LBB198_507:                            ;   in Loop: Header=BB198_503 Depth=1
	s_or_b32 exec_lo, exec_lo, s0
	v_cndmask_b32_e64 v2, 0, 1, s22
	s_delay_alu instid0(VALU_DEP_1) | instskip(SKIP_2) | instid1(SALU_CYCLE_1)
	v_cmp_ne_u32_e32 vcc_lo, 0, v2
	s_cmp_lg_u32 vcc_lo, 0
	s_cselect_b32 s0, -1, 0
	s_and_b32 s0, s2, s0
	s_delay_alu instid0(SALU_CYCLE_1)
	s_and_saveexec_b32 s23, s0
	s_cbranch_execz .LBB198_511
; %bb.508:                              ;   in Loop: Header=BB198_503 Depth=1
	s_mov_b32 s26, exec_lo
	s_bcnt1_i32_b32 s24, vcc_lo
	v_mbcnt_lo_u32_b32 v12, s26, 0
	s_mov_b32 s25, exec_lo
                                        ; implicit-def: $vgpr6_vgpr7
	s_delay_alu instid0(VALU_DEP_1)
	v_cmpx_eq_u32_e32 0, v12
	s_cbranch_execz .LBB198_510
; %bb.509:                              ;   in Loop: Header=BB198_503 Depth=1
	s_bcnt1_i32_b32 s0, s26
	s_delay_alu instid0(SALU_CYCLE_1) | instskip(NEXT) | instid1(SALU_CYCLE_1)
	s_mul_i32 s0, s24, s0
	v_mov_b32_e32 v2, s0
	s_waitcnt lgkmcnt(0)
	ds_add_rtn_u64 v[6:7], v3, v[2:3] offset:5136
.LBB198_510:                            ;   in Loop: Header=BB198_503 Depth=1
	s_or_b32 exec_lo, exec_lo, s25
	s_waitcnt lgkmcnt(0)
	v_readfirstlane_b32 s27, v7
	v_readfirstlane_b32 s26, v6
	s_delay_alu instid0(VALU_DEP_1)
	v_mad_u64_u32 v[6:7], null, s24, v12, s[26:27]
.LBB198_511:                            ;   in Loop: Header=BB198_503 Depth=1
	s_or_b32 exec_lo, exec_lo, s23
	s_waitcnt lgkmcnt(0)
	ds_bpermute_b32 v6, v3, v6
	ds_bpermute_b32 v7, v3, v7
	s_mov_b32 s0, -1
	s_mov_b32 s25, -1
                                        ; implicit-def: $sgpr24
	s_and_saveexec_b32 s23, s22
	s_cbranch_execz .LBB198_515
; %bb.512:                              ;   in Loop: Header=BB198_503 Depth=1
	v_and_b32_e32 v2, vcc_lo, v25
	s_mov_b32 s22, 0
	s_mov_b32 s24, exec_lo
	s_delay_alu instid0(VALU_DEP_1) | instskip(SKIP_1) | instid1(VALU_DEP_1)
	v_bcnt_u32_b32 v2, v2, 0
	s_waitcnt lgkmcnt(0)
	v_add_co_u32 v12, vcc_lo, v6, v2
	v_add_co_ci_u32_e32 v13, vcc_lo, 0, v7, vcc_lo
	s_delay_alu instid0(VALU_DEP_1)
	v_cmpx_gt_u64_e64 s[38:39], v[12:13]
	s_cbranch_execz .LBB198_514
; %bb.513:                              ;   in Loop: Header=BB198_503 Depth=1
	v_mul_lo_u32 v2, v13, s8
	v_mul_lo_u32 v21, v12, s9
	v_mad_u64_u32 v[17:18], null, v12, s8, 0
	v_mul_lo_u32 v13, v13, s10
	v_mul_lo_u32 v22, v12, s11
	v_mad_u64_u32 v[19:20], null, v12, s10, 0
	s_mov_b32 s22, exec_lo
	s_delay_alu instid0(VALU_DEP_4) | instskip(NEXT) | instid1(VALU_DEP_2)
	v_add3_u32 v18, v18, v21, v2
	v_add3_u32 v20, v20, v22, v13
	s_delay_alu instid0(VALU_DEP_2) | instskip(NEXT) | instid1(VALU_DEP_2)
	v_lshlrev_b64 v[12:13], 2, v[17:18]
	v_lshlrev_b64 v[17:18], 3, v[19:20]
	s_delay_alu instid0(VALU_DEP_2) | instskip(NEXT) | instid1(VALU_DEP_3)
	v_add_co_u32 v12, vcc_lo, s1, v12
	v_add_co_ci_u32_e32 v13, vcc_lo, s5, v13, vcc_lo
	s_delay_alu instid0(VALU_DEP_3) | instskip(NEXT) | instid1(VALU_DEP_4)
	v_add_co_u32 v17, vcc_lo, s12, v17
	v_add_co_ci_u32_e32 v18, vcc_lo, s13, v18, vcc_lo
	s_waitcnt vmcnt(0)
	global_store_b32 v[12:13], v15, off
	global_store_b64 v[17:18], v[8:9], off
.LBB198_514:                            ;   in Loop: Header=BB198_503 Depth=1
	s_or_b32 exec_lo, exec_lo, s24
	s_mov_b32 s24, -1
	s_or_not1_b32 s25, s22, exec_lo
.LBB198_515:                            ;   in Loop: Header=BB198_503 Depth=1
	s_or_b32 exec_lo, exec_lo, s23
	s_and_saveexec_b32 s22, s25
	s_cbranch_execz .LBB198_502
; %bb.516:                              ;   in Loop: Header=BB198_503 Depth=1
	v_cmp_le_u64_e32 vcc_lo, s[6:7], v[4:5]
	s_and_not1_b32 s24, s24, exec_lo
	s_or_not1_b32 s0, vcc_lo, exec_lo
	s_branch .LBB198_502
.LBB198_517:
	s_or_b32 exec_lo, exec_lo, s18
	s_delay_alu instid0(SALU_CYCLE_1)
	s_mov_b32 s18, exec_lo
	s_or_not1_b32 s21, s21, exec_lo
.LBB198_518:
	s_or_b32 exec_lo, exec_lo, s20
	s_and_saveexec_b32 s3, s21
	s_cbranch_execz .LBB198_541
; %bb.519:
	v_dual_mov_b32 v3, 0 :: v_dual_mov_b32 v12, 0
	s_waitcnt vmcnt(0) lgkmcnt(0)
	s_waitcnt_vscnt null, 0x0
	s_barrier
	buffer_gl0_inv
	s_and_saveexec_b32 s0, s4
	s_cbranch_execz .LBB198_521
; %bb.520:
	global_load_b32 v12, v[10:11], off
.LBB198_521:
	s_or_b32 exec_lo, exec_lo, s0
	s_mov_b32 s19, 0
                                        ; implicit-def: $sgpr4
                                        ; implicit-def: $sgpr20
                                        ; implicit-def: $sgpr21
                                        ; implicit-def: $vgpr4_vgpr5
	s_branch .LBB198_524
.LBB198_522:                            ;   in Loop: Header=BB198_524 Depth=1
	s_or_b32 exec_lo, exec_lo, s24
	v_dual_mov_b32 v0, v6 :: v_dual_mov_b32 v1, v7
	v_mov_b32_e32 v12, v2
	s_and_not1_b32 s0, s21, exec_lo
	s_and_b32 s21, s26, exec_lo
	s_and_not1_b32 s20, s20, exec_lo
	s_and_b32 s23, s23, exec_lo
	s_or_b32 s21, s0, s21
	s_or_b32 s20, s20, s23
.LBB198_523:                            ;   in Loop: Header=BB198_524 Depth=1
	s_or_b32 exec_lo, exec_lo, s22
	s_xor_b32 s0, s21, -1
	s_and_b32 s22, exec_lo, s20
	s_delay_alu instid0(SALU_CYCLE_1) | instskip(SKIP_2) | instid1(SALU_CYCLE_1)
	s_or_b32 s19, s22, s19
	s_and_not1_b32 s4, s4, exec_lo
	s_and_b32 s0, s0, exec_lo
	s_or_b32 s4, s4, s0
	s_and_not1_b32 exec_lo, exec_lo, s19
	s_cbranch_execz .LBB198_539
.LBB198_524:                            ; =>This Inner Loop Header: Depth=1
	s_or_b32 s21, s21, exec_lo
	s_or_b32 s20, s20, exec_lo
	s_mov_b32 s22, exec_lo
	v_cmpx_gt_u64_e64 s[6:7], v[0:1]
	s_cbranch_execz .LBB198_523
; %bb.525:                              ;   in Loop: Header=BB198_524 Depth=1
	v_add_co_u32 v6, vcc_lo, v0, s35
	v_add_co_ci_u32_e32 v7, vcc_lo, 0, v1, vcc_lo
	v_mov_b32_e32 v10, 0
	s_mov_b32 s0, exec_lo
	s_delay_alu instid0(VALU_DEP_2)
	v_cmpx_gt_u64_e64 s[36:37], v[6:7]
	s_cbranch_execz .LBB198_527
; %bb.526:                              ;   in Loop: Header=BB198_524 Depth=1
	v_mul_lo_u32 v2, v7, s30
	v_mul_lo_u32 v10, v6, s31
	v_mad_u64_u32 v[8:9], null, v6, s30, 0
	s_delay_alu instid0(VALU_DEP_1) | instskip(NEXT) | instid1(VALU_DEP_1)
	v_add3_u32 v9, v9, v10, v2
	v_lshlrev_b64 v[8:9], 2, v[8:9]
	s_delay_alu instid0(VALU_DEP_1) | instskip(NEXT) | instid1(VALU_DEP_2)
	v_add_co_u32 v8, vcc_lo, s29, v8
	v_add_co_ci_u32_e32 v9, vcc_lo, s33, v9, vcc_lo
	global_load_b32 v10, v[8:9], off
.LBB198_527:                            ;   in Loop: Header=BB198_524 Depth=1
	s_or_b32 exec_lo, exec_lo, s0
	s_waitcnt vmcnt(0)
	v_cmp_lt_i32_e32 vcc_lo, -1, v12
	v_cndmask_b32_e64 v2, -1, 0x80000000, vcc_lo
	v_cmp_o_f32_e32 vcc_lo, v12, v12
	s_delay_alu instid0(VALU_DEP_2) | instskip(NEXT) | instid1(VALU_DEP_1)
	v_xor_b32_e32 v2, v2, v12
	v_cndmask_b32_e32 v2, -1, v2, vcc_lo
	v_cmp_gt_u64_e32 vcc_lo, s[36:37], v[0:1]
	s_delay_alu instid0(VALU_DEP_2) | instskip(NEXT) | instid1(VALU_DEP_1)
	v_cmp_eq_u32_e64 s0, v2, v14
	s_and_b32 s24, vcc_lo, s0
	s_delay_alu instid0(SALU_CYCLE_1) | instskip(NEXT) | instid1(VALU_DEP_1)
	v_cndmask_b32_e64 v2, 0, 1, s24
	v_cmp_ne_u32_e32 vcc_lo, 0, v2
	s_cmp_lg_u32 vcc_lo, 0
	s_cselect_b32 s0, -1, 0
	s_delay_alu instid0(SALU_CYCLE_1) | instskip(NEXT) | instid1(SALU_CYCLE_1)
	s_and_b32 s0, s2, s0
	s_and_saveexec_b32 s23, s0
	s_cbranch_execz .LBB198_531
; %bb.528:                              ;   in Loop: Header=BB198_524 Depth=1
	s_mov_b32 s27, exec_lo
	s_bcnt1_i32_b32 s25, vcc_lo
	v_mbcnt_lo_u32_b32 v8, s27, 0
	s_mov_b32 s26, exec_lo
                                        ; implicit-def: $vgpr4_vgpr5
	s_delay_alu instid0(VALU_DEP_1)
	v_cmpx_eq_u32_e32 0, v8
	s_cbranch_execz .LBB198_530
; %bb.529:                              ;   in Loop: Header=BB198_524 Depth=1
	s_bcnt1_i32_b32 s0, s27
	s_delay_alu instid0(SALU_CYCLE_1) | instskip(NEXT) | instid1(SALU_CYCLE_1)
	s_mul_i32 s0, s25, s0
	v_mov_b32_e32 v2, s0
	ds_add_rtn_u64 v[4:5], v3, v[2:3] offset:5136
.LBB198_530:                            ;   in Loop: Header=BB198_524 Depth=1
	s_or_b32 exec_lo, exec_lo, s26
	s_waitcnt lgkmcnt(0)
	v_readfirstlane_b32 s27, v5
	v_readfirstlane_b32 s26, v4
	s_delay_alu instid0(VALU_DEP_1)
	v_mad_u64_u32 v[4:5], null, s25, v8, s[26:27]
.LBB198_531:                            ;   in Loop: Header=BB198_524 Depth=1
	s_or_b32 exec_lo, exec_lo, s23
	ds_bpermute_b32 v4, v3, v4
	ds_bpermute_b32 v5, v3, v5
	s_cmp_eq_u32 vcc_lo, 0
	s_mov_b32 s23, -1
	s_cselect_b32 s25, -1, 0
	s_mov_b32 s26, -1
	s_waitcnt lgkmcnt(0)
	v_cmp_gt_u64_e64 s0, s[38:39], v[4:5]
	s_delay_alu instid0(VALU_DEP_1) | instskip(SKIP_3) | instid1(SALU_CYCLE_1)
	s_or_b32 s0, s25, s0
	s_mov_b32 s25, -1
	v_cndmask_b32_e64 v2, v12, v10, s0
	s_and_b32 s27, s24, s0
	s_and_saveexec_b32 s24, s27
	s_cbranch_execz .LBB198_537
; %bb.532:                              ;   in Loop: Header=BB198_524 Depth=1
	v_and_b32_e32 v2, vcc_lo, v25
	v_sub_co_u32 v8, vcc_lo, s38, v4
	v_sub_co_ci_u32_e32 v9, vcc_lo, s39, v5, vcc_lo
	s_delay_alu instid0(VALU_DEP_3) | instskip(SKIP_2) | instid1(VALU_DEP_1)
	v_bcnt_u32_b32 v2, v2, 0
	s_mov_b32 s27, -1
	s_mov_b32 s26, exec_lo
	v_cmp_le_u64_e64 s25, v[8:9], v[2:3]
	v_cmpx_gt_u64_e64 v[8:9], v[2:3]
	s_cbranch_execz .LBB198_536
; %bb.533:                              ;   in Loop: Header=BB198_524 Depth=1
	v_add_co_u32 v8, vcc_lo, v4, v2
	v_add_co_ci_u32_e32 v9, vcc_lo, 0, v5, vcc_lo
	s_delay_alu instid0(VALU_DEP_4) | instskip(SKIP_1) | instid1(VALU_DEP_1)
	s_mov_b32 s28, s25
	s_mov_b32 s27, exec_lo
	v_cmpx_gt_u64_e64 s[38:39], v[8:9]
	s_cbranch_execz .LBB198_535
; %bb.534:                              ;   in Loop: Header=BB198_524 Depth=1
	v_mul_lo_u32 v2, v9, s8
	v_mul_lo_u32 v11, v8, s9
	v_mad_u64_u32 v[15:16], null, v8, s8, 0
	v_mul_lo_u32 v9, v9, s10
	v_mul_lo_u32 v13, v8, s11
	v_mad_u64_u32 v[17:18], null, v8, s10, 0
	s_or_b32 s28, s25, exec_lo
	s_delay_alu instid0(VALU_DEP_4) | instskip(NEXT) | instid1(VALU_DEP_2)
	v_add3_u32 v16, v16, v11, v2
	v_add3_u32 v18, v18, v13, v9
	s_delay_alu instid0(VALU_DEP_2) | instskip(NEXT) | instid1(VALU_DEP_2)
	v_lshlrev_b64 v[8:9], 2, v[15:16]
	v_lshlrev_b64 v[15:16], 3, v[17:18]
	s_delay_alu instid0(VALU_DEP_2) | instskip(NEXT) | instid1(VALU_DEP_3)
	v_add_co_u32 v8, vcc_lo, s1, v8
	v_add_co_ci_u32_e32 v9, vcc_lo, s5, v9, vcc_lo
	s_delay_alu instid0(VALU_DEP_3) | instskip(NEXT) | instid1(VALU_DEP_4)
	v_add_co_u32 v15, vcc_lo, s12, v15
	v_add_co_ci_u32_e32 v16, vcc_lo, s13, v16, vcc_lo
	global_store_b32 v[8:9], v12, off
	global_store_b64 v[15:16], v[0:1], off
.LBB198_535:                            ;   in Loop: Header=BB198_524 Depth=1
	s_or_b32 exec_lo, exec_lo, s27
	s_delay_alu instid0(SALU_CYCLE_1)
	s_and_not1_b32 s25, s25, exec_lo
	s_and_b32 s28, s28, exec_lo
	s_xor_b32 s27, exec_lo, -1
	s_or_b32 s25, s25, s28
.LBB198_536:                            ;   in Loop: Header=BB198_524 Depth=1
	s_or_b32 exec_lo, exec_lo, s26
	v_mov_b32_e32 v2, v10
	s_or_not1_b32 s26, s27, exec_lo
	s_or_b32 s0, s0, exec_lo
	s_or_not1_b32 s25, s25, exec_lo
.LBB198_537:                            ;   in Loop: Header=BB198_524 Depth=1
	s_or_b32 exec_lo, exec_lo, s24
	s_and_saveexec_b32 s24, s25
	s_cbranch_execz .LBB198_522
; %bb.538:                              ;   in Loop: Header=BB198_524 Depth=1
	s_xor_b32 s0, s0, -1
	s_or_b32 s26, s26, exec_lo
	s_or_not1_b32 s23, s0, exec_lo
	s_branch .LBB198_522
.LBB198_539:
	s_or_b32 exec_lo, exec_lo, s19
	s_mov_b32 s0, 0
	s_and_saveexec_b32 s1, s4
	s_delay_alu instid0(SALU_CYCLE_1)
	s_xor_b32 s1, exec_lo, s1
	s_cbranch_execnz .LBB198_571
.LBB198_540:
	s_or_b32 exec_lo, exec_lo, s1
	s_delay_alu instid0(SALU_CYCLE_1)
	s_and_b32 s19, s0, exec_lo
	s_and_not1_b32 s18, s18, exec_lo
.LBB198_541:
	s_or_b32 exec_lo, exec_lo, s3
	s_and_saveexec_b32 s0, s18
	s_delay_alu instid0(SALU_CYCLE_1)
	s_xor_b32 s0, exec_lo, s0
	s_cbranch_execnz .LBB198_567
.LBB198_542:
	s_or_b32 exec_lo, exec_lo, s0
	s_waitcnt lgkmcnt(0)
	s_and_b32 s8, s19, exec_lo
.LBB198_543:
	s_and_not1_saveexec_b32 s0, s17
	s_cbranch_execnz .LBB198_563
.LBB198_544:
	s_or_b32 exec_lo, exec_lo, s0
	s_delay_alu instid0(SALU_CYCLE_1)
	s_and_b32 s8, s8, exec_lo
.LBB198_545:
	s_and_not1_saveexec_b32 s0, s16
	s_cbranch_execnz .LBB198_559
.LBB198_546:
	s_or_b32 exec_lo, exec_lo, s0
	s_delay_alu instid0(SALU_CYCLE_1)
	s_and_b32 s8, s8, exec_lo
.LBB198_547:
	s_and_not1_saveexec_b32 s0, s15
	s_cbranch_execnz .LBB198_555
.LBB198_548:
	s_or_b32 exec_lo, exec_lo, s0
	s_delay_alu instid0(SALU_CYCLE_1)
	s_and_b32 s8, s8, exec_lo
.LBB198_549:
	s_and_not1_saveexec_b32 s0, s14
	s_cbranch_execnz .LBB198_553
; %bb.550:
	s_or_b32 exec_lo, exec_lo, s0
	s_and_saveexec_b32 s0, s8
.LBB198_551:
	; divergent unreachable
.LBB198_552:
	s_nop 0
	s_sendmsg sendmsg(MSG_DEALLOC_VGPRS)
	s_endpgm
.LBB198_553:
	s_cbranch_execnz .LBB198_557
; %bb.554:
	s_or_b32 s8, s8, exec_lo
	s_or_b32 exec_lo, exec_lo, s0
	s_and_saveexec_b32 s0, s8
	s_cbranch_execnz .LBB198_551
	s_branch .LBB198_552
.LBB198_555:
	s_cbranch_execnz .LBB198_561
; %bb.556:
	s_or_b32 s8, s8, exec_lo
	s_branch .LBB198_548
.LBB198_557:
	s_trap 2
	s_sendmsg_rtn_b32 s0, sendmsg(MSG_RTN_GET_DOORBELL)
	s_mov_b32 ttmp2, m0
	s_waitcnt lgkmcnt(0)
	s_and_b32 s0, s0, 0x3ff
	s_delay_alu instid0(SALU_CYCLE_1) | instskip(NEXT) | instid1(SALU_CYCLE_1)
	s_bitset1_b32 s0, 10
	s_mov_b32 m0, s0
	s_sendmsg sendmsg(MSG_INTERRUPT)
	s_mov_b32 m0, ttmp2
.LBB198_558:                            ; =>This Inner Loop Header: Depth=1
	s_sethalt 5
	s_branch .LBB198_558
.LBB198_559:
	s_cbranch_execnz .LBB198_565
; %bb.560:
	s_or_b32 s8, s8, exec_lo
	s_branch .LBB198_546
.LBB198_561:
	s_trap 2
	s_sendmsg_rtn_b32 s0, sendmsg(MSG_RTN_GET_DOORBELL)
	s_mov_b32 ttmp2, m0
	s_waitcnt lgkmcnt(0)
	s_and_b32 s0, s0, 0x3ff
	s_delay_alu instid0(SALU_CYCLE_1) | instskip(NEXT) | instid1(SALU_CYCLE_1)
	s_bitset1_b32 s0, 10
	s_mov_b32 m0, s0
	s_sendmsg sendmsg(MSG_INTERRUPT)
	s_mov_b32 m0, ttmp2
.LBB198_562:                            ; =>This Inner Loop Header: Depth=1
	s_sethalt 5
	s_branch .LBB198_562
.LBB198_563:
	s_cbranch_execnz .LBB198_569
; %bb.564:
	s_or_b32 s8, s8, exec_lo
	s_branch .LBB198_544
.LBB198_565:
	s_trap 2
	s_sendmsg_rtn_b32 s0, sendmsg(MSG_RTN_GET_DOORBELL)
	s_mov_b32 ttmp2, m0
	s_waitcnt lgkmcnt(0)
	s_and_b32 s0, s0, 0x3ff
	s_delay_alu instid0(SALU_CYCLE_1) | instskip(NEXT) | instid1(SALU_CYCLE_1)
	s_bitset1_b32 s0, 10
	s_mov_b32 m0, s0
	s_sendmsg sendmsg(MSG_INTERRUPT)
	s_mov_b32 m0, ttmp2
.LBB198_566:                            ; =>This Inner Loop Header: Depth=1
	s_sethalt 5
	s_branch .LBB198_566
.LBB198_567:
	s_cbranch_execnz .LBB198_573
; %bb.568:
	s_or_b32 s19, s19, exec_lo
	s_branch .LBB198_542
.LBB198_569:
	s_trap 2
	s_sendmsg_rtn_b32 s0, sendmsg(MSG_RTN_GET_DOORBELL)
	s_mov_b32 ttmp2, m0
	s_waitcnt lgkmcnt(0)
	s_and_b32 s0, s0, 0x3ff
	s_delay_alu instid0(SALU_CYCLE_1) | instskip(NEXT) | instid1(SALU_CYCLE_1)
	s_bitset1_b32 s0, 10
	s_mov_b32 m0, s0
	s_sendmsg sendmsg(MSG_INTERRUPT)
	s_mov_b32 m0, ttmp2
.LBB198_570:                            ; =>This Inner Loop Header: Depth=1
	s_sethalt 5
	s_branch .LBB198_570
.LBB198_571:
	s_cbranch_execnz .LBB198_575
; %bb.572:
	s_mov_b32 s0, exec_lo
	s_branch .LBB198_540
.LBB198_573:
	s_trap 2
	s_sendmsg_rtn_b32 s0, sendmsg(MSG_RTN_GET_DOORBELL)
	s_mov_b32 ttmp2, m0
	s_waitcnt lgkmcnt(0)
	s_and_b32 s0, s0, 0x3ff
	s_delay_alu instid0(SALU_CYCLE_1) | instskip(NEXT) | instid1(SALU_CYCLE_1)
	s_bitset1_b32 s0, 10
	s_mov_b32 m0, s0
	s_sendmsg sendmsg(MSG_INTERRUPT)
	s_mov_b32 m0, ttmp2
.LBB198_574:                            ; =>This Inner Loop Header: Depth=1
	s_sethalt 5
	s_branch .LBB198_574
.LBB198_575:
	s_trap 2
	s_sendmsg_rtn_b32 s0, sendmsg(MSG_RTN_GET_DOORBELL)
	s_mov_b32 ttmp2, m0
	s_waitcnt lgkmcnt(0)
	s_and_b32 s0, s0, 0x3ff
	s_delay_alu instid0(SALU_CYCLE_1) | instskip(NEXT) | instid1(SALU_CYCLE_1)
	s_bitset1_b32 s0, 10
	s_mov_b32 m0, s0
	s_sendmsg sendmsg(MSG_INTERRUPT)
	s_mov_b32 m0, ttmp2
.LBB198_576:                            ; =>This Inner Loop Header: Depth=1
	s_sethalt 5
	s_branch .LBB198_576
	.section	.rodata,"a",@progbits
	.p2align	6, 0x0
	.amdhsa_kernel _ZN2at6native6sbtopk10gatherTopKIfmLi3ELb0EEEvNS_4cuda6detail10TensorInfoIKT_T0_EES8_S8_bS8_S8_NS5_IS6_S8_EES8_NS5_IlS8_EES8_PS6_
		.amdhsa_group_segment_fixed_size 5152
		.amdhsa_private_segment_fixed_size 0
		.amdhsa_kernarg_size 1568
		.amdhsa_user_sgpr_count 13
		.amdhsa_user_sgpr_dispatch_ptr 0
		.amdhsa_user_sgpr_queue_ptr 0
		.amdhsa_user_sgpr_kernarg_segment_ptr 1
		.amdhsa_user_sgpr_dispatch_id 0
		.amdhsa_user_sgpr_private_segment_size 0
		.amdhsa_wavefront_size32 1
		.amdhsa_uses_dynamic_stack 0
		.amdhsa_enable_private_segment 0
		.amdhsa_system_sgpr_workgroup_id_x 1
		.amdhsa_system_sgpr_workgroup_id_y 1
		.amdhsa_system_sgpr_workgroup_id_z 1
		.amdhsa_system_sgpr_workgroup_info 0
		.amdhsa_system_vgpr_workitem_id 0
		.amdhsa_next_free_vgpr 38
		.amdhsa_next_free_sgpr 105
		.amdhsa_reserve_vcc 1
		.amdhsa_float_round_mode_32 0
		.amdhsa_float_round_mode_16_64 0
		.amdhsa_float_denorm_mode_32 3
		.amdhsa_float_denorm_mode_16_64 3
		.amdhsa_dx10_clamp 1
		.amdhsa_ieee_mode 1
		.amdhsa_fp16_overflow 0
		.amdhsa_workgroup_processor_mode 1
		.amdhsa_memory_ordered 1
		.amdhsa_forward_progress 0
		.amdhsa_shared_vgpr_count 0
		.amdhsa_exception_fp_ieee_invalid_op 0
		.amdhsa_exception_fp_denorm_src 0
		.amdhsa_exception_fp_ieee_div_zero 0
		.amdhsa_exception_fp_ieee_overflow 0
		.amdhsa_exception_fp_ieee_underflow 0
		.amdhsa_exception_fp_ieee_inexact 0
		.amdhsa_exception_int_div_zero 0
	.end_amdhsa_kernel
	.section	.text._ZN2at6native6sbtopk10gatherTopKIfmLi3ELb0EEEvNS_4cuda6detail10TensorInfoIKT_T0_EES8_S8_bS8_S8_NS5_IS6_S8_EES8_NS5_IlS8_EES8_PS6_,"axG",@progbits,_ZN2at6native6sbtopk10gatherTopKIfmLi3ELb0EEEvNS_4cuda6detail10TensorInfoIKT_T0_EES8_S8_bS8_S8_NS5_IS6_S8_EES8_NS5_IlS8_EES8_PS6_,comdat
.Lfunc_end198:
	.size	_ZN2at6native6sbtopk10gatherTopKIfmLi3ELb0EEEvNS_4cuda6detail10TensorInfoIKT_T0_EES8_S8_bS8_S8_NS5_IS6_S8_EES8_NS5_IlS8_EES8_PS6_, .Lfunc_end198-_ZN2at6native6sbtopk10gatherTopKIfmLi3ELb0EEEvNS_4cuda6detail10TensorInfoIKT_T0_EES8_S8_bS8_S8_NS5_IS6_S8_EES8_NS5_IlS8_EES8_PS6_
                                        ; -- End function
	.section	.AMDGPU.csdata,"",@progbits
; Kernel info:
; codeLenInByte = 30408
; NumSgprs: 107
; NumVgprs: 38
; ScratchSize: 0
; MemoryBound: 0
; FloatMode: 240
; IeeeMode: 1
; LDSByteSize: 5152 bytes/workgroup (compile time only)
; SGPRBlocks: 13
; VGPRBlocks: 4
; NumSGPRsForWavesPerEU: 107
; NumVGPRsForWavesPerEU: 38
; Occupancy: 16
; WaveLimiterHint : 1
; COMPUTE_PGM_RSRC2:SCRATCH_EN: 0
; COMPUTE_PGM_RSRC2:USER_SGPR: 13
; COMPUTE_PGM_RSRC2:TRAP_HANDLER: 0
; COMPUTE_PGM_RSRC2:TGID_X_EN: 1
; COMPUTE_PGM_RSRC2:TGID_Y_EN: 1
; COMPUTE_PGM_RSRC2:TGID_Z_EN: 1
; COMPUTE_PGM_RSRC2:TIDIG_COMP_CNT: 0
	.section	.text._ZN2at6native6mbtopk23computeBlockDigitCountsIfmjLin1EEEvNS_4cuda6detail10TensorInfoIKT_T0_EEjPjjS8_iijT1_PSB_Ps,"axG",@progbits,_ZN2at6native6mbtopk23computeBlockDigitCountsIfmjLin1EEEvNS_4cuda6detail10TensorInfoIKT_T0_EEjPjjS8_iijT1_PSB_Ps,comdat
	.protected	_ZN2at6native6mbtopk23computeBlockDigitCountsIfmjLin1EEEvNS_4cuda6detail10TensorInfoIKT_T0_EEjPjjS8_iijT1_PSB_Ps ; -- Begin function _ZN2at6native6mbtopk23computeBlockDigitCountsIfmjLin1EEEvNS_4cuda6detail10TensorInfoIKT_T0_EEjPjjS8_iijT1_PSB_Ps
	.globl	_ZN2at6native6mbtopk23computeBlockDigitCountsIfmjLin1EEEvNS_4cuda6detail10TensorInfoIKT_T0_EEjPjjS8_iijT1_PSB_Ps
	.p2align	8
	.type	_ZN2at6native6mbtopk23computeBlockDigitCountsIfmjLin1EEEvNS_4cuda6detail10TensorInfoIKT_T0_EEjPjjS8_iijT1_PSB_Ps,@function
_ZN2at6native6mbtopk23computeBlockDigitCountsIfmjLin1EEEvNS_4cuda6detail10TensorInfoIKT_T0_EEjPjjS8_iijT1_PSB_Ps: ; @_ZN2at6native6mbtopk23computeBlockDigitCountsIfmjLin1EEEvNS_4cuda6detail10TensorInfoIKT_T0_EEjPjjS8_iijT1_PSB_Ps
; %bb.0:
	s_clause 0x2
	s_load_b128 s[8:11], s[0:1], 0x1c0
	s_load_b32 s5, s[0:1], 0x1b0
	s_load_b64 s[2:3], s[0:1], 0x1e0
	s_waitcnt lgkmcnt(0)
	v_cvt_f32_u32_e32 v1, s10
	s_sub_i32 s6, 0, s10
	s_mul_i32 s3, s3, s15
	s_delay_alu instid0(SALU_CYCLE_1) | instskip(NEXT) | instid1(VALU_DEP_1)
	s_add_i32 s3, s3, s14
	v_rcp_iflag_f32_e32 v1, v1
	s_mul_i32 s24, s3, s2
	s_delay_alu instid0(SALU_CYCLE_1) | instskip(SKIP_3) | instid1(VALU_DEP_1)
	s_add_i32 s24, s24, s13
	s_mov_b32 s13, 0
	s_waitcnt_depctr 0xfff
	v_mul_f32_e32 v1, 0x4f7ffffe, v1
	v_cvt_u32_f32_e32 v1, v1
	s_delay_alu instid0(VALU_DEP_1) | instskip(NEXT) | instid1(VALU_DEP_1)
	v_readfirstlane_b32 s4, v1
	s_mul_i32 s6, s6, s4
	s_delay_alu instid0(SALU_CYCLE_1) | instskip(NEXT) | instid1(SALU_CYCLE_1)
	s_mul_hi_u32 s2, s4, s6
	s_add_i32 s4, s4, s2
	s_delay_alu instid0(SALU_CYCLE_1) | instskip(NEXT) | instid1(SALU_CYCLE_1)
	s_mul_hi_u32 s2, s24, s4
	s_mul_i32 s3, s2, s10
	s_add_i32 s4, s2, 1
	s_sub_i32 s3, s24, s3
	s_delay_alu instid0(SALU_CYCLE_1)
	s_sub_i32 s6, s3, s10
	s_cmp_ge_u32 s3, s10
	s_cselect_b32 s2, s4, s2
	s_cselect_b32 s3, s6, s3
	s_add_i32 s4, s2, 1
	s_cmp_ge_u32 s3, s10
	s_cselect_b32 s12, s4, s2
	s_delay_alu instid0(SALU_CYCLE_1)
	s_cmp_ge_u32 s12, s5
	s_cbranch_scc1 .LBB199_32
; %bb.1:
	s_clause 0x1
	s_load_b128 s[4:7], s[0:1], 0x1d0
	s_load_b32 s15, s[0:1], 0x198
	s_lshl_b64 s[2:3], s[12:13], 2
	s_mov_b64 s[18:19], s[12:13]
	s_waitcnt lgkmcnt(0)
	s_add_u32 s4, s4, s2
	s_addc_u32 s5, s5, s3
	s_cmp_lt_i32 s15, 2
	s_mov_b64 s[2:3], 0
	s_cbranch_scc1 .LBB199_9
; %bb.2:
	s_mov_b32 s14, 0
	s_add_i32 s2, s15, -1
	s_mov_b32 s3, s14
	s_add_i32 s13, s15, 1
	s_lshl_b64 s[2:3], s[2:3], 3
	s_delay_alu instid0(SALU_CYCLE_1)
	s_add_u32 s2, s2, s0
	s_addc_u32 s3, s3, s1
	s_add_u32 s16, s2, 8
	s_addc_u32 s17, s3, 0
	s_mov_b64 s[2:3], 0
.LBB199_3:                              ; =>This Inner Loop Header: Depth=1
	s_load_b64 s[20:21], s[16:17], 0x0
	s_waitcnt lgkmcnt(0)
	s_or_b64 s[22:23], s[18:19], s[20:21]
	s_delay_alu instid0(SALU_CYCLE_1) | instskip(NEXT) | instid1(SALU_CYCLE_1)
	s_mov_b32 s15, s23
                                        ; implicit-def: $sgpr22_sgpr23
	s_cmp_lg_u64 s[14:15], 0
	s_mov_b32 s15, -1
	s_cbranch_scc0 .LBB199_5
; %bb.4:                                ;   in Loop: Header=BB199_3 Depth=1
	v_cvt_f32_u32_e32 v1, s20
	v_cvt_f32_u32_e32 v2, s21
	s_sub_u32 s23, 0, s20
	s_subb_u32 s25, 0, s21
	s_waitcnt_depctr 0xfff
	v_fmac_f32_e32 v1, 0x4f800000, v2
	s_delay_alu instid0(VALU_DEP_1) | instskip(SKIP_2) | instid1(VALU_DEP_1)
	v_rcp_f32_e32 v1, v1
	s_waitcnt_depctr 0xfff
	v_mul_f32_e32 v1, 0x5f7ffffc, v1
	v_mul_f32_e32 v2, 0x2f800000, v1
	s_delay_alu instid0(VALU_DEP_1) | instskip(NEXT) | instid1(VALU_DEP_1)
	v_trunc_f32_e32 v2, v2
	v_fmac_f32_e32 v1, 0xcf800000, v2
	v_cvt_u32_f32_e32 v2, v2
	s_delay_alu instid0(VALU_DEP_2) | instskip(NEXT) | instid1(VALU_DEP_2)
	v_cvt_u32_f32_e32 v1, v1
	v_readfirstlane_b32 s15, v2
	s_delay_alu instid0(VALU_DEP_2) | instskip(NEXT) | instid1(VALU_DEP_2)
	v_readfirstlane_b32 s22, v1
	s_mul_i32 s26, s23, s15
	s_delay_alu instid0(VALU_DEP_1)
	s_mul_hi_u32 s28, s23, s22
	s_mul_i32 s27, s25, s22
	s_add_i32 s26, s28, s26
	s_mul_i32 s29, s23, s22
	s_add_i32 s26, s26, s27
	s_mul_hi_u32 s28, s22, s29
	s_mul_hi_u32 s30, s15, s29
	s_mul_i32 s27, s15, s29
	s_mul_hi_u32 s29, s22, s26
	s_mul_i32 s22, s22, s26
	s_mul_hi_u32 s31, s15, s26
	s_add_u32 s22, s28, s22
	s_addc_u32 s28, 0, s29
	s_add_u32 s22, s22, s27
	s_mul_i32 s26, s15, s26
	s_addc_u32 s22, s28, s30
	s_addc_u32 s27, s31, 0
	s_add_u32 s22, s22, s26
	s_addc_u32 s26, 0, s27
	v_add_co_u32 v1, s22, v1, s22
	s_delay_alu instid0(VALU_DEP_1) | instskip(SKIP_1) | instid1(VALU_DEP_1)
	s_cmp_lg_u32 s22, 0
	s_addc_u32 s15, s15, s26
	v_readfirstlane_b32 s22, v1
	s_mul_i32 s26, s23, s15
	s_delay_alu instid0(VALU_DEP_1)
	s_mul_hi_u32 s27, s23, s22
	s_mul_i32 s25, s25, s22
	s_add_i32 s26, s27, s26
	s_mul_i32 s23, s23, s22
	s_add_i32 s26, s26, s25
	s_mul_hi_u32 s27, s15, s23
	s_mul_i32 s28, s15, s23
	s_mul_hi_u32 s23, s22, s23
	s_mul_hi_u32 s29, s22, s26
	s_mul_i32 s22, s22, s26
	s_mul_hi_u32 s25, s15, s26
	s_add_u32 s22, s23, s22
	s_addc_u32 s23, 0, s29
	s_add_u32 s22, s22, s28
	s_mul_i32 s26, s15, s26
	s_addc_u32 s22, s23, s27
	s_addc_u32 s23, s25, 0
	s_add_u32 s22, s22, s26
	s_addc_u32 s23, 0, s23
	v_add_co_u32 v1, s22, v1, s22
	s_delay_alu instid0(VALU_DEP_1) | instskip(SKIP_1) | instid1(VALU_DEP_1)
	s_cmp_lg_u32 s22, 0
	s_addc_u32 s15, s15, s23
	v_readfirstlane_b32 s22, v1
	s_mul_i32 s25, s18, s15
	s_mul_hi_u32 s23, s18, s15
	s_mul_hi_u32 s26, s19, s15
	s_mul_i32 s15, s19, s15
	s_mul_hi_u32 s27, s18, s22
	s_mul_hi_u32 s28, s19, s22
	s_mul_i32 s22, s19, s22
	s_add_u32 s25, s27, s25
	s_addc_u32 s23, 0, s23
	s_add_u32 s22, s25, s22
	s_addc_u32 s22, s23, s28
	s_addc_u32 s23, s26, 0
	s_add_u32 s22, s22, s15
	s_addc_u32 s23, 0, s23
	s_mul_hi_u32 s15, s20, s22
	s_mul_i32 s26, s20, s23
	s_mul_i32 s27, s20, s22
	s_add_i32 s15, s15, s26
	v_sub_co_u32 v1, s26, s18, s27
	s_mul_i32 s25, s21, s22
	s_delay_alu instid0(SALU_CYCLE_1) | instskip(NEXT) | instid1(VALU_DEP_1)
	s_add_i32 s15, s15, s25
	v_sub_co_u32 v2, s27, v1, s20
	s_sub_i32 s25, s19, s15
	s_cmp_lg_u32 s26, 0
	s_subb_u32 s25, s25, s21
	s_cmp_lg_u32 s27, 0
	v_readfirstlane_b32 s27, v2
	s_subb_u32 s25, s25, 0
	s_delay_alu instid0(SALU_CYCLE_1) | instskip(SKIP_1) | instid1(VALU_DEP_1)
	s_cmp_ge_u32 s25, s21
	s_cselect_b32 s28, -1, 0
	s_cmp_ge_u32 s27, s20
	s_cselect_b32 s27, -1, 0
	s_cmp_eq_u32 s25, s21
	s_cselect_b32 s25, s27, s28
	s_add_u32 s27, s22, 1
	s_addc_u32 s28, s23, 0
	s_add_u32 s29, s22, 2
	s_addc_u32 s30, s23, 0
	s_cmp_lg_u32 s25, 0
	s_cselect_b32 s25, s29, s27
	s_cselect_b32 s27, s30, s28
	s_cmp_lg_u32 s26, 0
	v_readfirstlane_b32 s26, v1
	s_subb_u32 s15, s19, s15
	s_delay_alu instid0(SALU_CYCLE_1) | instskip(SKIP_1) | instid1(VALU_DEP_1)
	s_cmp_ge_u32 s15, s21
	s_cselect_b32 s28, -1, 0
	s_cmp_ge_u32 s26, s20
	s_cselect_b32 s26, -1, 0
	s_cmp_eq_u32 s15, s21
	s_cselect_b32 s15, s26, s28
	s_delay_alu instid0(SALU_CYCLE_1)
	s_cmp_lg_u32 s15, 0
	s_mov_b32 s15, 0
	s_cselect_b32 s23, s27, s23
	s_cselect_b32 s22, s25, s22
.LBB199_5:                              ;   in Loop: Header=BB199_3 Depth=1
	s_and_not1_b32 vcc_lo, exec_lo, s15
	s_cbranch_vccnz .LBB199_7
; %bb.6:                                ;   in Loop: Header=BB199_3 Depth=1
	v_cvt_f32_u32_e32 v1, s20
	s_sub_i32 s22, 0, s20
	s_waitcnt_depctr 0xfff
	v_rcp_iflag_f32_e32 v1, v1
	s_waitcnt_depctr 0xfff
	v_mul_f32_e32 v1, 0x4f7ffffe, v1
	s_delay_alu instid0(VALU_DEP_1) | instskip(NEXT) | instid1(VALU_DEP_1)
	v_cvt_u32_f32_e32 v1, v1
	v_readfirstlane_b32 s15, v1
	s_delay_alu instid0(VALU_DEP_1) | instskip(NEXT) | instid1(SALU_CYCLE_1)
	s_mul_i32 s22, s22, s15
	s_mul_hi_u32 s22, s15, s22
	s_delay_alu instid0(SALU_CYCLE_1) | instskip(NEXT) | instid1(SALU_CYCLE_1)
	s_add_i32 s15, s15, s22
	s_mul_hi_u32 s15, s18, s15
	s_delay_alu instid0(SALU_CYCLE_1) | instskip(SKIP_2) | instid1(SALU_CYCLE_1)
	s_mul_i32 s22, s15, s20
	s_add_i32 s23, s15, 1
	s_sub_i32 s22, s18, s22
	s_sub_i32 s25, s22, s20
	s_cmp_ge_u32 s22, s20
	s_cselect_b32 s15, s23, s15
	s_cselect_b32 s22, s25, s22
	s_add_i32 s23, s15, 1
	s_cmp_ge_u32 s22, s20
	s_cselect_b32 s22, s23, s15
	s_mov_b32 s23, s14
.LBB199_7:                              ;   in Loop: Header=BB199_3 Depth=1
	s_load_b64 s[26:27], s[16:17], 0xc8
	s_mul_i32 s15, s22, s21
	s_mul_hi_u32 s21, s22, s20
	s_mul_i32 s25, s23, s20
	s_add_i32 s15, s21, s15
	s_mul_i32 s20, s22, s20
	s_add_i32 s15, s15, s25
	s_sub_u32 s18, s18, s20
	s_subb_u32 s15, s19, s15
	s_waitcnt lgkmcnt(0)
	s_mul_i32 s15, s26, s15
	s_mul_hi_u32 s19, s26, s18
	s_mul_i32 s20, s27, s18
	s_add_i32 s15, s19, s15
	s_mul_i32 s18, s26, s18
	s_add_i32 s15, s15, s20
	s_add_u32 s2, s18, s2
	s_addc_u32 s3, s15, s3
	s_add_i32 s13, s13, -1
	s_add_u32 s16, s16, -8
	s_addc_u32 s17, s17, -1
	s_cmp_gt_u32 s13, 2
	s_cbranch_scc0 .LBB199_10
; %bb.8:                                ;   in Loop: Header=BB199_3 Depth=1
	s_mov_b64 s[18:19], s[22:23]
	s_branch .LBB199_3
.LBB199_9:
	s_mov_b64 s[22:23], s[18:19]
.LBB199_10:
	s_load_b32 s13, s[4:5], 0x0
	v_cmp_gt_u32_e32 vcc_lo, 0x100, v0
	v_lshlrev_b32_e32 v1, 2, v0
	s_and_saveexec_b32 s4, vcc_lo
	s_cbranch_execz .LBB199_12
; %bb.11:
	v_mov_b32_e32 v2, 0
	ds_store_b32 v1, v2
.LBB199_12:
	s_or_b32 exec_lo, exec_lo, s4
	s_load_b32 s14, s[0:1], 0x1a0
	s_mul_i32 s4, s12, s10
	s_waitcnt lgkmcnt(0)
	s_sub_i32 s4, s24, s4
	s_barrier
	s_mul_i32 s5, s9, s4
	s_add_i32 s4, s4, 1
	s_lshl_b32 s12, s5, 8
	buffer_gl0_inv
	s_sub_i32 s5, s14, s12
	s_delay_alu instid0(SALU_CYCLE_1) | instskip(SKIP_4) | instid1(VALU_DEP_1)
	s_add_u32 s5, s5, 0xff
	s_addc_u32 s15, 0, 0
	s_cmp_lt_u32 s4, s10
	v_alignbit_b32 v2, s15, s5, 8
	s_mov_b32 s10, 0
	v_readfirstlane_b32 s5, v2
	s_delay_alu instid0(VALU_DEP_1) | instskip(NEXT) | instid1(SALU_CYCLE_1)
	s_cselect_b32 s9, s9, s5
	s_cmp_lt_i32 s9, 1
	s_cbranch_scc1 .LBB199_28
; %bb.13:
	s_clause 0x2
	s_load_b64 s[16:17], s[0:1], 0xd0
	s_load_b64 s[4:5], s[0:1], 0x1b8
	;; [unrolled: 1-line block ×3, first 2 shown]
	v_add_nc_u32_e32 v2, s12, v0
	s_waitcnt lgkmcnt(0)
	s_mul_i32 s15, s16, s23
	s_mul_hi_u32 s18, s16, s22
	s_mul_i32 s17, s17, s22
	s_add_i32 s15, s18, s15
	s_mul_i32 s16, s16, s22
	s_add_i32 s17, s15, s17
	s_delay_alu instid0(SALU_CYCLE_1) | instskip(NEXT) | instid1(SALU_CYCLE_1)
	s_lshl_b64 s[16:17], s[16:17], 2
	s_add_u32 s15, s0, s16
	s_addc_u32 s16, s1, s17
	s_lshl_b64 s[0:1], s[2:3], 2
	s_delay_alu instid0(SALU_CYCLE_1)
	s_add_u32 s2, s15, s0
	s_addc_u32 s3, s16, s1
	s_and_b32 s1, s8, 0xff
	s_cmp_eq_u32 s9, 1
	s_cbranch_scc1 .LBB199_23
; %bb.14:
	v_dual_mov_b32 v3, 1 :: v_dual_mov_b32 v4, v2
	s_and_b32 s8, s9, 0x7ffffffe
	s_branch .LBB199_16
.LBB199_15:                             ;   in Loop: Header=BB199_16 Depth=1
	s_or_b32 exec_lo, exec_lo, s12
	v_add_nc_u32_e32 v4, 0x200, v4
	s_add_i32 s10, s10, 2
	s_delay_alu instid0(SALU_CYCLE_1)
	s_cmp_eq_u32 s8, s10
	s_cbranch_scc1 .LBB199_22
.LBB199_16:                             ; =>This Inner Loop Header: Depth=1
	s_mov_b32 s12, exec_lo
	s_delay_alu instid0(VALU_DEP_1)
	v_cmpx_gt_u32_e64 s14, v4
	s_cbranch_execz .LBB199_19
; %bb.17:                               ;   in Loop: Header=BB199_16 Depth=1
	v_mad_u64_u32 v[5:6], null, v4, s4, 0
	s_delay_alu instid0(VALU_DEP_1) | instskip(NEXT) | instid1(VALU_DEP_1)
	v_mad_u64_u32 v[7:8], null, v4, s5, v[6:7]
	v_mov_b32_e32 v6, v7
	s_delay_alu instid0(VALU_DEP_1) | instskip(NEXT) | instid1(VALU_DEP_1)
	v_lshlrev_b64 v[5:6], 2, v[5:6]
	v_add_co_u32 v5, s0, s2, v5
	s_delay_alu instid0(VALU_DEP_1) | instskip(SKIP_3) | instid1(VALU_DEP_1)
	v_add_co_ci_u32_e64 v6, s0, s3, v6, s0
	global_load_b32 v5, v[5:6], off
	s_waitcnt vmcnt(0)
	v_cmp_lt_i32_e64 s0, -1, v5
	v_cndmask_b32_e64 v6, -1, 0x80000000, s0
	v_cmp_o_f32_e64 s0, v5, v5
	s_delay_alu instid0(VALU_DEP_2) | instskip(NEXT) | instid1(VALU_DEP_1)
	v_xor_b32_e32 v6, v6, v5
	v_cndmask_b32_e64 v5, -1, v6, s0
	s_delay_alu instid0(VALU_DEP_1) | instskip(NEXT) | instid1(VALU_DEP_1)
	v_xor_b32_e32 v6, s13, v5
	v_and_b32_e32 v6, s11, v6
	s_delay_alu instid0(VALU_DEP_1) | instskip(NEXT) | instid1(VALU_DEP_1)
	v_cmp_eq_u32_e64 s0, 0, v6
	s_and_b32 exec_lo, exec_lo, s0
	s_cbranch_execz .LBB199_19
; %bb.18:                               ;   in Loop: Header=BB199_16 Depth=1
	v_bfe_u32 v5, v5, s1, 8
	s_delay_alu instid0(VALU_DEP_1)
	v_lshlrev_b32_e32 v5, 2, v5
	ds_add_u32 v5, v3
.LBB199_19:                             ;   in Loop: Header=BB199_16 Depth=1
	s_or_b32 exec_lo, exec_lo, s12
	v_add_nc_u32_e32 v5, 0x100, v4
	s_mov_b32 s12, exec_lo
	s_delay_alu instid0(VALU_DEP_1)
	v_cmpx_gt_u32_e64 s14, v5
	s_cbranch_execz .LBB199_15
; %bb.20:                               ;   in Loop: Header=BB199_16 Depth=1
	v_mad_u64_u32 v[6:7], null, v5, s4, 0
	s_delay_alu instid0(VALU_DEP_1) | instskip(NEXT) | instid1(VALU_DEP_1)
	v_mad_u64_u32 v[8:9], null, v5, s5, v[7:8]
	v_mov_b32_e32 v7, v8
	s_delay_alu instid0(VALU_DEP_1) | instskip(NEXT) | instid1(VALU_DEP_1)
	v_lshlrev_b64 v[5:6], 2, v[6:7]
	v_add_co_u32 v5, s0, s2, v5
	s_delay_alu instid0(VALU_DEP_1) | instskip(SKIP_3) | instid1(VALU_DEP_1)
	v_add_co_ci_u32_e64 v6, s0, s3, v6, s0
	global_load_b32 v5, v[5:6], off
	s_waitcnt vmcnt(0)
	v_cmp_lt_i32_e64 s0, -1, v5
	v_cndmask_b32_e64 v6, -1, 0x80000000, s0
	v_cmp_o_f32_e64 s0, v5, v5
	s_delay_alu instid0(VALU_DEP_2) | instskip(NEXT) | instid1(VALU_DEP_1)
	v_xor_b32_e32 v6, v6, v5
	v_cndmask_b32_e64 v5, -1, v6, s0
	s_delay_alu instid0(VALU_DEP_1) | instskip(NEXT) | instid1(VALU_DEP_1)
	v_xor_b32_e32 v6, s13, v5
	v_and_b32_e32 v6, s11, v6
	s_delay_alu instid0(VALU_DEP_1) | instskip(NEXT) | instid1(VALU_DEP_1)
	v_cmp_eq_u32_e64 s0, 0, v6
	s_and_b32 exec_lo, exec_lo, s0
	s_cbranch_execz .LBB199_15
; %bb.21:                               ;   in Loop: Header=BB199_16 Depth=1
	v_bfe_u32 v5, v5, s1, 8
	s_delay_alu instid0(VALU_DEP_1)
	v_lshlrev_b32_e32 v5, 2, v5
	ds_add_u32 v5, v3
	s_branch .LBB199_15
.LBB199_22:
	s_lshl_b32 s10, s8, 8
.LBB199_23:
	s_bitcmp0_b32 s9, 0
	s_cbranch_scc1 .LBB199_28
; %bb.24:
	v_add_nc_u32_e32 v2, s10, v2
	s_mov_b32 s8, exec_lo
	s_delay_alu instid0(VALU_DEP_1)
	v_cmpx_gt_u32_e64 s14, v2
	s_cbranch_execz .LBB199_27
; %bb.25:
	v_mad_u64_u32 v[3:4], null, v2, s4, 0
	s_delay_alu instid0(VALU_DEP_1) | instskip(NEXT) | instid1(VALU_DEP_1)
	v_mad_u64_u32 v[5:6], null, v2, s5, v[4:5]
	v_mov_b32_e32 v4, v5
	s_delay_alu instid0(VALU_DEP_1) | instskip(NEXT) | instid1(VALU_DEP_1)
	v_lshlrev_b64 v[2:3], 2, v[3:4]
	v_add_co_u32 v2, s0, s2, v2
	s_delay_alu instid0(VALU_DEP_1) | instskip(SKIP_3) | instid1(VALU_DEP_1)
	v_add_co_ci_u32_e64 v3, s0, s3, v3, s0
	global_load_b32 v2, v[2:3], off
	s_waitcnt vmcnt(0)
	v_cmp_lt_i32_e64 s0, -1, v2
	v_cndmask_b32_e64 v3, -1, 0x80000000, s0
	v_cmp_o_f32_e64 s0, v2, v2
	s_delay_alu instid0(VALU_DEP_2) | instskip(NEXT) | instid1(VALU_DEP_1)
	v_xor_b32_e32 v3, v3, v2
	v_cndmask_b32_e64 v2, -1, v3, s0
	s_delay_alu instid0(VALU_DEP_1) | instskip(NEXT) | instid1(VALU_DEP_1)
	v_xor_b32_e32 v3, s13, v2
	v_and_b32_e32 v3, s11, v3
	s_delay_alu instid0(VALU_DEP_1) | instskip(NEXT) | instid1(VALU_DEP_1)
	v_cmp_eq_u32_e64 s0, 0, v3
	s_and_b32 exec_lo, exec_lo, s0
	s_cbranch_execz .LBB199_27
; %bb.26:
	v_bfe_u32 v2, v2, s1, 8
	s_delay_alu instid0(VALU_DEP_1)
	v_dual_mov_b32 v3, 1 :: v_dual_lshlrev_b32 v2, 2, v2
	ds_add_u32 v2, v3
.LBB199_27:
	s_or_b32 exec_lo, exec_lo, s8
.LBB199_28:
	v_mov_b32_e32 v2, 0
	s_waitcnt lgkmcnt(0)
	s_barrier
	buffer_gl0_inv
	s_and_saveexec_b32 s0, vcc_lo
	s_cbranch_execz .LBB199_30
; %bb.29:
	ds_load_b32 v2, v1
.LBB199_30:
	s_or_b32 exec_lo, exec_lo, s0
	s_and_saveexec_b32 s0, vcc_lo
	s_cbranch_execz .LBB199_32
; %bb.31:
	v_lshl_or_b32 v0, s24, 8, v0
	v_mov_b32_e32 v1, 0
	s_delay_alu instid0(VALU_DEP_1) | instskip(NEXT) | instid1(VALU_DEP_1)
	v_lshlrev_b64 v[0:1], 1, v[0:1]
	v_add_co_u32 v0, vcc_lo, s6, v0
	s_delay_alu instid0(VALU_DEP_2)
	v_add_co_ci_u32_e32 v1, vcc_lo, s7, v1, vcc_lo
	s_waitcnt lgkmcnt(0)
	global_store_b16 v[0:1], v2, off
.LBB199_32:
	s_nop 0
	s_sendmsg sendmsg(MSG_DEALLOC_VGPRS)
	s_endpgm
	.section	.rodata,"a",@progbits
	.p2align	6, 0x0
	.amdhsa_kernel _ZN2at6native6mbtopk23computeBlockDigitCountsIfmjLin1EEEvNS_4cuda6detail10TensorInfoIKT_T0_EEjPjjS8_iijT1_PSB_Ps
		.amdhsa_group_segment_fixed_size 1024
		.amdhsa_private_segment_fixed_size 0
		.amdhsa_kernarg_size 736
		.amdhsa_user_sgpr_count 13
		.amdhsa_user_sgpr_dispatch_ptr 0
		.amdhsa_user_sgpr_queue_ptr 0
		.amdhsa_user_sgpr_kernarg_segment_ptr 1
		.amdhsa_user_sgpr_dispatch_id 0
		.amdhsa_user_sgpr_private_segment_size 0
		.amdhsa_wavefront_size32 1
		.amdhsa_uses_dynamic_stack 0
		.amdhsa_enable_private_segment 0
		.amdhsa_system_sgpr_workgroup_id_x 1
		.amdhsa_system_sgpr_workgroup_id_y 1
		.amdhsa_system_sgpr_workgroup_id_z 1
		.amdhsa_system_sgpr_workgroup_info 0
		.amdhsa_system_vgpr_workitem_id 0
		.amdhsa_next_free_vgpr 10
		.amdhsa_next_free_sgpr 32
		.amdhsa_reserve_vcc 1
		.amdhsa_float_round_mode_32 0
		.amdhsa_float_round_mode_16_64 0
		.amdhsa_float_denorm_mode_32 3
		.amdhsa_float_denorm_mode_16_64 3
		.amdhsa_dx10_clamp 1
		.amdhsa_ieee_mode 1
		.amdhsa_fp16_overflow 0
		.amdhsa_workgroup_processor_mode 1
		.amdhsa_memory_ordered 1
		.amdhsa_forward_progress 0
		.amdhsa_shared_vgpr_count 0
		.amdhsa_exception_fp_ieee_invalid_op 0
		.amdhsa_exception_fp_denorm_src 0
		.amdhsa_exception_fp_ieee_div_zero 0
		.amdhsa_exception_fp_ieee_overflow 0
		.amdhsa_exception_fp_ieee_underflow 0
		.amdhsa_exception_fp_ieee_inexact 0
		.amdhsa_exception_int_div_zero 0
	.end_amdhsa_kernel
	.section	.text._ZN2at6native6mbtopk23computeBlockDigitCountsIfmjLin1EEEvNS_4cuda6detail10TensorInfoIKT_T0_EEjPjjS8_iijT1_PSB_Ps,"axG",@progbits,_ZN2at6native6mbtopk23computeBlockDigitCountsIfmjLin1EEEvNS_4cuda6detail10TensorInfoIKT_T0_EEjPjjS8_iijT1_PSB_Ps,comdat
.Lfunc_end199:
	.size	_ZN2at6native6mbtopk23computeBlockDigitCountsIfmjLin1EEEvNS_4cuda6detail10TensorInfoIKT_T0_EEjPjjS8_iijT1_PSB_Ps, .Lfunc_end199-_ZN2at6native6mbtopk23computeBlockDigitCountsIfmjLin1EEEvNS_4cuda6detail10TensorInfoIKT_T0_EEjPjjS8_iijT1_PSB_Ps
                                        ; -- End function
	.section	.AMDGPU.csdata,"",@progbits
; Kernel info:
; codeLenInByte = 2104
; NumSgprs: 34
; NumVgprs: 10
; ScratchSize: 0
; MemoryBound: 0
; FloatMode: 240
; IeeeMode: 1
; LDSByteSize: 1024 bytes/workgroup (compile time only)
; SGPRBlocks: 4
; VGPRBlocks: 1
; NumSGPRsForWavesPerEU: 34
; NumVGPRsForWavesPerEU: 10
; Occupancy: 16
; WaveLimiterHint : 0
; COMPUTE_PGM_RSRC2:SCRATCH_EN: 0
; COMPUTE_PGM_RSRC2:USER_SGPR: 13
; COMPUTE_PGM_RSRC2:TRAP_HANDLER: 0
; COMPUTE_PGM_RSRC2:TGID_X_EN: 1
; COMPUTE_PGM_RSRC2:TGID_Y_EN: 1
; COMPUTE_PGM_RSRC2:TGID_Z_EN: 1
; COMPUTE_PGM_RSRC2:TIDIG_COMP_CNT: 0
	.section	.text._ZN2at6native6mbtopk10gatherTopKIfmLin1EEEvNS_4cuda6detail10TensorInfoIKT_T0_EES8_S8_bjS8_NS5_IS6_S8_EES8_NS5_IlS8_EES8_jjPS6_PjSD_j,"axG",@progbits,_ZN2at6native6mbtopk10gatherTopKIfmLin1EEEvNS_4cuda6detail10TensorInfoIKT_T0_EES8_S8_bjS8_NS5_IS6_S8_EES8_NS5_IlS8_EES8_jjPS6_PjSD_j,comdat
	.protected	_ZN2at6native6mbtopk10gatherTopKIfmLin1EEEvNS_4cuda6detail10TensorInfoIKT_T0_EES8_S8_bjS8_NS5_IS6_S8_EES8_NS5_IlS8_EES8_jjPS6_PjSD_j ; -- Begin function _ZN2at6native6mbtopk10gatherTopKIfmLin1EEEvNS_4cuda6detail10TensorInfoIKT_T0_EES8_S8_bjS8_NS5_IS6_S8_EES8_NS5_IlS8_EES8_jjPS6_PjSD_j
	.globl	_ZN2at6native6mbtopk10gatherTopKIfmLin1EEEvNS_4cuda6detail10TensorInfoIKT_T0_EES8_S8_bjS8_NS5_IS6_S8_EES8_NS5_IlS8_EES8_jjPS6_PjSD_j
	.p2align	8
	.type	_ZN2at6native6mbtopk10gatherTopKIfmLin1EEEvNS_4cuda6detail10TensorInfoIKT_T0_EES8_S8_bjS8_NS5_IS6_S8_EES8_NS5_IlS8_EES8_jjPS6_PjSD_j,@function
_ZN2at6native6mbtopk10gatherTopKIfmLin1EEEvNS_4cuda6detail10TensorInfoIKT_T0_EES8_S8_bjS8_NS5_IS6_S8_EES8_NS5_IlS8_EES8_jjPS6_PjSD_j: ; @_ZN2at6native6mbtopk10gatherTopKIfmLin1EEEvNS_4cuda6detail10TensorInfoIKT_T0_EES8_S8_bjS8_NS5_IS6_S8_EES8_NS5_IlS8_EES8_jjPS6_PjSD_j
; %bb.0:
	s_clause 0x1
	s_load_b64 s[2:3], s[0:1], 0x538
	s_load_b32 s4, s[0:1], 0x530
	s_waitcnt lgkmcnt(0)
	s_mul_i32 s3, s3, s15
	s_delay_alu instid0(SALU_CYCLE_1) | instskip(NEXT) | instid1(SALU_CYCLE_1)
	s_add_i32 s3, s3, s14
	s_mul_i32 s3, s3, s2
	s_delay_alu instid0(SALU_CYCLE_1) | instskip(NEXT) | instid1(SALU_CYCLE_1)
	s_add_i32 s3, s3, s13
	s_cmp_ge_u32 s3, s4
	s_cbranch_scc1 .LBB200_67
; %bb.1:
	s_load_b64 s[16:17], s[0:1], 0x510
	s_waitcnt lgkmcnt(0)
	v_cvt_f32_u32_e32 v1, s17
	s_sub_i32 s4, 0, s17
	s_lshl_b32 s33, s16, 8
	s_delay_alu instid0(VALU_DEP_1) | instskip(SKIP_2) | instid1(VALU_DEP_1)
	v_rcp_iflag_f32_e32 v1, v1
	s_waitcnt_depctr 0xfff
	v_mul_f32_e32 v1, 0x4f7ffffe, v1
	v_cvt_u32_f32_e32 v1, v1
	s_delay_alu instid0(VALU_DEP_1) | instskip(NEXT) | instid1(VALU_DEP_1)
	v_readfirstlane_b32 s2, v1
	s_mul_i32 s4, s4, s2
	s_delay_alu instid0(SALU_CYCLE_1) | instskip(NEXT) | instid1(SALU_CYCLE_1)
	s_mul_hi_u32 s4, s2, s4
	s_add_i32 s2, s2, s4
	s_load_b128 s[4:7], s[0:1], 0x1a0
	s_mul_hi_u32 s2, s3, s2
	s_delay_alu instid0(SALU_CYCLE_1) | instskip(SKIP_2) | instid1(SALU_CYCLE_1)
	s_mul_i32 s8, s2, s17
	s_add_i32 s9, s2, 1
	s_sub_i32 s8, s3, s8
	s_sub_i32 s10, s8, s17
	s_cmp_ge_u32 s8, s17
	s_cselect_b32 s2, s9, s2
	s_cselect_b32 s8, s10, s8
	s_add_i32 s9, s2, 1
	s_cmp_ge_u32 s8, s17
	s_cselect_b32 s2, s9, s2
	s_delay_alu instid0(SALU_CYCLE_1) | instskip(NEXT) | instid1(SALU_CYCLE_1)
	s_mul_i32 s20, s2, s17
	s_sub_i32 s50, s3, s20
	s_delay_alu instid0(SALU_CYCLE_1) | instskip(NEXT) | instid1(SALU_CYCLE_1)
	s_add_i32 s3, s50, 1
	s_cmp_lt_u32 s3, s17
	s_mov_b32 s3, 0
	s_cbranch_scc1 .LBB200_3
; %bb.2:
	s_mul_i32 s8, s50, s33
	s_waitcnt lgkmcnt(0)
	s_sub_u32 s8, s4, s8
	s_subb_u32 s9, s5, 0
	s_add_u32 s8, s8, 0xff
	s_addc_u32 s9, s9, 0
	s_delay_alu instid0(SALU_CYCLE_1) | instskip(NEXT) | instid1(SALU_CYCLE_1)
	s_ashr_i32 s10, s9, 31
	s_lshr_b32 s10, s10, 24
	s_delay_alu instid0(SALU_CYCLE_1) | instskip(SKIP_1) | instid1(SALU_CYCLE_1)
	s_add_u32 s8, s8, s10
	s_addc_u32 s9, s9, 0
	v_alignbit_b32 v1, s9, s8, 8
	s_delay_alu instid0(VALU_DEP_1)
	v_readfirstlane_b32 s16, v1
.LBB200_3:
	s_load_b32 s9, s[0:1], 0x198
	s_mov_b64 s[18:19], 0
	s_mov_b64 s[22:23], s[2:3]
	s_waitcnt lgkmcnt(0)
	s_cmp_lt_i32 s9, 2
	s_cbranch_scc1 .LBB200_11
; %bb.4:
	s_mov_b32 s8, 0
	s_add_i32 s10, s9, -1
	s_mov_b32 s11, s8
	s_add_i32 s21, s9, 1
	s_lshl_b64 s[10:11], s[10:11], 3
	s_mov_b64 s[12:13], s[2:3]
	s_add_u32 s9, s10, s0
	s_addc_u32 s11, s11, s1
	s_add_u32 s10, s9, 8
	s_addc_u32 s11, s11, 0
.LBB200_5:                              ; =>This Inner Loop Header: Depth=1
	s_load_b64 s[14:15], s[10:11], 0x0
	s_waitcnt lgkmcnt(0)
	s_or_b64 s[22:23], s[12:13], s[14:15]
	s_delay_alu instid0(SALU_CYCLE_1) | instskip(NEXT) | instid1(SALU_CYCLE_1)
	s_mov_b32 s9, s23
                                        ; implicit-def: $sgpr22_sgpr23
	s_cmp_lg_u64 s[8:9], 0
	s_mov_b32 s9, -1
	s_cbranch_scc0 .LBB200_7
; %bb.6:                                ;   in Loop: Header=BB200_5 Depth=1
	v_cvt_f32_u32_e32 v1, s14
	v_cvt_f32_u32_e32 v2, s15
	s_sub_u32 s23, 0, s14
	s_subb_u32 s24, 0, s15
	s_waitcnt_depctr 0xfff
	v_fmac_f32_e32 v1, 0x4f800000, v2
	s_delay_alu instid0(VALU_DEP_1) | instskip(SKIP_2) | instid1(VALU_DEP_1)
	v_rcp_f32_e32 v1, v1
	s_waitcnt_depctr 0xfff
	v_mul_f32_e32 v1, 0x5f7ffffc, v1
	v_mul_f32_e32 v2, 0x2f800000, v1
	s_delay_alu instid0(VALU_DEP_1) | instskip(NEXT) | instid1(VALU_DEP_1)
	v_trunc_f32_e32 v2, v2
	v_fmac_f32_e32 v1, 0xcf800000, v2
	v_cvt_u32_f32_e32 v2, v2
	s_delay_alu instid0(VALU_DEP_2) | instskip(NEXT) | instid1(VALU_DEP_2)
	v_cvt_u32_f32_e32 v1, v1
	v_readfirstlane_b32 s9, v2
	s_delay_alu instid0(VALU_DEP_2) | instskip(NEXT) | instid1(VALU_DEP_2)
	v_readfirstlane_b32 s22, v1
	s_mul_i32 s25, s23, s9
	s_delay_alu instid0(VALU_DEP_1)
	s_mul_hi_u32 s27, s23, s22
	s_mul_i32 s26, s24, s22
	s_add_i32 s25, s27, s25
	s_mul_i32 s28, s23, s22
	s_add_i32 s25, s25, s26
	s_mul_hi_u32 s27, s22, s28
	s_mul_hi_u32 s29, s9, s28
	s_mul_i32 s26, s9, s28
	s_mul_hi_u32 s28, s22, s25
	s_mul_i32 s22, s22, s25
	s_mul_hi_u32 s30, s9, s25
	s_add_u32 s22, s27, s22
	s_addc_u32 s27, 0, s28
	s_add_u32 s22, s22, s26
	s_mul_i32 s25, s9, s25
	s_addc_u32 s22, s27, s29
	s_addc_u32 s26, s30, 0
	s_add_u32 s22, s22, s25
	s_addc_u32 s25, 0, s26
	v_add_co_u32 v1, s22, v1, s22
	s_delay_alu instid0(VALU_DEP_1) | instskip(SKIP_1) | instid1(VALU_DEP_1)
	s_cmp_lg_u32 s22, 0
	s_addc_u32 s9, s9, s25
	v_readfirstlane_b32 s22, v1
	s_mul_i32 s25, s23, s9
	s_delay_alu instid0(VALU_DEP_1)
	s_mul_hi_u32 s26, s23, s22
	s_mul_i32 s24, s24, s22
	s_add_i32 s25, s26, s25
	s_mul_i32 s23, s23, s22
	s_add_i32 s25, s25, s24
	s_mul_hi_u32 s26, s9, s23
	s_mul_i32 s27, s9, s23
	s_mul_hi_u32 s23, s22, s23
	s_mul_hi_u32 s28, s22, s25
	s_mul_i32 s22, s22, s25
	s_mul_hi_u32 s24, s9, s25
	s_add_u32 s22, s23, s22
	s_addc_u32 s23, 0, s28
	s_add_u32 s22, s22, s27
	s_mul_i32 s25, s9, s25
	s_addc_u32 s22, s23, s26
	s_addc_u32 s23, s24, 0
	s_add_u32 s22, s22, s25
	s_addc_u32 s23, 0, s23
	v_add_co_u32 v1, s22, v1, s22
	s_delay_alu instid0(VALU_DEP_1) | instskip(SKIP_1) | instid1(VALU_DEP_1)
	s_cmp_lg_u32 s22, 0
	s_addc_u32 s9, s9, s23
	v_readfirstlane_b32 s22, v1
	s_mul_i32 s24, s12, s9
	s_mul_hi_u32 s23, s12, s9
	s_mul_hi_u32 s25, s13, s9
	s_mul_i32 s9, s13, s9
	s_mul_hi_u32 s26, s12, s22
	s_mul_hi_u32 s27, s13, s22
	s_mul_i32 s22, s13, s22
	s_add_u32 s24, s26, s24
	s_addc_u32 s23, 0, s23
	s_add_u32 s22, s24, s22
	s_addc_u32 s22, s23, s27
	s_addc_u32 s23, s25, 0
	s_add_u32 s22, s22, s9
	s_addc_u32 s23, 0, s23
	s_mul_hi_u32 s9, s14, s22
	s_mul_i32 s25, s14, s23
	s_mul_i32 s26, s14, s22
	s_add_i32 s9, s9, s25
	v_sub_co_u32 v1, s25, s12, s26
	s_mul_i32 s24, s15, s22
	s_delay_alu instid0(SALU_CYCLE_1) | instskip(NEXT) | instid1(VALU_DEP_1)
	s_add_i32 s9, s9, s24
	v_sub_co_u32 v2, s26, v1, s14
	s_sub_i32 s24, s13, s9
	s_cmp_lg_u32 s25, 0
	s_subb_u32 s24, s24, s15
	s_cmp_lg_u32 s26, 0
	v_readfirstlane_b32 s26, v2
	s_subb_u32 s24, s24, 0
	s_delay_alu instid0(SALU_CYCLE_1) | instskip(SKIP_1) | instid1(VALU_DEP_1)
	s_cmp_ge_u32 s24, s15
	s_cselect_b32 s27, -1, 0
	s_cmp_ge_u32 s26, s14
	s_cselect_b32 s26, -1, 0
	s_cmp_eq_u32 s24, s15
	s_cselect_b32 s24, s26, s27
	s_add_u32 s26, s22, 1
	s_addc_u32 s27, s23, 0
	s_add_u32 s28, s22, 2
	s_addc_u32 s29, s23, 0
	s_cmp_lg_u32 s24, 0
	s_cselect_b32 s24, s28, s26
	s_cselect_b32 s26, s29, s27
	s_cmp_lg_u32 s25, 0
	v_readfirstlane_b32 s25, v1
	s_subb_u32 s9, s13, s9
	s_delay_alu instid0(SALU_CYCLE_1) | instskip(SKIP_1) | instid1(VALU_DEP_1)
	s_cmp_ge_u32 s9, s15
	s_cselect_b32 s27, -1, 0
	s_cmp_ge_u32 s25, s14
	s_cselect_b32 s25, -1, 0
	s_cmp_eq_u32 s9, s15
	s_cselect_b32 s9, s25, s27
	s_delay_alu instid0(SALU_CYCLE_1)
	s_cmp_lg_u32 s9, 0
	s_mov_b32 s9, 0
	s_cselect_b32 s23, s26, s23
	s_cselect_b32 s22, s24, s22
.LBB200_7:                              ;   in Loop: Header=BB200_5 Depth=1
	s_and_not1_b32 vcc_lo, exec_lo, s9
	s_cbranch_vccnz .LBB200_9
; %bb.8:                                ;   in Loop: Header=BB200_5 Depth=1
	v_cvt_f32_u32_e32 v1, s14
	s_sub_i32 s22, 0, s14
	s_waitcnt_depctr 0xfff
	v_rcp_iflag_f32_e32 v1, v1
	s_waitcnt_depctr 0xfff
	v_mul_f32_e32 v1, 0x4f7ffffe, v1
	s_delay_alu instid0(VALU_DEP_1) | instskip(NEXT) | instid1(VALU_DEP_1)
	v_cvt_u32_f32_e32 v1, v1
	v_readfirstlane_b32 s9, v1
	s_delay_alu instid0(VALU_DEP_1) | instskip(NEXT) | instid1(SALU_CYCLE_1)
	s_mul_i32 s22, s22, s9
	s_mul_hi_u32 s22, s9, s22
	s_delay_alu instid0(SALU_CYCLE_1) | instskip(NEXT) | instid1(SALU_CYCLE_1)
	s_add_i32 s9, s9, s22
	s_mul_hi_u32 s9, s12, s9
	s_delay_alu instid0(SALU_CYCLE_1) | instskip(SKIP_2) | instid1(SALU_CYCLE_1)
	s_mul_i32 s22, s9, s14
	s_add_i32 s23, s9, 1
	s_sub_i32 s22, s12, s22
	s_sub_i32 s24, s22, s14
	s_cmp_ge_u32 s22, s14
	s_cselect_b32 s9, s23, s9
	s_cselect_b32 s22, s24, s22
	s_add_i32 s23, s9, 1
	s_cmp_ge_u32 s22, s14
	s_cselect_b32 s22, s23, s9
	s_mov_b32 s23, s8
.LBB200_9:                              ;   in Loop: Header=BB200_5 Depth=1
	s_load_b64 s[24:25], s[10:11], 0xc8
	s_mul_i32 s9, s22, s15
	s_mul_hi_u32 s15, s22, s14
	s_mul_i32 s26, s23, s14
	s_add_i32 s9, s15, s9
	s_mul_i32 s14, s22, s14
	s_add_i32 s9, s9, s26
	s_sub_u32 s12, s12, s14
	s_subb_u32 s9, s13, s9
	s_waitcnt lgkmcnt(0)
	s_mul_i32 s9, s24, s9
	s_mul_hi_u32 s13, s24, s12
	s_mul_i32 s14, s25, s12
	s_add_i32 s9, s13, s9
	s_mul_i32 s12, s24, s12
	s_add_i32 s9, s9, s14
	s_add_u32 s18, s12, s18
	s_addc_u32 s19, s9, s19
	s_add_i32 s21, s21, -1
	s_add_u32 s10, s10, -8
	s_addc_u32 s11, s11, -1
	s_cmp_gt_u32 s21, 2
	s_cbranch_scc0 .LBB200_11
; %bb.10:                               ;   in Loop: Header=BB200_5 Depth=1
	s_mov_b64 s[12:13], s[22:23]
	s_branch .LBB200_5
.LBB200_11:
	s_clause 0x1
	s_load_b32 s11, s[0:1], 0x358
	s_load_b64 s[24:25], s[0:1], 0xd0
	s_add_u32 s8, s0, 0x1c0
	s_addc_u32 s9, s1, 0
	s_mov_b64 s[26:27], 0
	s_mov_b64 s[28:29], s[2:3]
	s_waitcnt lgkmcnt(0)
	s_cmp_lt_i32 s11, 2
	s_cbranch_scc1 .LBB200_19
; %bb.12:
	s_mov_b32 s10, 0
	s_add_i32 s12, s11, -1
	s_mov_b32 s13, s10
	s_add_i32 s21, s11, 1
	s_lshl_b64 s[12:13], s[12:13], 3
	s_mov_b64 s[14:15], s[2:3]
	s_add_u32 s11, s12, s8
	s_addc_u32 s13, s13, s9
	s_add_u32 s12, s11, 8
	s_addc_u32 s13, s13, 0
.LBB200_13:                             ; =>This Inner Loop Header: Depth=1
	s_load_b64 s[30:31], s[12:13], 0x0
	s_waitcnt lgkmcnt(0)
	s_or_b64 s[28:29], s[14:15], s[30:31]
	s_delay_alu instid0(SALU_CYCLE_1) | instskip(NEXT) | instid1(SALU_CYCLE_1)
	s_mov_b32 s11, s29
                                        ; implicit-def: $sgpr28_sgpr29
	s_cmp_lg_u64 s[10:11], 0
	s_mov_b32 s11, -1
	s_cbranch_scc0 .LBB200_15
; %bb.14:                               ;   in Loop: Header=BB200_13 Depth=1
	v_cvt_f32_u32_e32 v1, s30
	v_cvt_f32_u32_e32 v2, s31
	s_sub_u32 s29, 0, s30
	s_subb_u32 s34, 0, s31
	s_waitcnt_depctr 0xfff
	v_fmac_f32_e32 v1, 0x4f800000, v2
	s_delay_alu instid0(VALU_DEP_1) | instskip(SKIP_2) | instid1(VALU_DEP_1)
	v_rcp_f32_e32 v1, v1
	s_waitcnt_depctr 0xfff
	v_mul_f32_e32 v1, 0x5f7ffffc, v1
	v_mul_f32_e32 v2, 0x2f800000, v1
	s_delay_alu instid0(VALU_DEP_1) | instskip(NEXT) | instid1(VALU_DEP_1)
	v_trunc_f32_e32 v2, v2
	v_fmac_f32_e32 v1, 0xcf800000, v2
	v_cvt_u32_f32_e32 v2, v2
	s_delay_alu instid0(VALU_DEP_2) | instskip(NEXT) | instid1(VALU_DEP_2)
	v_cvt_u32_f32_e32 v1, v1
	v_readfirstlane_b32 s11, v2
	s_delay_alu instid0(VALU_DEP_2) | instskip(NEXT) | instid1(VALU_DEP_2)
	v_readfirstlane_b32 s28, v1
	s_mul_i32 s35, s29, s11
	s_delay_alu instid0(VALU_DEP_1)
	s_mul_hi_u32 s37, s29, s28
	s_mul_i32 s36, s34, s28
	s_add_i32 s35, s37, s35
	s_mul_i32 s38, s29, s28
	s_add_i32 s35, s35, s36
	s_mul_hi_u32 s37, s28, s38
	s_mul_hi_u32 s39, s11, s38
	s_mul_i32 s36, s11, s38
	s_mul_hi_u32 s38, s28, s35
	s_mul_i32 s28, s28, s35
	s_mul_hi_u32 s40, s11, s35
	s_add_u32 s28, s37, s28
	s_addc_u32 s37, 0, s38
	s_add_u32 s28, s28, s36
	s_mul_i32 s35, s11, s35
	s_addc_u32 s28, s37, s39
	s_addc_u32 s36, s40, 0
	s_add_u32 s28, s28, s35
	s_addc_u32 s35, 0, s36
	v_add_co_u32 v1, s28, v1, s28
	s_delay_alu instid0(VALU_DEP_1) | instskip(SKIP_1) | instid1(VALU_DEP_1)
	s_cmp_lg_u32 s28, 0
	s_addc_u32 s11, s11, s35
	v_readfirstlane_b32 s28, v1
	s_mul_i32 s35, s29, s11
	s_delay_alu instid0(VALU_DEP_1)
	s_mul_hi_u32 s36, s29, s28
	s_mul_i32 s34, s34, s28
	s_add_i32 s35, s36, s35
	s_mul_i32 s29, s29, s28
	s_add_i32 s35, s35, s34
	s_mul_hi_u32 s36, s11, s29
	s_mul_i32 s37, s11, s29
	s_mul_hi_u32 s29, s28, s29
	s_mul_hi_u32 s38, s28, s35
	s_mul_i32 s28, s28, s35
	s_mul_hi_u32 s34, s11, s35
	s_add_u32 s28, s29, s28
	s_addc_u32 s29, 0, s38
	s_add_u32 s28, s28, s37
	s_mul_i32 s35, s11, s35
	s_addc_u32 s28, s29, s36
	s_addc_u32 s29, s34, 0
	s_add_u32 s28, s28, s35
	s_addc_u32 s29, 0, s29
	v_add_co_u32 v1, s28, v1, s28
	s_delay_alu instid0(VALU_DEP_1) | instskip(SKIP_1) | instid1(VALU_DEP_1)
	s_cmp_lg_u32 s28, 0
	s_addc_u32 s11, s11, s29
	v_readfirstlane_b32 s28, v1
	s_mul_i32 s34, s14, s11
	s_mul_hi_u32 s29, s14, s11
	s_mul_hi_u32 s35, s15, s11
	s_mul_i32 s11, s15, s11
	s_mul_hi_u32 s36, s14, s28
	s_mul_hi_u32 s37, s15, s28
	s_mul_i32 s28, s15, s28
	s_add_u32 s34, s36, s34
	s_addc_u32 s29, 0, s29
	s_add_u32 s28, s34, s28
	s_addc_u32 s28, s29, s37
	s_addc_u32 s29, s35, 0
	s_add_u32 s28, s28, s11
	s_addc_u32 s29, 0, s29
	s_mul_hi_u32 s11, s30, s28
	s_mul_i32 s35, s30, s29
	s_mul_i32 s36, s30, s28
	s_add_i32 s11, s11, s35
	v_sub_co_u32 v1, s35, s14, s36
	s_mul_i32 s34, s31, s28
	s_delay_alu instid0(SALU_CYCLE_1) | instskip(NEXT) | instid1(VALU_DEP_1)
	s_add_i32 s11, s11, s34
	v_sub_co_u32 v2, s36, v1, s30
	s_sub_i32 s34, s15, s11
	s_cmp_lg_u32 s35, 0
	s_subb_u32 s34, s34, s31
	s_cmp_lg_u32 s36, 0
	v_readfirstlane_b32 s36, v2
	s_subb_u32 s34, s34, 0
	s_delay_alu instid0(SALU_CYCLE_1) | instskip(SKIP_1) | instid1(VALU_DEP_1)
	s_cmp_ge_u32 s34, s31
	s_cselect_b32 s37, -1, 0
	s_cmp_ge_u32 s36, s30
	s_cselect_b32 s36, -1, 0
	s_cmp_eq_u32 s34, s31
	s_cselect_b32 s34, s36, s37
	s_add_u32 s36, s28, 1
	s_addc_u32 s37, s29, 0
	s_add_u32 s38, s28, 2
	s_addc_u32 s39, s29, 0
	s_cmp_lg_u32 s34, 0
	s_cselect_b32 s34, s38, s36
	s_cselect_b32 s36, s39, s37
	s_cmp_lg_u32 s35, 0
	v_readfirstlane_b32 s35, v1
	s_subb_u32 s11, s15, s11
	s_delay_alu instid0(SALU_CYCLE_1) | instskip(SKIP_1) | instid1(VALU_DEP_1)
	s_cmp_ge_u32 s11, s31
	s_cselect_b32 s37, -1, 0
	s_cmp_ge_u32 s35, s30
	s_cselect_b32 s35, -1, 0
	s_cmp_eq_u32 s11, s31
	s_cselect_b32 s11, s35, s37
	s_delay_alu instid0(SALU_CYCLE_1)
	s_cmp_lg_u32 s11, 0
	s_mov_b32 s11, 0
	s_cselect_b32 s29, s36, s29
	s_cselect_b32 s28, s34, s28
.LBB200_15:                             ;   in Loop: Header=BB200_13 Depth=1
	s_and_not1_b32 vcc_lo, exec_lo, s11
	s_cbranch_vccnz .LBB200_17
; %bb.16:                               ;   in Loop: Header=BB200_13 Depth=1
	v_cvt_f32_u32_e32 v1, s30
	s_sub_i32 s28, 0, s30
	s_waitcnt_depctr 0xfff
	v_rcp_iflag_f32_e32 v1, v1
	s_waitcnt_depctr 0xfff
	v_mul_f32_e32 v1, 0x4f7ffffe, v1
	s_delay_alu instid0(VALU_DEP_1) | instskip(NEXT) | instid1(VALU_DEP_1)
	v_cvt_u32_f32_e32 v1, v1
	v_readfirstlane_b32 s11, v1
	s_delay_alu instid0(VALU_DEP_1) | instskip(NEXT) | instid1(SALU_CYCLE_1)
	s_mul_i32 s28, s28, s11
	s_mul_hi_u32 s28, s11, s28
	s_delay_alu instid0(SALU_CYCLE_1) | instskip(NEXT) | instid1(SALU_CYCLE_1)
	s_add_i32 s11, s11, s28
	s_mul_hi_u32 s11, s14, s11
	s_delay_alu instid0(SALU_CYCLE_1) | instskip(SKIP_2) | instid1(SALU_CYCLE_1)
	s_mul_i32 s28, s11, s30
	s_add_i32 s29, s11, 1
	s_sub_i32 s28, s14, s28
	s_sub_i32 s34, s28, s30
	s_cmp_ge_u32 s28, s30
	s_cselect_b32 s11, s29, s11
	s_cselect_b32 s28, s34, s28
	s_add_i32 s29, s11, 1
	s_cmp_ge_u32 s28, s30
	s_cselect_b32 s28, s29, s11
	s_mov_b32 s29, s10
.LBB200_17:                             ;   in Loop: Header=BB200_13 Depth=1
	s_load_b64 s[34:35], s[12:13], 0xc8
	s_mul_i32 s11, s28, s31
	s_mul_hi_u32 s31, s28, s30
	s_mul_i32 s36, s29, s30
	s_add_i32 s11, s31, s11
	s_mul_i32 s30, s28, s30
	s_add_i32 s11, s11, s36
	s_sub_u32 s14, s14, s30
	s_subb_u32 s11, s15, s11
	s_waitcnt lgkmcnt(0)
	s_mul_i32 s11, s34, s11
	s_mul_hi_u32 s15, s34, s14
	s_mul_i32 s30, s35, s14
	s_add_i32 s11, s15, s11
	s_mul_i32 s14, s34, s14
	s_add_i32 s11, s11, s30
	s_add_u32 s26, s14, s26
	s_addc_u32 s27, s11, s27
	s_add_i32 s21, s21, -1
	s_add_u32 s12, s12, -8
	s_addc_u32 s13, s13, -1
	s_cmp_gt_u32 s21, 2
	s_cbranch_scc0 .LBB200_19
; %bb.18:                               ;   in Loop: Header=BB200_13 Depth=1
	s_mov_b64 s[14:15], s[28:29]
	s_branch .LBB200_13
.LBB200_19:
	s_clause 0x1
	s_load_b32 s11, s[0:1], 0x500
	s_load_b64 s[34:35], s[8:9], 0xd0
	s_add_u32 s9, s0, 0x368
	s_addc_u32 s10, s1, 0
	s_mov_b64 s[30:31], 0
	s_waitcnt lgkmcnt(0)
	s_cmp_lt_i32 s11, 2
	s_cbranch_scc1 .LBB200_27
; %bb.20:
	s_mov_b32 s8, 0
	s_add_i32 s12, s11, -1
	s_mov_b32 s13, s8
	s_add_i32 s21, s11, 1
	s_lshl_b64 s[12:13], s[12:13], 3
	s_delay_alu instid0(SALU_CYCLE_1)
	s_add_u32 s9, s12, s9
	s_addc_u32 s11, s13, s10
	s_add_u32 s10, s9, 8
	s_addc_u32 s11, s11, 0
	s_mov_b64 s[12:13], s[2:3]
.LBB200_21:                             ; =>This Inner Loop Header: Depth=1
	s_load_b64 s[14:15], s[10:11], 0x0
	s_waitcnt lgkmcnt(0)
	s_or_b64 s[36:37], s[12:13], s[14:15]
	s_delay_alu instid0(SALU_CYCLE_1) | instskip(NEXT) | instid1(SALU_CYCLE_1)
	s_mov_b32 s9, s37
                                        ; implicit-def: $sgpr36_sgpr37
	s_cmp_lg_u64 s[8:9], 0
	s_mov_b32 s9, -1
	s_cbranch_scc0 .LBB200_23
; %bb.22:                               ;   in Loop: Header=BB200_21 Depth=1
	v_cvt_f32_u32_e32 v1, s14
	v_cvt_f32_u32_e32 v2, s15
	s_sub_u32 s37, 0, s14
	s_subb_u32 s38, 0, s15
	s_waitcnt_depctr 0xfff
	v_fmac_f32_e32 v1, 0x4f800000, v2
	s_delay_alu instid0(VALU_DEP_1) | instskip(SKIP_2) | instid1(VALU_DEP_1)
	v_rcp_f32_e32 v1, v1
	s_waitcnt_depctr 0xfff
	v_mul_f32_e32 v1, 0x5f7ffffc, v1
	v_mul_f32_e32 v2, 0x2f800000, v1
	s_delay_alu instid0(VALU_DEP_1) | instskip(NEXT) | instid1(VALU_DEP_1)
	v_trunc_f32_e32 v2, v2
	v_fmac_f32_e32 v1, 0xcf800000, v2
	v_cvt_u32_f32_e32 v2, v2
	s_delay_alu instid0(VALU_DEP_2) | instskip(NEXT) | instid1(VALU_DEP_2)
	v_cvt_u32_f32_e32 v1, v1
	v_readfirstlane_b32 s9, v2
	s_delay_alu instid0(VALU_DEP_2) | instskip(NEXT) | instid1(VALU_DEP_2)
	v_readfirstlane_b32 s36, v1
	s_mul_i32 s39, s37, s9
	s_delay_alu instid0(VALU_DEP_1)
	s_mul_hi_u32 s41, s37, s36
	s_mul_i32 s40, s38, s36
	s_add_i32 s39, s41, s39
	s_mul_i32 s42, s37, s36
	s_add_i32 s39, s39, s40
	s_mul_hi_u32 s41, s36, s42
	s_mul_hi_u32 s43, s9, s42
	s_mul_i32 s40, s9, s42
	s_mul_hi_u32 s42, s36, s39
	s_mul_i32 s36, s36, s39
	s_mul_hi_u32 s44, s9, s39
	s_add_u32 s36, s41, s36
	s_addc_u32 s41, 0, s42
	s_add_u32 s36, s36, s40
	s_mul_i32 s39, s9, s39
	s_addc_u32 s36, s41, s43
	s_addc_u32 s40, s44, 0
	s_add_u32 s36, s36, s39
	s_addc_u32 s39, 0, s40
	v_add_co_u32 v1, s36, v1, s36
	s_delay_alu instid0(VALU_DEP_1) | instskip(SKIP_1) | instid1(VALU_DEP_1)
	s_cmp_lg_u32 s36, 0
	s_addc_u32 s9, s9, s39
	v_readfirstlane_b32 s36, v1
	s_mul_i32 s39, s37, s9
	s_delay_alu instid0(VALU_DEP_1)
	s_mul_hi_u32 s40, s37, s36
	s_mul_i32 s38, s38, s36
	s_add_i32 s39, s40, s39
	s_mul_i32 s37, s37, s36
	s_add_i32 s39, s39, s38
	s_mul_hi_u32 s40, s9, s37
	s_mul_i32 s41, s9, s37
	s_mul_hi_u32 s37, s36, s37
	s_mul_hi_u32 s42, s36, s39
	s_mul_i32 s36, s36, s39
	s_mul_hi_u32 s38, s9, s39
	s_add_u32 s36, s37, s36
	s_addc_u32 s37, 0, s42
	s_add_u32 s36, s36, s41
	s_mul_i32 s39, s9, s39
	s_addc_u32 s36, s37, s40
	s_addc_u32 s37, s38, 0
	s_add_u32 s36, s36, s39
	s_addc_u32 s37, 0, s37
	v_add_co_u32 v1, s36, v1, s36
	s_delay_alu instid0(VALU_DEP_1) | instskip(SKIP_1) | instid1(VALU_DEP_1)
	s_cmp_lg_u32 s36, 0
	s_addc_u32 s9, s9, s37
	v_readfirstlane_b32 s36, v1
	s_mul_i32 s38, s12, s9
	s_mul_hi_u32 s37, s12, s9
	s_mul_hi_u32 s39, s13, s9
	s_mul_i32 s9, s13, s9
	s_mul_hi_u32 s40, s12, s36
	s_mul_hi_u32 s41, s13, s36
	s_mul_i32 s36, s13, s36
	s_add_u32 s38, s40, s38
	s_addc_u32 s37, 0, s37
	s_add_u32 s36, s38, s36
	s_addc_u32 s36, s37, s41
	s_addc_u32 s37, s39, 0
	s_add_u32 s36, s36, s9
	s_addc_u32 s37, 0, s37
	s_mul_hi_u32 s9, s14, s36
	s_mul_i32 s39, s14, s37
	s_mul_i32 s40, s14, s36
	s_add_i32 s9, s9, s39
	v_sub_co_u32 v1, s39, s12, s40
	s_mul_i32 s38, s15, s36
	s_delay_alu instid0(SALU_CYCLE_1) | instskip(NEXT) | instid1(VALU_DEP_1)
	s_add_i32 s9, s9, s38
	v_sub_co_u32 v2, s40, v1, s14
	s_sub_i32 s38, s13, s9
	s_cmp_lg_u32 s39, 0
	s_subb_u32 s38, s38, s15
	s_cmp_lg_u32 s40, 0
	v_readfirstlane_b32 s40, v2
	s_subb_u32 s38, s38, 0
	s_delay_alu instid0(SALU_CYCLE_1) | instskip(SKIP_1) | instid1(VALU_DEP_1)
	s_cmp_ge_u32 s38, s15
	s_cselect_b32 s41, -1, 0
	s_cmp_ge_u32 s40, s14
	s_cselect_b32 s40, -1, 0
	s_cmp_eq_u32 s38, s15
	s_cselect_b32 s38, s40, s41
	s_add_u32 s40, s36, 1
	s_addc_u32 s41, s37, 0
	s_add_u32 s42, s36, 2
	s_addc_u32 s43, s37, 0
	s_cmp_lg_u32 s38, 0
	s_cselect_b32 s38, s42, s40
	s_cselect_b32 s40, s43, s41
	s_cmp_lg_u32 s39, 0
	v_readfirstlane_b32 s39, v1
	s_subb_u32 s9, s13, s9
	s_delay_alu instid0(SALU_CYCLE_1) | instskip(SKIP_1) | instid1(VALU_DEP_1)
	s_cmp_ge_u32 s9, s15
	s_cselect_b32 s41, -1, 0
	s_cmp_ge_u32 s39, s14
	s_cselect_b32 s39, -1, 0
	s_cmp_eq_u32 s9, s15
	s_cselect_b32 s9, s39, s41
	s_delay_alu instid0(SALU_CYCLE_1)
	s_cmp_lg_u32 s9, 0
	s_mov_b32 s9, 0
	s_cselect_b32 s37, s40, s37
	s_cselect_b32 s36, s38, s36
.LBB200_23:                             ;   in Loop: Header=BB200_21 Depth=1
	s_and_not1_b32 vcc_lo, exec_lo, s9
	s_cbranch_vccnz .LBB200_25
; %bb.24:                               ;   in Loop: Header=BB200_21 Depth=1
	v_cvt_f32_u32_e32 v1, s14
	s_sub_i32 s36, 0, s14
	s_waitcnt_depctr 0xfff
	v_rcp_iflag_f32_e32 v1, v1
	s_waitcnt_depctr 0xfff
	v_mul_f32_e32 v1, 0x4f7ffffe, v1
	s_delay_alu instid0(VALU_DEP_1) | instskip(NEXT) | instid1(VALU_DEP_1)
	v_cvt_u32_f32_e32 v1, v1
	v_readfirstlane_b32 s9, v1
	s_delay_alu instid0(VALU_DEP_1) | instskip(NEXT) | instid1(SALU_CYCLE_1)
	s_mul_i32 s36, s36, s9
	s_mul_hi_u32 s36, s9, s36
	s_delay_alu instid0(SALU_CYCLE_1) | instskip(NEXT) | instid1(SALU_CYCLE_1)
	s_add_i32 s9, s9, s36
	s_mul_hi_u32 s9, s12, s9
	s_delay_alu instid0(SALU_CYCLE_1) | instskip(SKIP_2) | instid1(SALU_CYCLE_1)
	s_mul_i32 s36, s9, s14
	s_add_i32 s37, s9, 1
	s_sub_i32 s36, s12, s36
	s_sub_i32 s38, s36, s14
	s_cmp_ge_u32 s36, s14
	s_cselect_b32 s9, s37, s9
	s_cselect_b32 s36, s38, s36
	s_add_i32 s37, s9, 1
	s_cmp_ge_u32 s36, s14
	s_cselect_b32 s36, s37, s9
	s_mov_b32 s37, s8
.LBB200_25:                             ;   in Loop: Header=BB200_21 Depth=1
	s_load_b64 s[38:39], s[10:11], 0xc8
	s_mul_i32 s9, s36, s15
	s_mul_hi_u32 s15, s36, s14
	s_mul_i32 s40, s37, s14
	s_add_i32 s9, s15, s9
	s_mul_i32 s14, s36, s14
	s_add_i32 s9, s9, s40
	s_sub_u32 s12, s12, s14
	s_subb_u32 s9, s13, s9
	s_waitcnt lgkmcnt(0)
	s_mul_i32 s9, s38, s9
	s_mul_hi_u32 s13, s38, s12
	s_mul_i32 s14, s39, s12
	s_add_i32 s9, s13, s9
	s_mul_i32 s12, s38, s12
	s_add_i32 s9, s9, s14
	s_add_u32 s30, s12, s30
	s_addc_u32 s31, s9, s31
	s_add_i32 s21, s21, -1
	s_add_u32 s10, s10, -8
	s_addc_u32 s11, s11, -1
	s_cmp_gt_u32 s21, 2
	s_cbranch_scc0 .LBB200_28
; %bb.26:                               ;   in Loop: Header=BB200_21 Depth=1
	s_mov_b64 s[12:13], s[36:37]
	s_branch .LBB200_21
.LBB200_27:
	s_mov_b64 s[36:37], s[2:3]
.LBB200_28:
	s_load_b128 s[8:11], s[0:1], 0x518
	s_lshl_b64 s[2:3], s[2:3], 2
	s_clause 0x1
	s_load_b64 s[42:43], s[0:1], 0x0
	s_load_b64 s[40:41], s[0:1], 0x1c0
	s_mov_b32 s21, 0
	s_waitcnt lgkmcnt(0)
	s_add_u32 s2, s8, s2
	s_addc_u32 s3, s9, s3
	s_clause 0x1
	s_load_b64 s[38:39], s[0:1], 0x438
	s_load_b64 s[8:9], s[0:1], 0x368
	s_load_b32 s51, s[2:3], 0x0
	v_cmp_ne_u32_e64 s2, 0, v0
	v_cmp_eq_u32_e64 s3, 0, v0
	s_delay_alu instid0(VALU_DEP_1)
	s_and_saveexec_b32 s52, s3
	s_cbranch_execz .LBB200_44
; %bb.29:
	s_load_b64 s[44:45], s[0:1], 0x528
	s_lshl_b64 s[46:47], s[20:21], 2
	s_mov_b32 s20, 0
	s_add_u32 s12, s10, s46
	s_addc_u32 s13, s11, s47
	s_mov_b32 s53, 0
	s_waitcnt lgkmcnt(0)
	s_add_u32 s14, s44, s46
	s_addc_u32 s15, s45, s47
	s_cmp_lt_u32 s17, 4
	s_cbranch_scc1 .LBB200_41
; %bb.30:
	s_mov_b32 s54, 0
.LBB200_31:                             ; =>This Inner Loop Header: Depth=1
	s_add_u32 s12, s10, s46
	s_addc_u32 s13, s11, s47
	s_add_u32 s48, s44, s46
	s_load_b128 s[12:15], s[12:13], 0x0
	s_addc_u32 s49, s45, s47
	s_cmp_ge_u32 s54, s50
	s_cbranch_scc0 .LBB200_38
; %bb.32:                               ;   in Loop: Header=BB200_31 Depth=1
	s_add_i32 s55, s54, 1
	s_delay_alu instid0(SALU_CYCLE_1)
	s_cmp_ge_u32 s55, s50
	s_cbranch_scc0 .LBB200_39
.LBB200_33:                             ;   in Loop: Header=BB200_31 Depth=1
	s_add_i32 s55, s55, 1
	s_delay_alu instid0(SALU_CYCLE_1)
	s_cmp_ge_u32 s55, s50
	s_cbranch_scc0 .LBB200_40
.LBB200_34:                             ;   in Loop: Header=BB200_31 Depth=1
	s_add_i32 s55, s55, 1
	s_delay_alu instid0(SALU_CYCLE_1)
	s_cmp_ge_u32 s55, s50
	s_cbranch_scc1 .LBB200_36
.LBB200_35:                             ;   in Loop: Header=BB200_31 Depth=1
	s_load_b32 s48, s[48:49], 0xc
	s_waitcnt lgkmcnt(0)
	s_add_i32 s21, s21, s15
	s_add_i32 s20, s48, s20
.LBB200_36:                             ;   in Loop: Header=BB200_31 Depth=1
	s_waitcnt lgkmcnt(0)
	s_add_i32 s12, s12, s53
	s_delay_alu instid0(SALU_CYCLE_1) | instskip(NEXT) | instid1(SALU_CYCLE_1)
	s_add_i32 s12, s12, s13
	s_add_i32 s12, s12, s14
	s_delay_alu instid0(SALU_CYCLE_1)
	s_add_i32 s53, s12, s15
	s_add_u32 s10, s10, 16
	s_addc_u32 s11, s11, 0
	s_add_u32 s44, s44, 16
	s_addc_u32 s45, s45, 0
	s_add_i32 s49, s55, 4
	s_add_u32 s14, s44, s46
	s_addc_u32 s15, s45, s47
	s_add_u32 s12, s10, s46
	s_addc_u32 s13, s11, s47
	s_add_i32 s48, s55, 1
	s_cmp_ge_u32 s49, s17
	s_cbranch_scc1 .LBB200_42
; %bb.37:                               ;   in Loop: Header=BB200_31 Depth=1
	s_mov_b32 s54, s48
	s_branch .LBB200_31
.LBB200_38:                             ;   in Loop: Header=BB200_31 Depth=1
	s_load_b32 s55, s[48:49], 0x0
	s_waitcnt lgkmcnt(0)
	s_add_i32 s21, s12, s21
	s_add_i32 s20, s55, s20
	s_add_i32 s55, s54, 1
	s_delay_alu instid0(SALU_CYCLE_1)
	s_cmp_ge_u32 s55, s50
	s_cbranch_scc1 .LBB200_33
.LBB200_39:                             ;   in Loop: Header=BB200_31 Depth=1
	s_load_b32 s56, s[48:49], 0x4
	s_waitcnt lgkmcnt(0)
	s_add_i32 s21, s21, s13
	s_add_i32 s20, s56, s20
	;; [unrolled: 1-line block ×3, first 2 shown]
	s_delay_alu instid0(SALU_CYCLE_1)
	s_cmp_ge_u32 s55, s50
	s_cbranch_scc1 .LBB200_34
.LBB200_40:                             ;   in Loop: Header=BB200_31 Depth=1
	s_load_b32 s56, s[48:49], 0x8
	s_waitcnt lgkmcnt(0)
	s_add_i32 s21, s21, s14
	s_add_i32 s20, s56, s20
	;; [unrolled: 1-line block ×3, first 2 shown]
	s_delay_alu instid0(SALU_CYCLE_1)
	s_cmp_ge_u32 s55, s50
	s_cbranch_scc0 .LBB200_35
	s_branch .LBB200_36
.LBB200_41:
	s_mov_b32 s10, 0
	s_delay_alu instid0(SALU_CYCLE_1)
	s_cmp_ge_u32 s10, s17
	s_cbranch_scc0 .LBB200_65
	s_branch .LBB200_43
.LBB200_42:
	s_add_i32 s10, s54, 4
	s_delay_alu instid0(SALU_CYCLE_1)
	s_cmp_ge_u32 s10, s17
	s_cbranch_scc0 .LBB200_65
.LBB200_43:
	v_dual_mov_b32 v1, s20 :: v_dual_mov_b32 v2, s53
	v_dual_mov_b32 v3, s21 :: v_dual_mov_b32 v4, 0
	ds_store_b96 v4, v[1:3] offset:1056
.LBB200_44:
	s_or_b32 exec_lo, exec_lo, s52
	s_cmp_eq_u32 s16, 0
	s_waitcnt lgkmcnt(0)
	s_barrier
	buffer_gl0_inv
	s_cbranch_scc1 .LBB200_67
; %bb.45:
	s_mul_i32 s10, s34, s29
	s_mul_hi_u32 s11, s34, s28
	s_mul_hi_u32 s12, s24, s22
	s_add_i32 s10, s11, s10
	s_mul_i32 s11, s24, s23
	s_mul_i32 s13, s35, s28
	s_add_i32 s12, s12, s11
	s_mul_i32 s14, s25, s22
	s_add_i32 s11, s10, s13
	s_add_i32 s13, s12, s14
	s_mul_i32 s10, s38, s37
	s_mul_hi_u32 s14, s38, s36
	s_mul_i32 s12, s24, s22
	s_add_i32 s10, s14, s10
	s_mul_i32 s14, s39, s36
	s_lshl_b64 s[12:13], s[12:13], 2
	s_add_i32 s21, s10, s14
	s_add_u32 s14, s42, s12
	s_addc_u32 s15, s43, s13
	s_lshl_b64 s[12:13], s[18:19], 2
	v_dual_mov_b32 v5, 0 :: v_dual_add_nc_u32 v4, -1, v0
	s_mul_i32 s10, s34, s28
	s_add_u32 s14, s14, s12
	s_addc_u32 s15, s15, s13
	s_lshl_b64 s[10:11], s[10:11], 2
	ds_load_b96 v[1:3], v5 offset:1056
	s_add_u32 s12, s40, s10
	s_addc_u32 s13, s41, s11
	s_lshl_b64 s[10:11], s[26:27], 2
	s_mul_i32 s20, s38, s36
	s_add_u32 s17, s12, s10
	s_addc_u32 s18, s13, s11
	s_lshl_b64 s[10:11], s[20:21], 3
	v_lshlrev_b32_e32 v10, 3, v0
	s_add_u32 s10, s8, s10
	s_addc_u32 s11, s9, s11
	s_lshl_b64 s[8:9], s[30:31], 3
	v_lshrrev_b32_e32 v11, 2, v0
	s_add_u32 s19, s10, s8
	s_addc_u32 s20, s11, s9
	s_cmp_gt_i32 s51, -1
	v_cmp_o_f32_e64 s8, s51, s51
	s_cselect_b32 s9, 0x80000000, -1
	v_lshrrev_b32_e32 v12, 5, v4
	s_xor_b32 s9, s9, s51
	s_waitcnt lgkmcnt(0)
	v_add_nc_u32_e32 v1, v1, v2
	s_and_b32 s8, s8, exec_lo
	s_cselect_b32 s21, s9, -1
	s_clause 0x3
	s_load_b32 s22, s[0:1], 0x1b0
	s_load_b64 s[8:9], s[0:1], 0x1b8
	s_load_b64 s[10:11], s[0:1], 0x360
	;; [unrolled: 1-line block ×3, first 2 shown]
	v_lshrrev_b32_e32 v2, 5, v0
	v_mad_u64_u32 v[6:7], null, s50, s33, v[0:1]
	v_mbcnt_lo_u32_b32 v8, -1, 0
	v_cmp_gt_u32_e64 s0, 32, v0
	s_delay_alu instid0(VALU_DEP_4)
	v_add_lshl_u32 v9, v2, v0, 2
	v_add_lshl_u32 v0, v11, v10, 2
	;; [unrolled: 1-line block ×3, first 2 shown]
	v_dual_mov_b32 v4, v6 :: v_dual_and_b32 v11, 15, v8
	v_bfe_i32 v12, v8, 4, 1
	v_add_nc_u32_e32 v13, -1, v8
                                        ; implicit-def: $vgpr14
	s_waitcnt lgkmcnt(0)
	s_bitcmp1_b32 s22, 0
	s_cselect_b32 s1, -1, 0
	s_branch .LBB200_48
.LBB200_46:                             ;   in Loop: Header=BB200_48 Depth=1
	s_or_b32 exec_lo, exec_lo, s22
	v_add_nc_u32_e32 v1, v2, v1
.LBB200_47:                             ;   in Loop: Header=BB200_48 Depth=1
	v_add_nc_u32_e32 v3, v15, v3
	v_add_nc_u32_e32 v4, 0x100, v4
	s_add_i32 s16, s16, -1
	s_delay_alu instid0(SALU_CYCLE_1)
	s_cmp_lg_u32 s16, 0
	s_cbranch_scc0 .LBB200_67
.LBB200_48:                             ; =>This Inner Loop Header: Depth=1
	v_mov_b32_e32 v2, v5
	v_mov_b32_e32 v6, v5
	s_mov_b32 s22, exec_lo
	v_cmpx_gt_u64_e64 s[4:5], v[4:5]
	s_cbranch_execz .LBB200_50
; %bb.49:                               ;   in Loop: Header=BB200_48 Depth=1
	v_mad_u64_u32 v[6:7], null, v4, s8, 0
	s_delay_alu instid0(VALU_DEP_1) | instskip(NEXT) | instid1(VALU_DEP_1)
	v_mov_b32_e32 v2, v7
	v_mad_u64_u32 v[14:15], null, v4, s9, v[2:3]
	s_delay_alu instid0(VALU_DEP_1) | instskip(NEXT) | instid1(VALU_DEP_1)
	v_mov_b32_e32 v7, v14
	v_lshlrev_b64 v[6:7], 2, v[6:7]
	s_delay_alu instid0(VALU_DEP_1) | instskip(NEXT) | instid1(VALU_DEP_2)
	v_add_co_u32 v6, vcc_lo, s14, v6
	v_add_co_ci_u32_e32 v7, vcc_lo, s15, v7, vcc_lo
	global_load_b32 v14, v[6:7], off
	s_waitcnt vmcnt(0)
	v_cmp_lt_i32_e32 vcc_lo, -1, v14
	v_cndmask_b32_e64 v2, -1, 0x80000000, vcc_lo
	v_cmp_o_f32_e32 vcc_lo, v14, v14
	s_delay_alu instid0(VALU_DEP_2) | instskip(NEXT) | instid1(VALU_DEP_1)
	v_xor_b32_e32 v2, v2, v14
	v_cndmask_b32_e32 v6, -1, v2, vcc_lo
	s_delay_alu instid0(VALU_DEP_1) | instskip(SKIP_4) | instid1(VALU_DEP_2)
	v_cmp_lt_u32_e32 vcc_lo, s21, v6
	v_cndmask_b32_e64 v2, 0, 1, vcc_lo
	v_cmp_gt_u32_e32 vcc_lo, s21, v6
	v_cndmask_b32_e64 v7, 0, 1, vcc_lo
	v_cmp_eq_u32_e32 vcc_lo, s21, v6
	v_cndmask_b32_e64 v2, v7, v2, s1
	v_cndmask_b32_e64 v6, 0, 1, vcc_lo
	s_delay_alu instid0(VALU_DEP_2)
	v_and_b32_e32 v2, 1, v2
.LBB200_50:                             ;   in Loop: Header=BB200_48 Depth=1
	s_or_b32 exec_lo, exec_lo, s22
	ds_store_b32 v9, v2
	s_waitcnt lgkmcnt(0)
	s_waitcnt_vscnt null, 0x0
	s_barrier
	buffer_gl0_inv
	s_and_saveexec_b32 s22, s0
	s_cbranch_execz .LBB200_52
; %bb.51:                               ;   in Loop: Header=BB200_48 Depth=1
	ds_load_2addr_b32 v[15:16], v0 offset1:1
	ds_load_2addr_b32 v[17:18], v0 offset0:2 offset1:3
	ds_load_2addr_b32 v[19:20], v0 offset0:4 offset1:5
	;; [unrolled: 1-line block ×3, first 2 shown]
	v_cmp_ne_u32_e32 vcc_lo, 0, v11
	; wave barrier
	s_waitcnt lgkmcnt(3)
	v_add_nc_u32_e32 v7, v16, v15
	s_waitcnt lgkmcnt(2)
	s_delay_alu instid0(VALU_DEP_1) | instskip(SKIP_1) | instid1(VALU_DEP_1)
	v_add3_u32 v7, v7, v17, v18
	s_waitcnt lgkmcnt(1)
	v_add3_u32 v7, v7, v19, v20
	s_waitcnt lgkmcnt(0)
	s_delay_alu instid0(VALU_DEP_1) | instskip(NEXT) | instid1(VALU_DEP_1)
	v_add3_u32 v7, v7, v21, v22
	v_mov_b32_dpp v16, v7 row_shr:1 row_mask:0xf bank_mask:0xf
	s_delay_alu instid0(VALU_DEP_1) | instskip(SKIP_1) | instid1(VALU_DEP_2)
	v_cndmask_b32_e32 v16, 0, v16, vcc_lo
	v_cmp_lt_u32_e32 vcc_lo, 1, v11
	v_add_nc_u32_e32 v7, v16, v7
	s_delay_alu instid0(VALU_DEP_1) | instskip(NEXT) | instid1(VALU_DEP_1)
	v_mov_b32_dpp v16, v7 row_shr:2 row_mask:0xf bank_mask:0xf
	v_cndmask_b32_e32 v16, 0, v16, vcc_lo
	v_cmp_lt_u32_e32 vcc_lo, 3, v11
	s_delay_alu instid0(VALU_DEP_2) | instskip(NEXT) | instid1(VALU_DEP_1)
	v_add_nc_u32_e32 v7, v7, v16
	v_mov_b32_dpp v16, v7 row_shr:4 row_mask:0xf bank_mask:0xf
	s_delay_alu instid0(VALU_DEP_1) | instskip(SKIP_1) | instid1(VALU_DEP_2)
	v_cndmask_b32_e32 v16, 0, v16, vcc_lo
	v_cmp_lt_u32_e32 vcc_lo, 7, v11
	v_add_nc_u32_e32 v7, v7, v16
	s_delay_alu instid0(VALU_DEP_1) | instskip(NEXT) | instid1(VALU_DEP_1)
	v_mov_b32_dpp v16, v7 row_shr:8 row_mask:0xf bank_mask:0xf
	v_cndmask_b32_e32 v16, 0, v16, vcc_lo
	v_cmp_gt_i32_e32 vcc_lo, 0, v13
	s_delay_alu instid0(VALU_DEP_2)
	v_add_nc_u32_e32 v7, v7, v16
	v_cndmask_b32_e32 v17, v13, v8, vcc_lo
	ds_swizzle_b32 v16, v7 offset:swizzle(BROADCAST,32,15)
	v_lshlrev_b32_e32 v17, 2, v17
	s_waitcnt lgkmcnt(0)
	v_and_b32_e32 v16, v12, v16
	s_delay_alu instid0(VALU_DEP_1) | instskip(SKIP_3) | instid1(VALU_DEP_1)
	v_add_nc_u32_e32 v7, v7, v16
	ds_bpermute_b32 v7, v17, v7
	s_waitcnt lgkmcnt(0)
	v_add_nc_u32_e32 v7, v7, v15
	v_cndmask_b32_e64 v7, v7, v2, s3
	ds_store_b32 v0, v7
	; wave barrier
	ds_load_2addr_b32 v[15:16], v0 offset0:1 offset1:2
	ds_load_2addr_b32 v[17:18], v0 offset0:3 offset1:4
	;; [unrolled: 1-line block ×3, first 2 shown]
	ds_load_b32 v21, v0 offset:28
	s_waitcnt lgkmcnt(3)
	v_add_nc_u32_e32 v7, v15, v7
	s_delay_alu instid0(VALU_DEP_1) | instskip(SKIP_1) | instid1(VALU_DEP_1)
	v_add_nc_u32_e32 v15, v16, v7
	s_waitcnt lgkmcnt(2)
	v_add_nc_u32_e32 v16, v17, v15
	s_delay_alu instid0(VALU_DEP_1) | instskip(SKIP_1) | instid1(VALU_DEP_1)
	v_add_nc_u32_e32 v17, v18, v16
	;; [unrolled: 4-line block ×3, first 2 shown]
	s_waitcnt lgkmcnt(0)
	v_add_nc_u32_e32 v20, v21, v19
	ds_store_2addr_b32 v0, v7, v15 offset0:1 offset1:2
	ds_store_2addr_b32 v0, v16, v17 offset0:3 offset1:4
	;; [unrolled: 1-line block ×3, first 2 shown]
	ds_store_b32 v0, v20 offset:28
.LBB200_52:                             ;   in Loop: Header=BB200_48 Depth=1
	s_or_b32 exec_lo, exec_lo, s22
	v_mov_b32_e32 v7, 0
	s_waitcnt lgkmcnt(0)
	s_barrier
	buffer_gl0_inv
	s_and_saveexec_b32 s22, s2
	s_cbranch_execz .LBB200_54
; %bb.53:                               ;   in Loop: Header=BB200_48 Depth=1
	ds_load_b32 v7, v10
.LBB200_54:                             ;   in Loop: Header=BB200_48 Depth=1
	s_or_b32 exec_lo, exec_lo, s22
	ds_load_b32 v15, v5 offset:1048
	s_mov_b32 s22, exec_lo
	s_waitcnt lgkmcnt(0)
	s_barrier
	buffer_gl0_inv
	v_cmpx_ne_u32_e32 0, v2
	s_cbranch_execz .LBB200_56
; %bb.55:                               ;   in Loop: Header=BB200_48 Depth=1
	v_add_nc_u32_e32 v22, v7, v3
	s_delay_alu instid0(VALU_DEP_1) | instskip(SKIP_1) | instid1(VALU_DEP_1)
	v_mad_u64_u32 v[16:17], null, v22, s10, 0
	v_mad_u64_u32 v[18:19], null, v22, s12, 0
	v_dual_mov_b32 v2, v17 :: v_dual_mov_b32 v7, v19
	s_delay_alu instid0(VALU_DEP_1) | instskip(NEXT) | instid1(VALU_DEP_2)
	v_mad_u64_u32 v[19:20], null, v22, s11, v[2:3]
	v_mad_u64_u32 v[20:21], null, v22, s13, v[7:8]
	s_delay_alu instid0(VALU_DEP_2) | instskip(NEXT) | instid1(VALU_DEP_2)
	v_mov_b32_e32 v17, v19
	v_mov_b32_e32 v19, v20
	s_delay_alu instid0(VALU_DEP_2) | instskip(NEXT) | instid1(VALU_DEP_2)
	v_lshlrev_b64 v[16:17], 2, v[16:17]
	v_lshlrev_b64 v[18:19], 3, v[18:19]
	s_delay_alu instid0(VALU_DEP_2) | instskip(NEXT) | instid1(VALU_DEP_3)
	v_add_co_u32 v16, vcc_lo, s17, v16
	v_add_co_ci_u32_e32 v17, vcc_lo, s18, v17, vcc_lo
	s_delay_alu instid0(VALU_DEP_3) | instskip(NEXT) | instid1(VALU_DEP_4)
	v_add_co_u32 v18, vcc_lo, s19, v18
	v_add_co_ci_u32_e32 v19, vcc_lo, s20, v19, vcc_lo
	global_store_b32 v[16:17], v14, off
	global_store_b64 v[18:19], v[4:5], off
.LBB200_56:                             ;   in Loop: Header=BB200_48 Depth=1
	s_or_b32 exec_lo, exec_lo, s22
	v_mov_b32_e32 v2, v5
	s_delay_alu instid0(VALU_DEP_1)
	v_cmp_le_u64_e32 vcc_lo, s[6:7], v[1:2]
	s_cbranch_vccnz .LBB200_47
; %bb.57:                               ;   in Loop: Header=BB200_48 Depth=1
	ds_store_b32 v9, v6
	s_waitcnt lgkmcnt(0)
	s_waitcnt_vscnt null, 0x0
	s_barrier
	buffer_gl0_inv
	s_and_saveexec_b32 s22, s0
	s_cbranch_execz .LBB200_59
; %bb.58:                               ;   in Loop: Header=BB200_48 Depth=1
	ds_load_2addr_b32 v[16:17], v0 offset1:1
	ds_load_2addr_b32 v[18:19], v0 offset0:2 offset1:3
	ds_load_2addr_b32 v[20:21], v0 offset0:4 offset1:5
	;; [unrolled: 1-line block ×3, first 2 shown]
	v_cmp_ne_u32_e32 vcc_lo, 0, v11
	; wave barrier
	s_waitcnt lgkmcnt(3)
	v_add_nc_u32_e32 v2, v17, v16
	s_waitcnt lgkmcnt(2)
	s_delay_alu instid0(VALU_DEP_1) | instskip(SKIP_1) | instid1(VALU_DEP_1)
	v_add3_u32 v2, v2, v18, v19
	s_waitcnt lgkmcnt(1)
	v_add3_u32 v2, v2, v20, v21
	s_waitcnt lgkmcnt(0)
	s_delay_alu instid0(VALU_DEP_1) | instskip(NEXT) | instid1(VALU_DEP_1)
	v_add3_u32 v2, v2, v22, v23
	v_mov_b32_dpp v7, v2 row_shr:1 row_mask:0xf bank_mask:0xf
	s_delay_alu instid0(VALU_DEP_1) | instskip(SKIP_1) | instid1(VALU_DEP_2)
	v_cndmask_b32_e32 v7, 0, v7, vcc_lo
	v_cmp_lt_u32_e32 vcc_lo, 1, v11
	v_add_nc_u32_e32 v2, v7, v2
	s_delay_alu instid0(VALU_DEP_1) | instskip(NEXT) | instid1(VALU_DEP_1)
	v_mov_b32_dpp v7, v2 row_shr:2 row_mask:0xf bank_mask:0xf
	v_cndmask_b32_e32 v7, 0, v7, vcc_lo
	v_cmp_lt_u32_e32 vcc_lo, 3, v11
	s_delay_alu instid0(VALU_DEP_2) | instskip(NEXT) | instid1(VALU_DEP_1)
	v_add_nc_u32_e32 v2, v2, v7
	v_mov_b32_dpp v7, v2 row_shr:4 row_mask:0xf bank_mask:0xf
	s_delay_alu instid0(VALU_DEP_1) | instskip(SKIP_1) | instid1(VALU_DEP_2)
	v_cndmask_b32_e32 v7, 0, v7, vcc_lo
	v_cmp_lt_u32_e32 vcc_lo, 7, v11
	v_add_nc_u32_e32 v2, v2, v7
	s_delay_alu instid0(VALU_DEP_1) | instskip(NEXT) | instid1(VALU_DEP_1)
	v_mov_b32_dpp v7, v2 row_shr:8 row_mask:0xf bank_mask:0xf
	v_cndmask_b32_e32 v7, 0, v7, vcc_lo
	v_cmp_gt_i32_e32 vcc_lo, 0, v13
	s_delay_alu instid0(VALU_DEP_2) | instskip(SKIP_4) | instid1(VALU_DEP_1)
	v_dual_cndmask_b32 v17, v13, v8 :: v_dual_add_nc_u32 v2, v2, v7
	ds_swizzle_b32 v7, v2 offset:swizzle(BROADCAST,32,15)
	v_lshlrev_b32_e32 v17, 2, v17
	s_waitcnt lgkmcnt(0)
	v_and_b32_e32 v7, v12, v7
	v_add_nc_u32_e32 v2, v2, v7
	ds_bpermute_b32 v2, v17, v2
	s_waitcnt lgkmcnt(0)
	v_add_nc_u32_e32 v2, v2, v16
	s_delay_alu instid0(VALU_DEP_1)
	v_cndmask_b32_e64 v2, v2, v6, s3
	ds_store_b32 v0, v2
	; wave barrier
	ds_load_2addr_b32 v[16:17], v0 offset0:1 offset1:2
	ds_load_2addr_b32 v[18:19], v0 offset0:3 offset1:4
	;; [unrolled: 1-line block ×3, first 2 shown]
	ds_load_b32 v7, v0 offset:28
	s_waitcnt lgkmcnt(3)
	v_add_nc_u32_e32 v2, v16, v2
	s_delay_alu instid0(VALU_DEP_1) | instskip(SKIP_1) | instid1(VALU_DEP_1)
	v_add_nc_u32_e32 v16, v17, v2
	s_waitcnt lgkmcnt(2)
	v_add_nc_u32_e32 v17, v18, v16
	s_delay_alu instid0(VALU_DEP_1) | instskip(SKIP_1) | instid1(VALU_DEP_1)
	v_add_nc_u32_e32 v18, v19, v17
	;; [unrolled: 4-line block ×3, first 2 shown]
	s_waitcnt lgkmcnt(0)
	v_add_nc_u32_e32 v7, v7, v20
	ds_store_2addr_b32 v0, v2, v16 offset0:1 offset1:2
	ds_store_2addr_b32 v0, v17, v18 offset0:3 offset1:4
	;; [unrolled: 1-line block ×3, first 2 shown]
	ds_store_b32 v0, v7 offset:28
.LBB200_59:                             ;   in Loop: Header=BB200_48 Depth=1
	s_or_b32 exec_lo, exec_lo, s22
	v_mov_b32_e32 v7, 0
	s_waitcnt lgkmcnt(0)
	s_barrier
	buffer_gl0_inv
	s_and_saveexec_b32 s22, s2
	s_cbranch_execz .LBB200_61
; %bb.60:                               ;   in Loop: Header=BB200_48 Depth=1
	ds_load_b32 v7, v10
.LBB200_61:                             ;   in Loop: Header=BB200_48 Depth=1
	s_or_b32 exec_lo, exec_lo, s22
	ds_load_b32 v2, v5 offset:1048
	s_mov_b32 s22, exec_lo
	s_waitcnt lgkmcnt(0)
	s_barrier
	buffer_gl0_inv
	v_cmpx_ne_u32_e32 0, v6
	s_cbranch_execz .LBB200_46
; %bb.62:                               ;   in Loop: Header=BB200_48 Depth=1
	v_dual_mov_b32 v7, v5 :: v_dual_add_nc_u32 v6, v7, v1
	s_delay_alu instid0(VALU_DEP_1)
	v_cmp_gt_u64_e32 vcc_lo, s[6:7], v[6:7]
	s_and_b32 exec_lo, exec_lo, vcc_lo
	s_cbranch_execz .LBB200_46
; %bb.63:                               ;   in Loop: Header=BB200_48 Depth=1
	v_mad_u64_u32 v[16:17], null, v6, s10, 0
	v_mad_u64_u32 v[18:19], null, v6, s12, 0
	s_delay_alu instid0(VALU_DEP_2) | instskip(NEXT) | instid1(VALU_DEP_2)
	v_mov_b32_e32 v7, v17
	v_mov_b32_e32 v17, v19
	s_delay_alu instid0(VALU_DEP_2) | instskip(NEXT) | instid1(VALU_DEP_2)
	v_mad_u64_u32 v[19:20], null, v6, s11, v[7:8]
	v_mad_u64_u32 v[20:21], null, v6, s13, v[17:18]
	s_delay_alu instid0(VALU_DEP_2) | instskip(NEXT) | instid1(VALU_DEP_2)
	v_mov_b32_e32 v17, v19
	v_mov_b32_e32 v19, v20
	s_delay_alu instid0(VALU_DEP_2) | instskip(NEXT) | instid1(VALU_DEP_2)
	v_lshlrev_b64 v[6:7], 2, v[16:17]
	v_lshlrev_b64 v[16:17], 3, v[18:19]
	s_delay_alu instid0(VALU_DEP_2) | instskip(NEXT) | instid1(VALU_DEP_3)
	v_add_co_u32 v6, vcc_lo, s17, v6
	v_add_co_ci_u32_e32 v7, vcc_lo, s18, v7, vcc_lo
	s_delay_alu instid0(VALU_DEP_3) | instskip(NEXT) | instid1(VALU_DEP_4)
	v_add_co_u32 v16, vcc_lo, s19, v16
	v_add_co_ci_u32_e32 v17, vcc_lo, s20, v17, vcc_lo
	global_store_b32 v[6:7], v14, off
	global_store_b64 v[16:17], v[4:5], off
	s_branch .LBB200_46
	.p2align	6
.LBB200_64:                             ;   in Loop: Header=BB200_65 Depth=1
	s_add_u32 s12, s12, 4
	s_addc_u32 s13, s13, 0
	s_waitcnt lgkmcnt(0)
	s_add_i32 s53, s11, s53
	s_add_u32 s14, s14, 4
	s_addc_u32 s15, s15, 0
	s_add_i32 s10, s10, 1
	s_delay_alu instid0(SALU_CYCLE_1)
	s_cmp_lt_u32 s10, s17
	s_cbranch_scc0 .LBB200_43
.LBB200_65:                             ; =>This Inner Loop Header: Depth=1
	s_load_b32 s11, s[12:13], 0x0
	s_cmp_ge_u32 s10, s50
	s_cbranch_scc1 .LBB200_64
; %bb.66:                               ;   in Loop: Header=BB200_65 Depth=1
	s_load_b32 s44, s[14:15], 0x0
	s_waitcnt lgkmcnt(0)
	s_add_i32 s21, s11, s21
	s_add_i32 s20, s44, s20
	s_branch .LBB200_64
.LBB200_67:
	s_nop 0
	s_sendmsg sendmsg(MSG_DEALLOC_VGPRS)
	s_endpgm
	.section	.rodata,"a",@progbits
	.p2align	6, 0x0
	.amdhsa_kernel _ZN2at6native6mbtopk10gatherTopKIfmLin1EEEvNS_4cuda6detail10TensorInfoIKT_T0_EES8_S8_bjS8_NS5_IS6_S8_EES8_NS5_IlS8_EES8_jjPS6_PjSD_j
		.amdhsa_group_segment_fixed_size 1068
		.amdhsa_private_segment_fixed_size 0
		.amdhsa_kernarg_size 1592
		.amdhsa_user_sgpr_count 13
		.amdhsa_user_sgpr_dispatch_ptr 0
		.amdhsa_user_sgpr_queue_ptr 0
		.amdhsa_user_sgpr_kernarg_segment_ptr 1
		.amdhsa_user_sgpr_dispatch_id 0
		.amdhsa_user_sgpr_private_segment_size 0
		.amdhsa_wavefront_size32 1
		.amdhsa_uses_dynamic_stack 0
		.amdhsa_enable_private_segment 0
		.amdhsa_system_sgpr_workgroup_id_x 1
		.amdhsa_system_sgpr_workgroup_id_y 1
		.amdhsa_system_sgpr_workgroup_id_z 1
		.amdhsa_system_sgpr_workgroup_info 0
		.amdhsa_system_vgpr_workitem_id 0
		.amdhsa_next_free_vgpr 24
		.amdhsa_next_free_sgpr 57
		.amdhsa_reserve_vcc 1
		.amdhsa_float_round_mode_32 0
		.amdhsa_float_round_mode_16_64 0
		.amdhsa_float_denorm_mode_32 3
		.amdhsa_float_denorm_mode_16_64 3
		.amdhsa_dx10_clamp 1
		.amdhsa_ieee_mode 1
		.amdhsa_fp16_overflow 0
		.amdhsa_workgroup_processor_mode 1
		.amdhsa_memory_ordered 1
		.amdhsa_forward_progress 0
		.amdhsa_shared_vgpr_count 0
		.amdhsa_exception_fp_ieee_invalid_op 0
		.amdhsa_exception_fp_denorm_src 0
		.amdhsa_exception_fp_ieee_div_zero 0
		.amdhsa_exception_fp_ieee_overflow 0
		.amdhsa_exception_fp_ieee_underflow 0
		.amdhsa_exception_fp_ieee_inexact 0
		.amdhsa_exception_int_div_zero 0
	.end_amdhsa_kernel
	.section	.text._ZN2at6native6mbtopk10gatherTopKIfmLin1EEEvNS_4cuda6detail10TensorInfoIKT_T0_EES8_S8_bjS8_NS5_IS6_S8_EES8_NS5_IlS8_EES8_jjPS6_PjSD_j,"axG",@progbits,_ZN2at6native6mbtopk10gatherTopKIfmLin1EEEvNS_4cuda6detail10TensorInfoIKT_T0_EES8_S8_bjS8_NS5_IS6_S8_EES8_NS5_IlS8_EES8_jjPS6_PjSD_j,comdat
.Lfunc_end200:
	.size	_ZN2at6native6mbtopk10gatherTopKIfmLin1EEEvNS_4cuda6detail10TensorInfoIKT_T0_EES8_S8_bjS8_NS5_IS6_S8_EES8_NS5_IlS8_EES8_jjPS6_PjSD_j, .Lfunc_end200-_ZN2at6native6mbtopk10gatherTopKIfmLin1EEEvNS_4cuda6detail10TensorInfoIKT_T0_EES8_S8_bjS8_NS5_IS6_S8_EES8_NS5_IlS8_EES8_jjPS6_PjSD_j
                                        ; -- End function
	.section	.AMDGPU.csdata,"",@progbits
; Kernel info:
; codeLenInByte = 5460
; NumSgprs: 59
; NumVgprs: 24
; ScratchSize: 0
; MemoryBound: 0
; FloatMode: 240
; IeeeMode: 1
; LDSByteSize: 1068 bytes/workgroup (compile time only)
; SGPRBlocks: 7
; VGPRBlocks: 2
; NumSGPRsForWavesPerEU: 59
; NumVGPRsForWavesPerEU: 24
; Occupancy: 16
; WaveLimiterHint : 1
; COMPUTE_PGM_RSRC2:SCRATCH_EN: 0
; COMPUTE_PGM_RSRC2:USER_SGPR: 13
; COMPUTE_PGM_RSRC2:TRAP_HANDLER: 0
; COMPUTE_PGM_RSRC2:TGID_X_EN: 1
; COMPUTE_PGM_RSRC2:TGID_Y_EN: 1
; COMPUTE_PGM_RSRC2:TGID_Z_EN: 1
; COMPUTE_PGM_RSRC2:TIDIG_COMP_CNT: 0
	.section	.text._ZN2at6native6sbtopk10gatherTopKIfmLin1ELb0EEEvNS_4cuda6detail10TensorInfoIKT_T0_EES8_S8_bS8_S8_NS5_IS6_S8_EES8_NS5_IlS8_EES8_PS6_,"axG",@progbits,_ZN2at6native6sbtopk10gatherTopKIfmLin1ELb0EEEvNS_4cuda6detail10TensorInfoIKT_T0_EES8_S8_bS8_S8_NS5_IS6_S8_EES8_NS5_IlS8_EES8_PS6_,comdat
	.protected	_ZN2at6native6sbtopk10gatherTopKIfmLin1ELb0EEEvNS_4cuda6detail10TensorInfoIKT_T0_EES8_S8_bS8_S8_NS5_IS6_S8_EES8_NS5_IlS8_EES8_PS6_ ; -- Begin function _ZN2at6native6sbtopk10gatherTopKIfmLin1ELb0EEEvNS_4cuda6detail10TensorInfoIKT_T0_EES8_S8_bS8_S8_NS5_IS6_S8_EES8_NS5_IlS8_EES8_PS6_
	.globl	_ZN2at6native6sbtopk10gatherTopKIfmLin1ELb0EEEvNS_4cuda6detail10TensorInfoIKT_T0_EES8_S8_bS8_S8_NS5_IS6_S8_EES8_NS5_IlS8_EES8_PS6_
	.p2align	8
	.type	_ZN2at6native6sbtopk10gatherTopKIfmLin1ELb0EEEvNS_4cuda6detail10TensorInfoIKT_T0_EES8_S8_bS8_S8_NS5_IS6_S8_EES8_NS5_IlS8_EES8_PS6_,@function
_ZN2at6native6sbtopk10gatherTopKIfmLin1ELb0EEEvNS_4cuda6detail10TensorInfoIKT_T0_EES8_S8_bS8_S8_NS5_IS6_S8_EES8_NS5_IlS8_EES8_PS6_: ; @_ZN2at6native6sbtopk10gatherTopKIfmLin1ELb0EEEvNS_4cuda6detail10TensorInfoIKT_T0_EES8_S8_bS8_S8_NS5_IS6_S8_EES8_NS5_IlS8_EES8_PS6_
; %bb.0:
	s_clause 0x1
	s_load_b64 s[10:11], s[0:1], 0x520
	s_load_b128 s[28:31], s[0:1], 0x1b8
	s_add_u32 s8, s0, 0x520
	s_addc_u32 s9, s1, 0
	s_mov_b32 s5, 0
	s_waitcnt lgkmcnt(0)
	s_mul_i32 s2, s11, s15
	s_delay_alu instid0(SALU_CYCLE_1) | instskip(NEXT) | instid1(SALU_CYCLE_1)
	s_add_i32 s2, s2, s14
	s_mul_i32 s2, s2, s10
	s_delay_alu instid0(SALU_CYCLE_1) | instskip(NEXT) | instid1(SALU_CYCLE_1)
	s_add_i32 s4, s2, s13
	v_cmp_ge_u64_e64 s2, s[4:5], s[28:29]
	s_delay_alu instid0(VALU_DEP_1)
	s_and_b32 vcc_lo, exec_lo, s2
	s_cbranch_vccnz .LBB201_565
; %bb.1:
	s_load_b32 s11, s[0:1], 0x198
	s_mov_b64 s[2:3], 0
	s_mov_b64 s[6:7], s[4:5]
	s_waitcnt lgkmcnt(0)
	s_cmp_lt_i32 s11, 2
	s_cbranch_scc1 .LBB201_9
; %bb.2:
	s_mov_b32 s14, 0
	s_add_i32 s2, s11, -1
	s_mov_b32 s3, s14
	s_add_i32 s11, s11, 1
	s_lshl_b64 s[6:7], s[2:3], 3
	s_mov_b64 s[2:3], 0
	s_add_u32 s6, s6, s0
	s_addc_u32 s7, s7, s1
	s_add_u32 s16, s6, 8
	s_addc_u32 s17, s7, 0
	s_mov_b64 s[18:19], s[4:5]
.LBB201_3:                              ; =>This Inner Loop Header: Depth=1
	s_load_b64 s[20:21], s[16:17], 0x0
	s_mov_b32 s12, -1
	s_waitcnt lgkmcnt(0)
	s_or_b64 s[6:7], s[18:19], s[20:21]
	s_delay_alu instid0(SALU_CYCLE_1) | instskip(NEXT) | instid1(SALU_CYCLE_1)
	s_mov_b32 s15, s7
                                        ; implicit-def: $sgpr6_sgpr7
	s_cmp_lg_u64 s[14:15], 0
	s_cbranch_scc0 .LBB201_5
; %bb.4:                                ;   in Loop: Header=BB201_3 Depth=1
	v_cvt_f32_u32_e32 v1, s20
	v_cvt_f32_u32_e32 v2, s21
	s_sub_u32 s12, 0, s20
	s_subb_u32 s15, 0, s21
	s_waitcnt_depctr 0xfff
	v_fmac_f32_e32 v1, 0x4f800000, v2
	s_delay_alu instid0(VALU_DEP_1) | instskip(SKIP_2) | instid1(VALU_DEP_1)
	v_rcp_f32_e32 v1, v1
	s_waitcnt_depctr 0xfff
	v_mul_f32_e32 v1, 0x5f7ffffc, v1
	v_mul_f32_e32 v2, 0x2f800000, v1
	s_delay_alu instid0(VALU_DEP_1) | instskip(NEXT) | instid1(VALU_DEP_1)
	v_trunc_f32_e32 v2, v2
	v_fmac_f32_e32 v1, 0xcf800000, v2
	v_cvt_u32_f32_e32 v2, v2
	s_delay_alu instid0(VALU_DEP_2) | instskip(NEXT) | instid1(VALU_DEP_2)
	v_cvt_u32_f32_e32 v1, v1
	v_readfirstlane_b32 s6, v2
	s_delay_alu instid0(VALU_DEP_2) | instskip(NEXT) | instid1(VALU_DEP_2)
	v_readfirstlane_b32 s7, v1
	s_mul_i32 s22, s12, s6
	s_delay_alu instid0(VALU_DEP_1)
	s_mul_hi_u32 s24, s12, s7
	s_mul_i32 s23, s15, s7
	s_add_i32 s22, s24, s22
	s_mul_i32 s25, s12, s7
	s_add_i32 s22, s22, s23
	s_mul_hi_u32 s24, s7, s25
	s_mul_hi_u32 s26, s6, s25
	s_mul_i32 s23, s6, s25
	s_mul_hi_u32 s25, s7, s22
	s_mul_i32 s7, s7, s22
	s_mul_hi_u32 s27, s6, s22
	s_add_u32 s7, s24, s7
	s_addc_u32 s24, 0, s25
	s_add_u32 s7, s7, s23
	s_mul_i32 s22, s6, s22
	s_addc_u32 s7, s24, s26
	s_addc_u32 s23, s27, 0
	s_add_u32 s7, s7, s22
	s_addc_u32 s22, 0, s23
	v_add_co_u32 v1, s7, v1, s7
	s_delay_alu instid0(VALU_DEP_1) | instskip(SKIP_1) | instid1(VALU_DEP_1)
	s_cmp_lg_u32 s7, 0
	s_addc_u32 s6, s6, s22
	v_readfirstlane_b32 s7, v1
	s_mul_i32 s22, s12, s6
	s_delay_alu instid0(VALU_DEP_1)
	s_mul_hi_u32 s23, s12, s7
	s_mul_i32 s15, s15, s7
	s_add_i32 s22, s23, s22
	s_mul_i32 s12, s12, s7
	s_add_i32 s22, s22, s15
	s_mul_hi_u32 s23, s6, s12
	s_mul_i32 s24, s6, s12
	s_mul_hi_u32 s12, s7, s12
	s_mul_hi_u32 s25, s7, s22
	s_mul_i32 s7, s7, s22
	s_mul_hi_u32 s15, s6, s22
	s_add_u32 s7, s12, s7
	s_addc_u32 s12, 0, s25
	s_add_u32 s7, s7, s24
	s_mul_i32 s22, s6, s22
	s_addc_u32 s7, s12, s23
	s_addc_u32 s12, s15, 0
	s_add_u32 s7, s7, s22
	s_addc_u32 s12, 0, s12
	v_add_co_u32 v1, s7, v1, s7
	s_delay_alu instid0(VALU_DEP_1) | instskip(SKIP_1) | instid1(VALU_DEP_1)
	s_cmp_lg_u32 s7, 0
	s_addc_u32 s6, s6, s12
	v_readfirstlane_b32 s7, v1
	s_mul_i32 s15, s18, s6
	s_mul_hi_u32 s12, s18, s6
	s_mul_hi_u32 s22, s19, s6
	s_mul_i32 s6, s19, s6
	s_mul_hi_u32 s23, s18, s7
	s_mul_hi_u32 s24, s19, s7
	s_mul_i32 s7, s19, s7
	s_add_u32 s15, s23, s15
	s_addc_u32 s12, 0, s12
	s_add_u32 s7, s15, s7
	s_addc_u32 s7, s12, s24
	s_addc_u32 s12, s22, 0
	s_add_u32 s6, s7, s6
	s_addc_u32 s7, 0, s12
	s_mul_hi_u32 s12, s20, s6
	s_mul_i32 s22, s20, s7
	s_mul_i32 s23, s20, s6
	s_add_i32 s12, s12, s22
	v_sub_co_u32 v1, s22, s18, s23
	s_mul_i32 s15, s21, s6
	s_delay_alu instid0(SALU_CYCLE_1) | instskip(NEXT) | instid1(VALU_DEP_1)
	s_add_i32 s12, s12, s15
	v_sub_co_u32 v2, s23, v1, s20
	s_sub_i32 s15, s19, s12
	s_cmp_lg_u32 s22, 0
	s_subb_u32 s15, s15, s21
	s_cmp_lg_u32 s23, 0
	v_readfirstlane_b32 s23, v2
	s_subb_u32 s15, s15, 0
	s_delay_alu instid0(SALU_CYCLE_1) | instskip(SKIP_1) | instid1(VALU_DEP_1)
	s_cmp_ge_u32 s15, s21
	s_cselect_b32 s24, -1, 0
	s_cmp_ge_u32 s23, s20
	s_cselect_b32 s23, -1, 0
	s_cmp_eq_u32 s15, s21
	s_cselect_b32 s15, s23, s24
	s_add_u32 s23, s6, 1
	s_addc_u32 s24, s7, 0
	s_add_u32 s25, s6, 2
	s_addc_u32 s26, s7, 0
	s_cmp_lg_u32 s15, 0
	s_cselect_b32 s15, s25, s23
	s_cselect_b32 s23, s26, s24
	s_cmp_lg_u32 s22, 0
	v_readfirstlane_b32 s22, v1
	s_subb_u32 s12, s19, s12
	s_delay_alu instid0(SALU_CYCLE_1) | instskip(SKIP_1) | instid1(VALU_DEP_1)
	s_cmp_ge_u32 s12, s21
	s_cselect_b32 s24, -1, 0
	s_cmp_ge_u32 s22, s20
	s_cselect_b32 s22, -1, 0
	s_cmp_eq_u32 s12, s21
	s_cselect_b32 s12, s22, s24
	s_delay_alu instid0(SALU_CYCLE_1)
	s_cmp_lg_u32 s12, 0
	s_mov_b32 s12, 0
	s_cselect_b32 s7, s23, s7
	s_cselect_b32 s6, s15, s6
.LBB201_5:                              ;   in Loop: Header=BB201_3 Depth=1
	s_and_not1_b32 vcc_lo, exec_lo, s12
	s_cbranch_vccnz .LBB201_7
; %bb.6:                                ;   in Loop: Header=BB201_3 Depth=1
	v_cvt_f32_u32_e32 v1, s20
	s_sub_i32 s7, 0, s20
	s_waitcnt_depctr 0xfff
	v_rcp_iflag_f32_e32 v1, v1
	s_waitcnt_depctr 0xfff
	v_mul_f32_e32 v1, 0x4f7ffffe, v1
	s_delay_alu instid0(VALU_DEP_1) | instskip(NEXT) | instid1(VALU_DEP_1)
	v_cvt_u32_f32_e32 v1, v1
	v_readfirstlane_b32 s6, v1
	s_delay_alu instid0(VALU_DEP_1) | instskip(NEXT) | instid1(SALU_CYCLE_1)
	s_mul_i32 s7, s7, s6
	s_mul_hi_u32 s7, s6, s7
	s_delay_alu instid0(SALU_CYCLE_1) | instskip(NEXT) | instid1(SALU_CYCLE_1)
	s_add_i32 s6, s6, s7
	s_mul_hi_u32 s6, s18, s6
	s_delay_alu instid0(SALU_CYCLE_1) | instskip(SKIP_2) | instid1(SALU_CYCLE_1)
	s_mul_i32 s7, s6, s20
	s_add_i32 s12, s6, 1
	s_sub_i32 s7, s18, s7
	s_sub_i32 s15, s7, s20
	s_cmp_ge_u32 s7, s20
	s_cselect_b32 s6, s12, s6
	s_cselect_b32 s7, s15, s7
	s_add_i32 s12, s6, 1
	s_cmp_ge_u32 s7, s20
	s_mov_b32 s7, s14
	s_cselect_b32 s6, s12, s6
.LBB201_7:                              ;   in Loop: Header=BB201_3 Depth=1
	s_load_b64 s[22:23], s[16:17], 0xc8
	s_mul_i32 s12, s6, s21
	s_mul_hi_u32 s15, s6, s20
	s_mul_i32 s21, s7, s20
	s_add_i32 s12, s15, s12
	s_mul_i32 s15, s6, s20
	s_add_i32 s12, s12, s21
	s_sub_u32 s15, s18, s15
	s_subb_u32 s12, s19, s12
	s_waitcnt lgkmcnt(0)
	s_mul_i32 s12, s22, s12
	s_mul_hi_u32 s18, s22, s15
	s_mul_i32 s19, s23, s15
	s_add_i32 s12, s18, s12
	s_mul_i32 s15, s22, s15
	s_add_i32 s12, s12, s19
	s_add_u32 s2, s15, s2
	s_addc_u32 s3, s12, s3
	s_add_i32 s11, s11, -1
	s_add_u32 s16, s16, -8
	s_addc_u32 s17, s17, -1
	s_cmp_gt_u32 s11, 2
	s_cbranch_scc0 .LBB201_9
; %bb.8:                                ;   in Loop: Header=BB201_3 Depth=1
	s_mov_b64 s[18:19], s[6:7]
	s_branch .LBB201_3
.LBB201_9:
	s_clause 0x1
	s_load_b32 s11, s[0:1], 0x360
	s_load_b64 s[14:15], s[0:1], 0xd0
	s_add_u32 s16, s0, 0x1c8
	s_addc_u32 s17, s1, 0
	s_mov_b64 s[28:29], 0
	s_mov_b64 s[40:41], s[4:5]
	s_waitcnt lgkmcnt(0)
	s_cmp_lt_i32 s11, 2
	s_cbranch_scc1 .LBB201_17
; %bb.10:
	s_mov_b32 s18, 0
	s_add_i32 s20, s11, -1
	s_mov_b32 s21, s18
	s_add_i32 s11, s11, 1
	s_lshl_b64 s[20:21], s[20:21], 3
	s_mov_b64 s[22:23], s[4:5]
	s_add_u32 s12, s20, s16
	s_addc_u32 s19, s21, s17
	s_add_u32 s20, s12, 8
	s_addc_u32 s21, s19, 0
.LBB201_11:                             ; =>This Inner Loop Header: Depth=1
	s_load_b64 s[24:25], s[20:21], 0x0
	s_mov_b32 s12, -1
                                        ; implicit-def: $sgpr40_sgpr41
	s_waitcnt lgkmcnt(0)
	s_or_b64 s[26:27], s[22:23], s[24:25]
	s_delay_alu instid0(SALU_CYCLE_1) | instskip(NEXT) | instid1(SALU_CYCLE_1)
	s_mov_b32 s19, s27
	s_cmp_lg_u64 s[18:19], 0
	s_cbranch_scc0 .LBB201_13
; %bb.12:                               ;   in Loop: Header=BB201_11 Depth=1
	v_cvt_f32_u32_e32 v1, s24
	v_cvt_f32_u32_e32 v2, s25
	s_sub_u32 s26, 0, s24
	s_subb_u32 s27, 0, s25
	s_waitcnt_depctr 0xfff
	v_fmac_f32_e32 v1, 0x4f800000, v2
	s_delay_alu instid0(VALU_DEP_1) | instskip(SKIP_2) | instid1(VALU_DEP_1)
	v_rcp_f32_e32 v1, v1
	s_waitcnt_depctr 0xfff
	v_mul_f32_e32 v1, 0x5f7ffffc, v1
	v_mul_f32_e32 v2, 0x2f800000, v1
	s_delay_alu instid0(VALU_DEP_1) | instskip(NEXT) | instid1(VALU_DEP_1)
	v_trunc_f32_e32 v2, v2
	v_fmac_f32_e32 v1, 0xcf800000, v2
	v_cvt_u32_f32_e32 v2, v2
	s_delay_alu instid0(VALU_DEP_2) | instskip(NEXT) | instid1(VALU_DEP_2)
	v_cvt_u32_f32_e32 v1, v1
	v_readfirstlane_b32 s12, v2
	s_delay_alu instid0(VALU_DEP_2) | instskip(NEXT) | instid1(VALU_DEP_2)
	v_readfirstlane_b32 s19, v1
	s_mul_i32 s33, s26, s12
	s_delay_alu instid0(VALU_DEP_1)
	s_mul_hi_u32 s35, s26, s19
	s_mul_i32 s34, s27, s19
	s_add_i32 s33, s35, s33
	s_mul_i32 s36, s26, s19
	s_add_i32 s33, s33, s34
	s_mul_hi_u32 s35, s19, s36
	s_mul_hi_u32 s37, s12, s36
	s_mul_i32 s34, s12, s36
	s_mul_hi_u32 s36, s19, s33
	s_mul_i32 s19, s19, s33
	s_mul_hi_u32 s38, s12, s33
	s_add_u32 s19, s35, s19
	s_addc_u32 s35, 0, s36
	s_add_u32 s19, s19, s34
	s_mul_i32 s33, s12, s33
	s_addc_u32 s19, s35, s37
	s_addc_u32 s34, s38, 0
	s_add_u32 s19, s19, s33
	s_addc_u32 s33, 0, s34
	v_add_co_u32 v1, s19, v1, s19
	s_delay_alu instid0(VALU_DEP_1) | instskip(SKIP_1) | instid1(VALU_DEP_1)
	s_cmp_lg_u32 s19, 0
	s_addc_u32 s12, s12, s33
	v_readfirstlane_b32 s19, v1
	s_mul_i32 s33, s26, s12
	s_delay_alu instid0(VALU_DEP_1)
	s_mul_hi_u32 s34, s26, s19
	s_mul_i32 s27, s27, s19
	s_add_i32 s33, s34, s33
	s_mul_i32 s26, s26, s19
	s_add_i32 s33, s33, s27
	s_mul_hi_u32 s34, s12, s26
	s_mul_i32 s35, s12, s26
	s_mul_hi_u32 s26, s19, s26
	s_mul_hi_u32 s36, s19, s33
	s_mul_i32 s19, s19, s33
	s_mul_hi_u32 s27, s12, s33
	s_add_u32 s19, s26, s19
	s_addc_u32 s26, 0, s36
	s_add_u32 s19, s19, s35
	s_mul_i32 s33, s12, s33
	s_addc_u32 s19, s26, s34
	s_addc_u32 s26, s27, 0
	s_add_u32 s19, s19, s33
	s_addc_u32 s26, 0, s26
	v_add_co_u32 v1, s19, v1, s19
	s_delay_alu instid0(VALU_DEP_1) | instskip(SKIP_1) | instid1(VALU_DEP_1)
	s_cmp_lg_u32 s19, 0
	s_addc_u32 s12, s12, s26
	v_readfirstlane_b32 s19, v1
	s_mul_i32 s27, s22, s12
	s_mul_hi_u32 s26, s22, s12
	s_mul_hi_u32 s33, s23, s12
	s_mul_i32 s12, s23, s12
	s_mul_hi_u32 s34, s22, s19
	s_mul_hi_u32 s35, s23, s19
	s_mul_i32 s19, s23, s19
	s_add_u32 s27, s34, s27
	s_addc_u32 s26, 0, s26
	s_add_u32 s19, s27, s19
	s_addc_u32 s19, s26, s35
	s_addc_u32 s26, s33, 0
	s_add_u32 s19, s19, s12
	s_addc_u32 s26, 0, s26
	s_mul_hi_u32 s12, s24, s19
	s_mul_i32 s33, s24, s26
	s_mul_i32 s34, s24, s19
	s_add_i32 s12, s12, s33
	v_sub_co_u32 v1, s33, s22, s34
	s_mul_i32 s27, s25, s19
	s_delay_alu instid0(SALU_CYCLE_1) | instskip(NEXT) | instid1(VALU_DEP_1)
	s_add_i32 s12, s12, s27
	v_sub_co_u32 v2, s34, v1, s24
	s_sub_i32 s27, s23, s12
	s_cmp_lg_u32 s33, 0
	s_subb_u32 s27, s27, s25
	s_cmp_lg_u32 s34, 0
	v_readfirstlane_b32 s34, v2
	s_subb_u32 s27, s27, 0
	s_delay_alu instid0(SALU_CYCLE_1) | instskip(SKIP_1) | instid1(VALU_DEP_1)
	s_cmp_ge_u32 s27, s25
	s_cselect_b32 s35, -1, 0
	s_cmp_ge_u32 s34, s24
	s_cselect_b32 s34, -1, 0
	s_cmp_eq_u32 s27, s25
	s_cselect_b32 s27, s34, s35
	s_add_u32 s34, s19, 1
	s_addc_u32 s35, s26, 0
	s_add_u32 s36, s19, 2
	s_addc_u32 s37, s26, 0
	s_cmp_lg_u32 s27, 0
	s_cselect_b32 s27, s36, s34
	s_cselect_b32 s34, s37, s35
	s_cmp_lg_u32 s33, 0
	v_readfirstlane_b32 s33, v1
	s_subb_u32 s12, s23, s12
	s_delay_alu instid0(SALU_CYCLE_1) | instskip(SKIP_1) | instid1(VALU_DEP_1)
	s_cmp_ge_u32 s12, s25
	s_cselect_b32 s35, -1, 0
	s_cmp_ge_u32 s33, s24
	s_cselect_b32 s33, -1, 0
	s_cmp_eq_u32 s12, s25
	s_cselect_b32 s12, s33, s35
	s_delay_alu instid0(SALU_CYCLE_1)
	s_cmp_lg_u32 s12, 0
	s_mov_b32 s12, 0
	s_cselect_b32 s41, s34, s26
	s_cselect_b32 s40, s27, s19
.LBB201_13:                             ;   in Loop: Header=BB201_11 Depth=1
	s_and_not1_b32 vcc_lo, exec_lo, s12
	s_cbranch_vccnz .LBB201_15
; %bb.14:                               ;   in Loop: Header=BB201_11 Depth=1
	v_cvt_f32_u32_e32 v1, s24
	s_sub_i32 s19, 0, s24
	s_mov_b32 s41, s18
	s_waitcnt_depctr 0xfff
	v_rcp_iflag_f32_e32 v1, v1
	s_waitcnt_depctr 0xfff
	v_mul_f32_e32 v1, 0x4f7ffffe, v1
	s_delay_alu instid0(VALU_DEP_1) | instskip(NEXT) | instid1(VALU_DEP_1)
	v_cvt_u32_f32_e32 v1, v1
	v_readfirstlane_b32 s12, v1
	s_delay_alu instid0(VALU_DEP_1) | instskip(NEXT) | instid1(SALU_CYCLE_1)
	s_mul_i32 s19, s19, s12
	s_mul_hi_u32 s19, s12, s19
	s_delay_alu instid0(SALU_CYCLE_1) | instskip(NEXT) | instid1(SALU_CYCLE_1)
	s_add_i32 s12, s12, s19
	s_mul_hi_u32 s12, s22, s12
	s_delay_alu instid0(SALU_CYCLE_1) | instskip(SKIP_2) | instid1(SALU_CYCLE_1)
	s_mul_i32 s19, s12, s24
	s_add_i32 s26, s12, 1
	s_sub_i32 s19, s22, s19
	s_sub_i32 s27, s19, s24
	s_cmp_ge_u32 s19, s24
	s_cselect_b32 s12, s26, s12
	s_cselect_b32 s19, s27, s19
	s_add_i32 s26, s12, 1
	s_cmp_ge_u32 s19, s24
	s_cselect_b32 s40, s26, s12
.LBB201_15:                             ;   in Loop: Header=BB201_11 Depth=1
	s_load_b64 s[26:27], s[20:21], 0xc8
	s_mul_i32 s12, s40, s25
	s_mul_hi_u32 s19, s40, s24
	s_mul_i32 s25, s41, s24
	s_add_i32 s12, s19, s12
	s_mul_i32 s19, s40, s24
	s_add_i32 s12, s12, s25
	s_sub_u32 s19, s22, s19
	s_subb_u32 s12, s23, s12
	s_waitcnt lgkmcnt(0)
	s_mul_i32 s12, s26, s12
	s_mul_hi_u32 s22, s26, s19
	s_mul_i32 s23, s27, s19
	s_add_i32 s12, s22, s12
	s_mul_i32 s19, s26, s19
	s_add_i32 s12, s12, s23
	s_add_u32 s28, s19, s28
	s_addc_u32 s29, s12, s29
	s_add_i32 s11, s11, -1
	s_add_u32 s20, s20, -8
	s_addc_u32 s21, s21, -1
	s_cmp_gt_u32 s11, 2
	s_cbranch_scc0 .LBB201_17
; %bb.16:                               ;   in Loop: Header=BB201_11 Depth=1
	s_mov_b64 s[22:23], s[40:41]
	s_branch .LBB201_11
.LBB201_17:
	s_clause 0x1
	s_load_b32 s11, s[0:1], 0x508
	s_load_b64 s[16:17], s[16:17], 0xd0
                                        ; implicit-def: $vgpr51 : SGPR spill to VGPR lane
	s_add_u32 s12, s0, 0x370
	s_mov_b64 s[44:45], 0
	s_waitcnt lgkmcnt(0)
	v_writelane_b32 v51, s16, 0
	v_writelane_b32 v51, s17, 1
	s_addc_u32 s17, s1, 0
	s_cmp_lt_i32 s11, 2
	s_cbranch_scc1 .LBB201_25
; %bb.18:
	s_mov_b32 s16, 0
	s_add_i32 s18, s11, -1
	s_mov_b32 s19, s16
	s_add_i32 s11, s11, 1
	s_lshl_b64 s[18:19], s[18:19], 3
	s_delay_alu instid0(SALU_CYCLE_1)
	s_add_u32 s12, s18, s12
	s_addc_u32 s17, s19, s17
	s_add_u32 s18, s12, 8
	s_addc_u32 s19, s17, 0
.LBB201_19:                             ; =>This Inner Loop Header: Depth=1
	s_load_b64 s[20:21], s[18:19], 0x0
	s_mov_b32 s12, -1
                                        ; implicit-def: $sgpr52_sgpr53
	s_waitcnt lgkmcnt(0)
	s_or_b64 s[22:23], s[4:5], s[20:21]
	s_delay_alu instid0(SALU_CYCLE_1) | instskip(NEXT) | instid1(SALU_CYCLE_1)
	s_mov_b32 s17, s23
	s_cmp_lg_u64 s[16:17], 0
	s_cbranch_scc0 .LBB201_21
; %bb.20:                               ;   in Loop: Header=BB201_19 Depth=1
	v_cvt_f32_u32_e32 v1, s20
	v_cvt_f32_u32_e32 v2, s21
	s_sub_u32 s22, 0, s20
	s_subb_u32 s23, 0, s21
	s_waitcnt_depctr 0xfff
	v_fmac_f32_e32 v1, 0x4f800000, v2
	s_delay_alu instid0(VALU_DEP_1) | instskip(SKIP_2) | instid1(VALU_DEP_1)
	v_rcp_f32_e32 v1, v1
	s_waitcnt_depctr 0xfff
	v_mul_f32_e32 v1, 0x5f7ffffc, v1
	v_mul_f32_e32 v2, 0x2f800000, v1
	s_delay_alu instid0(VALU_DEP_1) | instskip(NEXT) | instid1(VALU_DEP_1)
	v_trunc_f32_e32 v2, v2
	v_fmac_f32_e32 v1, 0xcf800000, v2
	v_cvt_u32_f32_e32 v2, v2
	s_delay_alu instid0(VALU_DEP_2) | instskip(NEXT) | instid1(VALU_DEP_2)
	v_cvt_u32_f32_e32 v1, v1
	v_readfirstlane_b32 s12, v2
	s_delay_alu instid0(VALU_DEP_2) | instskip(NEXT) | instid1(VALU_DEP_2)
	v_readfirstlane_b32 s17, v1
	s_mul_i32 s24, s22, s12
	s_delay_alu instid0(VALU_DEP_1)
	s_mul_hi_u32 s26, s22, s17
	s_mul_i32 s25, s23, s17
	s_add_i32 s24, s26, s24
	s_mul_i32 s27, s22, s17
	s_add_i32 s24, s24, s25
	s_mul_hi_u32 s26, s17, s27
	s_mul_hi_u32 s33, s12, s27
	s_mul_i32 s25, s12, s27
	s_mul_hi_u32 s27, s17, s24
	s_mul_i32 s17, s17, s24
	s_mul_hi_u32 s34, s12, s24
	s_add_u32 s17, s26, s17
	s_addc_u32 s26, 0, s27
	s_add_u32 s17, s17, s25
	s_mul_i32 s24, s12, s24
	s_addc_u32 s17, s26, s33
	s_addc_u32 s25, s34, 0
	s_add_u32 s17, s17, s24
	s_addc_u32 s24, 0, s25
	v_add_co_u32 v1, s17, v1, s17
	s_delay_alu instid0(VALU_DEP_1) | instskip(SKIP_1) | instid1(VALU_DEP_1)
	s_cmp_lg_u32 s17, 0
	s_addc_u32 s12, s12, s24
	v_readfirstlane_b32 s17, v1
	s_mul_i32 s24, s22, s12
	s_delay_alu instid0(VALU_DEP_1)
	s_mul_hi_u32 s25, s22, s17
	s_mul_i32 s23, s23, s17
	s_add_i32 s24, s25, s24
	s_mul_i32 s22, s22, s17
	s_add_i32 s24, s24, s23
	s_mul_hi_u32 s25, s12, s22
	s_mul_i32 s26, s12, s22
	s_mul_hi_u32 s22, s17, s22
	s_mul_hi_u32 s27, s17, s24
	s_mul_i32 s17, s17, s24
	s_mul_hi_u32 s23, s12, s24
	s_add_u32 s17, s22, s17
	s_addc_u32 s22, 0, s27
	s_add_u32 s17, s17, s26
	s_mul_i32 s24, s12, s24
	s_addc_u32 s17, s22, s25
	s_addc_u32 s22, s23, 0
	s_add_u32 s17, s17, s24
	s_addc_u32 s22, 0, s22
	v_add_co_u32 v1, s17, v1, s17
	s_delay_alu instid0(VALU_DEP_1) | instskip(SKIP_1) | instid1(VALU_DEP_1)
	s_cmp_lg_u32 s17, 0
	s_addc_u32 s12, s12, s22
	v_readfirstlane_b32 s17, v1
	s_mul_i32 s23, s4, s12
	s_mul_hi_u32 s22, s4, s12
	s_mul_hi_u32 s24, s5, s12
	s_mul_i32 s12, s5, s12
	s_mul_hi_u32 s25, s4, s17
	s_mul_hi_u32 s26, s5, s17
	s_mul_i32 s17, s5, s17
	s_add_u32 s23, s25, s23
	s_addc_u32 s22, 0, s22
	s_add_u32 s17, s23, s17
	s_addc_u32 s17, s22, s26
	s_addc_u32 s22, s24, 0
	s_add_u32 s17, s17, s12
	s_addc_u32 s22, 0, s22
	s_mul_hi_u32 s12, s20, s17
	s_mul_i32 s24, s20, s22
	s_mul_i32 s25, s20, s17
	s_add_i32 s12, s12, s24
	v_sub_co_u32 v1, s24, s4, s25
	s_mul_i32 s23, s21, s17
	s_delay_alu instid0(SALU_CYCLE_1) | instskip(NEXT) | instid1(VALU_DEP_1)
	s_add_i32 s12, s12, s23
	v_sub_co_u32 v2, s25, v1, s20
	s_sub_i32 s23, s5, s12
	s_cmp_lg_u32 s24, 0
	s_subb_u32 s23, s23, s21
	s_cmp_lg_u32 s25, 0
	v_readfirstlane_b32 s25, v2
	s_subb_u32 s23, s23, 0
	s_delay_alu instid0(SALU_CYCLE_1) | instskip(SKIP_1) | instid1(VALU_DEP_1)
	s_cmp_ge_u32 s23, s21
	s_cselect_b32 s26, -1, 0
	s_cmp_ge_u32 s25, s20
	s_cselect_b32 s25, -1, 0
	s_cmp_eq_u32 s23, s21
	s_cselect_b32 s23, s25, s26
	s_add_u32 s25, s17, 1
	s_addc_u32 s26, s22, 0
	s_add_u32 s27, s17, 2
	s_addc_u32 s33, s22, 0
	s_cmp_lg_u32 s23, 0
	s_cselect_b32 s23, s27, s25
	s_cselect_b32 s25, s33, s26
	s_cmp_lg_u32 s24, 0
	v_readfirstlane_b32 s24, v1
	s_subb_u32 s12, s5, s12
	s_delay_alu instid0(SALU_CYCLE_1) | instskip(SKIP_1) | instid1(VALU_DEP_1)
	s_cmp_ge_u32 s12, s21
	s_cselect_b32 s26, -1, 0
	s_cmp_ge_u32 s24, s20
	s_cselect_b32 s24, -1, 0
	s_cmp_eq_u32 s12, s21
	s_cselect_b32 s12, s24, s26
	s_delay_alu instid0(SALU_CYCLE_1)
	s_cmp_lg_u32 s12, 0
	s_mov_b32 s12, 0
	s_cselect_b32 s53, s25, s22
	s_cselect_b32 s52, s23, s17
.LBB201_21:                             ;   in Loop: Header=BB201_19 Depth=1
	s_and_not1_b32 vcc_lo, exec_lo, s12
	s_cbranch_vccnz .LBB201_23
; %bb.22:                               ;   in Loop: Header=BB201_19 Depth=1
	v_cvt_f32_u32_e32 v1, s20
	s_sub_i32 s17, 0, s20
	s_mov_b32 s53, s16
	s_waitcnt_depctr 0xfff
	v_rcp_iflag_f32_e32 v1, v1
	s_waitcnt_depctr 0xfff
	v_mul_f32_e32 v1, 0x4f7ffffe, v1
	s_delay_alu instid0(VALU_DEP_1) | instskip(NEXT) | instid1(VALU_DEP_1)
	v_cvt_u32_f32_e32 v1, v1
	v_readfirstlane_b32 s12, v1
	s_delay_alu instid0(VALU_DEP_1) | instskip(NEXT) | instid1(SALU_CYCLE_1)
	s_mul_i32 s17, s17, s12
	s_mul_hi_u32 s17, s12, s17
	s_delay_alu instid0(SALU_CYCLE_1) | instskip(NEXT) | instid1(SALU_CYCLE_1)
	s_add_i32 s12, s12, s17
	s_mul_hi_u32 s12, s4, s12
	s_delay_alu instid0(SALU_CYCLE_1) | instskip(SKIP_2) | instid1(SALU_CYCLE_1)
	s_mul_i32 s17, s12, s20
	s_add_i32 s22, s12, 1
	s_sub_i32 s17, s4, s17
	s_sub_i32 s23, s17, s20
	s_cmp_ge_u32 s17, s20
	s_cselect_b32 s12, s22, s12
	s_cselect_b32 s17, s23, s17
	s_add_i32 s22, s12, 1
	s_cmp_ge_u32 s17, s20
	s_cselect_b32 s52, s22, s12
.LBB201_23:                             ;   in Loop: Header=BB201_19 Depth=1
	s_load_b64 s[22:23], s[18:19], 0xc8
	s_mul_i32 s12, s52, s21
	s_mul_hi_u32 s17, s52, s20
	s_mul_i32 s21, s53, s20
	s_add_i32 s12, s17, s12
	s_mul_i32 s17, s52, s20
	s_add_i32 s12, s12, s21
	s_sub_u32 s4, s4, s17
	s_subb_u32 s5, s5, s12
	s_waitcnt lgkmcnt(0)
	s_mul_i32 s5, s22, s5
	s_mul_hi_u32 s12, s22, s4
	s_mul_i32 s17, s23, s4
	s_add_i32 s5, s12, s5
	s_mul_i32 s4, s22, s4
	s_add_i32 s5, s5, s17
	s_add_u32 s44, s4, s44
	s_addc_u32 s45, s5, s45
	s_add_i32 s11, s11, -1
	s_add_u32 s18, s18, -8
	s_addc_u32 s19, s19, -1
	s_cmp_gt_u32 s11, 2
	s_cbranch_scc0 .LBB201_26
; %bb.24:                               ;   in Loop: Header=BB201_19 Depth=1
	s_mov_b64 s[4:5], s[52:53]
	s_branch .LBB201_19
.LBB201_25:
	s_mov_b64 s[52:53], s[4:5]
.LBB201_26:
	s_clause 0x2
	s_load_b128 s[36:39], s[0:1], 0x1a0
	s_load_b64 s[16:17], s[0:1], 0x0
	s_load_b64 s[4:5], s[0:1], 0x370
	s_mov_b32 s61, 0
	s_waitcnt lgkmcnt(0)
	v_writelane_b32 v51, s4, 2
	v_writelane_b32 v51, s5, 3
	v_cmp_eq_u32_e64 s5, 0, v0
	s_delay_alu instid0(VALU_DEP_1)
	s_and_saveexec_b32 s4, s5
	s_cbranch_execz .LBB201_28
; %bb.27:
	v_dual_mov_b32 v1, 0 :: v_dual_mov_b32 v4, s37
	s_delay_alu instid0(VALU_DEP_1)
	v_dual_mov_b32 v3, s36 :: v_dual_mov_b32 v2, v1
	ds_store_b32 v1, v1 offset:5144
	ds_store_b128 v1, v[1:4] offset:5120
.LBB201_28:
	s_or_b32 exec_lo, exec_lo, s4
	s_mul_i32 s7, s14, s7
	s_mul_hi_u32 s11, s14, s6
	s_load_b32 s4, s[0:1], 0x1b0
	s_mul_i32 s12, s15, s6
	s_add_i32 s7, s11, s7
	s_mul_i32 s6, s14, s6
	s_add_i32 s7, s7, s12
	v_lshlrev_b32_e32 v47, 4, v0
	s_waitcnt lgkmcnt(0)
	s_lshl_b64 s[18:19], s[6:7], 2
	s_barrier
	buffer_gl0_inv
	s_load_b32 s7, s[8:9], 0xc
	v_or_b32_e32 v24, 4, v47
	s_lshl_b64 s[48:49], s[2:3], 2
	s_add_u32 s14, s16, s18
	s_addc_u32 s15, s17, s19
	v_mbcnt_lo_u32_b32 v44, -1, 0
	v_mad_u64_u32 v[20:21], null, s30, v24, s[14:15]
	v_mad_u64_u32 v[2:3], null, v0, s30, 0
	s_add_u32 s80, s14, s48
	s_addc_u32 s81, s15, s49
	s_bitcmp1_b32 s4, 0
	v_cmp_gt_u32_e32 vcc_lo, 32, v0
	s_delay_alu instid0(VALU_DEP_3)
	v_mov_b32_e32 v8, v21
	v_cmp_gt_i32_e64 s4, 4, v44
	v_or_b32_e32 v9, 12, v47
	v_or_b32_e32 v12, 8, v47
	v_lshrrev_b32_e32 v6, 3, v0
	s_cselect_b32 s2, -1, 0
	s_waitcnt lgkmcnt(0)
	s_and_b32 s33, s7, 0xffff
	v_dual_mov_b32 v1, v3 :: v_dual_lshlrev_b32 v14, 2, v0
	s_xor_b32 s82, s2, -1
	s_and_b32 s83, vcc_lo, s4
	s_bfe_u32 s11, s7, 0xb0005
	v_mad_u64_u32 v[16:17], null, s30, v9, s[14:15]
	v_mad_u64_u32 v[18:19], null, s30, v12, s[14:15]
	s_add_u32 s85, s33, -1
	v_and_b32_e32 v45, 0x7c, v6
	s_addc_u32 s86, 0, -1
	v_lshlrev_b64 v[6:7], v44, -1
	s_add_u32 s87, s85, s36
	s_addc_u32 s27, s86, s37
	v_mad_u64_u32 v[3:4], null, v0, s31, v[1:2]
	s_cmp_lt_u32 s13, s10
	s_delay_alu instid0(VALU_DEP_2)
	v_not_b32_e32 v43, v6
	v_mov_b32_e32 v6, v17
	s_cselect_b32 s10, 12, 18
	v_dual_mov_b32 v7, v19 :: v_dual_mov_b32 v28, 0
	s_add_u32 s62, s8, s10
	s_addc_u32 s63, s9, 0
	s_add_i32 s8, s11, -1
	s_bfe_u32 s88, s33, 0x30005
	s_cmp_gt_u32 s8, 6
	v_lshlrev_b64 v[4:5], 2, v[2:3]
	v_mad_u64_u32 v[21:22], null, s31, v9, v[6:7]
	s_cselect_b32 s89, -1, 0
	s_and_b32 s90, s11, 0x7f8
	v_mad_u64_u32 v[22:23], null, s31, v12, v[7:8]
	s_cmp_lg_u32 s88, 0
	v_dual_mov_b32 v13, 0 :: v_dual_add_nc_u32 v46, 0xc00, v14
	v_lshlrev_b64 v[2:3], 4, v[2:3]
	v_cmp_gt_u16_e64 s91, s7, 31
	s_cselect_b32 s92, -1, 0
	s_add_u32 s7, s18, s48
	s_addc_u32 s8, s19, s49
	v_add_co_u32 v10, vcc_lo, s80, v4
	v_mad_u64_u32 v[6:7], null, s31, v24, v[8:9]
	s_add_u32 s64, s16, s7
	v_writelane_b32 v51, s2, 4
	s_addc_u32 s65, s17, s8
	s_lshl_b64 s[66:67], s[30:31], 2
	s_lshl_b64 s[68:69], s[30:31], 4
	s_lshl_b32 s93, s33, 2
	v_mov_b32_e32 v1, v13
	v_add_co_ci_u32_e32 v11, vcc_lo, s81, v5, vcc_lo
	s_add_u32 s7, s16, s48
	v_mov_b32_e32 v19, v22
	v_add_co_u32 v22, vcc_lo, s14, v2
	s_addc_u32 s8, s17, s49
	s_add_u32 s7, s7, s18
	v_add_co_ci_u32_e32 v23, vcc_lo, s15, v3, vcc_lo
	v_writelane_b32 v51, s18, 5
	s_addc_u32 s11, s8, s19
	v_add_co_u32 v24, vcc_lo, s7, v4
	v_dual_mov_b32 v29, s38 :: v_dual_mov_b32 v30, s39
	v_cmp_lt_u64_e64 s84, 0x300, s[36:37]
	v_cmp_gt_u64_e64 s4, s[36:37], v[0:1]
	s_mul_i32 s9, s31, s33
	s_mul_hi_u32 s10, s30, s33
	v_cmp_eq_u32_e64 s2, 0, v44
	v_dual_mov_b32 v15, v13 :: v_dual_mov_b32 v26, 1.0
	v_cmp_gt_u32_e64 s6, 2, v0
	v_dual_mov_b32 v17, v21 :: v_dual_mov_b32 v50, 0
	v_mov_b32_e32 v21, v6
	v_lshl_or_b32 v48, v44, 3, 0xc00
	v_add_co_ci_u32_e32 v25, vcc_lo, s11, v5, vcc_lo
	v_mov_b32_e32 v49, 0
	s_add_i32 s9, s10, s9
	s_mul_i32 s8, s30, s33
	s_mov_b32 s100, 30
	s_lshl_b64 s[34:35], s[8:9], 2
	s_mov_b32 s94, 0
	s_mov_b32 s96, 0
	v_writelane_b32 v51, s19, 6
                                        ; implicit-def: $sgpr95
                                        ; implicit-def: $sgpr99
                                        ; implicit-def: $sgpr98
                                        ; implicit-def: $sgpr101
                                        ; implicit-def: $sgpr97
                                        ; implicit-def: $sgpr102
                                        ; implicit-def: $sgpr104
                                        ; implicit-def: $sgpr103
                                        ; implicit-def: $vcc_hi
                                        ; implicit-def: $sgpr54
	s_branch .LBB201_31
.LBB201_29:                             ;   in Loop: Header=BB201_31 Depth=1
	s_or_b32 exec_lo, exec_lo, s10
	v_dual_mov_b32 v49, v34 :: v_dual_mov_b32 v50, v33
	v_dual_mov_b32 v30, v3 :: v_dual_mov_b32 v29, v2
	v_mov_b32_e32 v28, v5
	s_and_not1_b32 s3, s54, exec_lo
	s_and_b32 s9, s9, exec_lo
	s_and_not1_b32 vcc_hi, vcc_hi, exec_lo
	s_or_b32 s54, s3, s9
	s_and_not1_b32 s103, s103, exec_lo
	s_and_not1_b32 s104, s104, exec_lo
	;; [unrolled: 1-line block ×3, first 2 shown]
	s_or_not1_b32 s8, s8, exec_lo
.LBB201_30:                             ;   in Loop: Header=BB201_31 Depth=1
	s_or_b32 exec_lo, exec_lo, s7
	s_delay_alu instid0(SALU_CYCLE_1) | instskip(NEXT) | instid1(SALU_CYCLE_1)
	s_and_b32 s7, exec_lo, s8
	s_or_b32 s94, s7, s94
	s_and_not1_b32 s7, s97, exec_lo
	s_and_b32 s8, s54, exec_lo
	s_and_not1_b32 s9, s101, exec_lo
	s_or_b32 s97, s7, s8
	s_and_b32 s7, vcc_hi, exec_lo
	s_and_not1_b32 s8, s98, exec_lo
	s_and_b32 s10, s103, exec_lo
	s_or_b32 s101, s9, s7
	s_or_b32 s98, s8, s10
	s_and_not1_b32 s7, s99, exec_lo
	s_and_b32 s8, s104, exec_lo
	s_and_not1_b32 s9, s95, exec_lo
	s_and_b32 s10, s102, exec_lo
	s_or_b32 s99, s7, s8
	s_or_b32 s95, s9, s10
	s_and_not1_b32 exec_lo, exec_lo, s94
	s_cbranch_execz .LBB201_503
.LBB201_31:                             ; =>This Loop Header: Depth=1
                                        ;     Child Loop BB201_39 Depth 2
                                        ;     Child Loop BB201_57 Depth 2
                                        ;     Child Loop BB201_84 Depth 2
                                        ;     Child Loop BB201_88 Depth 2
                                        ;     Child Loop BB201_70 Depth 2
                                        ;     Child Loop BB201_77 Depth 2
                                        ;     Child Loop BB201_97 Depth 2
                                        ;     Child Loop BB201_102 Depth 2
                                        ;     Child Loop BB201_131 Depth 2
                                        ;     Child Loop BB201_115 Depth 2
                                        ;     Child Loop BB201_177 Depth 2
                                        ;     Child Loop BB201_161 Depth 2
                                        ;     Child Loop BB201_223 Depth 2
                                        ;     Child Loop BB201_207 Depth 2
                                        ;     Child Loop BB201_258 Depth 2
                                        ;     Child Loop BB201_274 Depth 2
                                        ;     Child Loop BB201_327 Depth 2
                                        ;     Child Loop BB201_313 Depth 2
                                        ;     Child Loop BB201_373 Depth 2
                                        ;     Child Loop BB201_357 Depth 2
                                        ;     Child Loop BB201_419 Depth 2
                                        ;     Child Loop BB201_403 Depth 2
                                        ;     Child Loop BB201_454 Depth 2
                                        ;     Child Loop BB201_470 Depth 2
	ds_load_b128 v[2:5], v13 offset:5120
	s_waitcnt lgkmcnt(0)
	v_readfirstlane_b32 s71, v3
	v_readfirstlane_b32 s70, v2
	s_delay_alu instid0(VALU_DEP_1)
	s_cmp_lg_u64 s[70:71], 0
	s_cbranch_scc1 .LBB201_64
; %bb.32:                               ;   in Loop: Header=BB201_31 Depth=1
	s_and_b32 vcc_lo, exec_lo, s84
	s_cbranch_vccz .LBB201_47
; %bb.33:                               ;   in Loop: Header=BB201_31 Depth=1
	v_cmp_gt_u64_e32 vcc_lo, 0x301, v[4:5]
	s_mov_b32 s9, 0
	s_mov_b32 s7, 0
	s_cbranch_vccz .LBB201_48
; %bb.34:                               ;   in Loop: Header=BB201_31 Depth=1
	v_mov_b32_e32 v6, 0
	s_and_saveexec_b32 s7, s4
	s_cbranch_execz .LBB201_36
; %bb.35:                               ;   in Loop: Header=BB201_31 Depth=1
	global_load_b32 v6, v[10:11], off
.LBB201_36:                             ;   in Loop: Header=BB201_31 Depth=1
	s_or_b32 exec_lo, exec_lo, s7
	s_and_saveexec_b32 s10, s4
	s_cbranch_execz .LBB201_49
; %bb.37:                               ;   in Loop: Header=BB201_31 Depth=1
	global_load_u16 v7, v13, s[62:63]
	s_mov_b32 s13, 0
	s_waitcnt vmcnt(0)
	v_readfirstlane_b32 s7, v7
	v_and_b32_e32 v7, 0xffff, v7
	s_delay_alu instid0(VALU_DEP_2) | instskip(NEXT) | instid1(SALU_CYCLE_1)
	s_and_b32 s7, 0xffff, s7
	v_add_nc_u32_e32 v8, s7, v0
	s_mul_i32 s8, s67, s7
	s_mul_hi_u32 s11, s66, s7
	s_mul_i32 s12, s66, s7
	s_add_i32 s11, s11, s8
	v_mad_u64_u32 v[2:3], null, s66, v8, s[64:65]
	s_delay_alu instid0(VALU_DEP_1) | instskip(NEXT) | instid1(VALU_DEP_1)
	v_mad_u64_u32 v[4:5], null, s67, v8, v[3:4]
	v_mov_b32_e32 v3, v4
	v_dual_mov_b32 v5, v1 :: v_dual_mov_b32 v4, v0
	s_branch .LBB201_39
.LBB201_38:                             ;   in Loop: Header=BB201_39 Depth=2
	s_or_b32 exec_lo, exec_lo, s8
	v_add_co_u32 v2, vcc_lo, v2, s12
	v_add_co_ci_u32_e32 v3, vcc_lo, s11, v3, vcc_lo
	s_waitcnt vmcnt(0)
	v_mov_b32_e32 v6, v8
	s_and_not1_b32 exec_lo, exec_lo, s13
	s_cbranch_execz .LBB201_49
.LBB201_39:                             ;   Parent Loop BB201_31 Depth=1
                                        ; =>  This Inner Loop Header: Depth=2
	s_delay_alu instid0(VALU_DEP_1) | instskip(NEXT) | instid1(VALU_DEP_2)
	v_add_co_u32 v4, vcc_lo, v4, v7
	v_add_co_ci_u32_e32 v5, vcc_lo, 0, v5, vcc_lo
	s_waitcnt lgkmcnt(0)
	v_dual_mov_b32 v9, 0 :: v_dual_mov_b32 v8, 0
	s_mov_b32 s8, exec_lo
	s_delay_alu instid0(VALU_DEP_2)
	v_cmp_le_u64_e32 vcc_lo, s[36:37], v[4:5]
	v_cmpx_gt_u64_e64 s[36:37], v[4:5]
	s_cbranch_execz .LBB201_41
; %bb.40:                               ;   in Loop: Header=BB201_39 Depth=2
	global_load_b32 v8, v[2:3], off
.LBB201_41:                             ;   in Loop: Header=BB201_39 Depth=2
	s_or_b32 exec_lo, exec_lo, s8
	v_cmp_lt_i32_e64 s7, -1, v6
	s_delay_alu instid0(VALU_DEP_1) | instskip(SKIP_1) | instid1(VALU_DEP_2)
	v_cndmask_b32_e64 v12, -1, 0x80000000, s7
	v_cmp_o_f32_e64 s7, v6, v6
	v_xor_b32_e32 v12, v12, v6
	s_delay_alu instid0(VALU_DEP_1) | instskip(NEXT) | instid1(VALU_DEP_1)
	v_cndmask_b32_e64 v12, -1, v12, s7
	v_and_b32_e32 v12, v12, v49
	s_delay_alu instid0(VALU_DEP_1) | instskip(NEXT) | instid1(VALU_DEP_1)
	v_cmp_eq_u32_e64 s7, v12, v50
	s_cmp_lg_u32 s7, 0
	s_cselect_b32 s8, -1, 0
	s_delay_alu instid0(SALU_CYCLE_1) | instskip(NEXT) | instid1(SALU_CYCLE_1)
	s_and_b32 s8, s2, s8
	s_and_saveexec_b32 s14, s8
	s_cbranch_execz .LBB201_45
; %bb.42:                               ;   in Loop: Header=BB201_39 Depth=2
	s_mov_b32 s17, exec_lo
	s_bcnt1_i32_b32 s15, s7
	v_mbcnt_lo_u32_b32 v9, s17, 0
	s_mov_b32 s16, exec_lo
                                        ; implicit-def: $vgpr12
	s_delay_alu instid0(VALU_DEP_1)
	v_cmpx_eq_u32_e32 0, v9
	s_cbranch_execz .LBB201_44
; %bb.43:                               ;   in Loop: Header=BB201_39 Depth=2
	s_bcnt1_i32_b32 s8, s17
	s_delay_alu instid0(SALU_CYCLE_1) | instskip(NEXT) | instid1(SALU_CYCLE_1)
	s_mul_i32 s8, s15, s8
	v_mov_b32_e32 v12, s8
	ds_add_rtn_u32 v12, v13, v12 offset:5144
.LBB201_44:                             ;   in Loop: Header=BB201_39 Depth=2
	s_or_b32 exec_lo, exec_lo, s16
	s_waitcnt lgkmcnt(0)
	v_readfirstlane_b32 s8, v12
	s_delay_alu instid0(VALU_DEP_1)
	v_mad_u32_u24 v9, s15, v9, s8
.LBB201_45:                             ;   in Loop: Header=BB201_39 Depth=2
	s_or_b32 exec_lo, exec_lo, s14
	ds_bpermute_b32 v9, v13, v9
	s_and_b32 s8, exec_lo, vcc_lo
	s_delay_alu instid0(SALU_CYCLE_1)
	s_or_b32 s13, s8, s13
	s_and_saveexec_b32 s8, s7
	s_cbranch_execz .LBB201_38
; %bb.46:                               ;   in Loop: Header=BB201_39 Depth=2
	v_and_b32_e32 v12, s7, v43
	s_delay_alu instid0(VALU_DEP_1) | instskip(NEXT) | instid1(VALU_DEP_1)
	v_bcnt_u32_b32 v12, v12, 0
	v_lshlrev_b32_e32 v12, 2, v12
	s_waitcnt lgkmcnt(0)
	s_delay_alu instid0(VALU_DEP_1)
	v_lshl_add_u32 v9, v9, 2, v12
	ds_store_b32 v9, v6
	s_branch .LBB201_38
.LBB201_47:                             ;   in Loop: Header=BB201_31 Depth=1
	s_mov_b32 s7, 0
                                        ; implicit-def: $sgpr70_sgpr71
	s_cbranch_execnz .LBB201_52
	s_branch .LBB201_62
.LBB201_48:                             ;   in Loop: Header=BB201_31 Depth=1
	s_mov_b64 s[70:71], 0
	s_and_b32 vcc_lo, exec_lo, s9
	s_cbranch_vccnz .LBB201_52
	s_branch .LBB201_62
.LBB201_49:                             ;   in Loop: Header=BB201_31 Depth=1
	s_or_b32 exec_lo, exec_lo, s10
	s_waitcnt vmcnt(0) lgkmcnt(0)
	s_barrier
	buffer_gl0_inv
	s_and_saveexec_b32 s7, s5
	s_cbranch_execz .LBB201_51
; %bb.50:                               ;   in Loop: Header=BB201_31 Depth=1
	ds_load_b32 v2, v13 offset:5144
	s_waitcnt lgkmcnt(0)
	v_ashrrev_i32_e32 v3, 31, v2
	ds_store_b64 v13, v[2:3] offset:5120
.LBB201_51:                             ;   in Loop: Header=BB201_31 Depth=1
	s_or_b32 exec_lo, exec_lo, s7
	s_waitcnt lgkmcnt(0)
	s_mov_b32 s7, -1
	s_barrier
	s_mov_b64 s[70:71], 0
	s_and_b32 vcc_lo, exec_lo, s9
	s_cbranch_vccz .LBB201_62
.LBB201_52:                             ;   in Loop: Header=BB201_31 Depth=1
	v_mov_b32_e32 v6, 0
	s_and_saveexec_b32 s7, s4
	s_cbranch_execz .LBB201_54
; %bb.53:                               ;   in Loop: Header=BB201_31 Depth=1
	global_load_b32 v6, v[10:11], off
.LBB201_54:                             ;   in Loop: Header=BB201_31 Depth=1
	s_or_b32 exec_lo, exec_lo, s7
	s_and_saveexec_b32 s8, s4
	s_cbranch_execz .LBB201_59
; %bb.55:                               ;   in Loop: Header=BB201_31 Depth=1
	global_load_u16 v8, v13, s[62:63]
	s_mov_b32 s12, 0
	s_waitcnt vmcnt(0)
	v_readfirstlane_b32 s7, v8
	v_and_b32_e32 v8, 0xffff, v8
	s_delay_alu instid0(VALU_DEP_2) | instskip(NEXT) | instid1(SALU_CYCLE_1)
	s_and_b32 s7, 0xffff, s7
	v_add_nc_u32_e32 v7, s7, v0
	s_mul_i32 s10, s67, s7
	s_mul_hi_u32 s11, s66, s7
	s_lshl_b32 s9, s7, 2
	s_add_i32 s10, s11, s10
	v_mad_u64_u32 v[2:3], null, s66, v7, s[64:65]
	s_mul_i32 s11, s66, s7
	s_delay_alu instid0(VALU_DEP_1) | instskip(SKIP_1) | instid1(VALU_DEP_2)
	v_mad_u64_u32 v[4:5], null, s67, v7, v[3:4]
	v_mov_b32_e32 v7, v14
	v_mov_b32_e32 v3, v4
	v_dual_mov_b32 v5, v1 :: v_dual_mov_b32 v4, v0
	s_branch .LBB201_57
	.p2align	6
.LBB201_56:                             ;   in Loop: Header=BB201_57 Depth=2
	s_or_b32 exec_lo, exec_lo, s13
	s_delay_alu instid0(SALU_CYCLE_1)
	s_and_b32 s7, exec_lo, vcc_lo
	v_add_co_u32 v2, vcc_lo, v2, s11
	ds_store_b32 v7, v6
	s_waitcnt vmcnt(0)
	v_dual_mov_b32 v6, v9 :: v_dual_add_nc_u32 v7, s9, v7
	v_add_co_ci_u32_e32 v3, vcc_lo, s10, v3, vcc_lo
	s_or_b32 s12, s7, s12
	s_delay_alu instid0(SALU_CYCLE_1)
	s_and_not1_b32 exec_lo, exec_lo, s12
	s_cbranch_execz .LBB201_59
.LBB201_57:                             ;   Parent Loop BB201_31 Depth=1
                                        ; =>  This Inner Loop Header: Depth=2
	s_delay_alu instid0(VALU_DEP_1) | instskip(NEXT) | instid1(VALU_DEP_2)
	v_add_co_u32 v4, vcc_lo, v4, v8
	v_add_co_ci_u32_e32 v5, vcc_lo, 0, v5, vcc_lo
	v_mov_b32_e32 v9, 0
	s_mov_b32 s13, exec_lo
	s_delay_alu instid0(VALU_DEP_2)
	v_cmp_le_u64_e32 vcc_lo, s[36:37], v[4:5]
	v_cmpx_gt_u64_e64 s[36:37], v[4:5]
	s_cbranch_execz .LBB201_56
; %bb.58:                               ;   in Loop: Header=BB201_57 Depth=2
	global_load_b32 v9, v[2:3], off
	s_branch .LBB201_56
.LBB201_59:                             ;   in Loop: Header=BB201_31 Depth=1
	s_or_b32 exec_lo, exec_lo, s8
	s_waitcnt vmcnt(0) lgkmcnt(0)
	s_barrier
	buffer_gl0_inv
	s_and_saveexec_b32 s7, s5
	s_cbranch_execz .LBB201_61
; %bb.60:                               ;   in Loop: Header=BB201_31 Depth=1
	v_dual_mov_b32 v2, s36 :: v_dual_mov_b32 v3, s37
	ds_store_b64 v13, v[2:3] offset:5120
.LBB201_61:                             ;   in Loop: Header=BB201_31 Depth=1
	s_or_b32 exec_lo, exec_lo, s7
	s_mov_b32 s7, -1
	s_waitcnt lgkmcnt(0)
	s_barrier
                                        ; implicit-def: $sgpr70_sgpr71
.LBB201_62:                             ;   in Loop: Header=BB201_31 Depth=1
	s_and_b32 vcc_lo, exec_lo, s7
	s_cbranch_vccz .LBB201_64
; %bb.63:                               ;   in Loop: Header=BB201_31 Depth=1
	buffer_gl0_inv
	ds_load_b64 v[2:3], v13 offset:5120
	s_waitcnt lgkmcnt(0)
	v_readfirstlane_b32 s70, v2
.LBB201_64:                             ;   in Loop: Header=BB201_31 Depth=1
	s_delay_alu instid0(VALU_DEP_1)
	s_cmp_lt_i32 s70, 1
	s_cbranch_scc0 .LBB201_79
; %bb.65:                               ;   in Loop: Header=BB201_31 Depth=1
	global_load_u16 v2, v13, s[62:63]
	s_mov_b32 s8, s61
	s_mov_b32 s9, s37
	s_waitcnt vmcnt(0)
	v_readfirstlane_b32 s7, v2
	s_delay_alu instid0(VALU_DEP_1) | instskip(NEXT) | instid1(SALU_CYCLE_1)
	s_and_b32 s26, s7, 0xffff
	s_lshl_b32 s46, s26, 2
	s_cmp_lg_u64 s[8:9], 0
	s_cbranch_scc0 .LBB201_99
; %bb.66:                               ;   in Loop: Header=BB201_31 Depth=1
	v_cvt_f32_u32_e32 v2, s46
	s_sub_u32 s9, 0, s46
	s_subb_u32 s10, 0, 0
	s_delay_alu instid0(VALU_DEP_1) | instskip(NEXT) | instid1(VALU_DEP_1)
	v_fmac_f32_e64 v2, 0, 0x4f800000
	v_rcp_f32_e32 v2, v2
	s_waitcnt_depctr 0xfff
	v_mul_f32_e32 v2, 0x5f7ffffc, v2
	s_delay_alu instid0(VALU_DEP_1) | instskip(NEXT) | instid1(VALU_DEP_1)
	v_mul_f32_e32 v3, 0x2f800000, v2
	v_trunc_f32_e32 v3, v3
	s_delay_alu instid0(VALU_DEP_1) | instskip(SKIP_1) | instid1(VALU_DEP_2)
	v_fmac_f32_e32 v2, 0xcf800000, v3
	v_cvt_u32_f32_e32 v3, v3
	v_cvt_u32_f32_e32 v2, v2
	s_delay_alu instid0(VALU_DEP_2) | instskip(NEXT) | instid1(VALU_DEP_2)
	v_readfirstlane_b32 s7, v3
	v_readfirstlane_b32 s8, v2
	s_delay_alu instid0(VALU_DEP_2) | instskip(NEXT) | instid1(VALU_DEP_1)
	s_mul_i32 s11, s9, s7
	s_mul_hi_u32 s13, s9, s8
	s_mul_i32 s12, s10, s8
	s_add_i32 s11, s13, s11
	s_mul_i32 s14, s9, s8
	s_add_i32 s11, s11, s12
	s_mul_hi_u32 s13, s8, s14
	s_mul_hi_u32 s15, s7, s14
	s_mul_i32 s12, s7, s14
	s_mul_hi_u32 s14, s8, s11
	s_mul_i32 s8, s8, s11
	s_mul_hi_u32 s16, s7, s11
	s_add_u32 s8, s13, s8
	s_addc_u32 s13, 0, s14
	s_add_u32 s8, s8, s12
	s_mul_i32 s11, s7, s11
	s_addc_u32 s8, s13, s15
	s_addc_u32 s12, s16, 0
	s_add_u32 s8, s8, s11
	s_addc_u32 s11, 0, s12
	v_add_co_u32 v2, s8, v2, s8
	s_delay_alu instid0(VALU_DEP_1) | instskip(SKIP_1) | instid1(VALU_DEP_1)
	s_cmp_lg_u32 s8, 0
	s_addc_u32 s7, s7, s11
	v_readfirstlane_b32 s8, v2
	s_mul_i32 s11, s9, s7
	s_delay_alu instid0(VALU_DEP_1)
	s_mul_hi_u32 s12, s9, s8
	s_mul_i32 s10, s10, s8
	s_add_i32 s11, s12, s11
	s_mul_i32 s9, s9, s8
	s_add_i32 s11, s11, s10
	s_mul_hi_u32 s12, s7, s9
	s_mul_i32 s13, s7, s9
	s_mul_hi_u32 s9, s8, s9
	s_mul_hi_u32 s14, s8, s11
	s_mul_i32 s8, s8, s11
	s_mul_hi_u32 s10, s7, s11
	s_add_u32 s8, s9, s8
	s_addc_u32 s9, 0, s14
	s_add_u32 s8, s8, s13
	s_mul_i32 s11, s7, s11
	s_addc_u32 s8, s9, s12
	s_addc_u32 s9, s10, 0
	s_add_u32 s8, s8, s11
	s_addc_u32 s9, 0, s9
	v_add_co_u32 v2, s8, v2, s8
	s_delay_alu instid0(VALU_DEP_1) | instskip(SKIP_1) | instid1(VALU_DEP_1)
	s_cmp_lg_u32 s8, 0
	s_addc_u32 s7, s7, s9
	v_readfirstlane_b32 s8, v2
	s_mul_i32 s10, s36, s7
	s_mul_hi_u32 s9, s36, s7
	s_mul_hi_u32 s11, s37, s7
	s_mul_i32 s7, s37, s7
	s_mul_hi_u32 s12, s36, s8
	s_mul_hi_u32 s13, s37, s8
	s_mul_i32 s8, s37, s8
	s_add_u32 s10, s12, s10
	s_addc_u32 s9, 0, s9
	s_add_u32 s8, s10, s8
	s_addc_u32 s8, s9, s13
	s_addc_u32 s9, s11, 0
	s_add_u32 s7, s8, s7
	s_addc_u32 s8, 0, s9
	s_mul_hi_u32 s9, s46, s7
	s_mul_i32 s7, s46, s7
	s_mul_i32 s8, s46, s8
	v_sub_co_u32 v2, s7, s36, s7
	s_add_i32 s9, s9, s8
	s_cmp_lg_u32 s7, 0
	s_delay_alu instid0(VALU_DEP_1) | instskip(SKIP_2) | instid1(VALU_DEP_1)
	v_sub_co_u32 v3, s7, v2, s46
	s_subb_u32 s8, s37, s9
	s_cmp_lg_u32 s7, 0
	v_cmp_le_u32_e32 vcc_lo, s46, v3
	v_sub_co_u32 v4, s7, v3, s46
	s_subb_u32 s9, s8, 0
	s_cmp_lg_u32 s7, 0
	v_cndmask_b32_e64 v5, 0, -1, vcc_lo
	s_subb_u32 s7, s9, 0
	s_cmp_eq_u32 s9, 0
	v_mov_b32_e32 v7, s7
	s_cselect_b32 vcc_lo, -1, 0
	s_cmp_eq_u32 s8, 0
	v_cndmask_b32_e32 v5, -1, v5, vcc_lo
	v_cmp_le_u32_e32 vcc_lo, s46, v2
	s_cselect_b32 s7, -1, 0
	v_cndmask_b32_e64 v6, 0, -1, vcc_lo
	s_delay_alu instid0(VALU_DEP_3) | instskip(NEXT) | instid1(VALU_DEP_2)
	v_cmp_ne_u32_e32 vcc_lo, 0, v5
	v_cndmask_b32_e64 v5, -1, v6, s7
	v_cndmask_b32_e32 v6, s9, v7, vcc_lo
	v_cndmask_b32_e32 v4, v3, v4, vcc_lo
	s_delay_alu instid0(VALU_DEP_3) | instskip(NEXT) | instid1(VALU_DEP_3)
	v_cmp_ne_u32_e32 vcc_lo, 0, v5
	v_cndmask_b32_e32 v3, s8, v6, vcc_lo
	s_delay_alu instid0(VALU_DEP_3)
	v_cndmask_b32_e32 v2, v2, v4, vcc_lo
	s_cbranch_execnz .LBB201_68
.LBB201_67:                             ;   in Loop: Header=BB201_31 Depth=1
	v_cvt_f32_u32_e32 v2, s46
	s_sub_i32 s7, 0, s46
	s_delay_alu instid0(VALU_DEP_1) | instskip(SKIP_2) | instid1(VALU_DEP_1)
	v_rcp_iflag_f32_e32 v2, v2
	s_waitcnt_depctr 0xfff
	v_mul_f32_e32 v2, 0x4f7ffffe, v2
	v_cvt_u32_f32_e32 v2, v2
	s_delay_alu instid0(VALU_DEP_1) | instskip(NEXT) | instid1(VALU_DEP_1)
	v_mul_lo_u32 v3, s7, v2
	v_mul_hi_u32 v3, v2, v3
	s_delay_alu instid0(VALU_DEP_1) | instskip(NEXT) | instid1(VALU_DEP_1)
	v_add_nc_u32_e32 v2, v2, v3
	v_mul_hi_u32 v2, s36, v2
	s_delay_alu instid0(VALU_DEP_1) | instskip(NEXT) | instid1(VALU_DEP_1)
	v_mul_lo_u32 v2, v2, s46
	v_sub_nc_u32_e32 v2, s36, v2
	s_delay_alu instid0(VALU_DEP_1) | instskip(SKIP_1) | instid1(VALU_DEP_2)
	v_subrev_nc_u32_e32 v3, s46, v2
	v_cmp_le_u32_e32 vcc_lo, s46, v2
	v_cndmask_b32_e32 v2, v2, v3, vcc_lo
	s_delay_alu instid0(VALU_DEP_1) | instskip(SKIP_1) | instid1(VALU_DEP_2)
	v_subrev_nc_u32_e32 v3, s46, v2
	v_cmp_le_u32_e32 vcc_lo, s46, v2
	v_cndmask_b32_e32 v12, v2, v3, vcc_lo
	s_delay_alu instid0(VALU_DEP_1)
	v_dual_mov_b32 v2, v12 :: v_dual_mov_b32 v3, v13
.LBB201_68:                             ;   in Loop: Header=BB201_31 Depth=1
	s_delay_alu instid0(VALU_DEP_1) | instskip(NEXT) | instid1(VALU_DEP_2)
	v_sub_co_u32 v31, vcc_lo, s36, v2
	v_sub_co_ci_u32_e32 v32, vcc_lo, s37, v3, vcc_lo
	v_mov_b32_e32 v2, 0
	v_mov_b32_e32 v3, 0
	s_mov_b64 s[72:73], 0
	s_mov_b32 s47, exec_lo
	s_delay_alu instid0(VALU_DEP_1)
	v_dual_mov_b32 v5, v3 :: v_dual_mov_b32 v4, v2
	v_dual_mov_b32 v7, v3 :: v_dual_mov_b32 v6, v2
	v_dual_mov_b32 v9, v3 :: v_dual_mov_b32 v8, v2
	v_cmpx_gt_u64_e64 v[31:32], v[14:15]
	s_cbranch_execz .LBB201_72
; %bb.69:                               ;   in Loop: Header=BB201_31 Depth=1
	v_dual_mov_b32 v34, v23 :: v_dual_mov_b32 v33, v22
	v_dual_mov_b32 v36, v21 :: v_dual_mov_b32 v35, v20
	;; [unrolled: 1-line block ×5, first 2 shown]
	s_mul_i32 s7, s69, s26
	s_mul_hi_u32 s8, s68, s26
	s_and_b32 s55, s100, 0xfe
	s_add_i32 s58, s8, s7
	s_mul_i32 s59, s68, s26
	s_mov_b32 s60, 0
	s_mov_b64 s[74:75], 0
	s_mov_b64 s[76:77], 0
	;; [unrolled: 1-line block ×3, first 2 shown]
.LBB201_70:                             ;   Parent Loop BB201_31 Depth=1
                                        ; =>  This Inner Loop Header: Depth=2
	v_add_co_u32 v2, vcc_lo, v33, s48
	v_add_co_ci_u32_e32 v3, vcc_lo, s49, v34, vcc_lo
	global_load_b32 v4, v[2:3], off
	v_add_co_u32 v2, vcc_lo, v35, s48
	v_add_co_ci_u32_e32 v3, vcc_lo, s49, v36, vcc_lo
	global_load_b32 v5, v[2:3], off
	;; [unrolled: 3-line block ×4, first 2 shown]
	s_waitcnt vmcnt(3)
	v_cmp_lt_i32_e32 vcc_lo, -1, v4
	v_cmp_o_f32_e64 s7, v4, v4
	v_cndmask_b32_e64 v3, -1, 0x80000000, vcc_lo
	s_waitcnt vmcnt(2)
	v_cmp_lt_i32_e32 vcc_lo, -1, v5
	v_cmp_o_f32_e64 s8, v5, v5
	s_delay_alu instid0(VALU_DEP_3) | instskip(SKIP_1) | instid1(VALU_DEP_2)
	v_xor_b32_e32 v3, v3, v4
	v_cndmask_b32_e64 v4, -1, 0x80000000, vcc_lo
	v_cndmask_b32_e64 v3, -1, v3, s7
	s_waitcnt vmcnt(1)
	v_cmp_lt_i32_e32 vcc_lo, -1, v6
	v_cmp_o_f32_e64 s9, v6, v6
	v_xor_b32_e32 v4, v4, v5
	v_cndmask_b32_e64 v5, -1, 0x80000000, vcc_lo
	s_delay_alu instid0(VALU_DEP_2)
	v_cndmask_b32_e64 v4, -1, v4, s8
	s_waitcnt vmcnt(0)
	v_cmp_lt_i32_e32 vcc_lo, -1, v2
	v_cmp_o_f32_e64 s10, v2, v2
	v_xor_b32_e32 v5, v5, v6
	v_cndmask_b32_e64 v6, -1, 0x80000000, vcc_lo
	s_delay_alu instid0(VALU_DEP_2) | instskip(NEXT) | instid1(VALU_DEP_2)
	v_cndmask_b32_e64 v5, -1, v5, s9
	v_xor_b32_e32 v2, v6, v2
	v_and_b32_e32 v6, v3, v49
	v_bfe_u32 v3, v3, s55, 2
	s_delay_alu instid0(VALU_DEP_3) | instskip(NEXT) | instid1(VALU_DEP_3)
	v_cndmask_b32_e64 v2, -1, v2, s10
	v_cmp_eq_u32_e32 vcc_lo, v6, v50
	v_and_b32_e32 v6, v4, v49
	s_delay_alu instid0(VALU_DEP_4)
	v_cmp_eq_u32_e64 s10, 0, v3
	v_cmp_eq_u32_e64 s11, 1, v3
	;; [unrolled: 1-line block ×5, first 2 shown]
	v_and_b32_e32 v6, v5, v49
	v_bfe_u32 v3, v4, s55, 2
	s_and_b32 s10, vcc_lo, s10
	s_delay_alu instid0(VALU_DEP_2)
	v_cmp_eq_u32_e64 s8, v6, v50
	v_and_b32_e32 v6, v2, v49
	v_bfe_u32 v2, v2, s55, 2
	v_cmp_eq_u32_e64 s14, 0, v3
	v_cmp_eq_u32_e64 s15, 1, v3
	;; [unrolled: 1-line block ×4, first 2 shown]
	v_bfe_u32 v3, v5, s55, 2
	v_cmp_eq_u32_e64 s22, 0, v2
	v_cmp_eq_u32_e64 s23, 1, v2
	;; [unrolled: 1-line block ×4, first 2 shown]
	v_cndmask_b32_e64 v2, 0, 1, s10
	v_cmp_eq_u32_e64 s18, 0, v3
	s_and_b32 s14, s7, s14
	v_cmp_eq_u32_e64 s9, v6, v50
	v_cmp_eq_u32_e64 s19, 1, v3
	v_cmp_ne_u32_e64 s10, 0, v2
	v_cndmask_b32_e64 v2, 0, 1, s14
	s_and_b32 s18, s8, s18
	s_and_b32 s22, s9, s22
	v_cmp_eq_u32_e64 s20, 2, v3
	s_bcnt1_i32_b32 s10, s10
	v_cmp_ne_u32_e64 s14, 0, v2
	v_cndmask_b32_e64 v2, 0, 1, s18
	v_cmp_eq_u32_e64 s21, 3, v3
	s_delay_alu instid0(VALU_DEP_3) | instskip(NEXT) | instid1(VALU_DEP_2)
	s_bcnt1_i32_b32 s14, s14
	v_cmp_ne_u32_e64 s18, 0, v2
	v_cndmask_b32_e64 v2, 0, 1, s22
	s_add_i32 s10, s14, s10
	s_delay_alu instid0(VALU_DEP_2) | instskip(NEXT) | instid1(VALU_DEP_1)
	s_bcnt1_i32_b32 s18, s18
	v_cmp_ne_u32_e64 s22, 0, v2
	s_add_i32 s10, s10, s18
	s_delay_alu instid0(VALU_DEP_1) | instskip(NEXT) | instid1(SALU_CYCLE_1)
	s_bcnt1_i32_b32 s22, s22
	s_add_i32 s10, s10, s22
	s_delay_alu instid0(SALU_CYCLE_1)
	s_add_u32 s78, s78, s10
	s_addc_u32 s79, s79, 0
	s_and_b32 s10, vcc_lo, s11
	s_and_b32 s11, s7, s15
	v_cndmask_b32_e64 v2, 0, 1, s10
	s_and_b32 s14, s8, s19
	s_and_b32 s15, s9, s23
	s_delay_alu instid0(VALU_DEP_1) | instskip(SKIP_1) | instid1(VALU_DEP_2)
	v_cmp_ne_u32_e64 s10, 0, v2
	v_cndmask_b32_e64 v2, 0, 1, s11
	s_bcnt1_i32_b32 s10, s10
	s_delay_alu instid0(VALU_DEP_1) | instskip(SKIP_1) | instid1(VALU_DEP_2)
	v_cmp_ne_u32_e64 s11, 0, v2
	v_cndmask_b32_e64 v2, 0, 1, s14
	s_bcnt1_i32_b32 s11, s11
	s_delay_alu instid0(VALU_DEP_1) | instskip(SKIP_2) | instid1(VALU_DEP_2)
	v_cmp_ne_u32_e64 s14, 0, v2
	v_cndmask_b32_e64 v2, 0, 1, s15
	s_add_i32 s10, s11, s10
	s_bcnt1_i32_b32 s14, s14
	s_delay_alu instid0(VALU_DEP_1) | instskip(SKIP_1) | instid1(VALU_DEP_1)
	v_cmp_ne_u32_e64 s15, 0, v2
	s_add_i32 s10, s10, s14
	s_bcnt1_i32_b32 s15, s15
	s_delay_alu instid0(SALU_CYCLE_1) | instskip(NEXT) | instid1(SALU_CYCLE_1)
	s_add_i32 s10, s10, s15
	s_add_u32 s76, s76, s10
	s_addc_u32 s77, s77, 0
	s_and_b32 s10, vcc_lo, s12
	s_and_b32 s11, s7, s16
	v_cndmask_b32_e64 v2, 0, 1, s10
	s_and_b32 s12, s8, s20
	s_and_b32 s14, s9, s24
	v_dual_mov_b32 v4, s76 :: v_dual_mov_b32 v5, s77
	s_delay_alu instid0(VALU_DEP_2) | instskip(SKIP_1) | instid1(VALU_DEP_2)
	v_cmp_ne_u32_e64 s10, 0, v2
	v_cndmask_b32_e64 v2, 0, 1, s11
	s_bcnt1_i32_b32 s10, s10
	s_delay_alu instid0(VALU_DEP_1) | instskip(SKIP_1) | instid1(VALU_DEP_2)
	v_cmp_ne_u32_e64 s11, 0, v2
	v_cndmask_b32_e64 v2, 0, 1, s12
	s_bcnt1_i32_b32 s11, s11
	s_delay_alu instid0(VALU_DEP_1) | instskip(SKIP_3) | instid1(VALU_DEP_3)
	v_cmp_ne_u32_e64 s12, 0, v2
	v_cndmask_b32_e64 v2, 0, 1, s14
	s_add_i32 s10, s11, s10
	v_add_co_u32 v39, s11, v39, s59
	s_bcnt1_i32_b32 s12, s12
	s_delay_alu instid0(VALU_DEP_2) | instskip(SKIP_2) | instid1(VALU_DEP_2)
	v_cmp_ne_u32_e64 s14, 0, v2
	s_add_i32 s10, s10, s12
	v_add_co_u32 v37, s12, v37, s59
	s_bcnt1_i32_b32 s14, s14
	s_delay_alu instid0(SALU_CYCLE_1)
	s_add_i32 s10, s10, s14
	v_add_co_u32 v33, s14, v33, s59
	s_add_u32 s74, s74, s10
	s_addc_u32 s75, s75, 0
	s_and_b32 s10, vcc_lo, s13
	s_and_b32 s7, s7, s17
	v_cndmask_b32_e64 v2, 0, 1, s10
	s_and_b32 s8, s8, s21
	s_and_b32 s9, s9, s25
	v_add_co_u32 v41, s10, v41, s46
	s_delay_alu instid0(VALU_DEP_2) | instskip(SKIP_3) | instid1(VALU_DEP_3)
	v_cmp_ne_u32_e32 vcc_lo, 0, v2
	v_cndmask_b32_e64 v2, 0, 1, s7
	v_add_co_ci_u32_e64 v42, s10, 0, v42, s10
	v_add_co_ci_u32_e64 v40, s10, s58, v40, s11
	v_cmp_ne_u32_e64 s7, 0, v2
	v_cndmask_b32_e64 v2, 0, 1, s8
	s_bcnt1_i32_b32 s11, vcc_lo
	v_add_co_u32 v35, s13, v35, s59
	s_delay_alu instid0(VALU_DEP_3) | instskip(NEXT) | instid1(VALU_DEP_2)
	s_bcnt1_i32_b32 s7, s7
	v_cmp_ne_u32_e64 s8, 0, v2
	v_cndmask_b32_e64 v2, 0, 1, s9
	s_add_i32 s7, s7, s11
	v_add_co_ci_u32_e64 v38, s10, s58, v38, s12
	s_delay_alu instid0(VALU_DEP_3) | instskip(NEXT) | instid1(VALU_DEP_2)
	s_bcnt1_i32_b32 s8, s8
	v_cmp_ne_u32_e64 s9, 0, v2
	s_add_i32 s7, s7, s8
	v_add_co_ci_u32_e64 v36, s10, s58, v36, s13
	v_add_co_ci_u32_e64 v34, s10, s58, v34, s14
	s_delay_alu instid0(VALU_DEP_3)
	s_bcnt1_i32_b32 s9, s9
	v_cmp_ge_u64_e64 s10, v[41:42], v[31:32]
	s_add_i32 s7, s7, s9
	v_mov_b32_e32 v2, s78
	s_add_u32 s72, s72, s7
	s_addc_u32 s73, s73, 0
	v_mov_b32_e32 v6, s74
	v_dual_mov_b32 v8, s72 :: v_dual_mov_b32 v9, s73
	v_mov_b32_e32 v3, s79
	v_mov_b32_e32 v7, s75
	s_or_b32 s60, s10, s60
	s_delay_alu instid0(SALU_CYCLE_1)
	s_and_not1_b32 exec_lo, exec_lo, s60
	s_cbranch_execnz .LBB201_70
; %bb.71:                               ;   in Loop: Header=BB201_31 Depth=1
	s_or_b32 exec_lo, exec_lo, s60
.LBB201_72:                             ;   in Loop: Header=BB201_31 Depth=1
	s_delay_alu instid0(SALU_CYCLE_1) | instskip(SKIP_3) | instid1(VALU_DEP_2)
	s_or_b32 exec_lo, exec_lo, s47
	v_add_co_u32 v31, vcc_lo, v31, v0
	v_add_co_ci_u32_e32 v32, vcc_lo, 0, v32, vcc_lo
	v_mov_b32_e32 v27, 0
	v_cmp_gt_u64_e32 vcc_lo, s[36:37], v[31:32]
	s_and_saveexec_b32 s8, vcc_lo
	s_cbranch_execz .LBB201_74
; %bb.73:                               ;   in Loop: Header=BB201_31 Depth=1
	v_mul_lo_u32 v12, v32, s30
	v_mul_lo_u32 v27, v31, s31
	v_mad_u64_u32 v[33:34], null, v31, s30, 0
	s_delay_alu instid0(VALU_DEP_1) | instskip(NEXT) | instid1(VALU_DEP_1)
	v_add3_u32 v34, v34, v27, v12
	v_lshlrev_b64 v[33:34], 2, v[33:34]
	s_delay_alu instid0(VALU_DEP_1) | instskip(NEXT) | instid1(VALU_DEP_1)
	v_add_co_u32 v33, s7, s80, v33
	v_add_co_ci_u32_e64 v34, s7, s81, v34, s7
	global_load_b32 v27, v[33:34], off
.LBB201_74:                             ;   in Loop: Header=BB201_31 Depth=1
	s_or_b32 exec_lo, exec_lo, s8
	s_and_saveexec_b32 s11, vcc_lo
	s_cbranch_execz .LBB201_81
; %bb.75:                               ;   in Loop: Header=BB201_31 Depth=1
	s_and_b32 s13, s100, 0xfe
	s_mov_b32 s12, 0
	s_branch .LBB201_77
.LBB201_76:                             ;   in Loop: Header=BB201_77 Depth=2
	s_or_b32 exec_lo, exec_lo, s8
	s_waitcnt vmcnt(0)
	v_cmp_lt_i32_e64 s7, -1, v27
	s_and_b32 s8, exec_lo, vcc_lo
	s_delay_alu instid0(SALU_CYCLE_1) | instskip(NEXT) | instid1(VALU_DEP_1)
	s_or_b32 s12, s8, s12
	v_cndmask_b32_e64 v33, -1, 0x80000000, s7
	v_cmp_o_f32_e64 s7, v27, v27
	s_delay_alu instid0(VALU_DEP_2) | instskip(NEXT) | instid1(VALU_DEP_1)
	v_xor_b32_e32 v33, v33, v27
	v_cndmask_b32_e64 v27, -1, v33, s7
	s_delay_alu instid0(VALU_DEP_1) | instskip(SKIP_1) | instid1(VALU_DEP_2)
	v_and_b32_e32 v33, v27, v49
	v_bfe_u32 v27, v27, s13, 2
	v_cmp_eq_u32_e32 vcc_lo, v33, v50
	s_delay_alu instid0(VALU_DEP_2) | instskip(SKIP_3) | instid1(VALU_DEP_4)
	v_cmp_eq_u32_e64 s7, 0, v27
	v_cmp_eq_u32_e64 s8, 1, v27
	v_cmp_eq_u32_e64 s9, 2, v27
	v_cmp_eq_u32_e64 s10, 3, v27
	s_and_b32 s7, vcc_lo, s7
	s_delay_alu instid0(SALU_CYCLE_1) | instskip(SKIP_1) | instid1(SALU_CYCLE_1)
	v_cndmask_b32_e64 v27, 0, 1, s7
	s_and_b32 s7, vcc_lo, s8
	v_cndmask_b32_e64 v33, 0, 1, s7
	s_and_b32 s7, vcc_lo, s9
	s_delay_alu instid0(SALU_CYCLE_1)
	v_cndmask_b32_e64 v34, 0, 1, s7
	s_and_b32 s7, vcc_lo, s10
	v_cmp_ne_u32_e32 vcc_lo, 0, v27
	v_cndmask_b32_e64 v35, 0, 1, s7
	v_cmp_ne_u32_e64 s7, 0, v33
	v_cmp_ne_u32_e64 s8, 0, v34
	v_mov_b32_e32 v27, v12
	s_bcnt1_i32_b32 s10, vcc_lo
	v_cmp_ne_u32_e64 s9, 0, v35
	v_add_co_u32 v2, vcc_lo, v2, s10
	s_bcnt1_i32_b32 s7, s7
	v_add_co_ci_u32_e32 v3, vcc_lo, 0, v3, vcc_lo
	v_add_co_u32 v4, vcc_lo, v4, s7
	s_bcnt1_i32_b32 s8, s8
	v_add_co_ci_u32_e32 v5, vcc_lo, 0, v5, vcc_lo
	;; [unrolled: 3-line block ×3, first 2 shown]
	v_add_co_u32 v8, vcc_lo, v8, s7
	v_add_co_ci_u32_e32 v9, vcc_lo, 0, v9, vcc_lo
	s_and_not1_b32 exec_lo, exec_lo, s12
	s_cbranch_execz .LBB201_80
.LBB201_77:                             ;   Parent Loop BB201_31 Depth=1
                                        ; =>  This Inner Loop Header: Depth=2
	v_add_co_u32 v31, vcc_lo, v31, s26
	v_add_co_ci_u32_e32 v32, vcc_lo, 0, v32, vcc_lo
	v_mov_b32_e32 v12, 0
	s_mov_b32 s8, exec_lo
	s_delay_alu instid0(VALU_DEP_2)
	v_cmp_le_u64_e32 vcc_lo, s[36:37], v[31:32]
	v_cmpx_gt_u64_e64 s[36:37], v[31:32]
	s_cbranch_execz .LBB201_76
; %bb.78:                               ;   in Loop: Header=BB201_77 Depth=2
	v_mul_lo_u32 v12, v32, s30
	v_mul_lo_u32 v35, v31, s31
	v_mad_u64_u32 v[33:34], null, v31, s30, 0
	s_delay_alu instid0(VALU_DEP_1) | instskip(NEXT) | instid1(VALU_DEP_1)
	v_add3_u32 v34, v34, v35, v12
	v_lshlrev_b64 v[33:34], 2, v[33:34]
	s_delay_alu instid0(VALU_DEP_1) | instskip(NEXT) | instid1(VALU_DEP_1)
	v_add_co_u32 v33, s7, s80, v33
	v_add_co_ci_u32_e64 v34, s7, s81, v34, s7
	global_load_b32 v12, v[33:34], off
	s_branch .LBB201_76
.LBB201_79:                             ;   in Loop: Header=BB201_31 Depth=1
                                        ; implicit-def: $vgpr8_vgpr9
                                        ; implicit-def: $vgpr4_vgpr5
	s_cbranch_execnz .LBB201_82
	s_branch .LBB201_91
.LBB201_80:                             ;   in Loop: Header=BB201_31 Depth=1
	s_or_b32 exec_lo, exec_lo, s12
.LBB201_81:                             ;   in Loop: Header=BB201_31 Depth=1
	s_delay_alu instid0(SALU_CYCLE_1)
	s_or_b32 exec_lo, exec_lo, s11
	s_branch .LBB201_91
.LBB201_82:                             ;   in Loop: Header=BB201_31 Depth=1
	global_load_u16 v8, v13, s[62:63]
	s_mov_b64 s[72:73], 0
	s_mov_b32 s47, exec_lo
	s_waitcnt vmcnt(0)
	v_readfirstlane_b32 s7, v8
	v_and_b32_e32 v27, 0xffff, v8
	s_delay_alu instid0(VALU_DEP_2) | instskip(NEXT) | instid1(SALU_CYCLE_1)
	s_and_b32 s7, 0xffff, s7
	s_lshl_b32 s46, s7, 2
	s_delay_alu instid0(SALU_CYCLE_1) | instskip(SKIP_1) | instid1(VALU_DEP_1)
	v_cvt_f32_u32_e32 v2, s46
	s_sub_i32 s8, 0, s46
	v_rcp_iflag_f32_e32 v2, v2
	s_waitcnt_depctr 0xfff
	v_mul_f32_e32 v2, 0x4f7ffffe, v2
	s_delay_alu instid0(VALU_DEP_1) | instskip(NEXT) | instid1(VALU_DEP_1)
	v_cvt_u32_f32_e32 v2, v2
	v_readfirstlane_b32 s7, v2
	v_mov_b32_e32 v2, 0
	v_mov_b32_e32 v3, 0
	s_delay_alu instid0(VALU_DEP_3) | instskip(NEXT) | instid1(VALU_DEP_1)
	s_mul_i32 s8, s8, s7
	v_dual_mov_b32 v5, v3 :: v_dual_mov_b32 v4, v2
	s_mul_hi_u32 s8, s7, s8
	v_dual_mov_b32 v7, v3 :: v_dual_mov_b32 v6, v2
	s_add_i32 s7, s7, s8
	v_dual_mov_b32 v9, v3 :: v_dual_mov_b32 v8, v2
	s_mul_hi_u32 s7, s70, s7
	s_delay_alu instid0(SALU_CYCLE_1) | instskip(NEXT) | instid1(SALU_CYCLE_1)
	s_mul_i32 s7, s7, s46
	s_sub_i32 s7, s70, s7
	s_delay_alu instid0(SALU_CYCLE_1) | instskip(SKIP_2) | instid1(SALU_CYCLE_1)
	s_sub_i32 s8, s7, s46
	s_cmp_ge_u32 s7, s46
	s_cselect_b32 s7, s8, s7
	s_sub_i32 s8, s7, s46
	s_cmp_ge_u32 s7, s46
	s_cselect_b32 s7, s8, s7
	s_delay_alu instid0(SALU_CYCLE_1) | instskip(NEXT) | instid1(SALU_CYCLE_1)
	s_sub_i32 s60, s70, s7
	v_cmpx_gt_u32_e64 s60, v14
	s_cbranch_execz .LBB201_86
; %bb.83:                               ;   in Loop: Header=BB201_31 Depth=1
	v_dual_mov_b32 v33, v47 :: v_dual_lshlrev_b32 v12, 4, v27
	v_dual_mov_b32 v32, v15 :: v_dual_mov_b32 v31, v14
	s_and_b32 s55, s100, 0xfe
	s_mov_b32 s58, 0
	s_mov_b64 s[74:75], 0
	s_mov_b64 s[76:77], 0
	;; [unrolled: 1-line block ×3, first 2 shown]
.LBB201_84:                             ;   Parent Loop BB201_31 Depth=1
                                        ; =>  This Inner Loop Header: Depth=2
	ds_load_b128 v[2:5], v33
	s_waitcnt lgkmcnt(0)
	v_cmp_lt_i32_e32 vcc_lo, -1, v2
	v_cmp_lt_i32_e64 s7, -1, v3
	v_cmp_lt_i32_e64 s8, -1, v4
	v_cmp_lt_i32_e64 s9, -1, v5
	v_cmp_o_f32_e64 s13, v2, v2
	v_cndmask_b32_e64 v6, -1, 0x80000000, vcc_lo
	v_cndmask_b32_e64 v7, -1, 0x80000000, s7
	v_cndmask_b32_e64 v8, -1, 0x80000000, s8
	v_cmp_o_f32_e64 s10, v3, v3
	v_cmp_o_f32_e64 s11, v4, v4
	v_xor_b32_e32 v2, v6, v2
	v_cndmask_b32_e64 v6, -1, 0x80000000, s9
	v_xor_b32_e32 v3, v7, v3
	v_xor_b32_e32 v4, v8, v4
	v_cmp_o_f32_e64 s12, v5, v5
	v_cndmask_b32_e64 v2, -1, v2, s13
	v_xor_b32_e32 v5, v6, v5
	v_cndmask_b32_e64 v3, -1, v3, s10
	v_cndmask_b32_e64 v4, -1, v4, s11
	v_add_co_u32 v31, vcc_lo, v31, s46
	s_delay_alu instid0(VALU_DEP_4)
	v_cndmask_b32_e64 v5, -1, v5, s12
	v_and_b32_e32 v6, v2, v49
	v_and_b32_e32 v7, v3, v49
	v_bfe_u32 v2, v2, s55, 2
	v_bfe_u32 v3, v3, s55, 2
	v_and_b32_e32 v8, v4, v49
	v_bfe_u32 v4, v4, s55, 2
	v_cmp_eq_u32_e64 s7, v6, v50
	v_and_b32_e32 v6, v5, v49
	v_bfe_u32 v5, v5, s55, 2
	v_cmp_eq_u32_e64 s8, v7, v50
	v_cmp_eq_u32_e64 s11, 0, v2
	;; [unrolled: 1-line block ×7, first 2 shown]
	s_and_b32 s11, s7, s11
	s_and_b32 s12, s8, s12
	v_cmp_eq_u32_e64 s15, 1, v2
	v_cmp_eq_u32_e64 s16, 1, v3
	;; [unrolled: 1-line block ×6, first 2 shown]
	s_and_b32 s13, s9, s13
	v_cndmask_b32_e64 v2, 0, 1, s11
	v_cndmask_b32_e64 v3, 0, 1, s12
	v_cmp_eq_u32_e64 s17, 1, v4
	v_cmp_eq_u32_e64 s21, 2, v4
	;; [unrolled: 1-line block ×3, first 2 shown]
	s_and_b32 s14, s10, s14
	v_cndmask_b32_e64 v4, 0, 1, s13
	v_cmp_eq_u32_e64 s18, 1, v5
	v_cmp_eq_u32_e64 s22, 2, v5
	;; [unrolled: 1-line block ×3, first 2 shown]
	v_cndmask_b32_e64 v5, 0, 1, s14
	v_cmp_ne_u32_e64 s11, 0, v2
	v_cmp_ne_u32_e64 s12, 0, v3
	;; [unrolled: 1-line block ×3, first 2 shown]
	v_add_co_ci_u32_e32 v32, vcc_lo, 0, v32, vcc_lo
	v_cmp_ne_u32_e64 s14, 0, v5
	s_bcnt1_i32_b32 s11, s11
	s_bcnt1_i32_b32 s12, s12
	;; [unrolled: 1-line block ×3, first 2 shown]
	s_add_i32 s11, s12, s11
	s_bcnt1_i32_b32 s14, s14
	s_add_i32 s11, s11, s13
	v_cmp_le_u64_e32 vcc_lo, s[60:61], v[31:32]
	s_add_i32 s11, s11, s14
	s_delay_alu instid0(SALU_CYCLE_1)
	s_add_u32 s78, s78, s11
	s_addc_u32 s79, s79, 0
	s_and_b32 s11, s7, s15
	s_and_b32 s12, s8, s16
	;; [unrolled: 1-line block ×3, first 2 shown]
	v_cndmask_b32_e64 v2, 0, 1, s11
	v_cndmask_b32_e64 v3, 0, 1, s12
	s_and_b32 s14, s10, s18
	v_cndmask_b32_e64 v4, 0, 1, s13
	v_cndmask_b32_e64 v5, 0, 1, s14
	v_cmp_ne_u32_e64 s11, 0, v2
	v_cmp_ne_u32_e64 s12, 0, v3
	v_add_nc_u32_e32 v33, v33, v12
	v_cmp_ne_u32_e64 s13, 0, v4
	v_cmp_ne_u32_e64 s14, 0, v5
	s_bcnt1_i32_b32 s11, s11
	s_bcnt1_i32_b32 s12, s12
	s_delay_alu instid0(VALU_DEP_2) | instskip(SKIP_3) | instid1(SALU_CYCLE_1)
	s_bcnt1_i32_b32 s13, s13
	s_add_i32 s11, s12, s11
	s_bcnt1_i32_b32 s14, s14
	s_add_i32 s11, s11, s13
	s_add_i32 s11, s11, s14
	s_delay_alu instid0(SALU_CYCLE_1)
	s_add_u32 s76, s76, s11
	s_addc_u32 s77, s77, 0
	s_and_b32 s11, s7, s19
	s_and_b32 s12, s8, s20
	;; [unrolled: 1-line block ×3, first 2 shown]
	v_cndmask_b32_e64 v2, 0, 1, s11
	v_cndmask_b32_e64 v3, 0, 1, s12
	s_and_b32 s14, s10, s22
	v_cndmask_b32_e64 v4, 0, 1, s13
	v_cndmask_b32_e64 v5, 0, 1, s14
	v_cmp_ne_u32_e64 s11, 0, v2
	v_cmp_ne_u32_e64 s12, 0, v3
	s_delay_alu instid0(VALU_DEP_4) | instskip(NEXT) | instid1(VALU_DEP_4)
	v_cmp_ne_u32_e64 s13, 0, v4
	v_cmp_ne_u32_e64 s14, 0, v5
	s_delay_alu instid0(VALU_DEP_4) | instskip(NEXT) | instid1(VALU_DEP_3)
	s_bcnt1_i32_b32 s11, s11
	s_bcnt1_i32_b32 s12, s12
	s_delay_alu instid0(VALU_DEP_2) | instskip(SKIP_3) | instid1(SALU_CYCLE_1)
	s_bcnt1_i32_b32 s13, s13
	s_add_i32 s11, s12, s11
	s_bcnt1_i32_b32 s14, s14
	s_add_i32 s11, s11, s13
	s_add_i32 s11, s11, s14
	s_delay_alu instid0(SALU_CYCLE_1)
	s_add_u32 s74, s74, s11
	s_addc_u32 s75, s75, 0
	s_and_b32 s7, s7, s23
	s_and_b32 s8, s8, s24
	;; [unrolled: 1-line block ×3, first 2 shown]
	v_cndmask_b32_e64 v2, 0, 1, s7
	v_cndmask_b32_e64 v3, 0, 1, s8
	s_and_b32 s10, s10, s26
	v_cndmask_b32_e64 v4, 0, 1, s9
	v_cndmask_b32_e64 v5, 0, 1, s10
	v_cmp_ne_u32_e64 s7, 0, v2
	v_cmp_ne_u32_e64 s8, 0, v3
	v_mov_b32_e32 v2, s78
	v_cmp_ne_u32_e64 s9, 0, v4
	v_cmp_ne_u32_e64 s10, 0, v5
	s_bcnt1_i32_b32 s7, s7
	s_bcnt1_i32_b32 s8, s8
	v_mov_b32_e32 v4, s76
	s_bcnt1_i32_b32 s9, s9
	s_add_i32 s7, s8, s7
	s_bcnt1_i32_b32 s8, s10
	s_add_i32 s7, s7, s9
	v_mov_b32_e32 v3, s79
	s_add_i32 s7, s7, s8
	v_mov_b32_e32 v5, s77
	s_add_u32 s72, s72, s7
	s_addc_u32 s73, s73, 0
	v_mov_b32_e32 v6, s74
	v_dual_mov_b32 v8, s72 :: v_dual_mov_b32 v9, s73
	v_mov_b32_e32 v7, s75
	s_or_b32 s58, vcc_lo, s58
	s_delay_alu instid0(SALU_CYCLE_1)
	s_and_not1_b32 exec_lo, exec_lo, s58
	s_cbranch_execnz .LBB201_84
; %bb.85:                               ;   in Loop: Header=BB201_31 Depth=1
	s_or_b32 exec_lo, exec_lo, s58
.LBB201_86:                             ;   in Loop: Header=BB201_31 Depth=1
	s_delay_alu instid0(SALU_CYCLE_1) | instskip(SKIP_2) | instid1(VALU_DEP_1)
	s_or_b32 exec_lo, exec_lo, s47
	v_add_nc_u32_e32 v12, s60, v0
	s_mov_b32 s14, exec_lo
	v_cmpx_gt_u32_e64 s70, v12
	s_cbranch_execz .LBB201_90
; %bb.87:                               ;   in Loop: Header=BB201_31 Depth=1
	v_dual_mov_b32 v32, v13 :: v_dual_lshlrev_b32 v33, 2, v12
	v_mov_b32_e32 v31, v12
	s_mov_b32 s13, 0
	s_and_b32 s12, s70, 0x7fffffff
	s_and_b32 s16, s100, 0xfe
	s_mov_b32 s15, s13
.LBB201_88:                             ;   Parent Loop BB201_31 Depth=1
                                        ; =>  This Inner Loop Header: Depth=2
	ds_load_b32 v12, v33
	v_add_co_u32 v31, vcc_lo, v31, v27
	v_add_co_ci_u32_e32 v32, vcc_lo, 0, v32, vcc_lo
	v_add_nc_u32_e32 v33, s46, v33
	s_delay_alu instid0(VALU_DEP_2) | instskip(SKIP_2) | instid1(VALU_DEP_1)
	v_cmp_le_u64_e32 vcc_lo, s[12:13], v[31:32]
	s_waitcnt lgkmcnt(0)
	v_cmp_lt_i32_e64 s7, -1, v12
	v_cndmask_b32_e64 v34, -1, 0x80000000, s7
	v_cmp_o_f32_e64 s7, v12, v12
	s_delay_alu instid0(VALU_DEP_2) | instskip(NEXT) | instid1(VALU_DEP_1)
	v_xor_b32_e32 v34, v34, v12
	v_cndmask_b32_e64 v12, -1, v34, s7
	s_delay_alu instid0(VALU_DEP_1) | instskip(SKIP_1) | instid1(VALU_DEP_2)
	v_and_b32_e32 v34, v12, v49
	v_bfe_u32 v12, v12, s16, 2
	v_cmp_eq_u32_e64 s7, v34, v50
	s_delay_alu instid0(VALU_DEP_2) | instskip(SKIP_3) | instid1(VALU_DEP_4)
	v_cmp_eq_u32_e64 s8, 0, v12
	v_cmp_eq_u32_e64 s9, 1, v12
	;; [unrolled: 1-line block ×4, first 2 shown]
	s_and_b32 s8, s7, s8
	s_delay_alu instid0(SALU_CYCLE_1) | instskip(SKIP_1) | instid1(SALU_CYCLE_1)
	v_cndmask_b32_e64 v12, 0, 1, s8
	s_and_b32 s8, s7, s9
	v_cndmask_b32_e64 v34, 0, 1, s8
	s_and_b32 s8, s7, s10
	s_and_b32 s7, s7, s11
	v_cndmask_b32_e64 v35, 0, 1, s8
	v_cndmask_b32_e64 v36, 0, 1, s7
	v_cmp_ne_u32_e64 s7, 0, v12
	v_cmp_ne_u32_e64 s8, 0, v34
	s_delay_alu instid0(VALU_DEP_4) | instskip(NEXT) | instid1(VALU_DEP_4)
	v_cmp_ne_u32_e64 s9, 0, v35
	v_cmp_ne_u32_e64 s10, 0, v36
	s_delay_alu instid0(VALU_DEP_4) | instskip(NEXT) | instid1(VALU_DEP_3)
	s_bcnt1_i32_b32 s7, s7
	s_bcnt1_i32_b32 s8, s8
	v_add_co_u32 v2, s7, v2, s7
	s_delay_alu instid0(VALU_DEP_1)
	v_add_co_ci_u32_e64 v3, s7, 0, v3, s7
	v_add_co_u32 v4, s7, v4, s8
	s_bcnt1_i32_b32 s9, s9
	v_add_co_ci_u32_e64 v5, s7, 0, v5, s7
	v_add_co_u32 v6, s7, v6, s9
	s_bcnt1_i32_b32 s10, s10
	v_add_co_ci_u32_e64 v7, s7, 0, v7, s7
	v_add_co_u32 v8, s7, v8, s10
	s_delay_alu instid0(VALU_DEP_1) | instskip(SKIP_1) | instid1(SALU_CYCLE_1)
	v_add_co_ci_u32_e64 v9, s7, 0, v9, s7
	s_or_b32 s15, vcc_lo, s15
	s_and_not1_b32 exec_lo, exec_lo, s15
	s_cbranch_execnz .LBB201_88
; %bb.89:                               ;   in Loop: Header=BB201_31 Depth=1
	s_or_b32 exec_lo, exec_lo, s15
.LBB201_90:                             ;   in Loop: Header=BB201_31 Depth=1
	s_delay_alu instid0(SALU_CYCLE_1)
	s_or_b32 exec_lo, exec_lo, s14
.LBB201_91:                             ;   in Loop: Header=BB201_31 Depth=1
	s_lshl_b32 s7, s96, 7
	s_and_saveexec_b32 s8, s2
	s_cbranch_execz .LBB201_93
; %bb.92:                               ;   in Loop: Header=BB201_31 Depth=1
	v_or_b32_e32 v12, s7, v45
	s_delay_alu instid0(VALU_DEP_1)
	v_lshlrev_b32_e32 v12, 3, v12
	ds_store_b128 v12, v[2:5] offset:3072
	ds_store_b128 v12, v[6:9] offset:3088
.LBB201_93:                             ;   in Loop: Header=BB201_31 Depth=1
	s_or_b32 exec_lo, exec_lo, s8
	s_waitcnt vmcnt(0) lgkmcnt(0)
	s_barrier
	buffer_gl0_inv
	s_and_saveexec_b32 s8, s83
	s_cbranch_execz .LBB201_104
; %bb.94:                               ;   in Loop: Header=BB201_31 Depth=1
	v_mov_b32_e32 v2, 0
	v_mov_b32_e32 v3, 0
	s_and_not1_b32 vcc_lo, exec_lo, s91
	s_cbranch_vccnz .LBB201_103
; %bb.95:                               ;   in Loop: Header=BB201_31 Depth=1
	v_mov_b32_e32 v2, 0
	v_mov_b32_e32 v3, 0
	s_and_not1_b32 vcc_lo, exec_lo, s89
	s_cbranch_vccnz .LBB201_100
; %bb.96:                               ;   in Loop: Header=BB201_31 Depth=1
	v_lshl_add_u32 v4, s96, 10, v48
	s_mov_b32 s9, 0
	s_set_inst_prefetch_distance 0x1
	.p2align	6
.LBB201_97:                             ;   Parent Loop BB201_31 Depth=1
                                        ; =>  This Inner Loop Header: Depth=2
	ds_load_2addr_b64 v[5:8], v4 offset1:4
	ds_load_2addr_b64 v[31:34], v4 offset0:8 offset1:12
	ds_load_2addr_b64 v[35:38], v4 offset0:16 offset1:20
	s_add_i32 s9, s9, 8
	s_delay_alu instid0(SALU_CYCLE_1) | instskip(SKIP_3) | instid1(VALU_DEP_2)
	s_cmp_eq_u32 s90, s9
	s_waitcnt lgkmcnt(2)
	v_add_co_u32 v2, vcc_lo, v5, v2
	v_add_co_ci_u32_e32 v3, vcc_lo, v6, v3, vcc_lo
	v_add_co_u32 v2, vcc_lo, v7, v2
	s_delay_alu instid0(VALU_DEP_2)
	v_add_co_ci_u32_e32 v3, vcc_lo, v8, v3, vcc_lo
	ds_load_2addr_b64 v[5:8], v4 offset0:24 offset1:28
	s_waitcnt lgkmcnt(2)
	v_add_co_u32 v2, vcc_lo, v31, v2
	v_add_co_ci_u32_e32 v3, vcc_lo, v32, v3, vcc_lo
	v_add_nc_u32_e32 v4, 0x100, v4
	s_delay_alu instid0(VALU_DEP_3) | instskip(NEXT) | instid1(VALU_DEP_3)
	v_add_co_u32 v2, vcc_lo, v33, v2
	v_add_co_ci_u32_e32 v3, vcc_lo, v34, v3, vcc_lo
	s_waitcnt lgkmcnt(1)
	s_delay_alu instid0(VALU_DEP_2) | instskip(NEXT) | instid1(VALU_DEP_2)
	v_add_co_u32 v2, vcc_lo, v35, v2
	v_add_co_ci_u32_e32 v3, vcc_lo, v36, v3, vcc_lo
	s_delay_alu instid0(VALU_DEP_2) | instskip(NEXT) | instid1(VALU_DEP_2)
	v_add_co_u32 v2, vcc_lo, v37, v2
	v_add_co_ci_u32_e32 v3, vcc_lo, v38, v3, vcc_lo
	s_waitcnt lgkmcnt(0)
	s_delay_alu instid0(VALU_DEP_2) | instskip(NEXT) | instid1(VALU_DEP_2)
	v_add_co_u32 v2, vcc_lo, v5, v2
	v_add_co_ci_u32_e32 v3, vcc_lo, v6, v3, vcc_lo
	s_delay_alu instid0(VALU_DEP_2) | instskip(NEXT) | instid1(VALU_DEP_2)
	v_add_co_u32 v2, vcc_lo, v7, v2
	v_add_co_ci_u32_e32 v3, vcc_lo, v8, v3, vcc_lo
	s_cbranch_scc0 .LBB201_97
; %bb.98:                               ;   in Loop: Header=BB201_31 Depth=1
	s_set_inst_prefetch_distance 0x2
	s_mov_b32 s9, s90
	s_and_not1_b32 vcc_lo, exec_lo, s92
	s_cbranch_vccz .LBB201_101
	s_branch .LBB201_103
.LBB201_99:                             ;   in Loop: Header=BB201_31 Depth=1
                                        ; implicit-def: $vgpr2_vgpr3
	s_branch .LBB201_67
.LBB201_100:                            ;   in Loop: Header=BB201_31 Depth=1
	s_mov_b32 s9, 0
	s_and_not1_b32 vcc_lo, exec_lo, s92
	s_cbranch_vccnz .LBB201_103
.LBB201_101:                            ;   in Loop: Header=BB201_31 Depth=1
	s_lshl_b32 s10, s96, 10
	s_lshl_b32 s9, s9, 5
	s_delay_alu instid0(SALU_CYCLE_1)
	v_add3_u32 v4, s10, s9, v48
	s_mov_b32 s9, s88
.LBB201_102:                            ;   Parent Loop BB201_31 Depth=1
                                        ; =>  This Inner Loop Header: Depth=2
	ds_load_b64 v[5:6], v4
	v_add_nc_u32_e32 v4, 32, v4
	s_add_i32 s9, s9, -1
	s_delay_alu instid0(SALU_CYCLE_1)
	s_cmp_lg_u32 s9, 0
	s_waitcnt lgkmcnt(0)
	v_add_co_u32 v2, vcc_lo, v5, v2
	v_add_co_ci_u32_e32 v3, vcc_lo, v6, v3, vcc_lo
	s_cbranch_scc1 .LBB201_102
.LBB201_103:                            ;   in Loop: Header=BB201_31 Depth=1
	v_add_lshl_u32 v4, s7, v44, 3
	ds_store_b64 v4, v[2:3] offset:3072
.LBB201_104:                            ;   in Loop: Header=BB201_31 Depth=1
	s_or_b32 exec_lo, exec_lo, s8
	s_lshl_b32 s7, s7, 3
	s_waitcnt lgkmcnt(0)
	v_mov_b32_e32 v6, s7
	s_barrier
	buffer_gl0_inv
	s_and_b32 s22, s100, 0xfe
	v_cmp_eq_u64_e64 s7, 1, v[29:30]
	ds_load_b128 v[2:5], v6 offset:3072
	ds_load_b128 v[6:9], v6 offset:3088
	s_lshl_b32 s20, 3, s22
	s_and_not1_b32 vcc_lo, exec_lo, s82
	s_not_b32 s21, s20
	s_waitcnt lgkmcnt(1)
	v_readfirstlane_b32 s11, v3
	v_readfirstlane_b32 s10, v2
	;; [unrolled: 1-line block ×4, first 2 shown]
	s_waitcnt lgkmcnt(0)
	v_readfirstlane_b32 s15, v7
	v_readfirstlane_b32 s14, v6
	;; [unrolled: 1-line block ×4, first 2 shown]
	s_cbranch_vccnz .LBB201_120
; %bb.105:                              ;   in Loop: Header=BB201_31 Depth=1
	s_cmp_eq_u64 s[10:11], 1
	v_dual_mov_b32 v33, v50 :: v_dual_mov_b32 v34, v49
	v_mov_b32_e32 v5, v28
	s_cselect_b32 s8, -1, 0
                                        ; implicit-def: $sgpr23
                                        ; implicit-def: $sgpr60
                                        ; implicit-def: $sgpr55
	s_delay_alu instid0(SALU_CYCLE_1)
	s_and_b32 s58, s8, s7
	s_mov_b32 s8, -1
	s_and_saveexec_b32 s24, s58
	s_cbranch_execz .LBB201_139
; %bb.106:                              ;   in Loop: Header=BB201_31 Depth=1
	ds_load_b64 v[2:3], v13 offset:5120
	s_waitcnt lgkmcnt(0)
	s_barrier
	buffer_gl0_inv
	v_readfirstlane_b32 s18, v2
	v_readfirstlane_b32 s19, v3
	s_and_saveexec_b32 s8, s6
	s_cbranch_execz .LBB201_108
; %bb.107:                              ;   in Loop: Header=BB201_31 Depth=1
	ds_store_b32 v46, v13
.LBB201_108:                            ;   in Loop: Header=BB201_31 Depth=1
	s_or_b32 exec_lo, exec_lo, s8
	v_and_b32_e32 v33, s21, v50
	v_or_b32_e32 v34, s20, v49
	s_cmp_eq_u64 s[18:19], 0
	s_waitcnt lgkmcnt(0)
	s_barrier
	buffer_gl0_inv
	s_cbranch_scc1 .LBB201_122
; %bb.109:                              ;   in Loop: Header=BB201_31 Depth=1
	s_add_u32 s23, s85, s18
	s_addc_u32 s9, s86, s19
	s_mov_b32 s8, s61
	s_delay_alu instid0(SALU_CYCLE_1)
	s_cmp_lg_u64 s[8:9], 0
	s_cbranch_scc0 .LBB201_166
; %bb.110:                              ;   in Loop: Header=BB201_31 Depth=1
	v_cvt_f32_u32_e32 v2, s33
	s_sub_u32 s25, 0, s33
	s_subb_u32 s26, 0, 0
	s_delay_alu instid0(VALU_DEP_1) | instskip(NEXT) | instid1(VALU_DEP_1)
	v_fmac_f32_e64 v2, 0, 0x4f800000
	v_rcp_f32_e32 v2, v2
	s_waitcnt_depctr 0xfff
	v_mul_f32_e32 v2, 0x5f7ffffc, v2
	s_delay_alu instid0(VALU_DEP_1) | instskip(NEXT) | instid1(VALU_DEP_1)
	v_mul_f32_e32 v3, 0x2f800000, v2
	v_trunc_f32_e32 v3, v3
	s_delay_alu instid0(VALU_DEP_1) | instskip(SKIP_1) | instid1(VALU_DEP_2)
	v_fmac_f32_e32 v2, 0xcf800000, v3
	v_cvt_u32_f32_e32 v3, v3
	v_cvt_u32_f32_e32 v2, v2
	s_delay_alu instid0(VALU_DEP_2) | instskip(NEXT) | instid1(VALU_DEP_2)
	v_readfirstlane_b32 s3, v3
	v_readfirstlane_b32 s8, v2
	s_delay_alu instid0(VALU_DEP_2) | instskip(NEXT) | instid1(VALU_DEP_1)
	s_mul_i32 s42, s25, s3
	s_mul_hi_u32 s46, s25, s8
	s_mul_i32 s43, s26, s8
	s_add_i32 s42, s46, s42
	s_mul_i32 s47, s25, s8
	s_add_i32 s42, s42, s43
	s_mul_hi_u32 s46, s8, s47
	s_mul_hi_u32 s50, s3, s47
	s_mul_i32 s43, s3, s47
	s_mul_hi_u32 s47, s8, s42
	s_mul_i32 s8, s8, s42
	s_mul_hi_u32 s51, s3, s42
	s_add_u32 s8, s46, s8
	s_addc_u32 s46, 0, s47
	s_add_u32 s8, s8, s43
	s_mul_i32 s42, s3, s42
	s_addc_u32 s8, s46, s50
	s_addc_u32 s43, s51, 0
	s_add_u32 s8, s8, s42
	s_addc_u32 s42, 0, s43
	v_add_co_u32 v2, s8, v2, s8
	s_delay_alu instid0(VALU_DEP_1) | instskip(SKIP_1) | instid1(VALU_DEP_1)
	s_cmp_lg_u32 s8, 0
	s_addc_u32 s3, s3, s42
	v_readfirstlane_b32 s8, v2
	s_mul_i32 s42, s25, s3
	s_delay_alu instid0(VALU_DEP_1)
	s_mul_hi_u32 s43, s25, s8
	s_mul_i32 s26, s26, s8
	s_add_i32 s42, s43, s42
	s_mul_i32 s25, s25, s8
	s_add_i32 s42, s42, s26
	s_mul_hi_u32 s43, s3, s25
	s_mul_i32 s46, s3, s25
	s_mul_hi_u32 s25, s8, s25
	s_mul_hi_u32 s47, s8, s42
	s_mul_i32 s8, s8, s42
	s_mul_hi_u32 s26, s3, s42
	s_add_u32 s8, s25, s8
	s_addc_u32 s25, 0, s47
	s_add_u32 s8, s8, s46
	s_mul_i32 s42, s3, s42
	s_addc_u32 s8, s25, s43
	s_addc_u32 s25, s26, 0
	s_add_u32 s8, s8, s42
	s_addc_u32 s25, 0, s25
	v_add_co_u32 v2, s8, v2, s8
	s_delay_alu instid0(VALU_DEP_1) | instskip(SKIP_1) | instid1(VALU_DEP_1)
	s_cmp_lg_u32 s8, 0
	s_addc_u32 s3, s3, s25
	v_readfirstlane_b32 s8, v2
	s_mul_i32 s26, s23, s3
	s_mul_hi_u32 s25, s23, s3
	s_mul_hi_u32 s42, s9, s3
	s_mul_i32 s3, s9, s3
	s_mul_hi_u32 s43, s23, s8
	s_mul_hi_u32 s46, s9, s8
	s_mul_i32 s8, s9, s8
	s_add_u32 s26, s43, s26
	s_addc_u32 s25, 0, s25
	s_add_u32 s8, s26, s8
	s_addc_u32 s8, s25, s46
	s_addc_u32 s25, s42, 0
	s_add_u32 s3, s8, s3
	s_addc_u32 s8, 0, s25
	s_mul_hi_u32 s25, s33, s3
	s_mul_i32 s3, s33, s3
	s_mul_i32 s8, s33, s8
	v_sub_co_u32 v2, s3, s23, s3
	s_add_i32 s25, s25, s8
	s_cmp_lg_u32 s3, 0
	s_delay_alu instid0(VALU_DEP_1) | instskip(SKIP_2) | instid1(VALU_DEP_1)
	v_sub_co_u32 v3, s3, v2, s33
	s_subb_u32 s25, s9, s25
	s_cmp_lg_u32 s3, 0
	v_cmp_le_u32_e32 vcc_lo, s33, v3
	v_sub_co_u32 v4, s3, v3, s33
	s_subb_u32 s26, s25, 0
	s_cmp_lg_u32 s3, 0
	v_cndmask_b32_e64 v5, 0, -1, vcc_lo
	s_subb_u32 s3, s26, 0
	s_cmp_eq_u32 s26, 0
	v_mov_b32_e32 v7, s3
	s_cselect_b32 vcc_lo, -1, 0
	s_cmp_eq_u32 s25, 0
	v_cndmask_b32_e32 v5, -1, v5, vcc_lo
	v_cmp_le_u32_e32 vcc_lo, s33, v2
	s_cselect_b32 s8, -1, 0
	v_cndmask_b32_e64 v6, 0, -1, vcc_lo
	s_delay_alu instid0(VALU_DEP_3) | instskip(NEXT) | instid1(VALU_DEP_2)
	v_cmp_ne_u32_e32 vcc_lo, 0, v5
	v_cndmask_b32_e64 v5, -1, v6, s8
	v_cndmask_b32_e32 v6, s26, v7, vcc_lo
	v_cndmask_b32_e32 v4, v3, v4, vcc_lo
	s_delay_alu instid0(VALU_DEP_3) | instskip(NEXT) | instid1(VALU_DEP_3)
	v_cmp_ne_u32_e32 vcc_lo, 0, v5
	v_cndmask_b32_e32 v3, s25, v6, vcc_lo
	s_delay_alu instid0(VALU_DEP_3)
	v_cndmask_b32_e32 v2, v2, v4, vcc_lo
	s_cbranch_execnz .LBB201_112
.LBB201_111:                            ;   in Loop: Header=BB201_31 Depth=1
	v_cvt_f32_u32_e32 v2, s33
	s_sub_i32 s3, 0, s33
	s_delay_alu instid0(VALU_DEP_1) | instskip(SKIP_2) | instid1(VALU_DEP_1)
	v_rcp_iflag_f32_e32 v2, v2
	s_waitcnt_depctr 0xfff
	v_mul_f32_e32 v2, 0x4f7ffffe, v2
	v_cvt_u32_f32_e32 v2, v2
	s_delay_alu instid0(VALU_DEP_1) | instskip(NEXT) | instid1(VALU_DEP_1)
	v_mul_lo_u32 v3, s3, v2
	v_mul_hi_u32 v3, v2, v3
	s_delay_alu instid0(VALU_DEP_1) | instskip(NEXT) | instid1(VALU_DEP_1)
	v_add_nc_u32_e32 v2, v2, v3
	v_mul_hi_u32 v2, s23, v2
	s_delay_alu instid0(VALU_DEP_1) | instskip(NEXT) | instid1(VALU_DEP_1)
	v_mul_lo_u32 v2, v2, s33
	v_sub_nc_u32_e32 v2, s23, v2
	s_delay_alu instid0(VALU_DEP_1) | instskip(SKIP_1) | instid1(VALU_DEP_2)
	v_subrev_nc_u32_e32 v3, s33, v2
	v_cmp_le_u32_e32 vcc_lo, s33, v2
	v_cndmask_b32_e32 v2, v2, v3, vcc_lo
	s_delay_alu instid0(VALU_DEP_1) | instskip(SKIP_1) | instid1(VALU_DEP_2)
	v_subrev_nc_u32_e32 v3, s33, v2
	v_cmp_le_u32_e32 vcc_lo, s33, v2
	v_cndmask_b32_e32 v12, v2, v3, vcc_lo
	s_delay_alu instid0(VALU_DEP_1)
	v_dual_mov_b32 v2, v12 :: v_dual_mov_b32 v3, v13
.LBB201_112:                            ;   in Loop: Header=BB201_31 Depth=1
	s_delay_alu instid0(VALU_DEP_1) | instskip(NEXT) | instid1(VALU_DEP_2)
	v_sub_co_u32 v2, vcc_lo, s23, v2
	v_sub_co_ci_u32_e32 v3, vcc_lo, s9, v3, vcc_lo
	s_mov_b32 s8, 0
	s_mov_b32 s9, exec_lo
                                        ; implicit-def: $vgpr5
	s_delay_alu instid0(VALU_DEP_1)
	v_cmpx_gt_u64_e64 v[2:3], v[0:1]
	s_cbranch_execz .LBB201_124
; %bb.113:                              ;   in Loop: Header=BB201_31 Depth=1
	v_dual_mov_b32 v8, v14 :: v_dual_mov_b32 v7, v1
	v_mov_b32_e32 v6, v0
	s_mov_b32 s23, 0
                                        ; implicit-def: $sgpr25
	s_set_inst_prefetch_distance 0x1
	s_branch .LBB201_115
	.p2align	6
.LBB201_114:                            ;   in Loop: Header=BB201_115 Depth=2
	s_or_b32 exec_lo, exec_lo, s8
	s_waitcnt lgkmcnt(0)
	s_barrier
	buffer_gl0_inv
	ds_load_b64 v[4:5], v13 offset:3072
	v_add_co_u32 v6, vcc_lo, v6, s33
	v_add_co_ci_u32_e32 v7, vcc_lo, 0, v7, vcc_lo
	v_add_nc_u32_e32 v8, s93, v8
	s_waitcnt lgkmcnt(0)
	s_barrier
	s_delay_alu instid0(VALU_DEP_2) | instskip(SKIP_2) | instid1(VALU_DEP_1)
	v_cmp_ge_u64_e32 vcc_lo, v[6:7], v[2:3]
	buffer_gl0_inv
	v_cmp_neq_f32_e64 s8, 0, v4
	s_or_b32 s3, vcc_lo, s8
	s_delay_alu instid0(SALU_CYCLE_1) | instskip(NEXT) | instid1(SALU_CYCLE_1)
	s_and_b32 s3, exec_lo, s3
	s_or_b32 s23, s3, s23
	s_and_not1_b32 s3, s25, exec_lo
	s_and_b32 s8, s8, exec_lo
	s_delay_alu instid0(SALU_CYCLE_1)
	s_or_b32 s25, s3, s8
	s_and_not1_b32 exec_lo, exec_lo, s23
	s_cbranch_execz .LBB201_123
.LBB201_115:                            ;   Parent Loop BB201_31 Depth=1
                                        ; =>  This Inner Loop Header: Depth=2
	s_delay_alu instid0(VALU_DEP_1)
	v_cmp_gt_u64_e32 vcc_lo, s[18:19], v[6:7]
	v_mov_b32_e32 v27, 0
	s_and_saveexec_b32 s8, vcc_lo
	s_cbranch_execz .LBB201_117
; %bb.116:                              ;   in Loop: Header=BB201_115 Depth=2
	ds_load_b32 v27, v8
.LBB201_117:                            ;   in Loop: Header=BB201_115 Depth=2
	s_or_b32 exec_lo, exec_lo, s8
	s_and_saveexec_b32 s8, vcc_lo
	s_cbranch_execz .LBB201_114
; %bb.118:                              ;   in Loop: Header=BB201_115 Depth=2
	s_waitcnt lgkmcnt(0)
	v_cmp_lt_i32_e32 vcc_lo, -1, v27
	v_cndmask_b32_e64 v4, -1, 0x80000000, vcc_lo
	v_cmp_o_f32_e32 vcc_lo, v27, v27
	s_delay_alu instid0(VALU_DEP_2) | instskip(NEXT) | instid1(VALU_DEP_1)
	v_xor_b32_e32 v4, v4, v27
	v_cndmask_b32_e32 v4, -1, v4, vcc_lo
	s_delay_alu instid0(VALU_DEP_1) | instskip(NEXT) | instid1(VALU_DEP_1)
	v_and_b32_e32 v4, v4, v34
	v_cmp_eq_u32_e32 vcc_lo, v4, v33
	s_and_b32 exec_lo, exec_lo, vcc_lo
	s_cbranch_execz .LBB201_114
; %bb.119:                              ;   in Loop: Header=BB201_115 Depth=2
	ds_store_b64 v13, v[26:27] offset:3072
	s_branch .LBB201_114
.LBB201_120:                            ;   in Loop: Header=BB201_31 Depth=1
	s_mov_b32 s25, 0
	s_mov_b32 s24, 0
                                        ; implicit-def: $sgpr55
                                        ; implicit-def: $sgpr60
                                        ; implicit-def: $sgpr23
                                        ; implicit-def: $vgpr8
                                        ; implicit-def: $vgpr2_vgpr3
                                        ; implicit-def: $vgpr33
                                        ; implicit-def: $vgpr34
                                        ; implicit-def: $vgpr5
	s_cbranch_execnz .LBB201_303
.LBB201_121:                            ;   in Loop: Header=BB201_31 Depth=1
	s_mov_b32 s18, s23
	s_mov_b32 s19, s23
	s_and_saveexec_b32 s7, s25
	s_cbranch_execnz .LBB201_499
	s_branch .LBB201_500
.LBB201_122:                            ;   in Loop: Header=BB201_31 Depth=1
	s_mov_b32 s23, -1
	s_mov_b32 s8, 0
                                        ; implicit-def: $sgpr55
                                        ; implicit-def: $vgpr5
	s_mov_b32 s60, s23
	s_cbranch_execnz .LBB201_125
	s_branch .LBB201_138
.LBB201_123:                            ;   in Loop: Header=BB201_31 Depth=1
	s_set_inst_prefetch_distance 0x2
	s_or_b32 exec_lo, exec_lo, s23
	s_delay_alu instid0(SALU_CYCLE_1)
	s_and_b32 s8, s25, exec_lo
.LBB201_124:                            ;   in Loop: Header=BB201_31 Depth=1
	s_or_b32 exec_lo, exec_lo, s9
	s_mov_b32 s55, -1
	s_mov_b32 s23, 0
	s_delay_alu instid0(SALU_CYCLE_1)
	s_mov_b32 s60, s23
	s_branch .LBB201_138
.LBB201_125:                            ;   in Loop: Header=BB201_31 Depth=1
	s_mov_b32 s26, s61
	s_delay_alu instid0(SALU_CYCLE_1)
	s_cmp_lg_u64 s[26:27], 0
	s_cbranch_scc0 .LBB201_167
; %bb.126:                              ;   in Loop: Header=BB201_31 Depth=1
	v_cvt_f32_u32_e32 v2, s33
	s_sub_u32 s9, 0, s33
	s_subb_u32 s18, 0, 0
	s_delay_alu instid0(VALU_DEP_1) | instskip(NEXT) | instid1(VALU_DEP_1)
	v_fmac_f32_e64 v2, 0, 0x4f800000
	v_rcp_f32_e32 v2, v2
	s_waitcnt_depctr 0xfff
	v_mul_f32_e32 v2, 0x5f7ffffc, v2
	s_delay_alu instid0(VALU_DEP_1) | instskip(NEXT) | instid1(VALU_DEP_1)
	v_mul_f32_e32 v3, 0x2f800000, v2
	v_trunc_f32_e32 v3, v3
	s_delay_alu instid0(VALU_DEP_1) | instskip(SKIP_1) | instid1(VALU_DEP_2)
	v_fmac_f32_e32 v2, 0xcf800000, v3
	v_cvt_u32_f32_e32 v3, v3
	v_cvt_u32_f32_e32 v2, v2
	s_delay_alu instid0(VALU_DEP_2) | instskip(NEXT) | instid1(VALU_DEP_2)
	v_readfirstlane_b32 s3, v3
	v_readfirstlane_b32 s8, v2
	s_delay_alu instid0(VALU_DEP_2) | instskip(NEXT) | instid1(VALU_DEP_1)
	s_mul_i32 s19, s9, s3
	s_mul_hi_u32 s25, s9, s8
	s_mul_i32 s23, s18, s8
	s_add_i32 s19, s25, s19
	s_mul_i32 s26, s9, s8
	s_add_i32 s19, s19, s23
	s_mul_hi_u32 s25, s8, s26
	s_mul_hi_u32 s42, s3, s26
	s_mul_i32 s23, s3, s26
	s_mul_hi_u32 s26, s8, s19
	s_mul_i32 s8, s8, s19
	s_mul_hi_u32 s43, s3, s19
	s_add_u32 s8, s25, s8
	s_addc_u32 s25, 0, s26
	s_add_u32 s8, s8, s23
	s_mul_i32 s19, s3, s19
	s_addc_u32 s8, s25, s42
	s_addc_u32 s23, s43, 0
	s_add_u32 s8, s8, s19
	s_addc_u32 s19, 0, s23
	v_add_co_u32 v2, s8, v2, s8
	s_delay_alu instid0(VALU_DEP_1) | instskip(SKIP_1) | instid1(VALU_DEP_1)
	s_cmp_lg_u32 s8, 0
	s_addc_u32 s3, s3, s19
	v_readfirstlane_b32 s8, v2
	s_mul_i32 s19, s9, s3
	s_delay_alu instid0(VALU_DEP_1)
	s_mul_hi_u32 s23, s9, s8
	s_mul_i32 s18, s18, s8
	s_add_i32 s19, s23, s19
	s_mul_i32 s9, s9, s8
	s_add_i32 s19, s19, s18
	s_mul_hi_u32 s23, s3, s9
	s_mul_i32 s25, s3, s9
	s_mul_hi_u32 s9, s8, s9
	s_mul_hi_u32 s26, s8, s19
	s_mul_i32 s8, s8, s19
	s_mul_hi_u32 s18, s3, s19
	s_add_u32 s8, s9, s8
	s_addc_u32 s9, 0, s26
	s_add_u32 s8, s8, s25
	s_mul_i32 s19, s3, s19
	s_addc_u32 s8, s9, s23
	s_addc_u32 s9, s18, 0
	s_add_u32 s8, s8, s19
	s_addc_u32 s9, 0, s9
	v_add_co_u32 v2, s8, v2, s8
	s_delay_alu instid0(VALU_DEP_1) | instskip(SKIP_1) | instid1(VALU_DEP_1)
	s_cmp_lg_u32 s8, 0
	s_addc_u32 s3, s3, s9
	v_readfirstlane_b32 s8, v2
	s_mul_i32 s18, s87, s3
	s_mul_hi_u32 s9, s87, s3
	s_mul_hi_u32 s19, s27, s3
	s_mul_i32 s3, s27, s3
	s_mul_hi_u32 s23, s87, s8
	s_mul_hi_u32 s25, s27, s8
	s_mul_i32 s8, s27, s8
	s_add_u32 s18, s23, s18
	s_addc_u32 s9, 0, s9
	s_add_u32 s8, s18, s8
	s_addc_u32 s8, s9, s25
	s_addc_u32 s9, s19, 0
	s_add_u32 s3, s8, s3
	s_addc_u32 s8, 0, s9
	s_mul_hi_u32 s9, s33, s3
	s_mul_i32 s3, s33, s3
	s_mul_i32 s8, s33, s8
	v_sub_co_u32 v2, s3, s87, s3
	s_add_i32 s9, s9, s8
	s_cmp_lg_u32 s3, 0
	s_delay_alu instid0(VALU_DEP_1) | instskip(SKIP_2) | instid1(VALU_DEP_1)
	v_sub_co_u32 v3, s3, v2, s33
	s_subb_u32 s9, s27, s9
	s_cmp_lg_u32 s3, 0
	v_cmp_le_u32_e32 vcc_lo, s33, v3
	v_sub_co_u32 v4, s3, v3, s33
	s_subb_u32 s18, s9, 0
	s_cmp_lg_u32 s3, 0
	v_cndmask_b32_e64 v5, 0, -1, vcc_lo
	s_subb_u32 s3, s18, 0
	s_cmp_eq_u32 s18, 0
	v_mov_b32_e32 v7, s3
	s_cselect_b32 vcc_lo, -1, 0
	s_cmp_eq_u32 s9, 0
	v_cndmask_b32_e32 v5, -1, v5, vcc_lo
	v_cmp_le_u32_e32 vcc_lo, s33, v2
	s_cselect_b32 s8, -1, 0
	v_cndmask_b32_e64 v6, 0, -1, vcc_lo
	s_delay_alu instid0(VALU_DEP_3) | instskip(NEXT) | instid1(VALU_DEP_2)
	v_cmp_ne_u32_e32 vcc_lo, 0, v5
	v_cndmask_b32_e64 v5, -1, v6, s8
	v_cndmask_b32_e32 v6, s18, v7, vcc_lo
	v_cndmask_b32_e32 v4, v3, v4, vcc_lo
	s_delay_alu instid0(VALU_DEP_3) | instskip(NEXT) | instid1(VALU_DEP_3)
	v_cmp_ne_u32_e32 vcc_lo, 0, v5
	v_cndmask_b32_e32 v3, s9, v6, vcc_lo
	s_delay_alu instid0(VALU_DEP_3)
	v_cndmask_b32_e32 v2, v2, v4, vcc_lo
	s_cbranch_execnz .LBB201_128
.LBB201_127:                            ;   in Loop: Header=BB201_31 Depth=1
	v_cvt_f32_u32_e32 v2, s33
	s_sub_i32 s3, 0, s33
	s_delay_alu instid0(VALU_DEP_1) | instskip(SKIP_2) | instid1(VALU_DEP_1)
	v_rcp_iflag_f32_e32 v2, v2
	s_waitcnt_depctr 0xfff
	v_mul_f32_e32 v2, 0x4f7ffffe, v2
	v_cvt_u32_f32_e32 v2, v2
	s_delay_alu instid0(VALU_DEP_1) | instskip(NEXT) | instid1(VALU_DEP_1)
	v_mul_lo_u32 v3, s3, v2
	v_mul_hi_u32 v3, v2, v3
	s_delay_alu instid0(VALU_DEP_1) | instskip(NEXT) | instid1(VALU_DEP_1)
	v_add_nc_u32_e32 v2, v2, v3
	v_mul_hi_u32 v2, s87, v2
	s_delay_alu instid0(VALU_DEP_1) | instskip(NEXT) | instid1(VALU_DEP_1)
	v_mul_lo_u32 v2, v2, s33
	v_sub_nc_u32_e32 v2, s87, v2
	s_delay_alu instid0(VALU_DEP_1) | instskip(SKIP_1) | instid1(VALU_DEP_2)
	v_subrev_nc_u32_e32 v3, s33, v2
	v_cmp_le_u32_e32 vcc_lo, s33, v2
	v_cndmask_b32_e32 v2, v2, v3, vcc_lo
	s_delay_alu instid0(VALU_DEP_1) | instskip(SKIP_1) | instid1(VALU_DEP_2)
	v_subrev_nc_u32_e32 v3, s33, v2
	v_cmp_le_u32_e32 vcc_lo, s33, v2
	v_cndmask_b32_e32 v12, v2, v3, vcc_lo
	s_delay_alu instid0(VALU_DEP_1)
	v_dual_mov_b32 v2, v12 :: v_dual_mov_b32 v3, v13
.LBB201_128:                            ;   in Loop: Header=BB201_31 Depth=1
	s_delay_alu instid0(VALU_DEP_1) | instskip(NEXT) | instid1(VALU_DEP_2)
	v_sub_co_u32 v2, vcc_lo, s87, v2
	v_sub_co_ci_u32_e32 v3, vcc_lo, s27, v3, vcc_lo
	s_mov_b32 s8, 0
	s_mov_b32 s9, exec_lo
                                        ; implicit-def: $vgpr5
	s_delay_alu instid0(VALU_DEP_1)
	v_cmpx_gt_u64_e64 v[2:3], v[0:1]
	s_cbranch_execz .LBB201_137
; %bb.129:                              ;   in Loop: Header=BB201_31 Depth=1
	v_dual_mov_b32 v6, v24 :: v_dual_mov_b32 v7, v25
	v_dual_mov_b32 v9, v1 :: v_dual_mov_b32 v8, v0
	s_mov_b32 s18, 0
                                        ; implicit-def: $sgpr19
	s_set_inst_prefetch_distance 0x1
	s_branch .LBB201_131
	.p2align	6
.LBB201_130:                            ;   in Loop: Header=BB201_131 Depth=2
	s_or_b32 exec_lo, exec_lo, s8
	s_waitcnt vmcnt(0) lgkmcnt(0)
	s_barrier
	buffer_gl0_inv
	ds_load_b64 v[4:5], v13 offset:3072
	v_add_co_u32 v8, vcc_lo, v8, s33
	v_add_co_ci_u32_e32 v9, vcc_lo, 0, v9, vcc_lo
	s_waitcnt lgkmcnt(0)
	s_barrier
	buffer_gl0_inv
	v_cmp_ge_u64_e32 vcc_lo, v[8:9], v[2:3]
	v_cmp_neq_f32_e64 s8, 0, v4
	s_delay_alu instid0(VALU_DEP_1)
	s_or_b32 s3, vcc_lo, s8
	v_add_co_u32 v6, vcc_lo, v6, s34
	s_and_b32 s3, exec_lo, s3
	v_add_co_ci_u32_e32 v7, vcc_lo, s35, v7, vcc_lo
	s_or_b32 s18, s3, s18
	s_and_not1_b32 s3, s19, exec_lo
	s_and_b32 s8, s8, exec_lo
	s_delay_alu instid0(SALU_CYCLE_1)
	s_or_b32 s19, s3, s8
	s_and_not1_b32 exec_lo, exec_lo, s18
	s_cbranch_execz .LBB201_136
.LBB201_131:                            ;   Parent Loop BB201_31 Depth=1
                                        ; =>  This Inner Loop Header: Depth=2
	s_delay_alu instid0(VALU_DEP_1)
	v_cmp_gt_u64_e32 vcc_lo, s[36:37], v[8:9]
	v_mov_b32_e32 v27, 0
	s_and_saveexec_b32 s8, vcc_lo
	s_cbranch_execz .LBB201_133
; %bb.132:                              ;   in Loop: Header=BB201_131 Depth=2
	global_load_b32 v27, v[6:7], off
.LBB201_133:                            ;   in Loop: Header=BB201_131 Depth=2
	s_or_b32 exec_lo, exec_lo, s8
	s_and_saveexec_b32 s8, vcc_lo
	s_cbranch_execz .LBB201_130
; %bb.134:                              ;   in Loop: Header=BB201_131 Depth=2
	s_waitcnt vmcnt(0)
	v_cmp_lt_i32_e32 vcc_lo, -1, v27
	v_cndmask_b32_e64 v4, -1, 0x80000000, vcc_lo
	v_cmp_o_f32_e32 vcc_lo, v27, v27
	s_delay_alu instid0(VALU_DEP_2) | instskip(NEXT) | instid1(VALU_DEP_1)
	v_xor_b32_e32 v4, v4, v27
	v_cndmask_b32_e32 v4, -1, v4, vcc_lo
	s_delay_alu instid0(VALU_DEP_1) | instskip(NEXT) | instid1(VALU_DEP_1)
	v_and_b32_e32 v4, v4, v34
	v_cmp_eq_u32_e32 vcc_lo, v4, v33
	s_and_b32 exec_lo, exec_lo, vcc_lo
	s_cbranch_execz .LBB201_130
; %bb.135:                              ;   in Loop: Header=BB201_131 Depth=2
	ds_store_b64 v13, v[26:27] offset:3072
	s_branch .LBB201_130
.LBB201_136:                            ;   in Loop: Header=BB201_31 Depth=1
	s_set_inst_prefetch_distance 0x2
	s_or_b32 exec_lo, exec_lo, s18
	s_delay_alu instid0(SALU_CYCLE_1)
	s_and_b32 s8, s19, exec_lo
.LBB201_137:                            ;   in Loop: Header=BB201_31 Depth=1
	s_or_b32 exec_lo, exec_lo, s9
	s_mov_b32 s60, -1
	s_mov_b32 s23, 0
	s_mov_b32 s55, 0
.LBB201_138:                            ;   in Loop: Header=BB201_31 Depth=1
	s_or_not1_b32 s8, s8, exec_lo
.LBB201_139:                            ;   in Loop: Header=BB201_31 Depth=1
	s_or_b32 exec_lo, exec_lo, s24
	s_mov_b32 s70, 0
	s_mov_b32 s25, 0
	;; [unrolled: 1-line block ×3, first 2 shown]
                                        ; implicit-def: $vgpr8
                                        ; implicit-def: $vgpr2_vgpr3
	s_and_saveexec_b32 s71, s8
	s_cbranch_execz .LBB201_302
; %bb.140:                              ;   in Loop: Header=BB201_31 Depth=1
	v_mov_b32_e32 v2, 1
	v_dual_mov_b32 v3, 0 :: v_dual_mov_b32 v8, 1
	s_xor_b32 s3, s58, -1
	s_delay_alu instid0(SALU_CYCLE_1)
	s_and_saveexec_b32 s8, s3
	s_cbranch_execz .LBB201_150
; %bb.141:                              ;   in Loop: Header=BB201_31 Depth=1
                                        ; implicit-def: $sgpr19
                                        ; implicit-def: $sgpr9
	s_mov_b32 s3, exec_lo
	v_cmpx_ge_u64_e64 s[10:11], v[29:30]
	s_xor_b32 s18, exec_lo, s3
	s_cbranch_execz .LBB201_147
; %bb.142:                              ;   in Loop: Header=BB201_31 Depth=1
	ds_load_b64 v[2:3], v13 offset:5120
	s_waitcnt lgkmcnt(0)
	v_cmp_ne_u64_e32 vcc_lo, 0, v[2:3]
	s_cbranch_vccnz .LBB201_146
; %bb.143:                              ;   in Loop: Header=BB201_31 Depth=1
	s_and_saveexec_b32 s9, s5
	s_cbranch_execz .LBB201_145
; %bb.144:                              ;   in Loop: Header=BB201_31 Depth=1
	v_dual_mov_b32 v2, s10 :: v_dual_mov_b32 v3, s11
	ds_store_b64 v13, v[2:3] offset:5128
.LBB201_145:                            ;   in Loop: Header=BB201_31 Depth=1
	s_or_b32 exec_lo, exec_lo, s9
	s_waitcnt lgkmcnt(0)
	s_barrier
	buffer_gl0_inv
.LBB201_146:                            ;   in Loop: Header=BB201_31 Depth=1
	v_and_b32_e32 v33, s21, v33
	v_or_b32_e32 v34, s20, v34
	s_mov_b32 s9, 0
	s_mov_b32 s19, 8
.LBB201_147:                            ;   in Loop: Header=BB201_31 Depth=1
	s_or_saveexec_b32 s18, s18
	v_mov_b32_e32 v2, v29
	v_dual_mov_b32 v8, s19 :: v_dual_mov_b32 v3, v30
	s_xor_b32 exec_lo, exec_lo, s18
; %bb.148:                              ;   in Loop: Header=BB201_31 Depth=1
	v_sub_co_u32 v2, vcc_lo, v29, s10
	v_subrev_co_ci_u32_e32 v3, vcc_lo, s11, v30, vcc_lo
	v_mov_b32_e32 v8, 0
	s_or_b32 s9, s9, exec_lo
; %bb.149:                              ;   in Loop: Header=BB201_31 Depth=1
	s_or_b32 exec_lo, exec_lo, s18
	s_delay_alu instid0(SALU_CYCLE_1)
	s_and_b32 s24, s9, exec_lo
.LBB201_150:                            ;   in Loop: Header=BB201_31 Depth=1
	s_or_b32 exec_lo, exec_lo, s8
	s_mov_b32 s25, -1
                                        ; implicit-def: $sgpr9
                                        ; implicit-def: $sgpr18
                                        ; implicit-def: $sgpr19
	s_and_saveexec_b32 s3, s24
	s_delay_alu instid0(SALU_CYCLE_1)
	s_xor_b32 s24, exec_lo, s3
	s_cbranch_execz .LBB201_299
; %bb.151:                              ;   in Loop: Header=BB201_31 Depth=1
	v_cmp_eq_u64_e32 vcc_lo, 1, v[2:3]
	s_cmp_eq_u64 s[12:13], 1
                                        ; implicit-def: $sgpr25
                                        ; implicit-def: $sgpr73
                                        ; implicit-def: $sgpr72
	s_cselect_b32 s8, -1, 0
	s_delay_alu instid0(SALU_CYCLE_1)
	s_and_b32 s58, s8, vcc_lo
	s_mov_b32 s8, -1
	s_and_saveexec_b32 s46, s58
	s_cbranch_execz .LBB201_185
; %bb.152:                              ;   in Loop: Header=BB201_31 Depth=1
	ds_load_b64 v[4:5], v13 offset:5120
	s_waitcnt lgkmcnt(0)
	s_barrier
	buffer_gl0_inv
	v_readfirstlane_b32 s18, v4
	v_readfirstlane_b32 s19, v5
	s_and_saveexec_b32 s8, s6
	s_cbranch_execz .LBB201_154
; %bb.153:                              ;   in Loop: Header=BB201_31 Depth=1
	ds_store_b32 v46, v13
.LBB201_154:                            ;   in Loop: Header=BB201_31 Depth=1
	s_or_b32 exec_lo, exec_lo, s8
	s_lshl_b32 s8, 1, s22
	v_or_b32_e32 v34, s20, v34
	v_and_or_b32 v33, v33, s21, s8
	s_cmp_eq_u64 s[18:19], 0
	s_waitcnt lgkmcnt(0)
	s_barrier
	buffer_gl0_inv
	s_cbranch_scc1 .LBB201_168
; %bb.155:                              ;   in Loop: Header=BB201_31 Depth=1
	s_add_u32 s25, s85, s18
	s_addc_u32 s9, s86, s19
	s_mov_b32 s8, s61
	s_delay_alu instid0(SALU_CYCLE_1)
	s_cmp_lg_u64 s[8:9], 0
	s_cbranch_scc0 .LBB201_212
; %bb.156:                              ;   in Loop: Header=BB201_31 Depth=1
	v_cvt_f32_u32_e32 v4, s33
	s_sub_u32 s47, 0, s33
	s_subb_u32 s59, 0, 0
	s_delay_alu instid0(VALU_DEP_1) | instskip(NEXT) | instid1(VALU_DEP_1)
	v_fmac_f32_e64 v4, 0, 0x4f800000
	v_rcp_f32_e32 v4, v4
	s_waitcnt_depctr 0xfff
	v_mul_f32_e32 v4, 0x5f7ffffc, v4
	s_delay_alu instid0(VALU_DEP_1) | instskip(NEXT) | instid1(VALU_DEP_1)
	v_mul_f32_e32 v5, 0x2f800000, v4
	v_trunc_f32_e32 v5, v5
	s_delay_alu instid0(VALU_DEP_1) | instskip(SKIP_1) | instid1(VALU_DEP_2)
	v_fmac_f32_e32 v4, 0xcf800000, v5
	v_cvt_u32_f32_e32 v5, v5
	v_cvt_u32_f32_e32 v4, v4
	s_delay_alu instid0(VALU_DEP_2) | instskip(NEXT) | instid1(VALU_DEP_2)
	v_readfirstlane_b32 s8, v5
	v_readfirstlane_b32 s26, v4
	s_delay_alu instid0(VALU_DEP_2) | instskip(NEXT) | instid1(VALU_DEP_1)
	s_mul_i32 s72, s47, s8
	s_mul_hi_u32 s74, s47, s26
	s_mul_i32 s73, s59, s26
	s_add_i32 s72, s74, s72
	s_mul_i32 s75, s47, s26
	s_add_i32 s72, s72, s73
	s_mul_hi_u32 s74, s26, s75
	s_mul_hi_u32 s76, s8, s75
	s_mul_i32 s73, s8, s75
	s_mul_hi_u32 s75, s26, s72
	s_mul_i32 s26, s26, s72
	s_mul_hi_u32 s77, s8, s72
	s_add_u32 s26, s74, s26
	s_addc_u32 s74, 0, s75
	s_add_u32 s26, s26, s73
	s_mul_i32 s72, s8, s72
	s_addc_u32 s26, s74, s76
	s_addc_u32 s73, s77, 0
	s_add_u32 s26, s26, s72
	s_addc_u32 s72, 0, s73
	v_add_co_u32 v4, s26, v4, s26
	s_delay_alu instid0(VALU_DEP_1) | instskip(SKIP_1) | instid1(VALU_DEP_1)
	s_cmp_lg_u32 s26, 0
	s_addc_u32 s8, s8, s72
	v_readfirstlane_b32 s26, v4
	s_mul_i32 s72, s47, s8
	s_delay_alu instid0(VALU_DEP_1)
	s_mul_hi_u32 s73, s47, s26
	s_mul_i32 s59, s59, s26
	s_add_i32 s72, s73, s72
	s_mul_i32 s47, s47, s26
	s_add_i32 s72, s72, s59
	s_mul_hi_u32 s73, s8, s47
	s_mul_i32 s74, s8, s47
	s_mul_hi_u32 s47, s26, s47
	s_mul_hi_u32 s75, s26, s72
	s_mul_i32 s26, s26, s72
	s_mul_hi_u32 s59, s8, s72
	s_add_u32 s26, s47, s26
	s_addc_u32 s47, 0, s75
	s_add_u32 s26, s26, s74
	s_mul_i32 s72, s8, s72
	s_addc_u32 s26, s47, s73
	s_addc_u32 s47, s59, 0
	s_add_u32 s26, s26, s72
	s_addc_u32 s47, 0, s47
	v_add_co_u32 v4, s26, v4, s26
	s_delay_alu instid0(VALU_DEP_1) | instskip(SKIP_1) | instid1(VALU_DEP_1)
	s_cmp_lg_u32 s26, 0
	s_addc_u32 s8, s8, s47
	v_readfirstlane_b32 s26, v4
	s_mul_i32 s59, s25, s8
	s_mul_hi_u32 s47, s25, s8
	s_mul_hi_u32 s72, s9, s8
	s_mul_i32 s8, s9, s8
	s_mul_hi_u32 s73, s25, s26
	s_mul_hi_u32 s74, s9, s26
	s_mul_i32 s26, s9, s26
	s_add_u32 s59, s73, s59
	s_addc_u32 s47, 0, s47
	s_add_u32 s26, s59, s26
	s_addc_u32 s26, s47, s74
	s_addc_u32 s47, s72, 0
	s_add_u32 s8, s26, s8
	s_addc_u32 s26, 0, s47
	s_mul_hi_u32 s47, s33, s8
	s_mul_i32 s8, s33, s8
	s_mul_i32 s26, s33, s26
	v_sub_co_u32 v4, s8, s25, s8
	s_add_i32 s47, s47, s26
	s_cmp_lg_u32 s8, 0
	s_delay_alu instid0(VALU_DEP_1) | instskip(SKIP_3) | instid1(VALU_DEP_2)
	v_sub_co_u32 v5, s8, v4, s33
	s_subb_u32 s26, s9, s47
	s_cmp_lg_u32 s8, 0
	v_cmp_le_u32_e32 vcc_lo, s33, v4
	v_cmp_le_u32_e64 s8, s33, v5
	v_sub_co_u32 v6, s47, v5, s33
	s_subb_u32 s59, s26, 0
	s_cmp_lg_u32 s47, 0
	s_delay_alu instid0(VALU_DEP_2)
	v_cndmask_b32_e64 v7, 0, -1, s8
	s_subb_u32 s47, s59, 0
	s_cmp_eq_u32 s59, 0
	v_mov_b32_e32 v9, s47
	v_cndmask_b32_e64 v8, 0, -1, vcc_lo
	s_cselect_b32 vcc_lo, -1, 0
	s_cmp_eq_u32 s26, 0
	v_cndmask_b32_e32 v7, -1, v7, vcc_lo
	s_cselect_b32 vcc_lo, -1, 0
	v_cndmask_b32_e32 v8, -1, v8, vcc_lo
	s_delay_alu instid0(VALU_DEP_2) | instskip(NEXT) | instid1(VALU_DEP_2)
	v_cmp_ne_u32_e32 vcc_lo, 0, v7
	v_cmp_ne_u32_e64 s8, 0, v8
	v_cndmask_b32_e32 v7, s59, v9, vcc_lo
	v_cndmask_b32_e32 v6, v5, v6, vcc_lo
	s_delay_alu instid0(VALU_DEP_2) | instskip(NEXT) | instid1(VALU_DEP_2)
	v_cndmask_b32_e64 v5, s26, v7, s8
	v_cndmask_b32_e64 v4, v4, v6, s8
	s_cbranch_execnz .LBB201_158
.LBB201_157:                            ;   in Loop: Header=BB201_31 Depth=1
	v_cvt_f32_u32_e32 v4, s33
	s_sub_i32 s8, 0, s33
	s_delay_alu instid0(VALU_DEP_1) | instskip(SKIP_2) | instid1(VALU_DEP_1)
	v_rcp_iflag_f32_e32 v4, v4
	s_waitcnt_depctr 0xfff
	v_mul_f32_e32 v4, 0x4f7ffffe, v4
	v_cvt_u32_f32_e32 v4, v4
	s_delay_alu instid0(VALU_DEP_1) | instskip(NEXT) | instid1(VALU_DEP_1)
	v_mul_lo_u32 v5, s8, v4
	v_mul_hi_u32 v5, v4, v5
	s_delay_alu instid0(VALU_DEP_1) | instskip(NEXT) | instid1(VALU_DEP_1)
	v_add_nc_u32_e32 v4, v4, v5
	v_mul_hi_u32 v4, s25, v4
	s_delay_alu instid0(VALU_DEP_1) | instskip(NEXT) | instid1(VALU_DEP_1)
	v_mul_lo_u32 v4, v4, s33
	v_sub_nc_u32_e32 v4, s25, v4
	s_delay_alu instid0(VALU_DEP_1) | instskip(SKIP_1) | instid1(VALU_DEP_2)
	v_subrev_nc_u32_e32 v5, s33, v4
	v_cmp_le_u32_e32 vcc_lo, s33, v4
	v_cndmask_b32_e32 v4, v4, v5, vcc_lo
	s_delay_alu instid0(VALU_DEP_1) | instskip(SKIP_1) | instid1(VALU_DEP_2)
	v_subrev_nc_u32_e32 v5, s33, v4
	v_cmp_le_u32_e32 vcc_lo, s33, v4
	v_cndmask_b32_e32 v12, v4, v5, vcc_lo
	s_delay_alu instid0(VALU_DEP_1)
	v_dual_mov_b32 v4, v12 :: v_dual_mov_b32 v5, v13
.LBB201_158:                            ;   in Loop: Header=BB201_31 Depth=1
	s_delay_alu instid0(VALU_DEP_1) | instskip(NEXT) | instid1(VALU_DEP_2)
	v_sub_co_u32 v6, vcc_lo, s25, v4
	v_sub_co_ci_u32_e32 v7, vcc_lo, s9, v5, vcc_lo
	s_mov_b32 s8, 0
	s_mov_b32 s9, exec_lo
                                        ; implicit-def: $vgpr5
	s_delay_alu instid0(VALU_DEP_1)
	v_cmpx_gt_u64_e64 v[6:7], v[0:1]
	s_cbranch_execz .LBB201_170
; %bb.159:                              ;   in Loop: Header=BB201_31 Depth=1
	v_dual_mov_b32 v12, v14 :: v_dual_mov_b32 v9, v1
	v_mov_b32_e32 v8, v0
	s_mov_b32 s25, 0
                                        ; implicit-def: $sgpr26
	s_set_inst_prefetch_distance 0x1
	s_branch .LBB201_161
	.p2align	6
.LBB201_160:                            ;   in Loop: Header=BB201_161 Depth=2
	s_or_b32 exec_lo, exec_lo, s8
	s_waitcnt lgkmcnt(0)
	s_barrier
	buffer_gl0_inv
	ds_load_b64 v[4:5], v13 offset:3072
	v_add_co_u32 v8, vcc_lo, v8, s33
	v_add_co_ci_u32_e32 v9, vcc_lo, 0, v9, vcc_lo
	v_add_nc_u32_e32 v12, s93, v12
	s_waitcnt lgkmcnt(0)
	s_barrier
	s_delay_alu instid0(VALU_DEP_2) | instskip(SKIP_2) | instid1(VALU_DEP_1)
	v_cmp_ge_u64_e32 vcc_lo, v[8:9], v[6:7]
	buffer_gl0_inv
	v_cmp_neq_f32_e64 s8, 0, v4
	s_or_b32 s47, vcc_lo, s8
	s_delay_alu instid0(SALU_CYCLE_1) | instskip(NEXT) | instid1(SALU_CYCLE_1)
	s_and_b32 s47, exec_lo, s47
	s_or_b32 s25, s47, s25
	s_and_not1_b32 s26, s26, exec_lo
	s_and_b32 s8, s8, exec_lo
	s_delay_alu instid0(SALU_CYCLE_1)
	s_or_b32 s26, s26, s8
	s_and_not1_b32 exec_lo, exec_lo, s25
	s_cbranch_execz .LBB201_169
.LBB201_161:                            ;   Parent Loop BB201_31 Depth=1
                                        ; =>  This Inner Loop Header: Depth=2
	s_delay_alu instid0(VALU_DEP_1)
	v_cmp_gt_u64_e32 vcc_lo, s[18:19], v[8:9]
	v_mov_b32_e32 v27, 0
	s_and_saveexec_b32 s8, vcc_lo
	s_cbranch_execz .LBB201_163
; %bb.162:                              ;   in Loop: Header=BB201_161 Depth=2
	ds_load_b32 v27, v12
.LBB201_163:                            ;   in Loop: Header=BB201_161 Depth=2
	s_or_b32 exec_lo, exec_lo, s8
	s_and_saveexec_b32 s8, vcc_lo
	s_cbranch_execz .LBB201_160
; %bb.164:                              ;   in Loop: Header=BB201_161 Depth=2
	s_waitcnt lgkmcnt(0)
	v_cmp_lt_i32_e32 vcc_lo, -1, v27
	v_cndmask_b32_e64 v4, -1, 0x80000000, vcc_lo
	v_cmp_o_f32_e32 vcc_lo, v27, v27
	s_delay_alu instid0(VALU_DEP_2) | instskip(NEXT) | instid1(VALU_DEP_1)
	v_xor_b32_e32 v4, v4, v27
	v_cndmask_b32_e32 v4, -1, v4, vcc_lo
	s_delay_alu instid0(VALU_DEP_1) | instskip(NEXT) | instid1(VALU_DEP_1)
	v_and_b32_e32 v4, v4, v34
	v_cmp_eq_u32_e32 vcc_lo, v4, v33
	s_and_b32 exec_lo, exec_lo, vcc_lo
	s_cbranch_execz .LBB201_160
; %bb.165:                              ;   in Loop: Header=BB201_161 Depth=2
	ds_store_b64 v13, v[26:27] offset:3072
	s_branch .LBB201_160
.LBB201_166:                            ;   in Loop: Header=BB201_31 Depth=1
                                        ; implicit-def: $vgpr2_vgpr3
	s_branch .LBB201_111
.LBB201_167:                            ;   in Loop: Header=BB201_31 Depth=1
                                        ; implicit-def: $vgpr2_vgpr3
	s_branch .LBB201_127
.LBB201_168:                            ;   in Loop: Header=BB201_31 Depth=1
	s_mov_b32 s25, -1
	s_mov_b32 s8, 0
                                        ; implicit-def: $sgpr72
                                        ; implicit-def: $vgpr5
	s_mov_b32 s73, s25
	s_cbranch_execnz .LBB201_171
	s_branch .LBB201_184
.LBB201_169:                            ;   in Loop: Header=BB201_31 Depth=1
	s_set_inst_prefetch_distance 0x2
	s_or_b32 exec_lo, exec_lo, s25
	s_delay_alu instid0(SALU_CYCLE_1)
	s_and_b32 s8, s26, exec_lo
.LBB201_170:                            ;   in Loop: Header=BB201_31 Depth=1
	s_or_b32 exec_lo, exec_lo, s9
	s_mov_b32 s72, -1
	s_mov_b32 s25, 0
	s_delay_alu instid0(SALU_CYCLE_1)
	s_mov_b32 s73, s25
	s_branch .LBB201_184
.LBB201_171:                            ;   in Loop: Header=BB201_31 Depth=1
	s_mov_b32 s26, s61
	s_delay_alu instid0(SALU_CYCLE_1)
	s_cmp_lg_u64 s[26:27], 0
	s_cbranch_scc0 .LBB201_213
; %bb.172:                              ;   in Loop: Header=BB201_31 Depth=1
	v_cvt_f32_u32_e32 v4, s33
	s_sub_u32 s18, 0, s33
	s_subb_u32 s19, 0, 0
	s_delay_alu instid0(VALU_DEP_1) | instskip(NEXT) | instid1(VALU_DEP_1)
	v_fmac_f32_e64 v4, 0, 0x4f800000
	v_rcp_f32_e32 v4, v4
	s_waitcnt_depctr 0xfff
	v_mul_f32_e32 v4, 0x5f7ffffc, v4
	s_delay_alu instid0(VALU_DEP_1) | instskip(NEXT) | instid1(VALU_DEP_1)
	v_mul_f32_e32 v5, 0x2f800000, v4
	v_trunc_f32_e32 v5, v5
	s_delay_alu instid0(VALU_DEP_1) | instskip(SKIP_1) | instid1(VALU_DEP_2)
	v_fmac_f32_e32 v4, 0xcf800000, v5
	v_cvt_u32_f32_e32 v5, v5
	v_cvt_u32_f32_e32 v4, v4
	s_delay_alu instid0(VALU_DEP_2) | instskip(NEXT) | instid1(VALU_DEP_2)
	v_readfirstlane_b32 s8, v5
	v_readfirstlane_b32 s9, v4
	s_delay_alu instid0(VALU_DEP_2) | instskip(NEXT) | instid1(VALU_DEP_1)
	s_mul_i32 s25, s18, s8
	s_mul_hi_u32 s47, s18, s9
	s_mul_i32 s26, s19, s9
	s_add_i32 s25, s47, s25
	s_mul_i32 s59, s18, s9
	s_add_i32 s25, s25, s26
	s_mul_hi_u32 s47, s9, s59
	s_mul_hi_u32 s72, s8, s59
	s_mul_i32 s26, s8, s59
	s_mul_hi_u32 s59, s9, s25
	s_mul_i32 s9, s9, s25
	s_mul_hi_u32 s73, s8, s25
	s_add_u32 s9, s47, s9
	s_addc_u32 s47, 0, s59
	s_add_u32 s9, s9, s26
	s_mul_i32 s25, s8, s25
	s_addc_u32 s9, s47, s72
	s_addc_u32 s26, s73, 0
	s_add_u32 s9, s9, s25
	s_addc_u32 s25, 0, s26
	v_add_co_u32 v4, s9, v4, s9
	s_delay_alu instid0(VALU_DEP_1) | instskip(SKIP_1) | instid1(VALU_DEP_1)
	s_cmp_lg_u32 s9, 0
	s_addc_u32 s8, s8, s25
	v_readfirstlane_b32 s9, v4
	s_mul_i32 s25, s18, s8
	s_delay_alu instid0(VALU_DEP_1)
	s_mul_hi_u32 s26, s18, s9
	s_mul_i32 s19, s19, s9
	s_add_i32 s25, s26, s25
	s_mul_i32 s18, s18, s9
	s_add_i32 s25, s25, s19
	s_mul_hi_u32 s26, s8, s18
	s_mul_i32 s47, s8, s18
	s_mul_hi_u32 s18, s9, s18
	s_mul_hi_u32 s59, s9, s25
	s_mul_i32 s9, s9, s25
	s_mul_hi_u32 s19, s8, s25
	s_add_u32 s9, s18, s9
	s_addc_u32 s18, 0, s59
	s_add_u32 s9, s9, s47
	s_mul_i32 s25, s8, s25
	s_addc_u32 s9, s18, s26
	s_addc_u32 s18, s19, 0
	s_add_u32 s9, s9, s25
	s_addc_u32 s18, 0, s18
	v_add_co_u32 v4, s9, v4, s9
	s_delay_alu instid0(VALU_DEP_1) | instskip(SKIP_1) | instid1(VALU_DEP_1)
	s_cmp_lg_u32 s9, 0
	s_addc_u32 s8, s8, s18
	v_readfirstlane_b32 s9, v4
	s_mul_i32 s19, s87, s8
	s_mul_hi_u32 s18, s87, s8
	s_mul_hi_u32 s25, s27, s8
	s_mul_i32 s8, s27, s8
	s_mul_hi_u32 s26, s87, s9
	s_mul_hi_u32 s47, s27, s9
	s_mul_i32 s9, s27, s9
	s_add_u32 s19, s26, s19
	s_addc_u32 s18, 0, s18
	s_add_u32 s9, s19, s9
	s_addc_u32 s9, s18, s47
	s_addc_u32 s18, s25, 0
	s_add_u32 s8, s9, s8
	s_addc_u32 s9, 0, s18
	s_mul_hi_u32 s18, s33, s8
	s_mul_i32 s8, s33, s8
	s_mul_i32 s9, s33, s9
	v_sub_co_u32 v4, s8, s87, s8
	s_add_i32 s18, s18, s9
	s_cmp_lg_u32 s8, 0
	s_delay_alu instid0(VALU_DEP_1) | instskip(SKIP_2) | instid1(VALU_DEP_1)
	v_sub_co_u32 v5, s8, v4, s33
	s_subb_u32 s9, s27, s18
	s_cmp_lg_u32 s8, 0
	v_cmp_le_u32_e32 vcc_lo, s33, v5
	v_sub_co_u32 v6, s8, v5, s33
	s_subb_u32 s18, s9, 0
	s_cmp_lg_u32 s8, 0
	v_cndmask_b32_e64 v7, 0, -1, vcc_lo
	s_subb_u32 s8, s18, 0
	s_cmp_eq_u32 s18, 0
	v_mov_b32_e32 v9, s8
	s_cselect_b32 vcc_lo, -1, 0
	s_cmp_eq_u32 s9, 0
	v_cndmask_b32_e32 v7, -1, v7, vcc_lo
	v_cmp_le_u32_e32 vcc_lo, s33, v4
	s_cselect_b32 s8, -1, 0
	v_cndmask_b32_e64 v8, 0, -1, vcc_lo
	s_delay_alu instid0(VALU_DEP_3) | instskip(NEXT) | instid1(VALU_DEP_2)
	v_cmp_ne_u32_e32 vcc_lo, 0, v7
	v_cndmask_b32_e64 v7, -1, v8, s8
	v_cndmask_b32_e32 v8, s18, v9, vcc_lo
	v_cndmask_b32_e32 v6, v5, v6, vcc_lo
	s_delay_alu instid0(VALU_DEP_3) | instskip(NEXT) | instid1(VALU_DEP_3)
	v_cmp_ne_u32_e32 vcc_lo, 0, v7
	v_cndmask_b32_e32 v5, s9, v8, vcc_lo
	s_delay_alu instid0(VALU_DEP_3)
	v_cndmask_b32_e32 v4, v4, v6, vcc_lo
	s_cbranch_execnz .LBB201_174
.LBB201_173:                            ;   in Loop: Header=BB201_31 Depth=1
	v_cvt_f32_u32_e32 v4, s33
	s_sub_i32 s8, 0, s33
	s_delay_alu instid0(VALU_DEP_1) | instskip(SKIP_2) | instid1(VALU_DEP_1)
	v_rcp_iflag_f32_e32 v4, v4
	s_waitcnt_depctr 0xfff
	v_mul_f32_e32 v4, 0x4f7ffffe, v4
	v_cvt_u32_f32_e32 v4, v4
	s_delay_alu instid0(VALU_DEP_1) | instskip(NEXT) | instid1(VALU_DEP_1)
	v_mul_lo_u32 v5, s8, v4
	v_mul_hi_u32 v5, v4, v5
	s_delay_alu instid0(VALU_DEP_1) | instskip(NEXT) | instid1(VALU_DEP_1)
	v_add_nc_u32_e32 v4, v4, v5
	v_mul_hi_u32 v4, s87, v4
	s_delay_alu instid0(VALU_DEP_1) | instskip(NEXT) | instid1(VALU_DEP_1)
	v_mul_lo_u32 v4, v4, s33
	v_sub_nc_u32_e32 v4, s87, v4
	s_delay_alu instid0(VALU_DEP_1) | instskip(SKIP_1) | instid1(VALU_DEP_2)
	v_subrev_nc_u32_e32 v5, s33, v4
	v_cmp_le_u32_e32 vcc_lo, s33, v4
	v_cndmask_b32_e32 v4, v4, v5, vcc_lo
	s_delay_alu instid0(VALU_DEP_1) | instskip(SKIP_1) | instid1(VALU_DEP_2)
	v_subrev_nc_u32_e32 v5, s33, v4
	v_cmp_le_u32_e32 vcc_lo, s33, v4
	v_cndmask_b32_e32 v12, v4, v5, vcc_lo
	s_delay_alu instid0(VALU_DEP_1)
	v_dual_mov_b32 v4, v12 :: v_dual_mov_b32 v5, v13
.LBB201_174:                            ;   in Loop: Header=BB201_31 Depth=1
	s_delay_alu instid0(VALU_DEP_1) | instskip(NEXT) | instid1(VALU_DEP_2)
	v_sub_co_u32 v6, vcc_lo, s87, v4
	v_sub_co_ci_u32_e32 v7, vcc_lo, s27, v5, vcc_lo
	s_mov_b32 s8, 0
	s_mov_b32 s9, exec_lo
                                        ; implicit-def: $vgpr5
	s_delay_alu instid0(VALU_DEP_1)
	v_cmpx_gt_u64_e64 v[6:7], v[0:1]
	s_cbranch_execz .LBB201_183
; %bb.175:                              ;   in Loop: Header=BB201_31 Depth=1
	v_dual_mov_b32 v8, v24 :: v_dual_mov_b32 v9, v25
	v_dual_mov_b32 v32, v1 :: v_dual_mov_b32 v31, v0
	s_mov_b32 s18, 0
                                        ; implicit-def: $sgpr19
	s_set_inst_prefetch_distance 0x1
	s_branch .LBB201_177
	.p2align	6
.LBB201_176:                            ;   in Loop: Header=BB201_177 Depth=2
	s_or_b32 exec_lo, exec_lo, s8
	s_waitcnt vmcnt(0) lgkmcnt(0)
	s_barrier
	buffer_gl0_inv
	ds_load_b64 v[4:5], v13 offset:3072
	v_add_co_u32 v31, vcc_lo, v31, s33
	v_add_co_ci_u32_e32 v32, vcc_lo, 0, v32, vcc_lo
	s_waitcnt lgkmcnt(0)
	s_barrier
	buffer_gl0_inv
	v_cmp_ge_u64_e32 vcc_lo, v[31:32], v[6:7]
	v_cmp_neq_f32_e64 s8, 0, v4
	s_delay_alu instid0(VALU_DEP_1)
	s_or_b32 s25, vcc_lo, s8
	v_add_co_u32 v8, vcc_lo, v8, s34
	s_and_b32 s25, exec_lo, s25
	v_add_co_ci_u32_e32 v9, vcc_lo, s35, v9, vcc_lo
	s_or_b32 s18, s25, s18
	s_and_not1_b32 s19, s19, exec_lo
	s_and_b32 s8, s8, exec_lo
	s_delay_alu instid0(SALU_CYCLE_1)
	s_or_b32 s19, s19, s8
	s_and_not1_b32 exec_lo, exec_lo, s18
	s_cbranch_execz .LBB201_182
.LBB201_177:                            ;   Parent Loop BB201_31 Depth=1
                                        ; =>  This Inner Loop Header: Depth=2
	s_delay_alu instid0(VALU_DEP_1)
	v_cmp_gt_u64_e32 vcc_lo, s[36:37], v[31:32]
	v_mov_b32_e32 v27, 0
	s_and_saveexec_b32 s8, vcc_lo
	s_cbranch_execz .LBB201_179
; %bb.178:                              ;   in Loop: Header=BB201_177 Depth=2
	global_load_b32 v27, v[8:9], off
.LBB201_179:                            ;   in Loop: Header=BB201_177 Depth=2
	s_or_b32 exec_lo, exec_lo, s8
	s_and_saveexec_b32 s8, vcc_lo
	s_cbranch_execz .LBB201_176
; %bb.180:                              ;   in Loop: Header=BB201_177 Depth=2
	s_waitcnt vmcnt(0)
	v_cmp_lt_i32_e32 vcc_lo, -1, v27
	v_cndmask_b32_e64 v4, -1, 0x80000000, vcc_lo
	v_cmp_o_f32_e32 vcc_lo, v27, v27
	s_delay_alu instid0(VALU_DEP_2) | instskip(NEXT) | instid1(VALU_DEP_1)
	v_xor_b32_e32 v4, v4, v27
	v_cndmask_b32_e32 v4, -1, v4, vcc_lo
	s_delay_alu instid0(VALU_DEP_1) | instskip(NEXT) | instid1(VALU_DEP_1)
	v_and_b32_e32 v4, v4, v34
	v_cmp_eq_u32_e32 vcc_lo, v4, v33
	s_and_b32 exec_lo, exec_lo, vcc_lo
	s_cbranch_execz .LBB201_176
; %bb.181:                              ;   in Loop: Header=BB201_177 Depth=2
	ds_store_b64 v13, v[26:27] offset:3072
	s_branch .LBB201_176
.LBB201_182:                            ;   in Loop: Header=BB201_31 Depth=1
	s_set_inst_prefetch_distance 0x2
	s_or_b32 exec_lo, exec_lo, s18
	s_delay_alu instid0(SALU_CYCLE_1)
	s_and_b32 s8, s19, exec_lo
.LBB201_183:                            ;   in Loop: Header=BB201_31 Depth=1
	s_or_b32 exec_lo, exec_lo, s9
	s_mov_b32 s73, -1
	s_mov_b32 s25, 0
	s_mov_b32 s72, 0
.LBB201_184:                            ;   in Loop: Header=BB201_31 Depth=1
	s_or_not1_b32 s8, s8, exec_lo
.LBB201_185:                            ;   in Loop: Header=BB201_31 Depth=1
	s_or_b32 exec_lo, exec_lo, s46
	s_mov_b32 s26, 0
                                        ; implicit-def: $vgpr8
	s_and_saveexec_b32 s74, s8
	s_cbranch_execz .LBB201_298
; %bb.186:                              ;   in Loop: Header=BB201_31 Depth=1
	v_mov_b32_e32 v6, 1
	v_dual_mov_b32 v7, 0 :: v_dual_mov_b32 v8, 1
	s_xor_b32 s9, s58, -1
	s_delay_alu instid0(SALU_CYCLE_1)
	s_and_saveexec_b32 s8, s9
	s_cbranch_execz .LBB201_196
; %bb.187:                              ;   in Loop: Header=BB201_31 Depth=1
	s_mov_b32 s18, exec_lo
                                        ; implicit-def: $sgpr19
                                        ; implicit-def: $sgpr9
	v_cmpx_ge_u64_e64 s[12:13], v[2:3]
	s_xor_b32 s18, exec_lo, s18
	s_cbranch_execz .LBB201_193
; %bb.188:                              ;   in Loop: Header=BB201_31 Depth=1
	ds_load_b64 v[6:7], v13 offset:5120
	s_waitcnt lgkmcnt(0)
	v_cmp_ne_u64_e32 vcc_lo, 0, v[6:7]
	s_cbranch_vccnz .LBB201_192
; %bb.189:                              ;   in Loop: Header=BB201_31 Depth=1
	s_and_saveexec_b32 s9, s5
	s_cbranch_execz .LBB201_191
; %bb.190:                              ;   in Loop: Header=BB201_31 Depth=1
	v_dual_mov_b32 v6, s12 :: v_dual_mov_b32 v7, s13
	ds_store_b64 v13, v[6:7] offset:5128
.LBB201_191:                            ;   in Loop: Header=BB201_31 Depth=1
	s_or_b32 exec_lo, exec_lo, s9
	s_waitcnt lgkmcnt(0)
	s_barrier
	buffer_gl0_inv
.LBB201_192:                            ;   in Loop: Header=BB201_31 Depth=1
	s_lshl_b32 s9, 1, s22
	v_or_b32_e32 v34, s20, v34
	v_and_or_b32 v33, v33, s21, s9
	s_mov_b32 s9, 0
	s_mov_b32 s19, 8
.LBB201_193:                            ;   in Loop: Header=BB201_31 Depth=1
	s_or_saveexec_b32 s18, s18
	v_mov_b32_e32 v8, s19
	s_xor_b32 exec_lo, exec_lo, s18
; %bb.194:                              ;   in Loop: Header=BB201_31 Depth=1
	v_sub_co_u32 v2, vcc_lo, v2, s12
	v_subrev_co_ci_u32_e32 v3, vcc_lo, s13, v3, vcc_lo
	v_mov_b32_e32 v8, 0
	s_or_b32 s9, s9, exec_lo
; %bb.195:                              ;   in Loop: Header=BB201_31 Depth=1
	s_or_b32 exec_lo, exec_lo, s18
	s_delay_alu instid0(VALU_DEP_2)
	v_dual_mov_b32 v7, v3 :: v_dual_mov_b32 v6, v2
	s_and_b32 s26, s9, exec_lo
.LBB201_196:                            ;   in Loop: Header=BB201_31 Depth=1
	s_or_b32 exec_lo, exec_lo, s8
	s_mov_b32 s8, -1
                                        ; implicit-def: $sgpr9
                                        ; implicit-def: $sgpr18
                                        ; implicit-def: $sgpr19
	s_and_saveexec_b32 s75, s26
	s_cbranch_execz .LBB201_297
; %bb.197:                              ;   in Loop: Header=BB201_31 Depth=1
	v_cmp_eq_u64_e32 vcc_lo, 1, v[6:7]
	s_cmp_eq_u64 s[14:15], 1
                                        ; implicit-def: $sgpr76
                                        ; implicit-def: $sgpr78
                                        ; implicit-def: $sgpr77
	s_cselect_b32 s8, -1, 0
	s_delay_alu instid0(SALU_CYCLE_1)
	s_and_b32 s58, s8, vcc_lo
	s_mov_b32 s8, -1
	s_and_saveexec_b32 s59, s58
	s_cbranch_execz .LBB201_231
; %bb.198:                              ;   in Loop: Header=BB201_31 Depth=1
	ds_load_b64 v[2:3], v13 offset:5120
	s_waitcnt lgkmcnt(0)
	s_barrier
	buffer_gl0_inv
	v_readfirstlane_b32 s18, v2
	v_readfirstlane_b32 s19, v3
	s_and_saveexec_b32 s8, s6
	s_cbranch_execz .LBB201_200
; %bb.199:                              ;   in Loop: Header=BB201_31 Depth=1
	ds_store_b32 v46, v13
.LBB201_200:                            ;   in Loop: Header=BB201_31 Depth=1
	s_or_b32 exec_lo, exec_lo, s8
	s_lshl_b32 s8, 2, s22
	v_or_b32_e32 v34, s20, v34
	v_and_or_b32 v33, v33, s21, s8
	s_cmp_eq_u64 s[18:19], 0
	s_waitcnt lgkmcnt(0)
	s_barrier
	buffer_gl0_inv
	s_cbranch_scc1 .LBB201_214
; %bb.201:                              ;   in Loop: Header=BB201_31 Depth=1
	s_add_u32 s26, s85, s18
	s_addc_u32 s9, s86, s19
	s_mov_b32 s8, s61
	s_delay_alu instid0(SALU_CYCLE_1)
	s_cmp_lg_u64 s[8:9], 0
	s_cbranch_scc0 .LBB201_249
; %bb.202:                              ;   in Loop: Header=BB201_31 Depth=1
	v_cvt_f32_u32_e32 v2, s33
	s_sub_u32 s47, 0, s33
	s_subb_u32 s76, 0, 0
	s_delay_alu instid0(VALU_DEP_1) | instskip(NEXT) | instid1(VALU_DEP_1)
	v_fmac_f32_e64 v2, 0, 0x4f800000
	v_rcp_f32_e32 v2, v2
	s_waitcnt_depctr 0xfff
	v_mul_f32_e32 v2, 0x5f7ffffc, v2
	s_delay_alu instid0(VALU_DEP_1) | instskip(NEXT) | instid1(VALU_DEP_1)
	v_mul_f32_e32 v3, 0x2f800000, v2
	v_trunc_f32_e32 v3, v3
	s_delay_alu instid0(VALU_DEP_1) | instskip(SKIP_1) | instid1(VALU_DEP_2)
	v_fmac_f32_e32 v2, 0xcf800000, v3
	v_cvt_u32_f32_e32 v3, v3
	v_cvt_u32_f32_e32 v2, v2
	s_delay_alu instid0(VALU_DEP_2) | instskip(NEXT) | instid1(VALU_DEP_2)
	v_readfirstlane_b32 s8, v3
	v_readfirstlane_b32 s46, v2
	s_delay_alu instid0(VALU_DEP_2) | instskip(NEXT) | instid1(VALU_DEP_1)
	s_mul_i32 s77, s47, s8
	s_mul_hi_u32 s79, s47, s46
	s_mul_i32 s78, s76, s46
	s_add_i32 s77, s79, s77
	s_mul_i32 vcc_lo, s47, s46
	s_add_i32 s77, s77, s78
	s_mul_hi_u32 s79, s46, vcc_lo
	s_mul_hi_u32 s78, s46, s77
	s_mul_i32 s46, s46, s77
	s_mul_i32 s57, s8, vcc_lo
	s_add_u32 s46, s79, s46
	s_mul_hi_u32 s56, s8, vcc_lo
	s_addc_u32 s78, 0, s78
	s_mul_hi_u32 vcc_lo, s8, s77
	s_add_u32 s46, s46, s57
	s_mul_i32 s77, s8, s77
	s_addc_u32 s46, s78, s56
	s_addc_u32 s56, vcc_lo, 0
	s_add_u32 s46, s46, s77
	s_addc_u32 s56, 0, s56
	v_add_co_u32 v2, s46, v2, s46
	s_delay_alu instid0(VALU_DEP_1) | instskip(SKIP_1) | instid1(VALU_DEP_1)
	s_cmp_lg_u32 s46, 0
	s_addc_u32 s8, s8, s56
	v_readfirstlane_b32 s46, v2
	s_mul_i32 s56, s47, s8
	s_delay_alu instid0(VALU_DEP_1)
	s_mul_hi_u32 s57, s47, s46
	s_mul_i32 s76, s76, s46
	s_add_i32 s56, s57, s56
	s_mul_i32 s47, s47, s46
	s_add_i32 s56, s56, s76
	s_mul_hi_u32 s57, s8, s47
	s_mul_i32 s77, s8, s47
	s_mul_hi_u32 s47, s46, s47
	s_mul_hi_u32 s78, s46, s56
	s_mul_i32 s46, s46, s56
	s_mul_hi_u32 s76, s8, s56
	s_add_u32 s46, s47, s46
	s_addc_u32 s47, 0, s78
	s_add_u32 s46, s46, s77
	s_mul_i32 s56, s8, s56
	s_addc_u32 s46, s47, s57
	s_addc_u32 s47, s76, 0
	s_add_u32 s46, s46, s56
	s_addc_u32 s47, 0, s47
	v_add_co_u32 v2, s46, v2, s46
	s_delay_alu instid0(VALU_DEP_1) | instskip(SKIP_1) | instid1(VALU_DEP_1)
	s_cmp_lg_u32 s46, 0
	s_addc_u32 s8, s8, s47
	v_readfirstlane_b32 s46, v2
	s_mul_i32 s56, s26, s8
	s_mul_hi_u32 s47, s26, s8
	s_mul_hi_u32 s57, s9, s8
	s_mul_i32 s8, s9, s8
	s_mul_hi_u32 s76, s26, s46
	s_mul_hi_u32 s77, s9, s46
	s_mul_i32 s46, s9, s46
	s_add_u32 s56, s76, s56
	s_addc_u32 s47, 0, s47
	s_add_u32 s46, s56, s46
	s_addc_u32 s46, s47, s77
	s_addc_u32 s47, s57, 0
	s_add_u32 s8, s46, s8
	s_addc_u32 s46, 0, s47
	s_mul_hi_u32 s47, s33, s8
	s_mul_i32 s8, s33, s8
	s_mul_i32 s46, s33, s46
	v_sub_co_u32 v2, s8, s26, s8
	s_add_i32 s47, s47, s46
	s_cmp_lg_u32 s8, 0
	s_delay_alu instid0(VALU_DEP_1) | instskip(SKIP_3) | instid1(VALU_DEP_2)
	v_sub_co_u32 v3, s8, v2, s33
	s_subb_u32 s46, s9, s47
	s_cmp_lg_u32 s8, 0
	v_cmp_le_u32_e32 vcc_lo, s33, v2
	v_cmp_le_u32_e64 s8, s33, v3
	v_sub_co_u32 v4, s47, v3, s33
	s_subb_u32 s56, s46, 0
	s_cmp_lg_u32 s47, 0
	s_delay_alu instid0(VALU_DEP_2)
	v_cndmask_b32_e64 v5, 0, -1, s8
	s_subb_u32 s47, s56, 0
	s_cmp_eq_u32 s56, 0
	v_mov_b32_e32 v9, s47
	v_cndmask_b32_e64 v8, 0, -1, vcc_lo
	s_cselect_b32 vcc_lo, -1, 0
	s_cmp_eq_u32 s46, 0
	v_cndmask_b32_e32 v5, -1, v5, vcc_lo
	s_cselect_b32 vcc_lo, -1, 0
	v_cndmask_b32_e32 v8, -1, v8, vcc_lo
	s_delay_alu instid0(VALU_DEP_2) | instskip(NEXT) | instid1(VALU_DEP_2)
	v_cmp_ne_u32_e32 vcc_lo, 0, v5
	v_cmp_ne_u32_e64 s8, 0, v8
	v_cndmask_b32_e32 v5, s56, v9, vcc_lo
	v_cndmask_b32_e32 v4, v3, v4, vcc_lo
	s_delay_alu instid0(VALU_DEP_2) | instskip(NEXT) | instid1(VALU_DEP_2)
	v_cndmask_b32_e64 v3, s46, v5, s8
	v_cndmask_b32_e64 v2, v2, v4, s8
	s_cbranch_execnz .LBB201_204
.LBB201_203:                            ;   in Loop: Header=BB201_31 Depth=1
	v_cvt_f32_u32_e32 v2, s33
	s_sub_i32 s8, 0, s33
	s_delay_alu instid0(VALU_DEP_1) | instskip(SKIP_2) | instid1(VALU_DEP_1)
	v_rcp_iflag_f32_e32 v2, v2
	s_waitcnt_depctr 0xfff
	v_mul_f32_e32 v2, 0x4f7ffffe, v2
	v_cvt_u32_f32_e32 v2, v2
	s_delay_alu instid0(VALU_DEP_1) | instskip(NEXT) | instid1(VALU_DEP_1)
	v_mul_lo_u32 v3, s8, v2
	v_mul_hi_u32 v3, v2, v3
	s_delay_alu instid0(VALU_DEP_1) | instskip(NEXT) | instid1(VALU_DEP_1)
	v_add_nc_u32_e32 v2, v2, v3
	v_mul_hi_u32 v2, s26, v2
	s_delay_alu instid0(VALU_DEP_1) | instskip(NEXT) | instid1(VALU_DEP_1)
	v_mul_lo_u32 v2, v2, s33
	v_sub_nc_u32_e32 v2, s26, v2
	s_delay_alu instid0(VALU_DEP_1) | instskip(SKIP_1) | instid1(VALU_DEP_2)
	v_subrev_nc_u32_e32 v3, s33, v2
	v_cmp_le_u32_e32 vcc_lo, s33, v2
	v_cndmask_b32_e32 v2, v2, v3, vcc_lo
	s_delay_alu instid0(VALU_DEP_1) | instskip(SKIP_1) | instid1(VALU_DEP_2)
	v_subrev_nc_u32_e32 v3, s33, v2
	v_cmp_le_u32_e32 vcc_lo, s33, v2
	v_cndmask_b32_e32 v12, v2, v3, vcc_lo
	s_delay_alu instid0(VALU_DEP_1)
	v_dual_mov_b32 v2, v12 :: v_dual_mov_b32 v3, v13
.LBB201_204:                            ;   in Loop: Header=BB201_31 Depth=1
	s_delay_alu instid0(VALU_DEP_1) | instskip(NEXT) | instid1(VALU_DEP_2)
	v_sub_co_u32 v2, vcc_lo, s26, v2
	v_sub_co_ci_u32_e32 v3, vcc_lo, s9, v3, vcc_lo
	s_mov_b32 s8, 0
	s_mov_b32 s9, exec_lo
                                        ; implicit-def: $vgpr5
	s_delay_alu instid0(VALU_DEP_1)
	v_cmpx_gt_u64_e64 v[2:3], v[0:1]
	s_cbranch_execz .LBB201_216
; %bb.205:                              ;   in Loop: Header=BB201_31 Depth=1
	v_dual_mov_b32 v12, v14 :: v_dual_mov_b32 v9, v1
	v_mov_b32_e32 v8, v0
	s_mov_b32 s26, 0
                                        ; implicit-def: $sgpr46
	s_set_inst_prefetch_distance 0x1
	s_branch .LBB201_207
	.p2align	6
.LBB201_206:                            ;   in Loop: Header=BB201_207 Depth=2
	s_or_b32 exec_lo, exec_lo, s8
	s_waitcnt lgkmcnt(0)
	s_barrier
	buffer_gl0_inv
	ds_load_b64 v[4:5], v13 offset:3072
	v_add_co_u32 v8, vcc_lo, v8, s33
	v_add_co_ci_u32_e32 v9, vcc_lo, 0, v9, vcc_lo
	v_add_nc_u32_e32 v12, s93, v12
	s_waitcnt lgkmcnt(0)
	s_barrier
	s_delay_alu instid0(VALU_DEP_2) | instskip(SKIP_2) | instid1(VALU_DEP_1)
	v_cmp_ge_u64_e32 vcc_lo, v[8:9], v[2:3]
	buffer_gl0_inv
	v_cmp_neq_f32_e64 s8, 0, v4
	s_or_b32 s47, vcc_lo, s8
	s_delay_alu instid0(SALU_CYCLE_1) | instskip(NEXT) | instid1(SALU_CYCLE_1)
	s_and_b32 s47, exec_lo, s47
	s_or_b32 s26, s47, s26
	s_and_not1_b32 s46, s46, exec_lo
	s_and_b32 s8, s8, exec_lo
	s_delay_alu instid0(SALU_CYCLE_1)
	s_or_b32 s46, s46, s8
	s_and_not1_b32 exec_lo, exec_lo, s26
	s_cbranch_execz .LBB201_215
.LBB201_207:                            ;   Parent Loop BB201_31 Depth=1
                                        ; =>  This Inner Loop Header: Depth=2
	s_delay_alu instid0(VALU_DEP_1)
	v_cmp_gt_u64_e32 vcc_lo, s[18:19], v[8:9]
	v_mov_b32_e32 v27, 0
	s_and_saveexec_b32 s8, vcc_lo
	s_cbranch_execz .LBB201_209
; %bb.208:                              ;   in Loop: Header=BB201_207 Depth=2
	ds_load_b32 v27, v12
.LBB201_209:                            ;   in Loop: Header=BB201_207 Depth=2
	s_or_b32 exec_lo, exec_lo, s8
	s_and_saveexec_b32 s8, vcc_lo
	s_cbranch_execz .LBB201_206
; %bb.210:                              ;   in Loop: Header=BB201_207 Depth=2
	s_waitcnt lgkmcnt(0)
	v_cmp_lt_i32_e32 vcc_lo, -1, v27
	v_cndmask_b32_e64 v4, -1, 0x80000000, vcc_lo
	v_cmp_o_f32_e32 vcc_lo, v27, v27
	s_delay_alu instid0(VALU_DEP_2) | instskip(NEXT) | instid1(VALU_DEP_1)
	v_xor_b32_e32 v4, v4, v27
	v_cndmask_b32_e32 v4, -1, v4, vcc_lo
	s_delay_alu instid0(VALU_DEP_1) | instskip(NEXT) | instid1(VALU_DEP_1)
	v_and_b32_e32 v4, v4, v34
	v_cmp_eq_u32_e32 vcc_lo, v4, v33
	s_and_b32 exec_lo, exec_lo, vcc_lo
	s_cbranch_execz .LBB201_206
; %bb.211:                              ;   in Loop: Header=BB201_207 Depth=2
	ds_store_b64 v13, v[26:27] offset:3072
	s_branch .LBB201_206
.LBB201_212:                            ;   in Loop: Header=BB201_31 Depth=1
                                        ; implicit-def: $vgpr4_vgpr5
	s_branch .LBB201_157
.LBB201_213:                            ;   in Loop: Header=BB201_31 Depth=1
                                        ; implicit-def: $vgpr4_vgpr5
	s_branch .LBB201_173
.LBB201_214:                            ;   in Loop: Header=BB201_31 Depth=1
	s_mov_b32 s76, -1
	s_mov_b32 s8, 0
                                        ; implicit-def: $sgpr77
                                        ; implicit-def: $vgpr5
	s_mov_b32 s78, s76
	s_cbranch_execnz .LBB201_217
	s_branch .LBB201_230
.LBB201_215:                            ;   in Loop: Header=BB201_31 Depth=1
	s_set_inst_prefetch_distance 0x2
	s_or_b32 exec_lo, exec_lo, s26
	s_delay_alu instid0(SALU_CYCLE_1)
	s_and_b32 s8, s46, exec_lo
.LBB201_216:                            ;   in Loop: Header=BB201_31 Depth=1
	s_or_b32 exec_lo, exec_lo, s9
	s_mov_b32 s77, -1
	s_mov_b32 s76, 0
	s_delay_alu instid0(SALU_CYCLE_1)
	s_mov_b32 s78, s76
	s_branch .LBB201_230
.LBB201_217:                            ;   in Loop: Header=BB201_31 Depth=1
	s_mov_b32 s26, s61
	s_delay_alu instid0(SALU_CYCLE_1)
	s_cmp_lg_u64 s[26:27], 0
	s_cbranch_scc0 .LBB201_250
; %bb.218:                              ;   in Loop: Header=BB201_31 Depth=1
	v_cvt_f32_u32_e32 v2, s33
	s_sub_u32 s18, 0, s33
	s_subb_u32 s19, 0, 0
	s_delay_alu instid0(VALU_DEP_1) | instskip(NEXT) | instid1(VALU_DEP_1)
	v_fmac_f32_e64 v2, 0, 0x4f800000
	v_rcp_f32_e32 v2, v2
	s_waitcnt_depctr 0xfff
	v_mul_f32_e32 v2, 0x5f7ffffc, v2
	s_delay_alu instid0(VALU_DEP_1) | instskip(NEXT) | instid1(VALU_DEP_1)
	v_mul_f32_e32 v3, 0x2f800000, v2
	v_trunc_f32_e32 v3, v3
	s_delay_alu instid0(VALU_DEP_1) | instskip(SKIP_1) | instid1(VALU_DEP_2)
	v_fmac_f32_e32 v2, 0xcf800000, v3
	v_cvt_u32_f32_e32 v3, v3
	v_cvt_u32_f32_e32 v2, v2
	s_delay_alu instid0(VALU_DEP_2) | instskip(NEXT) | instid1(VALU_DEP_2)
	v_readfirstlane_b32 s8, v3
	v_readfirstlane_b32 s9, v2
	s_delay_alu instid0(VALU_DEP_2) | instskip(NEXT) | instid1(VALU_DEP_1)
	s_mul_i32 s26, s18, s8
	s_mul_hi_u32 s47, s18, s9
	s_mul_i32 s46, s19, s9
	s_add_i32 s26, s47, s26
	s_mul_i32 s56, s18, s9
	s_add_i32 s26, s26, s46
	s_mul_hi_u32 s47, s9, s56
	s_mul_hi_u32 s57, s8, s56
	s_mul_i32 s46, s8, s56
	s_mul_hi_u32 s56, s9, s26
	s_mul_i32 s9, s9, s26
	s_mul_hi_u32 s76, s8, s26
	s_add_u32 s9, s47, s9
	s_addc_u32 s47, 0, s56
	s_add_u32 s9, s9, s46
	s_mul_i32 s26, s8, s26
	s_addc_u32 s9, s47, s57
	s_addc_u32 s46, s76, 0
	s_add_u32 s9, s9, s26
	s_addc_u32 s26, 0, s46
	v_add_co_u32 v2, s9, v2, s9
	s_delay_alu instid0(VALU_DEP_1) | instskip(SKIP_1) | instid1(VALU_DEP_1)
	s_cmp_lg_u32 s9, 0
	s_addc_u32 s8, s8, s26
	v_readfirstlane_b32 s9, v2
	s_mul_i32 s26, s18, s8
	s_delay_alu instid0(VALU_DEP_1)
	s_mul_hi_u32 s46, s18, s9
	s_mul_i32 s19, s19, s9
	s_add_i32 s26, s46, s26
	s_mul_i32 s18, s18, s9
	s_add_i32 s26, s26, s19
	s_mul_hi_u32 s46, s8, s18
	s_mul_i32 s47, s8, s18
	s_mul_hi_u32 s18, s9, s18
	s_mul_hi_u32 s56, s9, s26
	s_mul_i32 s9, s9, s26
	s_mul_hi_u32 s19, s8, s26
	s_add_u32 s9, s18, s9
	s_addc_u32 s18, 0, s56
	s_add_u32 s9, s9, s47
	s_mul_i32 s26, s8, s26
	s_addc_u32 s9, s18, s46
	s_addc_u32 s18, s19, 0
	s_add_u32 s9, s9, s26
	s_addc_u32 s18, 0, s18
	v_add_co_u32 v2, s9, v2, s9
	s_delay_alu instid0(VALU_DEP_1) | instskip(SKIP_1) | instid1(VALU_DEP_1)
	s_cmp_lg_u32 s9, 0
	s_addc_u32 s8, s8, s18
	v_readfirstlane_b32 s9, v2
	s_mul_i32 s19, s87, s8
	s_mul_hi_u32 s18, s87, s8
	s_mul_hi_u32 s26, s27, s8
	s_mul_i32 s8, s27, s8
	s_mul_hi_u32 s46, s87, s9
	s_mul_hi_u32 s47, s27, s9
	s_mul_i32 s9, s27, s9
	s_add_u32 s19, s46, s19
	s_addc_u32 s18, 0, s18
	s_add_u32 s9, s19, s9
	s_addc_u32 s9, s18, s47
	s_addc_u32 s18, s26, 0
	s_add_u32 s8, s9, s8
	s_addc_u32 s9, 0, s18
	s_mul_hi_u32 s18, s33, s8
	s_mul_i32 s8, s33, s8
	s_mul_i32 s9, s33, s9
	v_sub_co_u32 v2, s8, s87, s8
	s_add_i32 s18, s18, s9
	s_cmp_lg_u32 s8, 0
	s_delay_alu instid0(VALU_DEP_1) | instskip(SKIP_3) | instid1(VALU_DEP_2)
	v_sub_co_u32 v3, s8, v2, s33
	s_subb_u32 s9, s27, s18
	s_cmp_lg_u32 s8, 0
	v_cmp_le_u32_e32 vcc_lo, s33, v2
	v_cmp_le_u32_e64 s8, s33, v3
	v_sub_co_u32 v4, s18, v3, s33
	s_subb_u32 s19, s9, 0
	s_cmp_lg_u32 s18, 0
	s_delay_alu instid0(VALU_DEP_2)
	v_cndmask_b32_e64 v5, 0, -1, s8
	s_subb_u32 s18, s19, 0
	s_cmp_eq_u32 s19, 0
	v_mov_b32_e32 v9, s18
	v_cndmask_b32_e64 v8, 0, -1, vcc_lo
	s_cselect_b32 vcc_lo, -1, 0
	s_cmp_eq_u32 s9, 0
	v_cndmask_b32_e32 v5, -1, v5, vcc_lo
	s_cselect_b32 vcc_lo, -1, 0
	v_cndmask_b32_e32 v8, -1, v8, vcc_lo
	s_delay_alu instid0(VALU_DEP_2) | instskip(NEXT) | instid1(VALU_DEP_2)
	v_cmp_ne_u32_e32 vcc_lo, 0, v5
	v_cmp_ne_u32_e64 s8, 0, v8
	v_cndmask_b32_e32 v5, s19, v9, vcc_lo
	v_cndmask_b32_e32 v4, v3, v4, vcc_lo
	s_delay_alu instid0(VALU_DEP_2) | instskip(NEXT) | instid1(VALU_DEP_2)
	v_cndmask_b32_e64 v3, s9, v5, s8
	v_cndmask_b32_e64 v2, v2, v4, s8
	s_cbranch_execnz .LBB201_220
.LBB201_219:                            ;   in Loop: Header=BB201_31 Depth=1
	v_cvt_f32_u32_e32 v2, s33
	s_sub_i32 s8, 0, s33
	s_delay_alu instid0(VALU_DEP_1) | instskip(SKIP_2) | instid1(VALU_DEP_1)
	v_rcp_iflag_f32_e32 v2, v2
	s_waitcnt_depctr 0xfff
	v_mul_f32_e32 v2, 0x4f7ffffe, v2
	v_cvt_u32_f32_e32 v2, v2
	s_delay_alu instid0(VALU_DEP_1) | instskip(NEXT) | instid1(VALU_DEP_1)
	v_mul_lo_u32 v3, s8, v2
	v_mul_hi_u32 v3, v2, v3
	s_delay_alu instid0(VALU_DEP_1) | instskip(NEXT) | instid1(VALU_DEP_1)
	v_add_nc_u32_e32 v2, v2, v3
	v_mul_hi_u32 v2, s87, v2
	s_delay_alu instid0(VALU_DEP_1) | instskip(NEXT) | instid1(VALU_DEP_1)
	v_mul_lo_u32 v2, v2, s33
	v_sub_nc_u32_e32 v2, s87, v2
	s_delay_alu instid0(VALU_DEP_1) | instskip(SKIP_1) | instid1(VALU_DEP_2)
	v_subrev_nc_u32_e32 v3, s33, v2
	v_cmp_le_u32_e32 vcc_lo, s33, v2
	v_cndmask_b32_e32 v2, v2, v3, vcc_lo
	s_delay_alu instid0(VALU_DEP_1) | instskip(SKIP_1) | instid1(VALU_DEP_2)
	v_subrev_nc_u32_e32 v3, s33, v2
	v_cmp_le_u32_e32 vcc_lo, s33, v2
	v_cndmask_b32_e32 v12, v2, v3, vcc_lo
	s_delay_alu instid0(VALU_DEP_1)
	v_dual_mov_b32 v2, v12 :: v_dual_mov_b32 v3, v13
.LBB201_220:                            ;   in Loop: Header=BB201_31 Depth=1
	s_delay_alu instid0(VALU_DEP_1) | instskip(NEXT) | instid1(VALU_DEP_2)
	v_sub_co_u32 v2, vcc_lo, s87, v2
	v_sub_co_ci_u32_e32 v3, vcc_lo, s27, v3, vcc_lo
	s_mov_b32 s8, 0
	s_mov_b32 s9, exec_lo
                                        ; implicit-def: $vgpr5
	s_delay_alu instid0(VALU_DEP_1)
	v_cmpx_gt_u64_e64 v[2:3], v[0:1]
	s_cbranch_execz .LBB201_229
; %bb.221:                              ;   in Loop: Header=BB201_31 Depth=1
	v_dual_mov_b32 v8, v24 :: v_dual_mov_b32 v9, v25
	v_dual_mov_b32 v32, v1 :: v_dual_mov_b32 v31, v0
	s_mov_b32 s18, 0
                                        ; implicit-def: $sgpr19
	s_set_inst_prefetch_distance 0x1
	s_branch .LBB201_223
	.p2align	6
.LBB201_222:                            ;   in Loop: Header=BB201_223 Depth=2
	s_or_b32 exec_lo, exec_lo, s8
	s_waitcnt vmcnt(0) lgkmcnt(0)
	s_barrier
	buffer_gl0_inv
	ds_load_b64 v[4:5], v13 offset:3072
	v_add_co_u32 v31, vcc_lo, v31, s33
	v_add_co_ci_u32_e32 v32, vcc_lo, 0, v32, vcc_lo
	s_waitcnt lgkmcnt(0)
	s_barrier
	buffer_gl0_inv
	v_cmp_ge_u64_e32 vcc_lo, v[31:32], v[2:3]
	v_cmp_neq_f32_e64 s8, 0, v4
	s_delay_alu instid0(VALU_DEP_1)
	s_or_b32 s26, vcc_lo, s8
	v_add_co_u32 v8, vcc_lo, v8, s34
	s_and_b32 s26, exec_lo, s26
	v_add_co_ci_u32_e32 v9, vcc_lo, s35, v9, vcc_lo
	s_or_b32 s18, s26, s18
	s_and_not1_b32 s19, s19, exec_lo
	s_and_b32 s8, s8, exec_lo
	s_delay_alu instid0(SALU_CYCLE_1)
	s_or_b32 s19, s19, s8
	s_and_not1_b32 exec_lo, exec_lo, s18
	s_cbranch_execz .LBB201_228
.LBB201_223:                            ;   Parent Loop BB201_31 Depth=1
                                        ; =>  This Inner Loop Header: Depth=2
	s_delay_alu instid0(VALU_DEP_1)
	v_cmp_gt_u64_e32 vcc_lo, s[36:37], v[31:32]
	v_mov_b32_e32 v27, 0
	s_and_saveexec_b32 s8, vcc_lo
	s_cbranch_execz .LBB201_225
; %bb.224:                              ;   in Loop: Header=BB201_223 Depth=2
	global_load_b32 v27, v[8:9], off
.LBB201_225:                            ;   in Loop: Header=BB201_223 Depth=2
	s_or_b32 exec_lo, exec_lo, s8
	s_and_saveexec_b32 s8, vcc_lo
	s_cbranch_execz .LBB201_222
; %bb.226:                              ;   in Loop: Header=BB201_223 Depth=2
	s_waitcnt vmcnt(0)
	v_cmp_lt_i32_e32 vcc_lo, -1, v27
	v_cndmask_b32_e64 v4, -1, 0x80000000, vcc_lo
	v_cmp_o_f32_e32 vcc_lo, v27, v27
	s_delay_alu instid0(VALU_DEP_2) | instskip(NEXT) | instid1(VALU_DEP_1)
	v_xor_b32_e32 v4, v4, v27
	v_cndmask_b32_e32 v4, -1, v4, vcc_lo
	s_delay_alu instid0(VALU_DEP_1) | instskip(NEXT) | instid1(VALU_DEP_1)
	v_and_b32_e32 v4, v4, v34
	v_cmp_eq_u32_e32 vcc_lo, v4, v33
	s_and_b32 exec_lo, exec_lo, vcc_lo
	s_cbranch_execz .LBB201_222
; %bb.227:                              ;   in Loop: Header=BB201_223 Depth=2
	ds_store_b64 v13, v[26:27] offset:3072
	s_branch .LBB201_222
.LBB201_228:                            ;   in Loop: Header=BB201_31 Depth=1
	s_set_inst_prefetch_distance 0x2
	s_or_b32 exec_lo, exec_lo, s18
	s_delay_alu instid0(SALU_CYCLE_1)
	s_and_b32 s8, s19, exec_lo
.LBB201_229:                            ;   in Loop: Header=BB201_31 Depth=1
	s_or_b32 exec_lo, exec_lo, s9
	s_mov_b32 s78, -1
	s_mov_b32 s76, 0
	s_mov_b32 s77, 0
.LBB201_230:                            ;   in Loop: Header=BB201_31 Depth=1
	s_or_not1_b32 s8, s8, exec_lo
.LBB201_231:                            ;   in Loop: Header=BB201_31 Depth=1
	s_or_b32 exec_lo, exec_lo, s59
	s_mov_b32 s26, 0
                                        ; implicit-def: $vgpr8
	s_and_saveexec_b32 s79, s8
	s_cbranch_execz .LBB201_296
; %bb.232:                              ;   in Loop: Header=BB201_31 Depth=1
	v_mov_b32_e32 v2, 1
	v_dual_mov_b32 v3, 0 :: v_dual_mov_b32 v8, 1
	s_xor_b32 s9, s58, -1
	s_delay_alu instid0(SALU_CYCLE_1)
	s_and_saveexec_b32 s8, s9
	s_cbranch_execz .LBB201_242
; %bb.233:                              ;   in Loop: Header=BB201_31 Depth=1
	s_mov_b32 s18, exec_lo
                                        ; implicit-def: $sgpr19
                                        ; implicit-def: $sgpr9
	v_cmpx_ge_u64_e64 s[14:15], v[6:7]
	s_xor_b32 s18, exec_lo, s18
	s_cbranch_execz .LBB201_239
; %bb.234:                              ;   in Loop: Header=BB201_31 Depth=1
	ds_load_b64 v[2:3], v13 offset:5120
	s_waitcnt lgkmcnt(0)
	v_cmp_ne_u64_e32 vcc_lo, 0, v[2:3]
	s_cbranch_vccnz .LBB201_238
; %bb.235:                              ;   in Loop: Header=BB201_31 Depth=1
	s_and_saveexec_b32 s9, s5
	s_cbranch_execz .LBB201_237
; %bb.236:                              ;   in Loop: Header=BB201_31 Depth=1
	v_dual_mov_b32 v2, s14 :: v_dual_mov_b32 v3, s15
	ds_store_b64 v13, v[2:3] offset:5128
.LBB201_237:                            ;   in Loop: Header=BB201_31 Depth=1
	s_or_b32 exec_lo, exec_lo, s9
	s_waitcnt lgkmcnt(0)
	s_barrier
	buffer_gl0_inv
.LBB201_238:                            ;   in Loop: Header=BB201_31 Depth=1
	s_lshl_b32 s9, 2, s22
	v_or_b32_e32 v34, s20, v34
	v_and_or_b32 v33, v33, s21, s9
	s_mov_b32 s9, 0
	s_mov_b32 s19, 8
.LBB201_239:                            ;   in Loop: Header=BB201_31 Depth=1
	s_or_saveexec_b32 s18, s18
	v_mov_b32_e32 v8, s19
	s_xor_b32 exec_lo, exec_lo, s18
; %bb.240:                              ;   in Loop: Header=BB201_31 Depth=1
	v_sub_co_u32 v6, vcc_lo, v6, s14
	v_subrev_co_ci_u32_e32 v7, vcc_lo, s15, v7, vcc_lo
	v_mov_b32_e32 v8, 0
	s_or_b32 s9, s9, exec_lo
; %bb.241:                              ;   in Loop: Header=BB201_31 Depth=1
	s_or_b32 exec_lo, exec_lo, s18
	s_delay_alu instid0(VALU_DEP_2)
	v_dual_mov_b32 v2, v6 :: v_dual_mov_b32 v3, v7
	s_and_b32 s26, s9, exec_lo
.LBB201_242:                            ;   in Loop: Header=BB201_31 Depth=1
	s_or_b32 exec_lo, exec_lo, s8
	s_mov_b32 s19, -1
                                        ; implicit-def: $sgpr8
                                        ; implicit-def: $sgpr18
                                        ; implicit-def: $sgpr9
	s_and_saveexec_b32 s58, s26
	s_cbranch_execz .LBB201_295
; %bb.243:                              ;   in Loop: Header=BB201_31 Depth=1
	v_cmp_eq_u64_e32 vcc_lo, 1, v[2:3]
	s_cmp_eq_u64 s[16:17], 1
	s_mov_b32 s26, -1
	s_cselect_b32 s8, -1, 0
                                        ; implicit-def: $sgpr18
                                        ; implicit-def: $sgpr9
	s_delay_alu instid0(SALU_CYCLE_1) | instskip(NEXT) | instid1(SALU_CYCLE_1)
	s_and_b32 s59, s8, vcc_lo
                                        ; implicit-def: $sgpr8
	s_and_saveexec_b32 s46, s59
	s_cbranch_execz .LBB201_282
; %bb.244:                              ;   in Loop: Header=BB201_31 Depth=1
	ds_load_b64 v[4:5], v13 offset:5120
	s_waitcnt lgkmcnt(0)
	s_barrier
	buffer_gl0_inv
	v_readfirstlane_b32 s18, v4
	v_readfirstlane_b32 s19, v5
	s_and_saveexec_b32 s8, s6
	s_cbranch_execz .LBB201_246
; %bb.245:                              ;   in Loop: Header=BB201_31 Depth=1
	ds_store_b32 v46, v13
.LBB201_246:                            ;   in Loop: Header=BB201_31 Depth=1
	s_or_b32 exec_lo, exec_lo, s8
	v_or_b32_e32 v33, s20, v33
	v_or_b32_e32 v34, s20, v34
	s_cmp_eq_u64 s[18:19], 0
	s_waitcnt lgkmcnt(0)
	s_barrier
	buffer_gl0_inv
	s_cbranch_scc1 .LBB201_251
; %bb.247:                              ;   in Loop: Header=BB201_31 Depth=1
	s_add_u32 s26, s85, s18
	s_addc_u32 s9, s86, s19
	s_mov_b32 s8, s61
	s_delay_alu instid0(SALU_CYCLE_1)
	s_cmp_lg_u64 s[8:9], 0
	s_cbranch_scc0 .LBB201_252
; %bb.248:                              ;   in Loop: Header=BB201_31 Depth=1
	v_cvt_f32_u32_e32 v4, s33
	s_sub_u32 s56, 0, s33
	s_subb_u32 s57, 0, 0
	s_delay_alu instid0(VALU_DEP_1) | instskip(NEXT) | instid1(VALU_DEP_1)
	v_fmac_f32_e64 v4, 0, 0x4f800000
	v_rcp_f32_e32 v4, v4
	s_waitcnt_depctr 0xfff
	v_mul_f32_e32 v4, 0x5f7ffffc, v4
	s_delay_alu instid0(VALU_DEP_1) | instskip(NEXT) | instid1(VALU_DEP_1)
	v_mul_f32_e32 v5, 0x2f800000, v4
	v_trunc_f32_e32 v5, v5
	s_delay_alu instid0(VALU_DEP_1) | instskip(SKIP_1) | instid1(VALU_DEP_2)
	v_fmac_f32_e32 v4, 0xcf800000, v5
	v_cvt_u32_f32_e32 v5, v5
	v_cvt_u32_f32_e32 v4, v4
	s_delay_alu instid0(VALU_DEP_2) | instskip(NEXT) | instid1(VALU_DEP_2)
	v_readfirstlane_b32 s8, v5
	v_readfirstlane_b32 s47, v4
	s_delay_alu instid0(VALU_DEP_2) | instskip(NEXT) | instid1(VALU_DEP_1)
	s_mul_i32 vcc_lo, s56, s8
	s_mul_hi_u32 s42, s56, s47
	s_mul_i32 s3, s57, s47
	s_add_i32 s42, s42, vcc_lo
	s_mul_i32 s43, s56, s47
	s_add_i32 s42, s42, s3
	s_mul_hi_u32 vcc_lo, s47, s43
	s_mul_hi_u32 s50, s8, s43
	s_mul_i32 s3, s8, s43
	s_mul_hi_u32 s43, s47, s42
	s_mul_i32 s47, s47, s42
	s_mul_hi_u32 s51, s8, s42
	s_add_u32 s47, vcc_lo, s47
	s_addc_u32 s43, 0, s43
	s_add_u32 s3, s47, s3
	s_mul_i32 s42, s8, s42
	s_addc_u32 s3, s43, s50
	s_addc_u32 s43, s51, 0
	s_add_u32 s3, s3, s42
	s_addc_u32 s42, 0, s43
	v_add_co_u32 v4, s3, v4, s3
	s_delay_alu instid0(VALU_DEP_1) | instskip(SKIP_1) | instid1(VALU_DEP_1)
	s_cmp_lg_u32 s3, 0
	s_addc_u32 s8, s8, s42
	v_readfirstlane_b32 s3, v4
	s_mul_i32 s42, s56, s8
	s_delay_alu instid0(VALU_DEP_1)
	s_mul_hi_u32 s43, s56, s3
	s_mul_i32 s57, s57, s3
	s_add_i32 s42, s43, s42
	s_mul_i32 s56, s56, s3
	s_add_i32 s42, s42, s57
	s_mul_hi_u32 s43, s8, s56
	s_mul_i32 s47, s8, s56
	s_mul_hi_u32 s50, s3, s56
	s_mul_hi_u32 s56, s3, s42
	s_mul_i32 s3, s3, s42
	s_mul_hi_u32 s51, s8, s42
	s_add_u32 s3, s50, s3
	s_addc_u32 s50, 0, s56
	s_add_u32 s3, s3, s47
	s_mul_i32 s42, s8, s42
	s_addc_u32 s3, s50, s43
	s_addc_u32 s43, s51, 0
	s_add_u32 s3, s3, s42
	s_addc_u32 s42, 0, s43
	v_add_co_u32 v4, s3, v4, s3
	s_delay_alu instid0(VALU_DEP_1) | instskip(SKIP_1) | instid1(VALU_DEP_1)
	s_cmp_lg_u32 s3, 0
	s_addc_u32 s3, s8, s42
	v_readfirstlane_b32 s8, v4
	s_mul_i32 s43, s26, s3
	s_mul_hi_u32 s42, s26, s3
	s_mul_hi_u32 s47, s9, s3
	s_mul_i32 s3, s9, s3
	s_mul_hi_u32 s50, s26, s8
	s_mul_hi_u32 s51, s9, s8
	s_mul_i32 s8, s9, s8
	s_add_u32 s43, s50, s43
	s_addc_u32 s42, 0, s42
	s_add_u32 s8, s43, s8
	s_addc_u32 s8, s42, s51
	s_addc_u32 s42, s47, 0
	s_add_u32 s3, s8, s3
	s_addc_u32 s8, 0, s42
	s_mul_hi_u32 s42, s33, s3
	s_mul_i32 s3, s33, s3
	s_mul_i32 s8, s33, s8
	v_sub_co_u32 v4, s3, s26, s3
	s_add_i32 s42, s42, s8
	s_cmp_lg_u32 s3, 0
	s_delay_alu instid0(VALU_DEP_1) | instskip(SKIP_3) | instid1(VALU_DEP_2)
	v_sub_co_u32 v5, s3, v4, s33
	s_subb_u32 s42, s9, s42
	s_cmp_lg_u32 s3, 0
	v_cmp_le_u32_e32 vcc_lo, s33, v4
	v_cmp_le_u32_e64 s8, s33, v5
	v_sub_co_u32 v6, s3, v5, s33
	s_subb_u32 s43, s42, 0
	s_cmp_lg_u32 s3, 0
	s_delay_alu instid0(VALU_DEP_2)
	v_cndmask_b32_e64 v7, 0, -1, s8
	s_subb_u32 s3, s43, 0
	s_cmp_eq_u32 s43, 0
	v_mov_b32_e32 v9, s3
	v_cndmask_b32_e64 v8, 0, -1, vcc_lo
	s_cselect_b32 vcc_lo, -1, 0
	s_cmp_eq_u32 s42, 0
	v_cndmask_b32_e32 v7, -1, v7, vcc_lo
	s_cselect_b32 vcc_lo, -1, 0
	v_cndmask_b32_e32 v8, -1, v8, vcc_lo
	s_delay_alu instid0(VALU_DEP_2) | instskip(NEXT) | instid1(VALU_DEP_2)
	v_cmp_ne_u32_e32 vcc_lo, 0, v7
	v_cmp_ne_u32_e64 s8, 0, v8
	v_cndmask_b32_e32 v7, s43, v9, vcc_lo
	v_cndmask_b32_e32 v6, v5, v6, vcc_lo
	s_delay_alu instid0(VALU_DEP_2) | instskip(NEXT) | instid1(VALU_DEP_2)
	v_cndmask_b32_e64 v5, s42, v7, s8
	v_cndmask_b32_e64 v4, v4, v6, s8
	s_mov_b32 s8, 0
	s_branch .LBB201_253
.LBB201_249:                            ;   in Loop: Header=BB201_31 Depth=1
                                        ; implicit-def: $vgpr2_vgpr3
	s_branch .LBB201_203
.LBB201_250:                            ;   in Loop: Header=BB201_31 Depth=1
                                        ; implicit-def: $vgpr2_vgpr3
	s_branch .LBB201_219
.LBB201_251:                            ;   in Loop: Header=BB201_31 Depth=1
	s_mov_b32 s8, -1
	s_mov_b32 s26, 0
                                        ; implicit-def: $sgpr9
                                        ; implicit-def: $vgpr5
	s_branch .LBB201_265
.LBB201_252:                            ;   in Loop: Header=BB201_31 Depth=1
	s_mov_b32 s8, -1
                                        ; implicit-def: $vgpr4_vgpr5
.LBB201_253:                            ;   in Loop: Header=BB201_31 Depth=1
	s_delay_alu instid0(SALU_CYCLE_1)
	s_and_not1_b32 vcc_lo, exec_lo, s8
	s_cbranch_vccnz .LBB201_255
; %bb.254:                              ;   in Loop: Header=BB201_31 Depth=1
	v_cvt_f32_u32_e32 v4, s33
	s_sub_i32 s8, 0, s33
	s_delay_alu instid0(VALU_DEP_1) | instskip(SKIP_2) | instid1(VALU_DEP_1)
	v_rcp_iflag_f32_e32 v4, v4
	s_waitcnt_depctr 0xfff
	v_mul_f32_e32 v4, 0x4f7ffffe, v4
	v_cvt_u32_f32_e32 v4, v4
	s_delay_alu instid0(VALU_DEP_1) | instskip(NEXT) | instid1(VALU_DEP_1)
	v_mul_lo_u32 v5, s8, v4
	v_mul_hi_u32 v5, v4, v5
	s_delay_alu instid0(VALU_DEP_1) | instskip(NEXT) | instid1(VALU_DEP_1)
	v_add_nc_u32_e32 v4, v4, v5
	v_mul_hi_u32 v4, s26, v4
	s_delay_alu instid0(VALU_DEP_1) | instskip(NEXT) | instid1(VALU_DEP_1)
	v_mul_lo_u32 v4, v4, s33
	v_sub_nc_u32_e32 v4, s26, v4
	s_delay_alu instid0(VALU_DEP_1) | instskip(SKIP_1) | instid1(VALU_DEP_2)
	v_subrev_nc_u32_e32 v5, s33, v4
	v_cmp_le_u32_e32 vcc_lo, s33, v4
	v_cndmask_b32_e32 v4, v4, v5, vcc_lo
	s_delay_alu instid0(VALU_DEP_1) | instskip(SKIP_1) | instid1(VALU_DEP_2)
	v_subrev_nc_u32_e32 v5, s33, v4
	v_cmp_le_u32_e32 vcc_lo, s33, v4
	v_cndmask_b32_e32 v12, v4, v5, vcc_lo
	s_delay_alu instid0(VALU_DEP_1)
	v_dual_mov_b32 v4, v12 :: v_dual_mov_b32 v5, v13
.LBB201_255:                            ;   in Loop: Header=BB201_31 Depth=1
	s_delay_alu instid0(VALU_DEP_1) | instskip(NEXT) | instid1(VALU_DEP_2)
	v_sub_co_u32 v6, vcc_lo, s26, v4
	v_sub_co_ci_u32_e32 v7, vcc_lo, s9, v5, vcc_lo
	s_mov_b32 s26, 0
	s_mov_b32 s9, exec_lo
                                        ; implicit-def: $vgpr5
	s_delay_alu instid0(VALU_DEP_1)
	v_cmpx_gt_u64_e64 v[6:7], v[0:1]
	s_cbranch_execz .LBB201_264
; %bb.256:                              ;   in Loop: Header=BB201_31 Depth=1
	v_dual_mov_b32 v12, v14 :: v_dual_mov_b32 v9, v1
	v_mov_b32_e32 v8, v0
                                        ; implicit-def: $sgpr47
	s_set_inst_prefetch_distance 0x1
	s_branch .LBB201_258
	.p2align	6
.LBB201_257:                            ;   in Loop: Header=BB201_258 Depth=2
	s_or_b32 exec_lo, exec_lo, s8
	s_waitcnt lgkmcnt(0)
	s_barrier
	buffer_gl0_inv
	ds_load_b64 v[4:5], v13 offset:3072
	v_add_co_u32 v8, vcc_lo, v8, s33
	v_add_co_ci_u32_e32 v9, vcc_lo, 0, v9, vcc_lo
	v_add_nc_u32_e32 v12, s93, v12
	s_waitcnt lgkmcnt(0)
	s_barrier
	s_delay_alu instid0(VALU_DEP_2) | instskip(SKIP_2) | instid1(VALU_DEP_1)
	v_cmp_ge_u64_e32 vcc_lo, v[8:9], v[6:7]
	buffer_gl0_inv
	v_cmp_neq_f32_e64 s8, 0, v4
	s_or_b32 s3, vcc_lo, s8
	s_delay_alu instid0(SALU_CYCLE_1) | instskip(NEXT) | instid1(SALU_CYCLE_1)
	s_and_b32 s3, exec_lo, s3
	s_or_b32 s26, s3, s26
	s_and_not1_b32 s3, s47, exec_lo
	s_and_b32 s8, s8, exec_lo
	s_delay_alu instid0(SALU_CYCLE_1)
	s_or_b32 s47, s3, s8
	s_and_not1_b32 exec_lo, exec_lo, s26
	s_cbranch_execz .LBB201_263
.LBB201_258:                            ;   Parent Loop BB201_31 Depth=1
                                        ; =>  This Inner Loop Header: Depth=2
	s_delay_alu instid0(VALU_DEP_1)
	v_cmp_gt_u64_e32 vcc_lo, s[18:19], v[8:9]
	v_mov_b32_e32 v27, 0
	s_and_saveexec_b32 s8, vcc_lo
	s_cbranch_execz .LBB201_260
; %bb.259:                              ;   in Loop: Header=BB201_258 Depth=2
	ds_load_b32 v27, v12
.LBB201_260:                            ;   in Loop: Header=BB201_258 Depth=2
	s_or_b32 exec_lo, exec_lo, s8
	s_and_saveexec_b32 s8, vcc_lo
	s_cbranch_execz .LBB201_257
; %bb.261:                              ;   in Loop: Header=BB201_258 Depth=2
	s_waitcnt lgkmcnt(0)
	v_cmp_lt_i32_e32 vcc_lo, -1, v27
	v_cndmask_b32_e64 v4, -1, 0x80000000, vcc_lo
	v_cmp_o_f32_e32 vcc_lo, v27, v27
	s_delay_alu instid0(VALU_DEP_2) | instskip(NEXT) | instid1(VALU_DEP_1)
	v_xor_b32_e32 v4, v4, v27
	v_cndmask_b32_e32 v4, -1, v4, vcc_lo
	s_delay_alu instid0(VALU_DEP_1) | instskip(NEXT) | instid1(VALU_DEP_1)
	v_and_b32_e32 v4, v4, v34
	v_cmp_eq_u32_e32 vcc_lo, v4, v33
	s_and_b32 exec_lo, exec_lo, vcc_lo
	s_cbranch_execz .LBB201_257
; %bb.262:                              ;   in Loop: Header=BB201_258 Depth=2
	ds_store_b64 v13, v[26:27] offset:3072
	s_branch .LBB201_257
.LBB201_263:                            ;   in Loop: Header=BB201_31 Depth=1
	s_set_inst_prefetch_distance 0x2
	s_or_b32 exec_lo, exec_lo, s26
	s_delay_alu instid0(SALU_CYCLE_1)
	s_and_b32 s26, s47, exec_lo
.LBB201_264:                            ;   in Loop: Header=BB201_31 Depth=1
	s_or_b32 exec_lo, exec_lo, s9
	s_mov_b32 s9, -1
	s_mov_b32 s8, 0
.LBB201_265:                            ;   in Loop: Header=BB201_31 Depth=1
	s_delay_alu instid0(SALU_CYCLE_1)
	s_and_b32 vcc_lo, exec_lo, s8
	s_mov_b32 s18, s8
	s_cbranch_vccz .LBB201_281
; %bb.266:                              ;   in Loop: Header=BB201_31 Depth=1
	s_mov_b32 s26, s61
	s_delay_alu instid0(SALU_CYCLE_1)
	s_cmp_lg_u64 s[26:27], 0
	s_cbranch_scc0 .LBB201_268
; %bb.267:                              ;   in Loop: Header=BB201_31 Depth=1
	v_cvt_f32_u32_e32 v4, s33
	s_sub_u32 s9, 0, s33
	s_subb_u32 s18, 0, 0
	s_delay_alu instid0(VALU_DEP_1) | instskip(NEXT) | instid1(VALU_DEP_1)
	v_fmac_f32_e64 v4, 0, 0x4f800000
	v_rcp_f32_e32 v4, v4
	s_waitcnt_depctr 0xfff
	v_mul_f32_e32 v4, 0x5f7ffffc, v4
	s_delay_alu instid0(VALU_DEP_1) | instskip(NEXT) | instid1(VALU_DEP_1)
	v_mul_f32_e32 v5, 0x2f800000, v4
	v_trunc_f32_e32 v5, v5
	s_delay_alu instid0(VALU_DEP_1) | instskip(SKIP_1) | instid1(VALU_DEP_2)
	v_fmac_f32_e32 v4, 0xcf800000, v5
	v_cvt_u32_f32_e32 v5, v5
	v_cvt_u32_f32_e32 v4, v4
	s_delay_alu instid0(VALU_DEP_2) | instskip(NEXT) | instid1(VALU_DEP_2)
	v_readfirstlane_b32 s3, v5
	v_readfirstlane_b32 s8, v4
	s_delay_alu instid0(VALU_DEP_2) | instskip(NEXT) | instid1(VALU_DEP_1)
	s_mul_i32 s19, s9, s3
	s_mul_hi_u32 s42, s9, s8
	s_mul_i32 s26, s18, s8
	s_add_i32 s19, s42, s19
	s_mul_i32 s43, s9, s8
	s_add_i32 s19, s19, s26
	s_mul_hi_u32 s42, s8, s43
	s_mul_hi_u32 s47, s3, s43
	s_mul_i32 s26, s3, s43
	s_mul_hi_u32 s43, s8, s19
	s_mul_i32 s8, s8, s19
	s_mul_hi_u32 s50, s3, s19
	s_add_u32 s8, s42, s8
	s_addc_u32 s42, 0, s43
	s_add_u32 s8, s8, s26
	s_mul_i32 s19, s3, s19
	s_addc_u32 s8, s42, s47
	s_addc_u32 s26, s50, 0
	s_add_u32 s8, s8, s19
	s_addc_u32 s19, 0, s26
	v_add_co_u32 v4, s8, v4, s8
	s_delay_alu instid0(VALU_DEP_1) | instskip(SKIP_1) | instid1(VALU_DEP_1)
	s_cmp_lg_u32 s8, 0
	s_addc_u32 s3, s3, s19
	v_readfirstlane_b32 s8, v4
	s_mul_i32 s19, s9, s3
	s_delay_alu instid0(VALU_DEP_1)
	s_mul_hi_u32 s26, s9, s8
	s_mul_i32 s18, s18, s8
	s_add_i32 s19, s26, s19
	s_mul_i32 s9, s9, s8
	s_add_i32 s19, s19, s18
	s_mul_hi_u32 s26, s3, s9
	s_mul_i32 s42, s3, s9
	s_mul_hi_u32 s9, s8, s9
	s_mul_hi_u32 s43, s8, s19
	s_mul_i32 s8, s8, s19
	s_mul_hi_u32 s18, s3, s19
	s_add_u32 s8, s9, s8
	s_addc_u32 s9, 0, s43
	s_add_u32 s8, s8, s42
	s_mul_i32 s19, s3, s19
	s_addc_u32 s8, s9, s26
	s_addc_u32 s9, s18, 0
	s_add_u32 s8, s8, s19
	s_addc_u32 s9, 0, s9
	v_add_co_u32 v4, s8, v4, s8
	s_delay_alu instid0(VALU_DEP_1) | instskip(SKIP_1) | instid1(VALU_DEP_1)
	s_cmp_lg_u32 s8, 0
	s_addc_u32 s3, s3, s9
	v_readfirstlane_b32 s8, v4
	s_mul_i32 s18, s87, s3
	s_mul_hi_u32 s9, s87, s3
	s_mul_hi_u32 s19, s27, s3
	s_mul_i32 s3, s27, s3
	s_mul_hi_u32 s26, s87, s8
	s_mul_hi_u32 s42, s27, s8
	s_mul_i32 s8, s27, s8
	s_add_u32 s18, s26, s18
	s_addc_u32 s9, 0, s9
	s_add_u32 s8, s18, s8
	s_addc_u32 s8, s9, s42
	s_addc_u32 s9, s19, 0
	s_add_u32 s3, s8, s3
	s_addc_u32 s8, 0, s9
	s_mul_hi_u32 s9, s33, s3
	s_mul_i32 s3, s33, s3
	s_mul_i32 s8, s33, s8
	v_sub_co_u32 v4, s3, s87, s3
	s_add_i32 s9, s9, s8
	s_cmp_lg_u32 s3, 0
	s_delay_alu instid0(VALU_DEP_1) | instskip(SKIP_3) | instid1(VALU_DEP_2)
	v_sub_co_u32 v5, s3, v4, s33
	s_subb_u32 s9, s27, s9
	s_cmp_lg_u32 s3, 0
	v_cmp_le_u32_e32 vcc_lo, s33, v4
	v_cmp_le_u32_e64 s8, s33, v5
	v_sub_co_u32 v6, s3, v5, s33
	s_subb_u32 s18, s9, 0
	s_cmp_lg_u32 s3, 0
	s_delay_alu instid0(VALU_DEP_2)
	v_cndmask_b32_e64 v7, 0, -1, s8
	s_subb_u32 s3, s18, 0
	s_cmp_eq_u32 s18, 0
	v_mov_b32_e32 v9, s3
	v_cndmask_b32_e64 v8, 0, -1, vcc_lo
	s_cselect_b32 vcc_lo, -1, 0
	s_cmp_eq_u32 s9, 0
	v_cndmask_b32_e32 v7, -1, v7, vcc_lo
	s_cselect_b32 vcc_lo, -1, 0
	v_cndmask_b32_e32 v8, -1, v8, vcc_lo
	s_delay_alu instid0(VALU_DEP_2) | instskip(NEXT) | instid1(VALU_DEP_2)
	v_cmp_ne_u32_e32 vcc_lo, 0, v7
	v_cmp_ne_u32_e64 s8, 0, v8
	v_cndmask_b32_e32 v7, s18, v9, vcc_lo
	v_cndmask_b32_e32 v6, v5, v6, vcc_lo
	s_delay_alu instid0(VALU_DEP_2) | instskip(NEXT) | instid1(VALU_DEP_2)
	v_cndmask_b32_e64 v5, s9, v7, s8
	v_cndmask_b32_e64 v4, v4, v6, s8
	s_mov_b32 s8, 0
	s_branch .LBB201_269
.LBB201_268:                            ;   in Loop: Header=BB201_31 Depth=1
	s_mov_b32 s8, -1
                                        ; implicit-def: $vgpr4_vgpr5
.LBB201_269:                            ;   in Loop: Header=BB201_31 Depth=1
	s_delay_alu instid0(SALU_CYCLE_1)
	s_and_not1_b32 vcc_lo, exec_lo, s8
	s_cbranch_vccnz .LBB201_271
; %bb.270:                              ;   in Loop: Header=BB201_31 Depth=1
	v_cvt_f32_u32_e32 v4, s33
	s_sub_i32 s3, 0, s33
	s_delay_alu instid0(VALU_DEP_1) | instskip(SKIP_2) | instid1(VALU_DEP_1)
	v_rcp_iflag_f32_e32 v4, v4
	s_waitcnt_depctr 0xfff
	v_mul_f32_e32 v4, 0x4f7ffffe, v4
	v_cvt_u32_f32_e32 v4, v4
	s_delay_alu instid0(VALU_DEP_1) | instskip(NEXT) | instid1(VALU_DEP_1)
	v_mul_lo_u32 v5, s3, v4
	v_mul_hi_u32 v5, v4, v5
	s_delay_alu instid0(VALU_DEP_1) | instskip(NEXT) | instid1(VALU_DEP_1)
	v_add_nc_u32_e32 v4, v4, v5
	v_mul_hi_u32 v4, s87, v4
	s_delay_alu instid0(VALU_DEP_1) | instskip(NEXT) | instid1(VALU_DEP_1)
	v_mul_lo_u32 v4, v4, s33
	v_sub_nc_u32_e32 v4, s87, v4
	s_delay_alu instid0(VALU_DEP_1) | instskip(SKIP_1) | instid1(VALU_DEP_2)
	v_subrev_nc_u32_e32 v5, s33, v4
	v_cmp_le_u32_e32 vcc_lo, s33, v4
	v_cndmask_b32_e32 v4, v4, v5, vcc_lo
	s_delay_alu instid0(VALU_DEP_1) | instskip(SKIP_1) | instid1(VALU_DEP_2)
	v_subrev_nc_u32_e32 v5, s33, v4
	v_cmp_le_u32_e32 vcc_lo, s33, v4
	v_cndmask_b32_e32 v12, v4, v5, vcc_lo
	s_delay_alu instid0(VALU_DEP_1)
	v_dual_mov_b32 v4, v12 :: v_dual_mov_b32 v5, v13
.LBB201_271:                            ;   in Loop: Header=BB201_31 Depth=1
	s_delay_alu instid0(VALU_DEP_1) | instskip(NEXT) | instid1(VALU_DEP_2)
	v_sub_co_u32 v6, vcc_lo, s87, v4
	v_sub_co_ci_u32_e32 v7, vcc_lo, s27, v5, vcc_lo
	s_mov_b32 s26, 0
	s_mov_b32 s9, exec_lo
                                        ; implicit-def: $vgpr5
	s_delay_alu instid0(VALU_DEP_1)
	v_cmpx_gt_u64_e64 v[6:7], v[0:1]
	s_cbranch_execz .LBB201_280
; %bb.272:                              ;   in Loop: Header=BB201_31 Depth=1
	v_dual_mov_b32 v8, v24 :: v_dual_mov_b32 v9, v25
	v_dual_mov_b32 v32, v1 :: v_dual_mov_b32 v31, v0
	s_mov_b32 s18, 0
                                        ; implicit-def: $sgpr19
	s_set_inst_prefetch_distance 0x1
	s_branch .LBB201_274
	.p2align	6
.LBB201_273:                            ;   in Loop: Header=BB201_274 Depth=2
	s_or_b32 exec_lo, exec_lo, s8
	s_waitcnt vmcnt(0) lgkmcnt(0)
	s_barrier
	buffer_gl0_inv
	ds_load_b64 v[4:5], v13 offset:3072
	v_add_co_u32 v31, vcc_lo, v31, s33
	v_add_co_ci_u32_e32 v32, vcc_lo, 0, v32, vcc_lo
	s_waitcnt lgkmcnt(0)
	s_barrier
	buffer_gl0_inv
	v_cmp_ge_u64_e32 vcc_lo, v[31:32], v[6:7]
	v_cmp_neq_f32_e64 s8, 0, v4
	s_delay_alu instid0(VALU_DEP_1)
	s_or_b32 s3, vcc_lo, s8
	v_add_co_u32 v8, vcc_lo, v8, s34
	s_and_b32 s3, exec_lo, s3
	v_add_co_ci_u32_e32 v9, vcc_lo, s35, v9, vcc_lo
	s_or_b32 s18, s3, s18
	s_and_not1_b32 s3, s19, exec_lo
	s_and_b32 s8, s8, exec_lo
	s_delay_alu instid0(SALU_CYCLE_1)
	s_or_b32 s19, s3, s8
	s_and_not1_b32 exec_lo, exec_lo, s18
	s_cbranch_execz .LBB201_279
.LBB201_274:                            ;   Parent Loop BB201_31 Depth=1
                                        ; =>  This Inner Loop Header: Depth=2
	s_delay_alu instid0(VALU_DEP_1)
	v_cmp_gt_u64_e32 vcc_lo, s[36:37], v[31:32]
	v_mov_b32_e32 v27, 0
	s_and_saveexec_b32 s8, vcc_lo
	s_cbranch_execz .LBB201_276
; %bb.275:                              ;   in Loop: Header=BB201_274 Depth=2
	global_load_b32 v27, v[8:9], off
.LBB201_276:                            ;   in Loop: Header=BB201_274 Depth=2
	s_or_b32 exec_lo, exec_lo, s8
	s_and_saveexec_b32 s8, vcc_lo
	s_cbranch_execz .LBB201_273
; %bb.277:                              ;   in Loop: Header=BB201_274 Depth=2
	s_waitcnt vmcnt(0)
	v_cmp_lt_i32_e32 vcc_lo, -1, v27
	v_cndmask_b32_e64 v4, -1, 0x80000000, vcc_lo
	v_cmp_o_f32_e32 vcc_lo, v27, v27
	s_delay_alu instid0(VALU_DEP_2) | instskip(NEXT) | instid1(VALU_DEP_1)
	v_xor_b32_e32 v4, v4, v27
	v_cndmask_b32_e32 v4, -1, v4, vcc_lo
	s_delay_alu instid0(VALU_DEP_1) | instskip(NEXT) | instid1(VALU_DEP_1)
	v_and_b32_e32 v4, v4, v34
	v_cmp_eq_u32_e32 vcc_lo, v4, v33
	s_and_b32 exec_lo, exec_lo, vcc_lo
	s_cbranch_execz .LBB201_273
; %bb.278:                              ;   in Loop: Header=BB201_274 Depth=2
	ds_store_b64 v13, v[26:27] offset:3072
	s_branch .LBB201_273
.LBB201_279:                            ;   in Loop: Header=BB201_31 Depth=1
	s_set_inst_prefetch_distance 0x2
	s_or_b32 exec_lo, exec_lo, s18
	s_delay_alu instid0(SALU_CYCLE_1)
	s_and_b32 s26, s19, exec_lo
.LBB201_280:                            ;   in Loop: Header=BB201_31 Depth=1
	s_or_b32 exec_lo, exec_lo, s9
	s_mov_b32 s18, -1
	s_mov_b32 s8, 0
	s_mov_b32 s9, 0
.LBB201_281:                            ;   in Loop: Header=BB201_31 Depth=1
	s_or_not1_b32 s26, s26, exec_lo
.LBB201_282:                            ;   in Loop: Header=BB201_31 Depth=1
	s_or_b32 exec_lo, exec_lo, s46
	s_mov_b32 s46, 0
                                        ; implicit-def: $vgpr8
                                        ; implicit-def: $vgpr6_vgpr7
	s_and_saveexec_b32 s19, s26
	s_cbranch_execz .LBB201_294
; %bb.283:                              ;   in Loop: Header=BB201_31 Depth=1
	v_mov_b32_e32 v6, 1
	v_dual_mov_b32 v7, 0 :: v_dual_mov_b32 v8, 1
	s_xor_b32 s3, s59, -1
	s_delay_alu instid0(SALU_CYCLE_1)
	s_and_saveexec_b32 s26, s3
	s_cbranch_execz .LBB201_293
; %bb.284:                              ;   in Loop: Header=BB201_31 Depth=1
                                        ; implicit-def: $sgpr47
	s_mov_b32 s3, exec_lo
	v_cmpx_ge_u64_e64 s[16:17], v[2:3]
	s_xor_b32 s46, exec_lo, s3
	s_cbranch_execz .LBB201_290
; %bb.285:                              ;   in Loop: Header=BB201_31 Depth=1
	ds_load_b64 v[6:7], v13 offset:5120
	s_waitcnt lgkmcnt(0)
	v_cmp_ne_u64_e32 vcc_lo, 0, v[6:7]
	s_cbranch_vccnz .LBB201_289
; %bb.286:                              ;   in Loop: Header=BB201_31 Depth=1
	s_and_saveexec_b32 s47, s5
	s_cbranch_execz .LBB201_288
; %bb.287:                              ;   in Loop: Header=BB201_31 Depth=1
	v_dual_mov_b32 v6, s16 :: v_dual_mov_b32 v7, s17
	ds_store_b64 v13, v[6:7] offset:5128
.LBB201_288:                            ;   in Loop: Header=BB201_31 Depth=1
	s_or_b32 exec_lo, exec_lo, s47
	s_waitcnt lgkmcnt(0)
	s_barrier
	buffer_gl0_inv
.LBB201_289:                            ;   in Loop: Header=BB201_31 Depth=1
	v_or_b32_e32 v33, s20, v33
	v_or_b32_e32 v34, s20, v34
	s_mov_b32 s47, 8
.LBB201_290:                            ;   in Loop: Header=BB201_31 Depth=1
	s_or_saveexec_b32 s46, s46
	v_mov_b32_e32 v8, s47
	s_xor_b32 exec_lo, exec_lo, s46
; %bb.291:                              ;   in Loop: Header=BB201_31 Depth=1
	v_sub_co_u32 v2, vcc_lo, v2, s16
	v_subrev_co_ci_u32_e32 v3, vcc_lo, s17, v3, vcc_lo
	v_mov_b32_e32 v8, 8
; %bb.292:                              ;   in Loop: Header=BB201_31 Depth=1
	s_or_b32 exec_lo, exec_lo, s46
	s_delay_alu instid0(VALU_DEP_2)
	v_dual_mov_b32 v7, v3 :: v_dual_mov_b32 v6, v2
.LBB201_293:                            ;   in Loop: Header=BB201_31 Depth=1
	s_or_b32 exec_lo, exec_lo, s26
	s_delay_alu instid0(SALU_CYCLE_1)
	s_mov_b32 s46, exec_lo
.LBB201_294:                            ;   in Loop: Header=BB201_31 Depth=1
	s_or_b32 exec_lo, exec_lo, s19
	s_delay_alu instid0(VALU_DEP_1)
	v_dual_mov_b32 v2, v6 :: v_dual_mov_b32 v3, v7
	s_or_not1_b32 s19, s46, exec_lo
.LBB201_295:                            ;   in Loop: Header=BB201_31 Depth=1
	s_or_b32 exec_lo, exec_lo, s58
	s_delay_alu instid0(SALU_CYCLE_1)
	s_and_not1_b32 s26, s76, exec_lo
	s_and_b32 s8, s8, exec_lo
	v_dual_mov_b32 v7, v3 :: v_dual_mov_b32 v6, v2
	s_or_b32 s76, s26, s8
	s_and_not1_b32 s8, s78, exec_lo
	s_and_b32 s18, s18, exec_lo
	s_and_not1_b32 s26, s77, exec_lo
	s_and_b32 s9, s9, exec_lo
	s_or_b32 s78, s8, s18
	s_or_b32 s77, s26, s9
	s_and_b32 s26, s19, exec_lo
.LBB201_296:                            ;   in Loop: Header=BB201_31 Depth=1
	s_or_b32 exec_lo, exec_lo, s79
	s_delay_alu instid0(SALU_CYCLE_1)
	s_and_b32 s19, s76, exec_lo
	s_and_b32 s18, s78, exec_lo
	;; [unrolled: 1-line block ×3, first 2 shown]
	s_or_not1_b32 s8, s26, exec_lo
.LBB201_297:                            ;   in Loop: Header=BB201_31 Depth=1
	s_or_b32 exec_lo, exec_lo, s75
	s_delay_alu instid0(SALU_CYCLE_1)
	s_and_not1_b32 s25, s25, exec_lo
	s_and_b32 s19, s19, exec_lo
	v_dual_mov_b32 v2, v6 :: v_dual_mov_b32 v3, v7
	s_or_b32 s25, s25, s19
	s_and_not1_b32 s19, s73, exec_lo
	s_and_b32 s18, s18, exec_lo
	s_and_not1_b32 s26, s72, exec_lo
	s_and_b32 s9, s9, exec_lo
	s_or_b32 s73, s19, s18
	s_or_b32 s72, s26, s9
	s_and_b32 s26, s8, exec_lo
.LBB201_298:                            ;   in Loop: Header=BB201_31 Depth=1
	s_or_b32 exec_lo, exec_lo, s74
	s_delay_alu instid0(SALU_CYCLE_1)
	s_and_b32 s19, s25, exec_lo
	s_and_b32 s18, s73, exec_lo
	;; [unrolled: 1-line block ×3, first 2 shown]
	s_or_not1_b32 s25, s26, exec_lo
.LBB201_299:                            ;   in Loop: Header=BB201_31 Depth=1
	s_or_b32 exec_lo, exec_lo, s24
	s_mov_b32 s8, 0
	s_mov_b32 s24, 0
	s_and_saveexec_b32 s26, s25
	s_delay_alu instid0(SALU_CYCLE_1)
	s_xor_b32 s25, exec_lo, s26
; %bb.300:                              ;   in Loop: Header=BB201_31 Depth=1
	v_cmp_ne_u32_e32 vcc_lo, 8, v8
	v_cmp_eq_u32_e64 s8, 8, v8
	s_and_not1_b32 s19, s19, exec_lo
	s_and_not1_b32 s18, s18, exec_lo
	;; [unrolled: 1-line block ×3, first 2 shown]
	s_and_b32 s24, vcc_lo, exec_lo
	s_and_b32 s8, s8, exec_lo
; %bb.301:                              ;   in Loop: Header=BB201_31 Depth=1
	s_or_b32 exec_lo, exec_lo, s25
	s_delay_alu instid0(SALU_CYCLE_1)
	s_and_not1_b32 s23, s23, exec_lo
	s_and_b32 s19, s19, exec_lo
	s_and_b32 s18, s18, exec_lo
	s_or_b32 s23, s23, s19
	s_and_not1_b32 s19, s60, exec_lo
	s_and_not1_b32 s25, s55, exec_lo
	s_and_b32 s9, s9, exec_lo
	s_or_b32 s60, s19, s18
	s_or_b32 s55, s25, s9
	s_and_b32 s24, s24, exec_lo
	s_and_b32 s25, s8, exec_lo
.LBB201_302:                            ;   in Loop: Header=BB201_31 Depth=1
	s_or_b32 exec_lo, exec_lo, s71
	s_delay_alu instid0(SALU_CYCLE_1)
	s_and_b32 vcc_lo, exec_lo, s70
	s_cbranch_vccz .LBB201_121
.LBB201_303:                            ;   in Loop: Header=BB201_31 Depth=1
	s_cmp_eq_u64 s[16:17], 1
                                        ; implicit-def: $sgpr18
                                        ; implicit-def: $sgpr19
                                        ; implicit-def: $sgpr23
	s_cselect_b32 s8, -1, 0
	s_delay_alu instid0(SALU_CYCLE_1)
	s_and_b32 s58, s8, s7
	s_mov_b32 s7, -1
	s_and_saveexec_b32 s46, s58
	s_cbranch_execz .LBB201_335
; %bb.304:                              ;   in Loop: Header=BB201_31 Depth=1
	ds_load_b64 v[2:3], v13 offset:5120
	s_waitcnt lgkmcnt(0)
	s_barrier
	buffer_gl0_inv
	v_readfirstlane_b32 s8, v2
	v_readfirstlane_b32 s9, v3
	s_and_saveexec_b32 s7, s6
	s_cbranch_execz .LBB201_306
; %bb.305:                              ;   in Loop: Header=BB201_31 Depth=1
	ds_store_b32 v46, v13
.LBB201_306:                            ;   in Loop: Header=BB201_31 Depth=1
	s_or_b32 exec_lo, exec_lo, s7
	v_or_b32_e32 v50, s20, v50
	v_or_b32_e32 v49, s20, v49
	s_cmp_eq_u64 s[8:9], 0
	s_waitcnt lgkmcnt(0)
	s_barrier
	buffer_gl0_inv
	s_cbranch_scc1 .LBB201_318
; %bb.307:                              ;   in Loop: Header=BB201_31 Depth=1
	s_add_u32 s23, s85, s8
	s_addc_u32 s19, s86, s9
	s_mov_b32 s18, s61
	s_delay_alu instid0(SALU_CYCLE_1)
	s_cmp_lg_u64 s[18:19], 0
	s_cbranch_scc0 .LBB201_362
; %bb.308:                              ;   in Loop: Header=BB201_31 Depth=1
	v_cvt_f32_u32_e32 v2, s33
	s_sub_u32 s26, 0, s33
	s_subb_u32 s47, 0, 0
	s_delay_alu instid0(VALU_DEP_1) | instskip(NEXT) | instid1(VALU_DEP_1)
	v_fmac_f32_e64 v2, 0, 0x4f800000
	v_rcp_f32_e32 v2, v2
	s_waitcnt_depctr 0xfff
	v_mul_f32_e32 v2, 0x5f7ffffc, v2
	s_delay_alu instid0(VALU_DEP_1) | instskip(NEXT) | instid1(VALU_DEP_1)
	v_mul_f32_e32 v3, 0x2f800000, v2
	v_trunc_f32_e32 v3, v3
	s_delay_alu instid0(VALU_DEP_1) | instskip(SKIP_1) | instid1(VALU_DEP_2)
	v_fmac_f32_e32 v2, 0xcf800000, v3
	v_cvt_u32_f32_e32 v3, v3
	v_cvt_u32_f32_e32 v2, v2
	s_delay_alu instid0(VALU_DEP_2) | instskip(NEXT) | instid1(VALU_DEP_2)
	v_readfirstlane_b32 s7, v3
	v_readfirstlane_b32 s18, v2
	s_delay_alu instid0(VALU_DEP_2) | instskip(NEXT) | instid1(VALU_DEP_1)
	s_mul_i32 s55, s26, s7
	s_mul_hi_u32 s60, s26, s18
	s_mul_i32 s59, s47, s18
	s_add_i32 s55, s60, s55
	s_mul_i32 s70, s26, s18
	s_add_i32 s55, s55, s59
	s_mul_hi_u32 s60, s18, s70
	s_mul_hi_u32 s71, s7, s70
	s_mul_i32 s59, s7, s70
	s_mul_hi_u32 s70, s18, s55
	s_mul_i32 s18, s18, s55
	s_mul_hi_u32 s72, s7, s55
	s_add_u32 s18, s60, s18
	s_addc_u32 s60, 0, s70
	s_add_u32 s18, s18, s59
	s_mul_i32 s55, s7, s55
	s_addc_u32 s18, s60, s71
	s_addc_u32 s59, s72, 0
	s_add_u32 s18, s18, s55
	s_addc_u32 s55, 0, s59
	v_add_co_u32 v2, s18, v2, s18
	s_delay_alu instid0(VALU_DEP_1) | instskip(SKIP_1) | instid1(VALU_DEP_1)
	s_cmp_lg_u32 s18, 0
	s_addc_u32 s7, s7, s55
	v_readfirstlane_b32 s18, v2
	s_mul_i32 s55, s26, s7
	s_delay_alu instid0(VALU_DEP_1)
	s_mul_hi_u32 s59, s26, s18
	s_mul_i32 s47, s47, s18
	s_add_i32 s55, s59, s55
	s_mul_i32 s26, s26, s18
	s_add_i32 s55, s55, s47
	s_mul_hi_u32 s59, s7, s26
	s_mul_i32 s60, s7, s26
	s_mul_hi_u32 s26, s18, s26
	s_mul_hi_u32 s70, s18, s55
	s_mul_i32 s18, s18, s55
	s_mul_hi_u32 s47, s7, s55
	s_add_u32 s18, s26, s18
	s_addc_u32 s26, 0, s70
	s_add_u32 s18, s18, s60
	s_mul_i32 s55, s7, s55
	s_addc_u32 s18, s26, s59
	s_addc_u32 s26, s47, 0
	s_add_u32 s18, s18, s55
	s_addc_u32 s26, 0, s26
	v_add_co_u32 v2, s18, v2, s18
	s_delay_alu instid0(VALU_DEP_1) | instskip(SKIP_1) | instid1(VALU_DEP_1)
	s_cmp_lg_u32 s18, 0
	s_addc_u32 s7, s7, s26
	v_readfirstlane_b32 s18, v2
	s_mul_i32 s47, s23, s7
	s_mul_hi_u32 s26, s23, s7
	s_mul_hi_u32 s55, s19, s7
	s_mul_i32 s7, s19, s7
	s_mul_hi_u32 s59, s23, s18
	s_mul_hi_u32 s60, s19, s18
	s_mul_i32 s18, s19, s18
	s_add_u32 s47, s59, s47
	s_addc_u32 s26, 0, s26
	s_add_u32 s18, s47, s18
	s_addc_u32 s18, s26, s60
	s_addc_u32 s26, s55, 0
	s_add_u32 s7, s18, s7
	s_addc_u32 s18, 0, s26
	s_mul_hi_u32 s26, s33, s7
	s_mul_i32 s7, s33, s7
	s_mul_i32 s18, s33, s18
	v_sub_co_u32 v2, s7, s23, s7
	s_add_i32 s26, s26, s18
	s_cmp_lg_u32 s7, 0
	s_delay_alu instid0(VALU_DEP_1) | instskip(SKIP_2) | instid1(VALU_DEP_1)
	v_sub_co_u32 v3, s7, v2, s33
	s_subb_u32 s18, s19, s26
	s_cmp_lg_u32 s7, 0
	v_cmp_le_u32_e32 vcc_lo, s33, v3
	v_sub_co_u32 v4, s7, v3, s33
	s_subb_u32 s26, s18, 0
	s_cmp_lg_u32 s7, 0
	v_cndmask_b32_e64 v5, 0, -1, vcc_lo
	s_subb_u32 s7, s26, 0
	s_cmp_eq_u32 s26, 0
	v_mov_b32_e32 v7, s7
	s_cselect_b32 vcc_lo, -1, 0
	s_cmp_eq_u32 s18, 0
	v_cndmask_b32_e32 v5, -1, v5, vcc_lo
	v_cmp_le_u32_e32 vcc_lo, s33, v2
	s_cselect_b32 s7, -1, 0
	v_cndmask_b32_e64 v6, 0, -1, vcc_lo
	s_delay_alu instid0(VALU_DEP_3) | instskip(NEXT) | instid1(VALU_DEP_2)
	v_cmp_ne_u32_e32 vcc_lo, 0, v5
	v_cndmask_b32_e64 v5, -1, v6, s7
	v_cndmask_b32_e32 v6, s26, v7, vcc_lo
	v_cndmask_b32_e32 v4, v3, v4, vcc_lo
	s_delay_alu instid0(VALU_DEP_3) | instskip(NEXT) | instid1(VALU_DEP_3)
	v_cmp_ne_u32_e32 vcc_lo, 0, v5
	v_cndmask_b32_e32 v3, s18, v6, vcc_lo
	s_delay_alu instid0(VALU_DEP_3)
	v_cndmask_b32_e32 v2, v2, v4, vcc_lo
	s_cbranch_execnz .LBB201_310
.LBB201_309:                            ;   in Loop: Header=BB201_31 Depth=1
	v_cvt_f32_u32_e32 v2, s33
	s_sub_i32 s7, 0, s33
	s_delay_alu instid0(VALU_DEP_1) | instskip(SKIP_2) | instid1(VALU_DEP_1)
	v_rcp_iflag_f32_e32 v2, v2
	s_waitcnt_depctr 0xfff
	v_mul_f32_e32 v2, 0x4f7ffffe, v2
	v_cvt_u32_f32_e32 v2, v2
	s_delay_alu instid0(VALU_DEP_1) | instskip(NEXT) | instid1(VALU_DEP_1)
	v_mul_lo_u32 v3, s7, v2
	v_mul_hi_u32 v3, v2, v3
	s_delay_alu instid0(VALU_DEP_1) | instskip(NEXT) | instid1(VALU_DEP_1)
	v_add_nc_u32_e32 v2, v2, v3
	v_mul_hi_u32 v2, s23, v2
	s_delay_alu instid0(VALU_DEP_1) | instskip(NEXT) | instid1(VALU_DEP_1)
	v_mul_lo_u32 v2, v2, s33
	v_sub_nc_u32_e32 v2, s23, v2
	s_delay_alu instid0(VALU_DEP_1) | instskip(SKIP_1) | instid1(VALU_DEP_2)
	v_subrev_nc_u32_e32 v3, s33, v2
	v_cmp_le_u32_e32 vcc_lo, s33, v2
	v_cndmask_b32_e32 v2, v2, v3, vcc_lo
	s_delay_alu instid0(VALU_DEP_1) | instskip(SKIP_1) | instid1(VALU_DEP_2)
	v_subrev_nc_u32_e32 v3, s33, v2
	v_cmp_le_u32_e32 vcc_lo, s33, v2
	v_cndmask_b32_e32 v12, v2, v3, vcc_lo
	s_delay_alu instid0(VALU_DEP_1)
	v_dual_mov_b32 v2, v12 :: v_dual_mov_b32 v3, v13
.LBB201_310:                            ;   in Loop: Header=BB201_31 Depth=1
	s_delay_alu instid0(VALU_DEP_1) | instskip(NEXT) | instid1(VALU_DEP_2)
	v_sub_co_u32 v2, vcc_lo, s23, v2
	v_sub_co_ci_u32_e32 v3, vcc_lo, s19, v3, vcc_lo
	s_mov_b32 s7, 0
	s_mov_b32 s18, exec_lo
                                        ; implicit-def: $vgpr28
	s_delay_alu instid0(VALU_DEP_1)
	v_cmpx_gt_u64_e64 v[2:3], v[0:1]
	s_cbranch_execz .LBB201_320
; %bb.311:                              ;   in Loop: Header=BB201_31 Depth=1
	v_dual_mov_b32 v6, v14 :: v_dual_mov_b32 v5, v1
	v_mov_b32_e32 v4, v0
	s_mov_b32 s19, 0
                                        ; implicit-def: $sgpr23
	s_set_inst_prefetch_distance 0x1
	s_branch .LBB201_313
	.p2align	6
.LBB201_312:                            ;   in Loop: Header=BB201_313 Depth=2
	s_or_b32 exec_lo, exec_lo, s7
	s_waitcnt lgkmcnt(0)
	s_barrier
	buffer_gl0_inv
	ds_load_b64 v[27:28], v13 offset:3072
	v_add_co_u32 v4, vcc_lo, v4, s33
	v_add_co_ci_u32_e32 v5, vcc_lo, 0, v5, vcc_lo
	v_add_nc_u32_e32 v6, s93, v6
	s_waitcnt lgkmcnt(0)
	s_barrier
	s_delay_alu instid0(VALU_DEP_2) | instskip(SKIP_2) | instid1(VALU_DEP_1)
	v_cmp_ge_u64_e32 vcc_lo, v[4:5], v[2:3]
	buffer_gl0_inv
	v_cmp_neq_f32_e64 s7, 0, v27
	s_or_b32 s26, vcc_lo, s7
	s_delay_alu instid0(SALU_CYCLE_1) | instskip(NEXT) | instid1(SALU_CYCLE_1)
	s_and_b32 s26, exec_lo, s26
	s_or_b32 s19, s26, s19
	s_and_not1_b32 s23, s23, exec_lo
	s_and_b32 s7, s7, exec_lo
	s_delay_alu instid0(SALU_CYCLE_1)
	s_or_b32 s23, s23, s7
	s_and_not1_b32 exec_lo, exec_lo, s19
	s_cbranch_execz .LBB201_319
.LBB201_313:                            ;   Parent Loop BB201_31 Depth=1
                                        ; =>  This Inner Loop Header: Depth=2
	s_delay_alu instid0(VALU_DEP_1)
	v_cmp_gt_u64_e32 vcc_lo, s[8:9], v[4:5]
	v_mov_b32_e32 v27, 0
	s_and_saveexec_b32 s7, vcc_lo
	s_cbranch_execz .LBB201_315
; %bb.314:                              ;   in Loop: Header=BB201_313 Depth=2
	ds_load_b32 v27, v6
.LBB201_315:                            ;   in Loop: Header=BB201_313 Depth=2
	s_or_b32 exec_lo, exec_lo, s7
	s_and_saveexec_b32 s7, vcc_lo
	s_cbranch_execz .LBB201_312
; %bb.316:                              ;   in Loop: Header=BB201_313 Depth=2
	s_waitcnt lgkmcnt(0)
	v_cmp_lt_i32_e32 vcc_lo, -1, v27
	v_cndmask_b32_e64 v7, -1, 0x80000000, vcc_lo
	v_cmp_o_f32_e32 vcc_lo, v27, v27
	s_delay_alu instid0(VALU_DEP_2) | instskip(NEXT) | instid1(VALU_DEP_1)
	v_xor_b32_e32 v7, v7, v27
	v_cndmask_b32_e32 v7, -1, v7, vcc_lo
	s_delay_alu instid0(VALU_DEP_1) | instskip(NEXT) | instid1(VALU_DEP_1)
	v_and_b32_e32 v7, v7, v49
	v_cmp_eq_u32_e32 vcc_lo, v7, v50
	s_and_b32 exec_lo, exec_lo, vcc_lo
	s_cbranch_execz .LBB201_312
; %bb.317:                              ;   in Loop: Header=BB201_313 Depth=2
	ds_store_b64 v13, v[26:27] offset:3072
	s_branch .LBB201_312
.LBB201_318:                            ;   in Loop: Header=BB201_31 Depth=1
	s_mov_b32 s18, -1
	s_mov_b32 s7, 0
                                        ; implicit-def: $sgpr19
                                        ; implicit-def: $vgpr28
	s_mov_b32 s23, s18
	s_cbranch_execnz .LBB201_321
	s_branch .LBB201_334
.LBB201_319:                            ;   in Loop: Header=BB201_31 Depth=1
	s_set_inst_prefetch_distance 0x2
	s_or_b32 exec_lo, exec_lo, s19
	s_delay_alu instid0(SALU_CYCLE_1)
	s_and_b32 s7, s23, exec_lo
.LBB201_320:                            ;   in Loop: Header=BB201_31 Depth=1
	s_or_b32 exec_lo, exec_lo, s18
	s_mov_b32 s18, 0
	s_mov_b32 s19, -1
	s_mov_b32 s23, s18
	s_branch .LBB201_334
.LBB201_321:                            ;   in Loop: Header=BB201_31 Depth=1
	s_mov_b32 s26, s61
	s_delay_alu instid0(SALU_CYCLE_1)
	s_cmp_lg_u64 s[26:27], 0
	s_cbranch_scc0 .LBB201_363
; %bb.322:                              ;   in Loop: Header=BB201_31 Depth=1
	v_cvt_f32_u32_e32 v2, s33
	s_sub_u32 s9, 0, s33
	s_subb_u32 s18, 0, 0
	s_delay_alu instid0(VALU_DEP_1) | instskip(NEXT) | instid1(VALU_DEP_1)
	v_fmac_f32_e64 v2, 0, 0x4f800000
	v_rcp_f32_e32 v2, v2
	s_waitcnt_depctr 0xfff
	v_mul_f32_e32 v2, 0x5f7ffffc, v2
	s_delay_alu instid0(VALU_DEP_1) | instskip(NEXT) | instid1(VALU_DEP_1)
	v_mul_f32_e32 v3, 0x2f800000, v2
	v_trunc_f32_e32 v3, v3
	s_delay_alu instid0(VALU_DEP_1) | instskip(SKIP_1) | instid1(VALU_DEP_2)
	v_fmac_f32_e32 v2, 0xcf800000, v3
	v_cvt_u32_f32_e32 v3, v3
	v_cvt_u32_f32_e32 v2, v2
	s_delay_alu instid0(VALU_DEP_2) | instskip(NEXT) | instid1(VALU_DEP_2)
	v_readfirstlane_b32 s7, v3
	v_readfirstlane_b32 s8, v2
	s_delay_alu instid0(VALU_DEP_2) | instskip(NEXT) | instid1(VALU_DEP_1)
	s_mul_i32 s19, s9, s7
	s_mul_hi_u32 s26, s9, s8
	s_mul_i32 s23, s18, s8
	s_add_i32 s19, s26, s19
	s_mul_i32 s47, s9, s8
	s_add_i32 s19, s19, s23
	s_mul_hi_u32 s26, s8, s47
	s_mul_hi_u32 s55, s7, s47
	s_mul_i32 s23, s7, s47
	s_mul_hi_u32 s47, s8, s19
	s_mul_i32 s8, s8, s19
	s_mul_hi_u32 s59, s7, s19
	s_add_u32 s8, s26, s8
	s_addc_u32 s26, 0, s47
	s_add_u32 s8, s8, s23
	s_mul_i32 s19, s7, s19
	s_addc_u32 s8, s26, s55
	s_addc_u32 s23, s59, 0
	s_add_u32 s8, s8, s19
	s_addc_u32 s19, 0, s23
	v_add_co_u32 v2, s8, v2, s8
	s_delay_alu instid0(VALU_DEP_1) | instskip(SKIP_1) | instid1(VALU_DEP_1)
	s_cmp_lg_u32 s8, 0
	s_addc_u32 s7, s7, s19
	v_readfirstlane_b32 s8, v2
	s_mul_i32 s19, s9, s7
	s_delay_alu instid0(VALU_DEP_1)
	s_mul_hi_u32 s23, s9, s8
	s_mul_i32 s18, s18, s8
	s_add_i32 s19, s23, s19
	s_mul_i32 s9, s9, s8
	s_add_i32 s19, s19, s18
	s_mul_hi_u32 s23, s7, s9
	s_mul_i32 s26, s7, s9
	s_mul_hi_u32 s9, s8, s9
	s_mul_hi_u32 s47, s8, s19
	s_mul_i32 s8, s8, s19
	s_mul_hi_u32 s18, s7, s19
	s_add_u32 s8, s9, s8
	s_addc_u32 s9, 0, s47
	s_add_u32 s8, s8, s26
	s_mul_i32 s19, s7, s19
	s_addc_u32 s8, s9, s23
	s_addc_u32 s9, s18, 0
	s_add_u32 s8, s8, s19
	s_addc_u32 s9, 0, s9
	v_add_co_u32 v2, s8, v2, s8
	s_delay_alu instid0(VALU_DEP_1) | instskip(SKIP_1) | instid1(VALU_DEP_1)
	s_cmp_lg_u32 s8, 0
	s_addc_u32 s7, s7, s9
	v_readfirstlane_b32 s8, v2
	s_mul_i32 s18, s87, s7
	s_mul_hi_u32 s9, s87, s7
	s_mul_hi_u32 s19, s27, s7
	s_mul_i32 s7, s27, s7
	s_mul_hi_u32 s23, s87, s8
	s_mul_hi_u32 s26, s27, s8
	s_mul_i32 s8, s27, s8
	s_add_u32 s18, s23, s18
	s_addc_u32 s9, 0, s9
	s_add_u32 s8, s18, s8
	s_addc_u32 s8, s9, s26
	s_addc_u32 s9, s19, 0
	s_add_u32 s7, s8, s7
	s_addc_u32 s8, 0, s9
	s_mul_hi_u32 s9, s33, s7
	s_mul_i32 s7, s33, s7
	s_mul_i32 s8, s33, s8
	v_sub_co_u32 v2, s7, s87, s7
	s_add_i32 s9, s9, s8
	s_cmp_lg_u32 s7, 0
	s_delay_alu instid0(VALU_DEP_1) | instskip(SKIP_2) | instid1(VALU_DEP_1)
	v_sub_co_u32 v3, s7, v2, s33
	s_subb_u32 s8, s27, s9
	s_cmp_lg_u32 s7, 0
	v_cmp_le_u32_e32 vcc_lo, s33, v3
	v_sub_co_u32 v4, s7, v3, s33
	s_subb_u32 s9, s8, 0
	s_cmp_lg_u32 s7, 0
	v_cndmask_b32_e64 v5, 0, -1, vcc_lo
	s_subb_u32 s7, s9, 0
	s_cmp_eq_u32 s9, 0
	v_mov_b32_e32 v7, s7
	s_cselect_b32 vcc_lo, -1, 0
	s_cmp_eq_u32 s8, 0
	v_cndmask_b32_e32 v5, -1, v5, vcc_lo
	v_cmp_le_u32_e32 vcc_lo, s33, v2
	s_cselect_b32 s7, -1, 0
	v_cndmask_b32_e64 v6, 0, -1, vcc_lo
	s_delay_alu instid0(VALU_DEP_3) | instskip(NEXT) | instid1(VALU_DEP_2)
	v_cmp_ne_u32_e32 vcc_lo, 0, v5
	v_cndmask_b32_e64 v5, -1, v6, s7
	v_cndmask_b32_e32 v6, s9, v7, vcc_lo
	v_cndmask_b32_e32 v4, v3, v4, vcc_lo
	s_delay_alu instid0(VALU_DEP_3) | instskip(NEXT) | instid1(VALU_DEP_3)
	v_cmp_ne_u32_e32 vcc_lo, 0, v5
	v_cndmask_b32_e32 v3, s8, v6, vcc_lo
	s_delay_alu instid0(VALU_DEP_3)
	v_cndmask_b32_e32 v2, v2, v4, vcc_lo
	s_cbranch_execnz .LBB201_324
.LBB201_323:                            ;   in Loop: Header=BB201_31 Depth=1
	v_cvt_f32_u32_e32 v2, s33
	s_sub_i32 s7, 0, s33
	s_delay_alu instid0(VALU_DEP_1) | instskip(SKIP_2) | instid1(VALU_DEP_1)
	v_rcp_iflag_f32_e32 v2, v2
	s_waitcnt_depctr 0xfff
	v_mul_f32_e32 v2, 0x4f7ffffe, v2
	v_cvt_u32_f32_e32 v2, v2
	s_delay_alu instid0(VALU_DEP_1) | instskip(NEXT) | instid1(VALU_DEP_1)
	v_mul_lo_u32 v3, s7, v2
	v_mul_hi_u32 v3, v2, v3
	s_delay_alu instid0(VALU_DEP_1) | instskip(NEXT) | instid1(VALU_DEP_1)
	v_add_nc_u32_e32 v2, v2, v3
	v_mul_hi_u32 v2, s87, v2
	s_delay_alu instid0(VALU_DEP_1) | instskip(NEXT) | instid1(VALU_DEP_1)
	v_mul_lo_u32 v2, v2, s33
	v_sub_nc_u32_e32 v2, s87, v2
	s_delay_alu instid0(VALU_DEP_1) | instskip(SKIP_1) | instid1(VALU_DEP_2)
	v_subrev_nc_u32_e32 v3, s33, v2
	v_cmp_le_u32_e32 vcc_lo, s33, v2
	v_cndmask_b32_e32 v2, v2, v3, vcc_lo
	s_delay_alu instid0(VALU_DEP_1) | instskip(SKIP_1) | instid1(VALU_DEP_2)
	v_subrev_nc_u32_e32 v3, s33, v2
	v_cmp_le_u32_e32 vcc_lo, s33, v2
	v_cndmask_b32_e32 v12, v2, v3, vcc_lo
	s_delay_alu instid0(VALU_DEP_1)
	v_dual_mov_b32 v2, v12 :: v_dual_mov_b32 v3, v13
.LBB201_324:                            ;   in Loop: Header=BB201_31 Depth=1
	s_delay_alu instid0(VALU_DEP_1) | instskip(NEXT) | instid1(VALU_DEP_2)
	v_sub_co_u32 v2, vcc_lo, s87, v2
	v_sub_co_ci_u32_e32 v3, vcc_lo, s27, v3, vcc_lo
	s_mov_b32 s7, 0
	s_mov_b32 s8, exec_lo
                                        ; implicit-def: $vgpr28
	s_delay_alu instid0(VALU_DEP_1)
	v_cmpx_gt_u64_e64 v[2:3], v[0:1]
	s_cbranch_execz .LBB201_333
; %bb.325:                              ;   in Loop: Header=BB201_31 Depth=1
	v_dual_mov_b32 v4, v24 :: v_dual_mov_b32 v5, v25
	v_dual_mov_b32 v7, v1 :: v_dual_mov_b32 v6, v0
	s_mov_b32 s9, 0
                                        ; implicit-def: $sgpr18
	s_set_inst_prefetch_distance 0x1
	s_branch .LBB201_327
	.p2align	6
.LBB201_326:                            ;   in Loop: Header=BB201_327 Depth=2
	s_or_b32 exec_lo, exec_lo, s7
	s_waitcnt vmcnt(0) lgkmcnt(0)
	s_barrier
	buffer_gl0_inv
	ds_load_b64 v[27:28], v13 offset:3072
	v_add_co_u32 v6, vcc_lo, v6, s33
	v_add_co_ci_u32_e32 v7, vcc_lo, 0, v7, vcc_lo
	s_waitcnt lgkmcnt(0)
	s_barrier
	buffer_gl0_inv
	v_cmp_ge_u64_e32 vcc_lo, v[6:7], v[2:3]
	v_cmp_neq_f32_e64 s7, 0, v27
	s_delay_alu instid0(VALU_DEP_1)
	s_or_b32 s19, vcc_lo, s7
	v_add_co_u32 v4, vcc_lo, v4, s34
	s_and_b32 s19, exec_lo, s19
	v_add_co_ci_u32_e32 v5, vcc_lo, s35, v5, vcc_lo
	s_or_b32 s9, s19, s9
	s_and_not1_b32 s18, s18, exec_lo
	s_and_b32 s7, s7, exec_lo
	s_delay_alu instid0(SALU_CYCLE_1)
	s_or_b32 s18, s18, s7
	s_and_not1_b32 exec_lo, exec_lo, s9
	s_cbranch_execz .LBB201_332
.LBB201_327:                            ;   Parent Loop BB201_31 Depth=1
                                        ; =>  This Inner Loop Header: Depth=2
	s_delay_alu instid0(VALU_DEP_1)
	v_cmp_gt_u64_e32 vcc_lo, s[36:37], v[6:7]
	v_mov_b32_e32 v27, 0
	s_and_saveexec_b32 s7, vcc_lo
	s_cbranch_execz .LBB201_329
; %bb.328:                              ;   in Loop: Header=BB201_327 Depth=2
	global_load_b32 v27, v[4:5], off
.LBB201_329:                            ;   in Loop: Header=BB201_327 Depth=2
	s_or_b32 exec_lo, exec_lo, s7
	s_and_saveexec_b32 s7, vcc_lo
	s_cbranch_execz .LBB201_326
; %bb.330:                              ;   in Loop: Header=BB201_327 Depth=2
	s_waitcnt vmcnt(0)
	v_cmp_lt_i32_e32 vcc_lo, -1, v27
	v_cndmask_b32_e64 v8, -1, 0x80000000, vcc_lo
	v_cmp_o_f32_e32 vcc_lo, v27, v27
	s_delay_alu instid0(VALU_DEP_2) | instskip(NEXT) | instid1(VALU_DEP_1)
	v_xor_b32_e32 v8, v8, v27
	v_cndmask_b32_e32 v8, -1, v8, vcc_lo
	s_delay_alu instid0(VALU_DEP_1) | instskip(NEXT) | instid1(VALU_DEP_1)
	v_and_b32_e32 v8, v8, v49
	v_cmp_eq_u32_e32 vcc_lo, v8, v50
	s_and_b32 exec_lo, exec_lo, vcc_lo
	s_cbranch_execz .LBB201_326
; %bb.331:                              ;   in Loop: Header=BB201_327 Depth=2
	ds_store_b64 v13, v[26:27] offset:3072
	s_branch .LBB201_326
.LBB201_332:                            ;   in Loop: Header=BB201_31 Depth=1
	s_set_inst_prefetch_distance 0x2
	s_or_b32 exec_lo, exec_lo, s9
	s_delay_alu instid0(SALU_CYCLE_1)
	s_and_b32 s7, s18, exec_lo
.LBB201_333:                            ;   in Loop: Header=BB201_31 Depth=1
	s_or_b32 exec_lo, exec_lo, s8
	s_mov_b32 s19, 0
	s_mov_b32 s18, -1
	s_mov_b32 s23, 0
.LBB201_334:                            ;   in Loop: Header=BB201_31 Depth=1
	s_or_not1_b32 s7, s7, exec_lo
.LBB201_335:                            ;   in Loop: Header=BB201_31 Depth=1
	s_or_b32 exec_lo, exec_lo, s46
                                        ; implicit-def: $vgpr8
                                        ; implicit-def: $vgpr2_vgpr3
                                        ; implicit-def: $vgpr33
                                        ; implicit-def: $vgpr34
                                        ; implicit-def: $vgpr5
	s_and_saveexec_b32 s55, s7
	s_cbranch_execz .LBB201_498
; %bb.336:                              ;   in Loop: Header=BB201_31 Depth=1
	v_mov_b32_e32 v2, 1
	v_dual_mov_b32 v3, 0 :: v_dual_mov_b32 v8, 1
	s_xor_b32 s8, s58, -1
	s_mov_b32 s26, 0
	s_and_saveexec_b32 s7, s8
	s_cbranch_execz .LBB201_346
; %bb.337:                              ;   in Loop: Header=BB201_31 Depth=1
	s_mov_b32 s9, exec_lo
                                        ; implicit-def: $sgpr26
                                        ; implicit-def: $sgpr8
	v_cmpx_ge_u64_e64 s[16:17], v[29:30]
	s_xor_b32 s9, exec_lo, s9
	s_cbranch_execz .LBB201_343
; %bb.338:                              ;   in Loop: Header=BB201_31 Depth=1
	ds_load_b64 v[2:3], v13 offset:5120
	s_waitcnt lgkmcnt(0)
	v_cmp_ne_u64_e32 vcc_lo, 0, v[2:3]
	s_cbranch_vccnz .LBB201_342
; %bb.339:                              ;   in Loop: Header=BB201_31 Depth=1
	s_and_saveexec_b32 s8, s5
	s_cbranch_execz .LBB201_341
; %bb.340:                              ;   in Loop: Header=BB201_31 Depth=1
	v_dual_mov_b32 v2, s16 :: v_dual_mov_b32 v3, s17
	ds_store_b64 v13, v[2:3] offset:5128
.LBB201_341:                            ;   in Loop: Header=BB201_31 Depth=1
	s_or_b32 exec_lo, exec_lo, s8
	s_waitcnt lgkmcnt(0)
	s_barrier
	buffer_gl0_inv
.LBB201_342:                            ;   in Loop: Header=BB201_31 Depth=1
	v_or_b32_e32 v50, s20, v50
	v_or_b32_e32 v49, s20, v49
	s_mov_b32 s8, 0
	s_mov_b32 s26, 5
.LBB201_343:                            ;   in Loop: Header=BB201_31 Depth=1
	s_or_saveexec_b32 s9, s9
	v_mov_b32_e32 v8, s26
	s_xor_b32 exec_lo, exec_lo, s9
; %bb.344:                              ;   in Loop: Header=BB201_31 Depth=1
	v_sub_co_u32 v29, vcc_lo, v29, s16
	v_subrev_co_ci_u32_e32 v30, vcc_lo, s17, v30, vcc_lo
	v_mov_b32_e32 v8, 0
	s_or_b32 s8, s8, exec_lo
; %bb.345:                              ;   in Loop: Header=BB201_31 Depth=1
	s_or_b32 exec_lo, exec_lo, s9
	s_delay_alu instid0(VALU_DEP_2)
	v_dual_mov_b32 v2, v29 :: v_dual_mov_b32 v3, v30
	s_and_b32 s26, s8, exec_lo
.LBB201_346:                            ;   in Loop: Header=BB201_31 Depth=1
	s_or_b32 exec_lo, exec_lo, s7
	s_mov_b32 s17, -1
                                        ; implicit-def: $sgpr8
                                        ; implicit-def: $sgpr9
                                        ; implicit-def: $sgpr16
	s_and_saveexec_b32 s7, s26
	s_delay_alu instid0(SALU_CYCLE_1)
	s_xor_b32 s60, exec_lo, s7
	s_cbranch_execz .LBB201_495
; %bb.347:                              ;   in Loop: Header=BB201_31 Depth=1
	v_cmp_eq_u64_e32 vcc_lo, 1, v[2:3]
	s_cmp_eq_u64 s[14:15], 1
                                        ; implicit-def: $sgpr16
                                        ; implicit-def: $sgpr17
                                        ; implicit-def: $sgpr70
	s_cselect_b32 s7, -1, 0
	s_delay_alu instid0(SALU_CYCLE_1)
	s_and_b32 s58, s7, vcc_lo
	s_mov_b32 s7, -1
	s_and_saveexec_b32 s46, s58
	s_cbranch_execz .LBB201_381
; %bb.348:                              ;   in Loop: Header=BB201_31 Depth=1
	ds_load_b64 v[4:5], v13 offset:5120
	s_waitcnt lgkmcnt(0)
	s_barrier
	buffer_gl0_inv
	v_readfirstlane_b32 s8, v4
	v_readfirstlane_b32 s9, v5
	s_and_saveexec_b32 s7, s6
	s_cbranch_execz .LBB201_350
; %bb.349:                              ;   in Loop: Header=BB201_31 Depth=1
	ds_store_b32 v46, v13
.LBB201_350:                            ;   in Loop: Header=BB201_31 Depth=1
	s_or_b32 exec_lo, exec_lo, s7
	s_lshl_b32 s7, 2, s22
	v_or_b32_e32 v49, s20, v49
	v_and_or_b32 v50, v50, s21, s7
	s_cmp_eq_u64 s[8:9], 0
	s_waitcnt lgkmcnt(0)
	s_barrier
	buffer_gl0_inv
	s_cbranch_scc1 .LBB201_364
; %bb.351:                              ;   in Loop: Header=BB201_31 Depth=1
	s_add_u32 s26, s85, s8
	s_addc_u32 s17, s86, s9
	s_mov_b32 s16, s61
	s_delay_alu instid0(SALU_CYCLE_1)
	s_cmp_lg_u64 s[16:17], 0
	s_cbranch_scc0 .LBB201_408
; %bb.352:                              ;   in Loop: Header=BB201_31 Depth=1
	v_cvt_f32_u32_e32 v4, s33
	s_sub_u32 s47, 0, s33
	s_subb_u32 s59, 0, 0
	s_delay_alu instid0(VALU_DEP_1) | instskip(NEXT) | instid1(VALU_DEP_1)
	v_fmac_f32_e64 v4, 0, 0x4f800000
	v_rcp_f32_e32 v4, v4
	s_waitcnt_depctr 0xfff
	v_mul_f32_e32 v4, 0x5f7ffffc, v4
	s_delay_alu instid0(VALU_DEP_1) | instskip(NEXT) | instid1(VALU_DEP_1)
	v_mul_f32_e32 v5, 0x2f800000, v4
	v_trunc_f32_e32 v5, v5
	s_delay_alu instid0(VALU_DEP_1) | instskip(SKIP_1) | instid1(VALU_DEP_2)
	v_fmac_f32_e32 v4, 0xcf800000, v5
	v_cvt_u32_f32_e32 v5, v5
	v_cvt_u32_f32_e32 v4, v4
	s_delay_alu instid0(VALU_DEP_2) | instskip(NEXT) | instid1(VALU_DEP_2)
	v_readfirstlane_b32 s7, v5
	v_readfirstlane_b32 s16, v4
	s_delay_alu instid0(VALU_DEP_2) | instskip(NEXT) | instid1(VALU_DEP_1)
	s_mul_i32 s70, s47, s7
	s_mul_hi_u32 s72, s47, s16
	s_mul_i32 s71, s59, s16
	s_add_i32 s70, s72, s70
	s_mul_i32 s73, s47, s16
	s_add_i32 s70, s70, s71
	s_mul_hi_u32 s72, s16, s73
	s_mul_hi_u32 s74, s7, s73
	s_mul_i32 s71, s7, s73
	s_mul_hi_u32 s73, s16, s70
	s_mul_i32 s16, s16, s70
	s_mul_hi_u32 s75, s7, s70
	s_add_u32 s16, s72, s16
	s_addc_u32 s72, 0, s73
	s_add_u32 s16, s16, s71
	s_mul_i32 s70, s7, s70
	s_addc_u32 s16, s72, s74
	s_addc_u32 s71, s75, 0
	s_add_u32 s16, s16, s70
	s_addc_u32 s70, 0, s71
	v_add_co_u32 v4, s16, v4, s16
	s_delay_alu instid0(VALU_DEP_1) | instskip(SKIP_1) | instid1(VALU_DEP_1)
	s_cmp_lg_u32 s16, 0
	s_addc_u32 s7, s7, s70
	v_readfirstlane_b32 s16, v4
	s_mul_i32 s70, s47, s7
	s_delay_alu instid0(VALU_DEP_1)
	s_mul_hi_u32 s71, s47, s16
	s_mul_i32 s59, s59, s16
	s_add_i32 s70, s71, s70
	s_mul_i32 s47, s47, s16
	s_add_i32 s70, s70, s59
	s_mul_hi_u32 s71, s7, s47
	s_mul_i32 s72, s7, s47
	s_mul_hi_u32 s47, s16, s47
	s_mul_hi_u32 s73, s16, s70
	s_mul_i32 s16, s16, s70
	s_mul_hi_u32 s59, s7, s70
	s_add_u32 s16, s47, s16
	s_addc_u32 s47, 0, s73
	s_add_u32 s16, s16, s72
	s_mul_i32 s70, s7, s70
	s_addc_u32 s16, s47, s71
	s_addc_u32 s47, s59, 0
	s_add_u32 s16, s16, s70
	s_addc_u32 s47, 0, s47
	v_add_co_u32 v4, s16, v4, s16
	s_delay_alu instid0(VALU_DEP_1) | instskip(SKIP_1) | instid1(VALU_DEP_1)
	s_cmp_lg_u32 s16, 0
	s_addc_u32 s7, s7, s47
	v_readfirstlane_b32 s16, v4
	s_mul_i32 s59, s26, s7
	s_mul_hi_u32 s47, s26, s7
	s_mul_hi_u32 s70, s17, s7
	s_mul_i32 s7, s17, s7
	s_mul_hi_u32 s71, s26, s16
	s_mul_hi_u32 s72, s17, s16
	s_mul_i32 s16, s17, s16
	s_add_u32 s59, s71, s59
	s_addc_u32 s47, 0, s47
	s_add_u32 s16, s59, s16
	s_addc_u32 s16, s47, s72
	s_addc_u32 s47, s70, 0
	s_add_u32 s7, s16, s7
	s_addc_u32 s16, 0, s47
	s_mul_hi_u32 s47, s33, s7
	s_mul_i32 s7, s33, s7
	s_mul_i32 s16, s33, s16
	v_sub_co_u32 v4, s7, s26, s7
	s_add_i32 s47, s47, s16
	s_cmp_lg_u32 s7, 0
	s_delay_alu instid0(VALU_DEP_1) | instskip(SKIP_3) | instid1(VALU_DEP_2)
	v_sub_co_u32 v5, s7, v4, s33
	s_subb_u32 s16, s17, s47
	s_cmp_lg_u32 s7, 0
	v_cmp_le_u32_e32 vcc_lo, s33, v4
	v_cmp_le_u32_e64 s7, s33, v5
	v_sub_co_u32 v6, s47, v5, s33
	s_subb_u32 s59, s16, 0
	s_cmp_lg_u32 s47, 0
	s_delay_alu instid0(VALU_DEP_2)
	v_cndmask_b32_e64 v7, 0, -1, s7
	s_subb_u32 s47, s59, 0
	s_cmp_eq_u32 s59, 0
	v_mov_b32_e32 v9, s47
	v_cndmask_b32_e64 v8, 0, -1, vcc_lo
	s_cselect_b32 vcc_lo, -1, 0
	s_cmp_eq_u32 s16, 0
	v_cndmask_b32_e32 v7, -1, v7, vcc_lo
	s_cselect_b32 vcc_lo, -1, 0
	v_cndmask_b32_e32 v8, -1, v8, vcc_lo
	s_delay_alu instid0(VALU_DEP_2) | instskip(NEXT) | instid1(VALU_DEP_2)
	v_cmp_ne_u32_e32 vcc_lo, 0, v7
	v_cmp_ne_u32_e64 s7, 0, v8
	v_cndmask_b32_e32 v7, s59, v9, vcc_lo
	v_cndmask_b32_e32 v6, v5, v6, vcc_lo
	s_delay_alu instid0(VALU_DEP_2) | instskip(NEXT) | instid1(VALU_DEP_2)
	v_cndmask_b32_e64 v5, s16, v7, s7
	v_cndmask_b32_e64 v4, v4, v6, s7
	s_cbranch_execnz .LBB201_354
.LBB201_353:                            ;   in Loop: Header=BB201_31 Depth=1
	v_cvt_f32_u32_e32 v4, s33
	s_sub_i32 s7, 0, s33
	s_delay_alu instid0(VALU_DEP_1) | instskip(SKIP_2) | instid1(VALU_DEP_1)
	v_rcp_iflag_f32_e32 v4, v4
	s_waitcnt_depctr 0xfff
	v_mul_f32_e32 v4, 0x4f7ffffe, v4
	v_cvt_u32_f32_e32 v4, v4
	s_delay_alu instid0(VALU_DEP_1) | instskip(NEXT) | instid1(VALU_DEP_1)
	v_mul_lo_u32 v5, s7, v4
	v_mul_hi_u32 v5, v4, v5
	s_delay_alu instid0(VALU_DEP_1) | instskip(NEXT) | instid1(VALU_DEP_1)
	v_add_nc_u32_e32 v4, v4, v5
	v_mul_hi_u32 v4, s26, v4
	s_delay_alu instid0(VALU_DEP_1) | instskip(NEXT) | instid1(VALU_DEP_1)
	v_mul_lo_u32 v4, v4, s33
	v_sub_nc_u32_e32 v4, s26, v4
	s_delay_alu instid0(VALU_DEP_1) | instskip(SKIP_1) | instid1(VALU_DEP_2)
	v_subrev_nc_u32_e32 v5, s33, v4
	v_cmp_le_u32_e32 vcc_lo, s33, v4
	v_cndmask_b32_e32 v4, v4, v5, vcc_lo
	s_delay_alu instid0(VALU_DEP_1) | instskip(SKIP_1) | instid1(VALU_DEP_2)
	v_subrev_nc_u32_e32 v5, s33, v4
	v_cmp_le_u32_e32 vcc_lo, s33, v4
	v_cndmask_b32_e32 v12, v4, v5, vcc_lo
	s_delay_alu instid0(VALU_DEP_1)
	v_dual_mov_b32 v4, v12 :: v_dual_mov_b32 v5, v13
.LBB201_354:                            ;   in Loop: Header=BB201_31 Depth=1
	s_delay_alu instid0(VALU_DEP_1) | instskip(NEXT) | instid1(VALU_DEP_2)
	v_sub_co_u32 v4, vcc_lo, s26, v4
	v_sub_co_ci_u32_e32 v5, vcc_lo, s17, v5, vcc_lo
	s_mov_b32 s7, 0
	s_mov_b32 s16, exec_lo
                                        ; implicit-def: $vgpr28
	s_delay_alu instid0(VALU_DEP_1)
	v_cmpx_gt_u64_e64 v[4:5], v[0:1]
	s_cbranch_execz .LBB201_366
; %bb.355:                              ;   in Loop: Header=BB201_31 Depth=1
	v_dual_mov_b32 v8, v14 :: v_dual_mov_b32 v7, v1
	v_mov_b32_e32 v6, v0
	s_mov_b32 s17, 0
                                        ; implicit-def: $sgpr26
	s_set_inst_prefetch_distance 0x1
	s_branch .LBB201_357
	.p2align	6
.LBB201_356:                            ;   in Loop: Header=BB201_357 Depth=2
	s_or_b32 exec_lo, exec_lo, s7
	s_waitcnt lgkmcnt(0)
	s_barrier
	buffer_gl0_inv
	ds_load_b64 v[27:28], v13 offset:3072
	v_add_co_u32 v6, vcc_lo, v6, s33
	v_add_co_ci_u32_e32 v7, vcc_lo, 0, v7, vcc_lo
	v_add_nc_u32_e32 v8, s93, v8
	s_waitcnt lgkmcnt(0)
	s_barrier
	s_delay_alu instid0(VALU_DEP_2) | instskip(SKIP_2) | instid1(VALU_DEP_1)
	v_cmp_ge_u64_e32 vcc_lo, v[6:7], v[4:5]
	buffer_gl0_inv
	v_cmp_neq_f32_e64 s7, 0, v27
	s_or_b32 s47, vcc_lo, s7
	s_delay_alu instid0(SALU_CYCLE_1) | instskip(NEXT) | instid1(SALU_CYCLE_1)
	s_and_b32 s47, exec_lo, s47
	s_or_b32 s17, s47, s17
	s_and_not1_b32 s26, s26, exec_lo
	s_and_b32 s7, s7, exec_lo
	s_delay_alu instid0(SALU_CYCLE_1)
	s_or_b32 s26, s26, s7
	s_and_not1_b32 exec_lo, exec_lo, s17
	s_cbranch_execz .LBB201_365
.LBB201_357:                            ;   Parent Loop BB201_31 Depth=1
                                        ; =>  This Inner Loop Header: Depth=2
	s_delay_alu instid0(VALU_DEP_1)
	v_cmp_gt_u64_e32 vcc_lo, s[8:9], v[6:7]
	v_mov_b32_e32 v27, 0
	s_and_saveexec_b32 s7, vcc_lo
	s_cbranch_execz .LBB201_359
; %bb.358:                              ;   in Loop: Header=BB201_357 Depth=2
	ds_load_b32 v27, v8
.LBB201_359:                            ;   in Loop: Header=BB201_357 Depth=2
	s_or_b32 exec_lo, exec_lo, s7
	s_and_saveexec_b32 s7, vcc_lo
	s_cbranch_execz .LBB201_356
; %bb.360:                              ;   in Loop: Header=BB201_357 Depth=2
	s_waitcnt lgkmcnt(0)
	v_cmp_lt_i32_e32 vcc_lo, -1, v27
	v_cndmask_b32_e64 v9, -1, 0x80000000, vcc_lo
	v_cmp_o_f32_e32 vcc_lo, v27, v27
	s_delay_alu instid0(VALU_DEP_2) | instskip(NEXT) | instid1(VALU_DEP_1)
	v_xor_b32_e32 v9, v9, v27
	v_cndmask_b32_e32 v9, -1, v9, vcc_lo
	s_delay_alu instid0(VALU_DEP_1) | instskip(NEXT) | instid1(VALU_DEP_1)
	v_and_b32_e32 v9, v9, v49
	v_cmp_eq_u32_e32 vcc_lo, v9, v50
	s_and_b32 exec_lo, exec_lo, vcc_lo
	s_cbranch_execz .LBB201_356
; %bb.361:                              ;   in Loop: Header=BB201_357 Depth=2
	ds_store_b64 v13, v[26:27] offset:3072
	s_branch .LBB201_356
.LBB201_362:                            ;   in Loop: Header=BB201_31 Depth=1
                                        ; implicit-def: $vgpr2_vgpr3
	s_branch .LBB201_309
.LBB201_363:                            ;   in Loop: Header=BB201_31 Depth=1
                                        ; implicit-def: $vgpr2_vgpr3
	s_branch .LBB201_323
.LBB201_364:                            ;   in Loop: Header=BB201_31 Depth=1
	s_mov_b32 s16, -1
	s_mov_b32 s7, 0
                                        ; implicit-def: $sgpr17
                                        ; implicit-def: $vgpr28
	s_mov_b32 s70, s16
	s_cbranch_execnz .LBB201_367
	s_branch .LBB201_380
.LBB201_365:                            ;   in Loop: Header=BB201_31 Depth=1
	s_set_inst_prefetch_distance 0x2
	s_or_b32 exec_lo, exec_lo, s17
	s_delay_alu instid0(SALU_CYCLE_1)
	s_and_b32 s7, s26, exec_lo
.LBB201_366:                            ;   in Loop: Header=BB201_31 Depth=1
	s_or_b32 exec_lo, exec_lo, s16
	s_mov_b32 s16, 0
	s_mov_b32 s17, -1
	s_mov_b32 s70, s16
	s_branch .LBB201_380
.LBB201_367:                            ;   in Loop: Header=BB201_31 Depth=1
	s_mov_b32 s26, s61
	s_delay_alu instid0(SALU_CYCLE_1)
	s_cmp_lg_u64 s[26:27], 0
	s_cbranch_scc0 .LBB201_409
; %bb.368:                              ;   in Loop: Header=BB201_31 Depth=1
	v_cvt_f32_u32_e32 v4, s33
	s_sub_u32 s9, 0, s33
	s_subb_u32 s16, 0, 0
	s_delay_alu instid0(VALU_DEP_1) | instskip(NEXT) | instid1(VALU_DEP_1)
	v_fmac_f32_e64 v4, 0, 0x4f800000
	v_rcp_f32_e32 v4, v4
	s_waitcnt_depctr 0xfff
	v_mul_f32_e32 v4, 0x5f7ffffc, v4
	s_delay_alu instid0(VALU_DEP_1) | instskip(NEXT) | instid1(VALU_DEP_1)
	v_mul_f32_e32 v5, 0x2f800000, v4
	v_trunc_f32_e32 v5, v5
	s_delay_alu instid0(VALU_DEP_1) | instskip(SKIP_1) | instid1(VALU_DEP_2)
	v_fmac_f32_e32 v4, 0xcf800000, v5
	v_cvt_u32_f32_e32 v5, v5
	v_cvt_u32_f32_e32 v4, v4
	s_delay_alu instid0(VALU_DEP_2) | instskip(NEXT) | instid1(VALU_DEP_2)
	v_readfirstlane_b32 s7, v5
	v_readfirstlane_b32 s8, v4
	s_delay_alu instid0(VALU_DEP_2) | instskip(NEXT) | instid1(VALU_DEP_1)
	s_mul_i32 s17, s9, s7
	s_mul_hi_u32 s47, s9, s8
	s_mul_i32 s26, s16, s8
	s_add_i32 s17, s47, s17
	s_mul_i32 s59, s9, s8
	s_add_i32 s17, s17, s26
	s_mul_hi_u32 s47, s8, s59
	s_mul_hi_u32 s70, s7, s59
	s_mul_i32 s26, s7, s59
	s_mul_hi_u32 s59, s8, s17
	s_mul_i32 s8, s8, s17
	s_mul_hi_u32 s71, s7, s17
	s_add_u32 s8, s47, s8
	s_addc_u32 s47, 0, s59
	s_add_u32 s8, s8, s26
	s_mul_i32 s17, s7, s17
	s_addc_u32 s8, s47, s70
	s_addc_u32 s26, s71, 0
	s_add_u32 s8, s8, s17
	s_addc_u32 s17, 0, s26
	v_add_co_u32 v4, s8, v4, s8
	s_delay_alu instid0(VALU_DEP_1) | instskip(SKIP_1) | instid1(VALU_DEP_1)
	s_cmp_lg_u32 s8, 0
	s_addc_u32 s7, s7, s17
	v_readfirstlane_b32 s8, v4
	s_mul_i32 s17, s9, s7
	s_delay_alu instid0(VALU_DEP_1)
	s_mul_hi_u32 s26, s9, s8
	s_mul_i32 s16, s16, s8
	s_add_i32 s17, s26, s17
	s_mul_i32 s9, s9, s8
	s_add_i32 s17, s17, s16
	s_mul_hi_u32 s26, s7, s9
	s_mul_i32 s47, s7, s9
	s_mul_hi_u32 s9, s8, s9
	s_mul_hi_u32 s59, s8, s17
	s_mul_i32 s8, s8, s17
	s_mul_hi_u32 s16, s7, s17
	s_add_u32 s8, s9, s8
	s_addc_u32 s9, 0, s59
	s_add_u32 s8, s8, s47
	s_mul_i32 s17, s7, s17
	s_addc_u32 s8, s9, s26
	s_addc_u32 s9, s16, 0
	s_add_u32 s8, s8, s17
	s_addc_u32 s9, 0, s9
	v_add_co_u32 v4, s8, v4, s8
	s_delay_alu instid0(VALU_DEP_1) | instskip(SKIP_1) | instid1(VALU_DEP_1)
	s_cmp_lg_u32 s8, 0
	s_addc_u32 s7, s7, s9
	v_readfirstlane_b32 s8, v4
	s_mul_i32 s16, s87, s7
	s_mul_hi_u32 s9, s87, s7
	s_mul_hi_u32 s17, s27, s7
	s_mul_i32 s7, s27, s7
	s_mul_hi_u32 s26, s87, s8
	s_mul_hi_u32 s47, s27, s8
	s_mul_i32 s8, s27, s8
	s_add_u32 s16, s26, s16
	s_addc_u32 s9, 0, s9
	s_add_u32 s8, s16, s8
	s_addc_u32 s8, s9, s47
	s_addc_u32 s9, s17, 0
	s_add_u32 s7, s8, s7
	s_addc_u32 s8, 0, s9
	s_mul_hi_u32 s9, s33, s7
	s_mul_i32 s7, s33, s7
	s_mul_i32 s8, s33, s8
	v_sub_co_u32 v4, s7, s87, s7
	s_add_i32 s9, s9, s8
	s_cmp_lg_u32 s7, 0
	s_delay_alu instid0(VALU_DEP_1) | instskip(SKIP_2) | instid1(VALU_DEP_1)
	v_sub_co_u32 v5, s7, v4, s33
	s_subb_u32 s8, s27, s9
	s_cmp_lg_u32 s7, 0
	v_cmp_le_u32_e32 vcc_lo, s33, v5
	v_sub_co_u32 v6, s7, v5, s33
	s_subb_u32 s9, s8, 0
	s_cmp_lg_u32 s7, 0
	v_cndmask_b32_e64 v7, 0, -1, vcc_lo
	s_subb_u32 s7, s9, 0
	s_cmp_eq_u32 s9, 0
	v_mov_b32_e32 v9, s7
	s_cselect_b32 vcc_lo, -1, 0
	s_cmp_eq_u32 s8, 0
	v_cndmask_b32_e32 v7, -1, v7, vcc_lo
	v_cmp_le_u32_e32 vcc_lo, s33, v4
	s_cselect_b32 s7, -1, 0
	v_cndmask_b32_e64 v8, 0, -1, vcc_lo
	s_delay_alu instid0(VALU_DEP_3) | instskip(NEXT) | instid1(VALU_DEP_2)
	v_cmp_ne_u32_e32 vcc_lo, 0, v7
	v_cndmask_b32_e64 v7, -1, v8, s7
	v_cndmask_b32_e32 v8, s9, v9, vcc_lo
	v_cndmask_b32_e32 v6, v5, v6, vcc_lo
	s_delay_alu instid0(VALU_DEP_3) | instskip(NEXT) | instid1(VALU_DEP_3)
	v_cmp_ne_u32_e32 vcc_lo, 0, v7
	v_cndmask_b32_e32 v5, s8, v8, vcc_lo
	s_delay_alu instid0(VALU_DEP_3)
	v_cndmask_b32_e32 v4, v4, v6, vcc_lo
	s_cbranch_execnz .LBB201_370
.LBB201_369:                            ;   in Loop: Header=BB201_31 Depth=1
	v_cvt_f32_u32_e32 v4, s33
	s_sub_i32 s7, 0, s33
	s_delay_alu instid0(VALU_DEP_1) | instskip(SKIP_2) | instid1(VALU_DEP_1)
	v_rcp_iflag_f32_e32 v4, v4
	s_waitcnt_depctr 0xfff
	v_mul_f32_e32 v4, 0x4f7ffffe, v4
	v_cvt_u32_f32_e32 v4, v4
	s_delay_alu instid0(VALU_DEP_1) | instskip(NEXT) | instid1(VALU_DEP_1)
	v_mul_lo_u32 v5, s7, v4
	v_mul_hi_u32 v5, v4, v5
	s_delay_alu instid0(VALU_DEP_1) | instskip(NEXT) | instid1(VALU_DEP_1)
	v_add_nc_u32_e32 v4, v4, v5
	v_mul_hi_u32 v4, s87, v4
	s_delay_alu instid0(VALU_DEP_1) | instskip(NEXT) | instid1(VALU_DEP_1)
	v_mul_lo_u32 v4, v4, s33
	v_sub_nc_u32_e32 v4, s87, v4
	s_delay_alu instid0(VALU_DEP_1) | instskip(SKIP_1) | instid1(VALU_DEP_2)
	v_subrev_nc_u32_e32 v5, s33, v4
	v_cmp_le_u32_e32 vcc_lo, s33, v4
	v_cndmask_b32_e32 v4, v4, v5, vcc_lo
	s_delay_alu instid0(VALU_DEP_1) | instskip(SKIP_1) | instid1(VALU_DEP_2)
	v_subrev_nc_u32_e32 v5, s33, v4
	v_cmp_le_u32_e32 vcc_lo, s33, v4
	v_cndmask_b32_e32 v12, v4, v5, vcc_lo
	s_delay_alu instid0(VALU_DEP_1)
	v_dual_mov_b32 v4, v12 :: v_dual_mov_b32 v5, v13
.LBB201_370:                            ;   in Loop: Header=BB201_31 Depth=1
	s_delay_alu instid0(VALU_DEP_1) | instskip(NEXT) | instid1(VALU_DEP_2)
	v_sub_co_u32 v4, vcc_lo, s87, v4
	v_sub_co_ci_u32_e32 v5, vcc_lo, s27, v5, vcc_lo
	s_mov_b32 s7, 0
	s_mov_b32 s8, exec_lo
                                        ; implicit-def: $vgpr28
	s_delay_alu instid0(VALU_DEP_1)
	v_cmpx_gt_u64_e64 v[4:5], v[0:1]
	s_cbranch_execz .LBB201_379
; %bb.371:                              ;   in Loop: Header=BB201_31 Depth=1
	v_dual_mov_b32 v6, v24 :: v_dual_mov_b32 v7, v25
	v_dual_mov_b32 v9, v1 :: v_dual_mov_b32 v8, v0
	s_mov_b32 s9, 0
                                        ; implicit-def: $sgpr16
	s_set_inst_prefetch_distance 0x1
	s_branch .LBB201_373
	.p2align	6
.LBB201_372:                            ;   in Loop: Header=BB201_373 Depth=2
	s_or_b32 exec_lo, exec_lo, s7
	s_waitcnt vmcnt(0) lgkmcnt(0)
	s_barrier
	buffer_gl0_inv
	ds_load_b64 v[27:28], v13 offset:3072
	v_add_co_u32 v8, vcc_lo, v8, s33
	v_add_co_ci_u32_e32 v9, vcc_lo, 0, v9, vcc_lo
	s_waitcnt lgkmcnt(0)
	s_barrier
	buffer_gl0_inv
	v_cmp_ge_u64_e32 vcc_lo, v[8:9], v[4:5]
	v_cmp_neq_f32_e64 s7, 0, v27
	s_delay_alu instid0(VALU_DEP_1)
	s_or_b32 s17, vcc_lo, s7
	v_add_co_u32 v6, vcc_lo, v6, s34
	s_and_b32 s17, exec_lo, s17
	v_add_co_ci_u32_e32 v7, vcc_lo, s35, v7, vcc_lo
	s_or_b32 s9, s17, s9
	s_and_not1_b32 s16, s16, exec_lo
	s_and_b32 s7, s7, exec_lo
	s_delay_alu instid0(SALU_CYCLE_1)
	s_or_b32 s16, s16, s7
	s_and_not1_b32 exec_lo, exec_lo, s9
	s_cbranch_execz .LBB201_378
.LBB201_373:                            ;   Parent Loop BB201_31 Depth=1
                                        ; =>  This Inner Loop Header: Depth=2
	s_delay_alu instid0(VALU_DEP_1)
	v_cmp_gt_u64_e32 vcc_lo, s[36:37], v[8:9]
	v_mov_b32_e32 v27, 0
	s_and_saveexec_b32 s7, vcc_lo
	s_cbranch_execz .LBB201_375
; %bb.374:                              ;   in Loop: Header=BB201_373 Depth=2
	global_load_b32 v27, v[6:7], off
.LBB201_375:                            ;   in Loop: Header=BB201_373 Depth=2
	s_or_b32 exec_lo, exec_lo, s7
	s_and_saveexec_b32 s7, vcc_lo
	s_cbranch_execz .LBB201_372
; %bb.376:                              ;   in Loop: Header=BB201_373 Depth=2
	s_waitcnt vmcnt(0)
	v_cmp_lt_i32_e32 vcc_lo, -1, v27
	v_cndmask_b32_e64 v12, -1, 0x80000000, vcc_lo
	v_cmp_o_f32_e32 vcc_lo, v27, v27
	s_delay_alu instid0(VALU_DEP_2) | instskip(NEXT) | instid1(VALU_DEP_1)
	v_xor_b32_e32 v12, v12, v27
	v_cndmask_b32_e32 v12, -1, v12, vcc_lo
	s_delay_alu instid0(VALU_DEP_1) | instskip(NEXT) | instid1(VALU_DEP_1)
	v_and_b32_e32 v12, v12, v49
	v_cmp_eq_u32_e32 vcc_lo, v12, v50
	s_and_b32 exec_lo, exec_lo, vcc_lo
	s_cbranch_execz .LBB201_372
; %bb.377:                              ;   in Loop: Header=BB201_373 Depth=2
	ds_store_b64 v13, v[26:27] offset:3072
	s_branch .LBB201_372
.LBB201_378:                            ;   in Loop: Header=BB201_31 Depth=1
	s_set_inst_prefetch_distance 0x2
	s_or_b32 exec_lo, exec_lo, s9
	s_delay_alu instid0(SALU_CYCLE_1)
	s_and_b32 s7, s16, exec_lo
.LBB201_379:                            ;   in Loop: Header=BB201_31 Depth=1
	s_or_b32 exec_lo, exec_lo, s8
	s_mov_b32 s17, 0
	s_mov_b32 s16, -1
	s_mov_b32 s70, 0
.LBB201_380:                            ;   in Loop: Header=BB201_31 Depth=1
	s_or_not1_b32 s7, s7, exec_lo
.LBB201_381:                            ;   in Loop: Header=BB201_31 Depth=1
	s_or_b32 exec_lo, exec_lo, s46
	s_mov_b32 s26, 0
                                        ; implicit-def: $vgpr8
	s_and_saveexec_b32 s71, s7
	s_cbranch_execz .LBB201_494
; %bb.382:                              ;   in Loop: Header=BB201_31 Depth=1
	v_mov_b32_e32 v4, 1
	v_dual_mov_b32 v5, 0 :: v_dual_mov_b32 v8, 1
	s_xor_b32 s8, s58, -1
	s_delay_alu instid0(SALU_CYCLE_1)
	s_and_saveexec_b32 s7, s8
	s_cbranch_execz .LBB201_392
; %bb.383:                              ;   in Loop: Header=BB201_31 Depth=1
	s_mov_b32 s9, exec_lo
                                        ; implicit-def: $sgpr26
                                        ; implicit-def: $sgpr8
	v_cmpx_ge_u64_e64 s[14:15], v[2:3]
	s_xor_b32 s9, exec_lo, s9
	s_cbranch_execz .LBB201_389
; %bb.384:                              ;   in Loop: Header=BB201_31 Depth=1
	ds_load_b64 v[4:5], v13 offset:5120
	s_waitcnt lgkmcnt(0)
	v_cmp_ne_u64_e32 vcc_lo, 0, v[4:5]
	s_cbranch_vccnz .LBB201_388
; %bb.385:                              ;   in Loop: Header=BB201_31 Depth=1
	s_and_saveexec_b32 s8, s5
	s_cbranch_execz .LBB201_387
; %bb.386:                              ;   in Loop: Header=BB201_31 Depth=1
	v_dual_mov_b32 v4, s14 :: v_dual_mov_b32 v5, s15
	ds_store_b64 v13, v[4:5] offset:5128
.LBB201_387:                            ;   in Loop: Header=BB201_31 Depth=1
	s_or_b32 exec_lo, exec_lo, s8
	s_waitcnt lgkmcnt(0)
	s_barrier
	buffer_gl0_inv
.LBB201_388:                            ;   in Loop: Header=BB201_31 Depth=1
	s_lshl_b32 s8, 2, s22
	v_or_b32_e32 v49, s20, v49
	v_and_or_b32 v50, v50, s21, s8
	s_mov_b32 s8, 0
	s_mov_b32 s26, 5
.LBB201_389:                            ;   in Loop: Header=BB201_31 Depth=1
	s_or_saveexec_b32 s9, s9
	v_mov_b32_e32 v8, s26
	s_xor_b32 exec_lo, exec_lo, s9
; %bb.390:                              ;   in Loop: Header=BB201_31 Depth=1
	v_sub_co_u32 v2, vcc_lo, v2, s14
	v_subrev_co_ci_u32_e32 v3, vcc_lo, s15, v3, vcc_lo
	v_mov_b32_e32 v8, 0
	s_or_b32 s8, s8, exec_lo
; %bb.391:                              ;   in Loop: Header=BB201_31 Depth=1
	s_or_b32 exec_lo, exec_lo, s9
	s_delay_alu instid0(VALU_DEP_2)
	v_dual_mov_b32 v5, v3 :: v_dual_mov_b32 v4, v2
	s_and_b32 s26, s8, exec_lo
.LBB201_392:                            ;   in Loop: Header=BB201_31 Depth=1
	s_or_b32 exec_lo, exec_lo, s7
	s_mov_b32 s7, -1
                                        ; implicit-def: $sgpr8
                                        ; implicit-def: $sgpr9
                                        ; implicit-def: $sgpr14
	s_and_saveexec_b32 s72, s26
	s_cbranch_execz .LBB201_493
; %bb.393:                              ;   in Loop: Header=BB201_31 Depth=1
	v_cmp_eq_u64_e32 vcc_lo, 1, v[4:5]
	s_cmp_eq_u64 s[12:13], 1
                                        ; implicit-def: $sgpr14
                                        ; implicit-def: $sgpr15
                                        ; implicit-def: $sgpr73
	s_cselect_b32 s7, -1, 0
	s_delay_alu instid0(SALU_CYCLE_1)
	s_and_b32 s58, s7, vcc_lo
	s_mov_b32 s7, -1
	s_and_saveexec_b32 s46, s58
	s_cbranch_execz .LBB201_427
; %bb.394:                              ;   in Loop: Header=BB201_31 Depth=1
	ds_load_b64 v[2:3], v13 offset:5120
	s_waitcnt lgkmcnt(0)
	s_barrier
	buffer_gl0_inv
	v_readfirstlane_b32 s8, v2
	v_readfirstlane_b32 s9, v3
	s_and_saveexec_b32 s7, s6
	s_cbranch_execz .LBB201_396
; %bb.395:                              ;   in Loop: Header=BB201_31 Depth=1
	ds_store_b32 v46, v13
.LBB201_396:                            ;   in Loop: Header=BB201_31 Depth=1
	s_or_b32 exec_lo, exec_lo, s7
	s_lshl_b32 s7, 1, s22
	v_or_b32_e32 v49, s20, v49
	v_and_or_b32 v50, v50, s21, s7
	s_cmp_eq_u64 s[8:9], 0
	s_waitcnt lgkmcnt(0)
	s_barrier
	buffer_gl0_inv
	s_cbranch_scc1 .LBB201_410
; %bb.397:                              ;   in Loop: Header=BB201_31 Depth=1
	s_add_u32 s26, s85, s8
	s_addc_u32 s15, s86, s9
	s_mov_b32 s14, s61
	s_delay_alu instid0(SALU_CYCLE_1)
	s_cmp_lg_u64 s[14:15], 0
	s_cbranch_scc0 .LBB201_445
; %bb.398:                              ;   in Loop: Header=BB201_31 Depth=1
	v_cvt_f32_u32_e32 v2, s33
	s_sub_u32 s47, 0, s33
	s_subb_u32 s59, 0, 0
	s_delay_alu instid0(VALU_DEP_1) | instskip(NEXT) | instid1(VALU_DEP_1)
	v_fmac_f32_e64 v2, 0, 0x4f800000
	v_rcp_f32_e32 v2, v2
	s_waitcnt_depctr 0xfff
	v_mul_f32_e32 v2, 0x5f7ffffc, v2
	s_delay_alu instid0(VALU_DEP_1) | instskip(NEXT) | instid1(VALU_DEP_1)
	v_mul_f32_e32 v3, 0x2f800000, v2
	v_trunc_f32_e32 v3, v3
	s_delay_alu instid0(VALU_DEP_1) | instskip(SKIP_1) | instid1(VALU_DEP_2)
	v_fmac_f32_e32 v2, 0xcf800000, v3
	v_cvt_u32_f32_e32 v3, v3
	v_cvt_u32_f32_e32 v2, v2
	s_delay_alu instid0(VALU_DEP_2) | instskip(NEXT) | instid1(VALU_DEP_2)
	v_readfirstlane_b32 s7, v3
	v_readfirstlane_b32 s14, v2
	s_delay_alu instid0(VALU_DEP_2) | instskip(NEXT) | instid1(VALU_DEP_1)
	s_mul_i32 s73, s47, s7
	s_mul_hi_u32 s75, s47, s14
	s_mul_i32 s74, s59, s14
	s_add_i32 s73, s75, s73
	s_mul_i32 s76, s47, s14
	s_add_i32 s73, s73, s74
	s_mul_hi_u32 s75, s14, s76
	s_mul_hi_u32 s77, s7, s76
	s_mul_i32 s74, s7, s76
	s_mul_hi_u32 s76, s14, s73
	s_mul_i32 s14, s14, s73
	s_mul_hi_u32 s78, s7, s73
	s_add_u32 s14, s75, s14
	s_addc_u32 s75, 0, s76
	s_add_u32 s14, s14, s74
	s_mul_i32 s73, s7, s73
	s_addc_u32 s14, s75, s77
	s_addc_u32 s74, s78, 0
	s_add_u32 s14, s14, s73
	s_addc_u32 s73, 0, s74
	v_add_co_u32 v2, s14, v2, s14
	s_delay_alu instid0(VALU_DEP_1) | instskip(SKIP_1) | instid1(VALU_DEP_1)
	s_cmp_lg_u32 s14, 0
	s_addc_u32 s7, s7, s73
	v_readfirstlane_b32 s14, v2
	s_mul_i32 s73, s47, s7
	s_delay_alu instid0(VALU_DEP_1)
	s_mul_hi_u32 s74, s47, s14
	s_mul_i32 s59, s59, s14
	s_add_i32 s73, s74, s73
	s_mul_i32 s47, s47, s14
	s_add_i32 s73, s73, s59
	s_mul_hi_u32 s74, s7, s47
	s_mul_i32 s75, s7, s47
	s_mul_hi_u32 s47, s14, s47
	s_mul_hi_u32 s76, s14, s73
	s_mul_i32 s14, s14, s73
	s_mul_hi_u32 s59, s7, s73
	s_add_u32 s14, s47, s14
	s_addc_u32 s47, 0, s76
	s_add_u32 s14, s14, s75
	s_mul_i32 s73, s7, s73
	s_addc_u32 s14, s47, s74
	s_addc_u32 s47, s59, 0
	s_add_u32 s14, s14, s73
	s_addc_u32 s47, 0, s47
	v_add_co_u32 v2, s14, v2, s14
	s_delay_alu instid0(VALU_DEP_1) | instskip(SKIP_1) | instid1(VALU_DEP_1)
	s_cmp_lg_u32 s14, 0
	s_addc_u32 s7, s7, s47
	v_readfirstlane_b32 s14, v2
	s_mul_i32 s59, s26, s7
	s_mul_hi_u32 s47, s26, s7
	s_mul_hi_u32 s73, s15, s7
	s_mul_i32 s7, s15, s7
	s_mul_hi_u32 s74, s26, s14
	s_mul_hi_u32 s75, s15, s14
	s_mul_i32 s14, s15, s14
	s_add_u32 s59, s74, s59
	s_addc_u32 s47, 0, s47
	s_add_u32 s14, s59, s14
	s_addc_u32 s14, s47, s75
	s_addc_u32 s47, s73, 0
	s_add_u32 s7, s14, s7
	s_addc_u32 s14, 0, s47
	s_mul_hi_u32 s47, s33, s7
	s_mul_i32 s7, s33, s7
	s_mul_i32 s14, s33, s14
	v_sub_co_u32 v2, s7, s26, s7
	s_add_i32 s47, s47, s14
	s_cmp_lg_u32 s7, 0
	s_delay_alu instid0(VALU_DEP_1) | instskip(SKIP_3) | instid1(VALU_DEP_2)
	v_sub_co_u32 v3, s7, v2, s33
	s_subb_u32 s14, s15, s47
	s_cmp_lg_u32 s7, 0
	v_cmp_le_u32_e32 vcc_lo, s33, v2
	v_cmp_le_u32_e64 s7, s33, v3
	v_sub_co_u32 v6, s47, v3, s33
	s_subb_u32 s59, s14, 0
	s_cmp_lg_u32 s47, 0
	s_delay_alu instid0(VALU_DEP_2)
	v_cndmask_b32_e64 v7, 0, -1, s7
	s_subb_u32 s47, s59, 0
	s_cmp_eq_u32 s59, 0
	v_mov_b32_e32 v9, s47
	v_cndmask_b32_e64 v8, 0, -1, vcc_lo
	s_cselect_b32 vcc_lo, -1, 0
	s_cmp_eq_u32 s14, 0
	v_cndmask_b32_e32 v7, -1, v7, vcc_lo
	s_cselect_b32 vcc_lo, -1, 0
	v_cndmask_b32_e32 v8, -1, v8, vcc_lo
	s_delay_alu instid0(VALU_DEP_2) | instskip(NEXT) | instid1(VALU_DEP_2)
	v_cmp_ne_u32_e32 vcc_lo, 0, v7
	v_cmp_ne_u32_e64 s7, 0, v8
	v_cndmask_b32_e32 v7, s59, v9, vcc_lo
	v_cndmask_b32_e32 v6, v3, v6, vcc_lo
	s_delay_alu instid0(VALU_DEP_2) | instskip(NEXT) | instid1(VALU_DEP_2)
	v_cndmask_b32_e64 v3, s14, v7, s7
	v_cndmask_b32_e64 v2, v2, v6, s7
	s_cbranch_execnz .LBB201_400
.LBB201_399:                            ;   in Loop: Header=BB201_31 Depth=1
	v_cvt_f32_u32_e32 v2, s33
	s_sub_i32 s7, 0, s33
	s_delay_alu instid0(VALU_DEP_1) | instskip(SKIP_2) | instid1(VALU_DEP_1)
	v_rcp_iflag_f32_e32 v2, v2
	s_waitcnt_depctr 0xfff
	v_mul_f32_e32 v2, 0x4f7ffffe, v2
	v_cvt_u32_f32_e32 v2, v2
	s_delay_alu instid0(VALU_DEP_1) | instskip(NEXT) | instid1(VALU_DEP_1)
	v_mul_lo_u32 v3, s7, v2
	v_mul_hi_u32 v3, v2, v3
	s_delay_alu instid0(VALU_DEP_1) | instskip(NEXT) | instid1(VALU_DEP_1)
	v_add_nc_u32_e32 v2, v2, v3
	v_mul_hi_u32 v2, s26, v2
	s_delay_alu instid0(VALU_DEP_1) | instskip(NEXT) | instid1(VALU_DEP_1)
	v_mul_lo_u32 v2, v2, s33
	v_sub_nc_u32_e32 v2, s26, v2
	s_delay_alu instid0(VALU_DEP_1) | instskip(SKIP_1) | instid1(VALU_DEP_2)
	v_subrev_nc_u32_e32 v3, s33, v2
	v_cmp_le_u32_e32 vcc_lo, s33, v2
	v_cndmask_b32_e32 v2, v2, v3, vcc_lo
	s_delay_alu instid0(VALU_DEP_1) | instskip(SKIP_1) | instid1(VALU_DEP_2)
	v_subrev_nc_u32_e32 v3, s33, v2
	v_cmp_le_u32_e32 vcc_lo, s33, v2
	v_cndmask_b32_e32 v12, v2, v3, vcc_lo
	s_delay_alu instid0(VALU_DEP_1)
	v_dual_mov_b32 v2, v12 :: v_dual_mov_b32 v3, v13
.LBB201_400:                            ;   in Loop: Header=BB201_31 Depth=1
	s_delay_alu instid0(VALU_DEP_1) | instskip(NEXT) | instid1(VALU_DEP_2)
	v_sub_co_u32 v2, vcc_lo, s26, v2
	v_sub_co_ci_u32_e32 v3, vcc_lo, s15, v3, vcc_lo
	s_mov_b32 s7, 0
	s_mov_b32 s14, exec_lo
                                        ; implicit-def: $vgpr28
	s_delay_alu instid0(VALU_DEP_1)
	v_cmpx_gt_u64_e64 v[2:3], v[0:1]
	s_cbranch_execz .LBB201_412
; %bb.401:                              ;   in Loop: Header=BB201_31 Depth=1
	v_dual_mov_b32 v8, v14 :: v_dual_mov_b32 v7, v1
	v_mov_b32_e32 v6, v0
	s_mov_b32 s15, 0
                                        ; implicit-def: $sgpr26
	s_set_inst_prefetch_distance 0x1
	s_branch .LBB201_403
	.p2align	6
.LBB201_402:                            ;   in Loop: Header=BB201_403 Depth=2
	s_or_b32 exec_lo, exec_lo, s7
	s_waitcnt lgkmcnt(0)
	s_barrier
	buffer_gl0_inv
	ds_load_b64 v[27:28], v13 offset:3072
	v_add_co_u32 v6, vcc_lo, v6, s33
	v_add_co_ci_u32_e32 v7, vcc_lo, 0, v7, vcc_lo
	v_add_nc_u32_e32 v8, s93, v8
	s_waitcnt lgkmcnt(0)
	s_barrier
	s_delay_alu instid0(VALU_DEP_2) | instskip(SKIP_2) | instid1(VALU_DEP_1)
	v_cmp_ge_u64_e32 vcc_lo, v[6:7], v[2:3]
	buffer_gl0_inv
	v_cmp_neq_f32_e64 s7, 0, v27
	s_or_b32 s47, vcc_lo, s7
	s_delay_alu instid0(SALU_CYCLE_1) | instskip(NEXT) | instid1(SALU_CYCLE_1)
	s_and_b32 s47, exec_lo, s47
	s_or_b32 s15, s47, s15
	s_and_not1_b32 s26, s26, exec_lo
	s_and_b32 s7, s7, exec_lo
	s_delay_alu instid0(SALU_CYCLE_1)
	s_or_b32 s26, s26, s7
	s_and_not1_b32 exec_lo, exec_lo, s15
	s_cbranch_execz .LBB201_411
.LBB201_403:                            ;   Parent Loop BB201_31 Depth=1
                                        ; =>  This Inner Loop Header: Depth=2
	s_delay_alu instid0(VALU_DEP_1)
	v_cmp_gt_u64_e32 vcc_lo, s[8:9], v[6:7]
	v_mov_b32_e32 v27, 0
	s_and_saveexec_b32 s7, vcc_lo
	s_cbranch_execz .LBB201_405
; %bb.404:                              ;   in Loop: Header=BB201_403 Depth=2
	ds_load_b32 v27, v8
.LBB201_405:                            ;   in Loop: Header=BB201_403 Depth=2
	s_or_b32 exec_lo, exec_lo, s7
	s_and_saveexec_b32 s7, vcc_lo
	s_cbranch_execz .LBB201_402
; %bb.406:                              ;   in Loop: Header=BB201_403 Depth=2
	s_waitcnt lgkmcnt(0)
	v_cmp_lt_i32_e32 vcc_lo, -1, v27
	v_cndmask_b32_e64 v9, -1, 0x80000000, vcc_lo
	v_cmp_o_f32_e32 vcc_lo, v27, v27
	s_delay_alu instid0(VALU_DEP_2) | instskip(NEXT) | instid1(VALU_DEP_1)
	v_xor_b32_e32 v9, v9, v27
	v_cndmask_b32_e32 v9, -1, v9, vcc_lo
	s_delay_alu instid0(VALU_DEP_1) | instskip(NEXT) | instid1(VALU_DEP_1)
	v_and_b32_e32 v9, v9, v49
	v_cmp_eq_u32_e32 vcc_lo, v9, v50
	s_and_b32 exec_lo, exec_lo, vcc_lo
	s_cbranch_execz .LBB201_402
; %bb.407:                              ;   in Loop: Header=BB201_403 Depth=2
	ds_store_b64 v13, v[26:27] offset:3072
	s_branch .LBB201_402
.LBB201_408:                            ;   in Loop: Header=BB201_31 Depth=1
                                        ; implicit-def: $vgpr4_vgpr5
	s_branch .LBB201_353
.LBB201_409:                            ;   in Loop: Header=BB201_31 Depth=1
                                        ; implicit-def: $vgpr4_vgpr5
	s_branch .LBB201_369
.LBB201_410:                            ;   in Loop: Header=BB201_31 Depth=1
	s_mov_b32 s14, -1
	s_mov_b32 s7, 0
                                        ; implicit-def: $sgpr15
                                        ; implicit-def: $vgpr28
	s_mov_b32 s73, s14
	s_cbranch_execnz .LBB201_413
	s_branch .LBB201_426
.LBB201_411:                            ;   in Loop: Header=BB201_31 Depth=1
	s_set_inst_prefetch_distance 0x2
	s_or_b32 exec_lo, exec_lo, s15
	s_delay_alu instid0(SALU_CYCLE_1)
	s_and_b32 s7, s26, exec_lo
.LBB201_412:                            ;   in Loop: Header=BB201_31 Depth=1
	s_or_b32 exec_lo, exec_lo, s14
	s_mov_b32 s14, 0
	s_mov_b32 s15, -1
	s_mov_b32 s73, s14
	s_branch .LBB201_426
.LBB201_413:                            ;   in Loop: Header=BB201_31 Depth=1
	s_mov_b32 s26, s61
	s_delay_alu instid0(SALU_CYCLE_1)
	s_cmp_lg_u64 s[26:27], 0
	s_cbranch_scc0 .LBB201_446
; %bb.414:                              ;   in Loop: Header=BB201_31 Depth=1
	v_cvt_f32_u32_e32 v2, s33
	s_sub_u32 s9, 0, s33
	s_subb_u32 s14, 0, 0
	s_delay_alu instid0(VALU_DEP_1) | instskip(NEXT) | instid1(VALU_DEP_1)
	v_fmac_f32_e64 v2, 0, 0x4f800000
	v_rcp_f32_e32 v2, v2
	s_waitcnt_depctr 0xfff
	v_mul_f32_e32 v2, 0x5f7ffffc, v2
	s_delay_alu instid0(VALU_DEP_1) | instskip(NEXT) | instid1(VALU_DEP_1)
	v_mul_f32_e32 v3, 0x2f800000, v2
	v_trunc_f32_e32 v3, v3
	s_delay_alu instid0(VALU_DEP_1) | instskip(SKIP_1) | instid1(VALU_DEP_2)
	v_fmac_f32_e32 v2, 0xcf800000, v3
	v_cvt_u32_f32_e32 v3, v3
	v_cvt_u32_f32_e32 v2, v2
	s_delay_alu instid0(VALU_DEP_2) | instskip(NEXT) | instid1(VALU_DEP_2)
	v_readfirstlane_b32 s7, v3
	v_readfirstlane_b32 s8, v2
	s_delay_alu instid0(VALU_DEP_2) | instskip(NEXT) | instid1(VALU_DEP_1)
	s_mul_i32 s15, s9, s7
	s_mul_hi_u32 s47, s9, s8
	s_mul_i32 s26, s14, s8
	s_add_i32 s15, s47, s15
	s_mul_i32 s59, s9, s8
	s_add_i32 s15, s15, s26
	s_mul_hi_u32 s47, s8, s59
	s_mul_hi_u32 s73, s7, s59
	s_mul_i32 s26, s7, s59
	s_mul_hi_u32 s59, s8, s15
	s_mul_i32 s8, s8, s15
	s_mul_hi_u32 s74, s7, s15
	s_add_u32 s8, s47, s8
	s_addc_u32 s47, 0, s59
	s_add_u32 s8, s8, s26
	s_mul_i32 s15, s7, s15
	s_addc_u32 s8, s47, s73
	s_addc_u32 s26, s74, 0
	s_add_u32 s8, s8, s15
	s_addc_u32 s15, 0, s26
	v_add_co_u32 v2, s8, v2, s8
	s_delay_alu instid0(VALU_DEP_1) | instskip(SKIP_1) | instid1(VALU_DEP_1)
	s_cmp_lg_u32 s8, 0
	s_addc_u32 s7, s7, s15
	v_readfirstlane_b32 s8, v2
	s_mul_i32 s15, s9, s7
	s_delay_alu instid0(VALU_DEP_1)
	s_mul_hi_u32 s26, s9, s8
	s_mul_i32 s14, s14, s8
	s_add_i32 s15, s26, s15
	s_mul_i32 s9, s9, s8
	s_add_i32 s15, s15, s14
	s_mul_hi_u32 s26, s7, s9
	s_mul_i32 s47, s7, s9
	s_mul_hi_u32 s9, s8, s9
	s_mul_hi_u32 s59, s8, s15
	s_mul_i32 s8, s8, s15
	s_mul_hi_u32 s14, s7, s15
	s_add_u32 s8, s9, s8
	s_addc_u32 s9, 0, s59
	s_add_u32 s8, s8, s47
	s_mul_i32 s15, s7, s15
	s_addc_u32 s8, s9, s26
	s_addc_u32 s9, s14, 0
	s_add_u32 s8, s8, s15
	s_addc_u32 s9, 0, s9
	v_add_co_u32 v2, s8, v2, s8
	s_delay_alu instid0(VALU_DEP_1) | instskip(SKIP_1) | instid1(VALU_DEP_1)
	s_cmp_lg_u32 s8, 0
	s_addc_u32 s7, s7, s9
	v_readfirstlane_b32 s8, v2
	s_mul_i32 s14, s87, s7
	s_mul_hi_u32 s9, s87, s7
	s_mul_hi_u32 s15, s27, s7
	s_mul_i32 s7, s27, s7
	s_mul_hi_u32 s26, s87, s8
	s_mul_hi_u32 s47, s27, s8
	s_mul_i32 s8, s27, s8
	s_add_u32 s14, s26, s14
	s_addc_u32 s9, 0, s9
	s_add_u32 s8, s14, s8
	s_addc_u32 s8, s9, s47
	s_addc_u32 s9, s15, 0
	s_add_u32 s7, s8, s7
	s_addc_u32 s8, 0, s9
	s_mul_hi_u32 s9, s33, s7
	s_mul_i32 s7, s33, s7
	s_mul_i32 s8, s33, s8
	v_sub_co_u32 v2, s7, s87, s7
	s_add_i32 s9, s9, s8
	s_cmp_lg_u32 s7, 0
	s_delay_alu instid0(VALU_DEP_1) | instskip(SKIP_3) | instid1(VALU_DEP_2)
	v_sub_co_u32 v3, s7, v2, s33
	s_subb_u32 s8, s27, s9
	s_cmp_lg_u32 s7, 0
	v_cmp_le_u32_e32 vcc_lo, s33, v2
	v_cmp_le_u32_e64 s7, s33, v3
	v_sub_co_u32 v6, s9, v3, s33
	s_subb_u32 s14, s8, 0
	s_cmp_lg_u32 s9, 0
	s_delay_alu instid0(VALU_DEP_2)
	v_cndmask_b32_e64 v7, 0, -1, s7
	s_subb_u32 s9, s14, 0
	s_cmp_eq_u32 s14, 0
	v_mov_b32_e32 v9, s9
	v_cndmask_b32_e64 v8, 0, -1, vcc_lo
	s_cselect_b32 vcc_lo, -1, 0
	s_cmp_eq_u32 s8, 0
	v_cndmask_b32_e32 v7, -1, v7, vcc_lo
	s_cselect_b32 vcc_lo, -1, 0
	v_cndmask_b32_e32 v8, -1, v8, vcc_lo
	s_delay_alu instid0(VALU_DEP_2) | instskip(NEXT) | instid1(VALU_DEP_2)
	v_cmp_ne_u32_e32 vcc_lo, 0, v7
	v_cmp_ne_u32_e64 s7, 0, v8
	v_cndmask_b32_e32 v7, s14, v9, vcc_lo
	v_cndmask_b32_e32 v6, v3, v6, vcc_lo
	s_delay_alu instid0(VALU_DEP_2) | instskip(NEXT) | instid1(VALU_DEP_2)
	v_cndmask_b32_e64 v3, s8, v7, s7
	v_cndmask_b32_e64 v2, v2, v6, s7
	s_cbranch_execnz .LBB201_416
.LBB201_415:                            ;   in Loop: Header=BB201_31 Depth=1
	v_cvt_f32_u32_e32 v2, s33
	s_sub_i32 s7, 0, s33
	s_delay_alu instid0(VALU_DEP_1) | instskip(SKIP_2) | instid1(VALU_DEP_1)
	v_rcp_iflag_f32_e32 v2, v2
	s_waitcnt_depctr 0xfff
	v_mul_f32_e32 v2, 0x4f7ffffe, v2
	v_cvt_u32_f32_e32 v2, v2
	s_delay_alu instid0(VALU_DEP_1) | instskip(NEXT) | instid1(VALU_DEP_1)
	v_mul_lo_u32 v3, s7, v2
	v_mul_hi_u32 v3, v2, v3
	s_delay_alu instid0(VALU_DEP_1) | instskip(NEXT) | instid1(VALU_DEP_1)
	v_add_nc_u32_e32 v2, v2, v3
	v_mul_hi_u32 v2, s87, v2
	s_delay_alu instid0(VALU_DEP_1) | instskip(NEXT) | instid1(VALU_DEP_1)
	v_mul_lo_u32 v2, v2, s33
	v_sub_nc_u32_e32 v2, s87, v2
	s_delay_alu instid0(VALU_DEP_1) | instskip(SKIP_1) | instid1(VALU_DEP_2)
	v_subrev_nc_u32_e32 v3, s33, v2
	v_cmp_le_u32_e32 vcc_lo, s33, v2
	v_cndmask_b32_e32 v2, v2, v3, vcc_lo
	s_delay_alu instid0(VALU_DEP_1) | instskip(SKIP_1) | instid1(VALU_DEP_2)
	v_subrev_nc_u32_e32 v3, s33, v2
	v_cmp_le_u32_e32 vcc_lo, s33, v2
	v_cndmask_b32_e32 v12, v2, v3, vcc_lo
	s_delay_alu instid0(VALU_DEP_1)
	v_dual_mov_b32 v2, v12 :: v_dual_mov_b32 v3, v13
.LBB201_416:                            ;   in Loop: Header=BB201_31 Depth=1
	s_delay_alu instid0(VALU_DEP_1) | instskip(NEXT) | instid1(VALU_DEP_2)
	v_sub_co_u32 v2, vcc_lo, s87, v2
	v_sub_co_ci_u32_e32 v3, vcc_lo, s27, v3, vcc_lo
	s_mov_b32 s7, 0
	s_mov_b32 s8, exec_lo
                                        ; implicit-def: $vgpr28
	s_delay_alu instid0(VALU_DEP_1)
	v_cmpx_gt_u64_e64 v[2:3], v[0:1]
	s_cbranch_execz .LBB201_425
; %bb.417:                              ;   in Loop: Header=BB201_31 Depth=1
	v_dual_mov_b32 v6, v24 :: v_dual_mov_b32 v7, v25
	v_dual_mov_b32 v9, v1 :: v_dual_mov_b32 v8, v0
	s_mov_b32 s9, 0
                                        ; implicit-def: $sgpr14
	s_set_inst_prefetch_distance 0x1
	s_branch .LBB201_419
	.p2align	6
.LBB201_418:                            ;   in Loop: Header=BB201_419 Depth=2
	s_or_b32 exec_lo, exec_lo, s7
	s_waitcnt vmcnt(0) lgkmcnt(0)
	s_barrier
	buffer_gl0_inv
	ds_load_b64 v[27:28], v13 offset:3072
	v_add_co_u32 v8, vcc_lo, v8, s33
	v_add_co_ci_u32_e32 v9, vcc_lo, 0, v9, vcc_lo
	s_waitcnt lgkmcnt(0)
	s_barrier
	buffer_gl0_inv
	v_cmp_ge_u64_e32 vcc_lo, v[8:9], v[2:3]
	v_cmp_neq_f32_e64 s7, 0, v27
	s_delay_alu instid0(VALU_DEP_1)
	s_or_b32 s15, vcc_lo, s7
	v_add_co_u32 v6, vcc_lo, v6, s34
	s_and_b32 s15, exec_lo, s15
	v_add_co_ci_u32_e32 v7, vcc_lo, s35, v7, vcc_lo
	s_or_b32 s9, s15, s9
	s_and_not1_b32 s14, s14, exec_lo
	s_and_b32 s7, s7, exec_lo
	s_delay_alu instid0(SALU_CYCLE_1)
	s_or_b32 s14, s14, s7
	s_and_not1_b32 exec_lo, exec_lo, s9
	s_cbranch_execz .LBB201_424
.LBB201_419:                            ;   Parent Loop BB201_31 Depth=1
                                        ; =>  This Inner Loop Header: Depth=2
	s_delay_alu instid0(VALU_DEP_1)
	v_cmp_gt_u64_e32 vcc_lo, s[36:37], v[8:9]
	v_mov_b32_e32 v27, 0
	s_and_saveexec_b32 s7, vcc_lo
	s_cbranch_execz .LBB201_421
; %bb.420:                              ;   in Loop: Header=BB201_419 Depth=2
	global_load_b32 v27, v[6:7], off
.LBB201_421:                            ;   in Loop: Header=BB201_419 Depth=2
	s_or_b32 exec_lo, exec_lo, s7
	s_and_saveexec_b32 s7, vcc_lo
	s_cbranch_execz .LBB201_418
; %bb.422:                              ;   in Loop: Header=BB201_419 Depth=2
	s_waitcnt vmcnt(0)
	v_cmp_lt_i32_e32 vcc_lo, -1, v27
	v_cndmask_b32_e64 v12, -1, 0x80000000, vcc_lo
	v_cmp_o_f32_e32 vcc_lo, v27, v27
	s_delay_alu instid0(VALU_DEP_2) | instskip(NEXT) | instid1(VALU_DEP_1)
	v_xor_b32_e32 v12, v12, v27
	v_cndmask_b32_e32 v12, -1, v12, vcc_lo
	s_delay_alu instid0(VALU_DEP_1) | instskip(NEXT) | instid1(VALU_DEP_1)
	v_and_b32_e32 v12, v12, v49
	v_cmp_eq_u32_e32 vcc_lo, v12, v50
	s_and_b32 exec_lo, exec_lo, vcc_lo
	s_cbranch_execz .LBB201_418
; %bb.423:                              ;   in Loop: Header=BB201_419 Depth=2
	ds_store_b64 v13, v[26:27] offset:3072
	s_branch .LBB201_418
.LBB201_424:                            ;   in Loop: Header=BB201_31 Depth=1
	s_set_inst_prefetch_distance 0x2
	s_or_b32 exec_lo, exec_lo, s9
	s_delay_alu instid0(SALU_CYCLE_1)
	s_and_b32 s7, s14, exec_lo
.LBB201_425:                            ;   in Loop: Header=BB201_31 Depth=1
	s_or_b32 exec_lo, exec_lo, s8
	s_mov_b32 s15, 0
	s_mov_b32 s14, -1
	s_mov_b32 s73, 0
.LBB201_426:                            ;   in Loop: Header=BB201_31 Depth=1
	s_or_not1_b32 s7, s7, exec_lo
.LBB201_427:                            ;   in Loop: Header=BB201_31 Depth=1
	s_or_b32 exec_lo, exec_lo, s46
	s_mov_b32 s26, 0
                                        ; implicit-def: $vgpr8
	s_and_saveexec_b32 s74, s7
	s_cbranch_execz .LBB201_492
; %bb.428:                              ;   in Loop: Header=BB201_31 Depth=1
	v_mov_b32_e32 v2, 1
	v_dual_mov_b32 v3, 0 :: v_dual_mov_b32 v8, 1
	s_xor_b32 s8, s58, -1
	s_delay_alu instid0(SALU_CYCLE_1)
	s_and_saveexec_b32 s7, s8
	s_cbranch_execz .LBB201_438
; %bb.429:                              ;   in Loop: Header=BB201_31 Depth=1
	s_mov_b32 s9, exec_lo
                                        ; implicit-def: $sgpr26
                                        ; implicit-def: $sgpr8
	v_cmpx_ge_u64_e64 s[12:13], v[4:5]
	s_xor_b32 s9, exec_lo, s9
	s_cbranch_execz .LBB201_435
; %bb.430:                              ;   in Loop: Header=BB201_31 Depth=1
	ds_load_b64 v[2:3], v13 offset:5120
	s_waitcnt lgkmcnt(0)
	v_cmp_ne_u64_e32 vcc_lo, 0, v[2:3]
	s_cbranch_vccnz .LBB201_434
; %bb.431:                              ;   in Loop: Header=BB201_31 Depth=1
	s_and_saveexec_b32 s8, s5
	s_cbranch_execz .LBB201_433
; %bb.432:                              ;   in Loop: Header=BB201_31 Depth=1
	v_dual_mov_b32 v2, s12 :: v_dual_mov_b32 v3, s13
	ds_store_b64 v13, v[2:3] offset:5128
.LBB201_433:                            ;   in Loop: Header=BB201_31 Depth=1
	s_or_b32 exec_lo, exec_lo, s8
	s_waitcnt lgkmcnt(0)
	s_barrier
	buffer_gl0_inv
.LBB201_434:                            ;   in Loop: Header=BB201_31 Depth=1
	s_lshl_b32 s8, 1, s22
	v_or_b32_e32 v49, s20, v49
	v_and_or_b32 v50, v50, s21, s8
	s_mov_b32 s8, 0
	s_mov_b32 s26, 5
.LBB201_435:                            ;   in Loop: Header=BB201_31 Depth=1
	s_or_saveexec_b32 s9, s9
	v_mov_b32_e32 v8, s26
	s_xor_b32 exec_lo, exec_lo, s9
; %bb.436:                              ;   in Loop: Header=BB201_31 Depth=1
	v_sub_co_u32 v4, vcc_lo, v4, s12
	v_subrev_co_ci_u32_e32 v5, vcc_lo, s13, v5, vcc_lo
	v_mov_b32_e32 v8, 0
	s_or_b32 s8, s8, exec_lo
; %bb.437:                              ;   in Loop: Header=BB201_31 Depth=1
	s_or_b32 exec_lo, exec_lo, s9
	s_delay_alu instid0(VALU_DEP_2)
	v_dual_mov_b32 v2, v4 :: v_dual_mov_b32 v3, v5
	s_and_b32 s26, s8, exec_lo
.LBB201_438:                            ;   in Loop: Header=BB201_31 Depth=1
	s_or_b32 exec_lo, exec_lo, s7
	s_mov_b32 s12, -1
                                        ; implicit-def: $sgpr7
                                        ; implicit-def: $sgpr8
                                        ; implicit-def: $sgpr9
	s_and_saveexec_b32 s22, s26
	s_cbranch_execz .LBB201_491
; %bb.439:                              ;   in Loop: Header=BB201_31 Depth=1
	v_cmp_eq_u64_e32 vcc_lo, 1, v[2:3]
	s_cmp_eq_u64 s[10:11], 1
	s_mov_b32 s13, -1
	s_cselect_b32 s7, -1, 0
                                        ; implicit-def: $sgpr8
                                        ; implicit-def: $sgpr9
	s_delay_alu instid0(SALU_CYCLE_1) | instskip(NEXT) | instid1(SALU_CYCLE_1)
	s_and_b32 s58, s7, vcc_lo
                                        ; implicit-def: $sgpr7
	s_and_saveexec_b32 s46, s58
	s_cbranch_execz .LBB201_478
; %bb.440:                              ;   in Loop: Header=BB201_31 Depth=1
	ds_load_b64 v[4:5], v13 offset:5120
	s_waitcnt lgkmcnt(0)
	s_barrier
	buffer_gl0_inv
	v_readfirstlane_b32 s8, v4
	v_readfirstlane_b32 s9, v5
	s_and_saveexec_b32 s7, s6
	s_cbranch_execz .LBB201_442
; %bb.441:                              ;   in Loop: Header=BB201_31 Depth=1
	ds_store_b32 v46, v13
.LBB201_442:                            ;   in Loop: Header=BB201_31 Depth=1
	s_or_b32 exec_lo, exec_lo, s7
	v_and_b32_e32 v50, s21, v50
	v_or_b32_e32 v49, s20, v49
	s_cmp_eq_u64 s[8:9], 0
	s_waitcnt lgkmcnt(0)
	s_barrier
	buffer_gl0_inv
	s_cbranch_scc1 .LBB201_447
; %bb.443:                              ;   in Loop: Header=BB201_31 Depth=1
	s_add_u32 s26, s85, s8
	s_addc_u32 s13, s86, s9
	s_mov_b32 s12, s61
	s_delay_alu instid0(SALU_CYCLE_1)
	s_cmp_lg_u64 s[12:13], 0
	s_cbranch_scc0 .LBB201_448
; %bb.444:                              ;   in Loop: Header=BB201_31 Depth=1
	v_cvt_f32_u32_e32 v4, s33
	s_sub_u32 s47, 0, s33
	s_subb_u32 s59, 0, 0
	s_delay_alu instid0(VALU_DEP_1) | instskip(NEXT) | instid1(VALU_DEP_1)
	v_fmac_f32_e64 v4, 0, 0x4f800000
	v_rcp_f32_e32 v4, v4
	s_waitcnt_depctr 0xfff
	v_mul_f32_e32 v4, 0x5f7ffffc, v4
	s_delay_alu instid0(VALU_DEP_1) | instskip(NEXT) | instid1(VALU_DEP_1)
	v_mul_f32_e32 v5, 0x2f800000, v4
	v_trunc_f32_e32 v5, v5
	s_delay_alu instid0(VALU_DEP_1) | instskip(SKIP_1) | instid1(VALU_DEP_2)
	v_fmac_f32_e32 v4, 0xcf800000, v5
	v_cvt_u32_f32_e32 v5, v5
	v_cvt_u32_f32_e32 v4, v4
	s_delay_alu instid0(VALU_DEP_2) | instskip(NEXT) | instid1(VALU_DEP_2)
	v_readfirstlane_b32 s7, v5
	v_readfirstlane_b32 s12, v4
	s_delay_alu instid0(VALU_DEP_2) | instskip(NEXT) | instid1(VALU_DEP_1)
	s_mul_i32 s75, s47, s7
	s_mul_hi_u32 s77, s47, s12
	s_mul_i32 s76, s59, s12
	s_add_i32 s75, s77, s75
	s_mul_i32 s78, s47, s12
	s_add_i32 s75, s75, s76
	s_mul_hi_u32 s77, s12, s78
	s_mul_hi_u32 s79, s7, s78
	s_mul_i32 s76, s7, s78
	s_mul_hi_u32 s78, s12, s75
	s_mul_i32 s12, s12, s75
	s_mul_hi_u32 vcc_lo, s7, s75
	s_add_u32 s12, s77, s12
	s_addc_u32 s77, 0, s78
	s_add_u32 s12, s12, s76
	s_mul_i32 s75, s7, s75
	s_addc_u32 s12, s77, s79
	s_addc_u32 s76, vcc_lo, 0
	s_add_u32 s12, s12, s75
	s_addc_u32 s75, 0, s76
	v_add_co_u32 v4, s12, v4, s12
	s_delay_alu instid0(VALU_DEP_1) | instskip(SKIP_1) | instid1(VALU_DEP_1)
	s_cmp_lg_u32 s12, 0
	s_addc_u32 s7, s7, s75
	v_readfirstlane_b32 s12, v4
	s_mul_i32 s75, s47, s7
	s_delay_alu instid0(VALU_DEP_1)
	s_mul_hi_u32 s76, s47, s12
	s_mul_i32 s59, s59, s12
	s_add_i32 s75, s76, s75
	s_mul_i32 s47, s47, s12
	s_add_i32 s75, s75, s59
	s_mul_hi_u32 s76, s7, s47
	s_mul_i32 s77, s7, s47
	s_mul_hi_u32 s47, s12, s47
	s_mul_hi_u32 s78, s12, s75
	s_mul_i32 s12, s12, s75
	s_mul_hi_u32 s59, s7, s75
	s_add_u32 s12, s47, s12
	s_addc_u32 s47, 0, s78
	s_add_u32 s12, s12, s77
	s_mul_i32 s75, s7, s75
	s_addc_u32 s12, s47, s76
	s_addc_u32 s47, s59, 0
	s_add_u32 s12, s12, s75
	s_addc_u32 s47, 0, s47
	v_add_co_u32 v4, s12, v4, s12
	s_delay_alu instid0(VALU_DEP_1) | instskip(SKIP_1) | instid1(VALU_DEP_1)
	s_cmp_lg_u32 s12, 0
	s_addc_u32 s7, s7, s47
	v_readfirstlane_b32 s12, v4
	s_mul_i32 s59, s26, s7
	s_mul_hi_u32 s47, s26, s7
	s_mul_hi_u32 s75, s13, s7
	s_mul_i32 s7, s13, s7
	s_mul_hi_u32 s76, s26, s12
	s_mul_hi_u32 s77, s13, s12
	s_mul_i32 s12, s13, s12
	s_add_u32 s59, s76, s59
	s_addc_u32 s47, 0, s47
	s_add_u32 s12, s59, s12
	s_addc_u32 s12, s47, s77
	s_addc_u32 s47, s75, 0
	s_add_u32 s7, s12, s7
	s_addc_u32 s12, 0, s47
	s_mul_hi_u32 s47, s33, s7
	s_mul_i32 s7, s33, s7
	s_mul_i32 s12, s33, s12
	v_sub_co_u32 v4, s7, s26, s7
	s_add_i32 s47, s47, s12
	s_cmp_lg_u32 s7, 0
	s_delay_alu instid0(VALU_DEP_1) | instskip(SKIP_3) | instid1(VALU_DEP_2)
	v_sub_co_u32 v5, s7, v4, s33
	s_subb_u32 s12, s13, s47
	s_cmp_lg_u32 s7, 0
	v_cmp_le_u32_e32 vcc_lo, s33, v4
	v_cmp_le_u32_e64 s7, s33, v5
	v_sub_co_u32 v6, s47, v5, s33
	s_subb_u32 s59, s12, 0
	s_cmp_lg_u32 s47, 0
	s_delay_alu instid0(VALU_DEP_2)
	v_cndmask_b32_e64 v7, 0, -1, s7
	s_subb_u32 s47, s59, 0
	s_cmp_eq_u32 s59, 0
	v_mov_b32_e32 v9, s47
	v_cndmask_b32_e64 v8, 0, -1, vcc_lo
	s_cselect_b32 vcc_lo, -1, 0
	s_cmp_eq_u32 s12, 0
	v_cndmask_b32_e32 v7, -1, v7, vcc_lo
	s_cselect_b32 vcc_lo, -1, 0
	v_cndmask_b32_e32 v8, -1, v8, vcc_lo
	s_delay_alu instid0(VALU_DEP_2) | instskip(NEXT) | instid1(VALU_DEP_2)
	v_cmp_ne_u32_e32 vcc_lo, 0, v7
	v_cmp_ne_u32_e64 s7, 0, v8
	v_cndmask_b32_e32 v7, s59, v9, vcc_lo
	v_cndmask_b32_e32 v6, v5, v6, vcc_lo
	s_delay_alu instid0(VALU_DEP_2) | instskip(NEXT) | instid1(VALU_DEP_2)
	v_cndmask_b32_e64 v5, s12, v7, s7
	v_cndmask_b32_e64 v4, v4, v6, s7
	s_mov_b32 s7, 0
	s_branch .LBB201_449
.LBB201_445:                            ;   in Loop: Header=BB201_31 Depth=1
                                        ; implicit-def: $vgpr2_vgpr3
	s_branch .LBB201_399
.LBB201_446:                            ;   in Loop: Header=BB201_31 Depth=1
                                        ; implicit-def: $vgpr2_vgpr3
	s_branch .LBB201_415
.LBB201_447:                            ;   in Loop: Header=BB201_31 Depth=1
	s_mov_b32 s7, -1
	s_mov_b32 s13, 0
                                        ; implicit-def: $sgpr8
                                        ; implicit-def: $vgpr28
	s_branch .LBB201_461
.LBB201_448:                            ;   in Loop: Header=BB201_31 Depth=1
	s_mov_b32 s7, -1
                                        ; implicit-def: $vgpr4_vgpr5
.LBB201_449:                            ;   in Loop: Header=BB201_31 Depth=1
	s_delay_alu instid0(SALU_CYCLE_1)
	s_and_not1_b32 vcc_lo, exec_lo, s7
	s_cbranch_vccnz .LBB201_451
; %bb.450:                              ;   in Loop: Header=BB201_31 Depth=1
	v_cvt_f32_u32_e32 v4, s33
	s_sub_i32 s7, 0, s33
	s_delay_alu instid0(VALU_DEP_1) | instskip(SKIP_2) | instid1(VALU_DEP_1)
	v_rcp_iflag_f32_e32 v4, v4
	s_waitcnt_depctr 0xfff
	v_mul_f32_e32 v4, 0x4f7ffffe, v4
	v_cvt_u32_f32_e32 v4, v4
	s_delay_alu instid0(VALU_DEP_1) | instskip(NEXT) | instid1(VALU_DEP_1)
	v_mul_lo_u32 v5, s7, v4
	v_mul_hi_u32 v5, v4, v5
	s_delay_alu instid0(VALU_DEP_1) | instskip(NEXT) | instid1(VALU_DEP_1)
	v_add_nc_u32_e32 v4, v4, v5
	v_mul_hi_u32 v4, s26, v4
	s_delay_alu instid0(VALU_DEP_1) | instskip(NEXT) | instid1(VALU_DEP_1)
	v_mul_lo_u32 v4, v4, s33
	v_sub_nc_u32_e32 v4, s26, v4
	s_delay_alu instid0(VALU_DEP_1) | instskip(SKIP_1) | instid1(VALU_DEP_2)
	v_subrev_nc_u32_e32 v5, s33, v4
	v_cmp_le_u32_e32 vcc_lo, s33, v4
	v_cndmask_b32_e32 v4, v4, v5, vcc_lo
	s_delay_alu instid0(VALU_DEP_1) | instskip(SKIP_1) | instid1(VALU_DEP_2)
	v_subrev_nc_u32_e32 v5, s33, v4
	v_cmp_le_u32_e32 vcc_lo, s33, v4
	v_cndmask_b32_e32 v12, v4, v5, vcc_lo
	s_delay_alu instid0(VALU_DEP_1)
	v_dual_mov_b32 v4, v12 :: v_dual_mov_b32 v5, v13
.LBB201_451:                            ;   in Loop: Header=BB201_31 Depth=1
	s_delay_alu instid0(VALU_DEP_1) | instskip(NEXT) | instid1(VALU_DEP_2)
	v_sub_co_u32 v4, vcc_lo, s26, v4
	v_sub_co_ci_u32_e32 v5, vcc_lo, s13, v5, vcc_lo
	s_mov_b32 s13, 0
	s_mov_b32 s12, exec_lo
                                        ; implicit-def: $vgpr28
	s_delay_alu instid0(VALU_DEP_1)
	v_cmpx_gt_u64_e64 v[4:5], v[0:1]
	s_cbranch_execz .LBB201_460
; %bb.452:                              ;   in Loop: Header=BB201_31 Depth=1
	v_dual_mov_b32 v8, v14 :: v_dual_mov_b32 v7, v1
	v_mov_b32_e32 v6, v0
                                        ; implicit-def: $sgpr26
	s_set_inst_prefetch_distance 0x1
	s_branch .LBB201_454
	.p2align	6
.LBB201_453:                            ;   in Loop: Header=BB201_454 Depth=2
	s_or_b32 exec_lo, exec_lo, s7
	s_waitcnt lgkmcnt(0)
	s_barrier
	buffer_gl0_inv
	ds_load_b64 v[27:28], v13 offset:3072
	v_add_co_u32 v6, vcc_lo, v6, s33
	v_add_co_ci_u32_e32 v7, vcc_lo, 0, v7, vcc_lo
	v_add_nc_u32_e32 v8, s93, v8
	s_waitcnt lgkmcnt(0)
	s_barrier
	s_delay_alu instid0(VALU_DEP_2) | instskip(SKIP_2) | instid1(VALU_DEP_1)
	v_cmp_ge_u64_e32 vcc_lo, v[6:7], v[4:5]
	buffer_gl0_inv
	v_cmp_neq_f32_e64 s7, 0, v27
	s_or_b32 s47, vcc_lo, s7
	s_delay_alu instid0(SALU_CYCLE_1) | instskip(NEXT) | instid1(SALU_CYCLE_1)
	s_and_b32 s47, exec_lo, s47
	s_or_b32 s13, s47, s13
	s_and_not1_b32 s26, s26, exec_lo
	s_and_b32 s7, s7, exec_lo
	s_delay_alu instid0(SALU_CYCLE_1)
	s_or_b32 s26, s26, s7
	s_and_not1_b32 exec_lo, exec_lo, s13
	s_cbranch_execz .LBB201_459
.LBB201_454:                            ;   Parent Loop BB201_31 Depth=1
                                        ; =>  This Inner Loop Header: Depth=2
	s_delay_alu instid0(VALU_DEP_1)
	v_cmp_gt_u64_e32 vcc_lo, s[8:9], v[6:7]
	v_mov_b32_e32 v27, 0
	s_and_saveexec_b32 s7, vcc_lo
	s_cbranch_execz .LBB201_456
; %bb.455:                              ;   in Loop: Header=BB201_454 Depth=2
	ds_load_b32 v27, v8
.LBB201_456:                            ;   in Loop: Header=BB201_454 Depth=2
	s_or_b32 exec_lo, exec_lo, s7
	s_and_saveexec_b32 s7, vcc_lo
	s_cbranch_execz .LBB201_453
; %bb.457:                              ;   in Loop: Header=BB201_454 Depth=2
	s_waitcnt lgkmcnt(0)
	v_cmp_lt_i32_e32 vcc_lo, -1, v27
	v_cndmask_b32_e64 v9, -1, 0x80000000, vcc_lo
	v_cmp_o_f32_e32 vcc_lo, v27, v27
	s_delay_alu instid0(VALU_DEP_2) | instskip(NEXT) | instid1(VALU_DEP_1)
	v_xor_b32_e32 v9, v9, v27
	v_cndmask_b32_e32 v9, -1, v9, vcc_lo
	s_delay_alu instid0(VALU_DEP_1) | instskip(NEXT) | instid1(VALU_DEP_1)
	v_and_b32_e32 v9, v9, v49
	v_cmp_eq_u32_e32 vcc_lo, v9, v50
	s_and_b32 exec_lo, exec_lo, vcc_lo
	s_cbranch_execz .LBB201_453
; %bb.458:                              ;   in Loop: Header=BB201_454 Depth=2
	ds_store_b64 v13, v[26:27] offset:3072
	s_branch .LBB201_453
.LBB201_459:                            ;   in Loop: Header=BB201_31 Depth=1
	s_set_inst_prefetch_distance 0x2
	s_or_b32 exec_lo, exec_lo, s13
	s_delay_alu instid0(SALU_CYCLE_1)
	s_and_b32 s13, s26, exec_lo
.LBB201_460:                            ;   in Loop: Header=BB201_31 Depth=1
	s_or_b32 exec_lo, exec_lo, s12
	s_mov_b32 s7, 0
	s_mov_b32 s8, -1
.LBB201_461:                            ;   in Loop: Header=BB201_31 Depth=1
	s_and_b32 vcc_lo, exec_lo, s7
	s_mov_b32 s9, s7
	s_cbranch_vccz .LBB201_477
; %bb.462:                              ;   in Loop: Header=BB201_31 Depth=1
	s_mov_b32 s26, s61
	s_delay_alu instid0(SALU_CYCLE_1)
	s_cmp_lg_u64 s[26:27], 0
	s_cbranch_scc0 .LBB201_464
; %bb.463:                              ;   in Loop: Header=BB201_31 Depth=1
	v_cvt_f32_u32_e32 v4, s33
	s_sub_u32 s9, 0, s33
	s_subb_u32 s12, 0, 0
	s_delay_alu instid0(VALU_DEP_1) | instskip(NEXT) | instid1(VALU_DEP_1)
	v_fmac_f32_e64 v4, 0, 0x4f800000
	v_rcp_f32_e32 v4, v4
	s_waitcnt_depctr 0xfff
	v_mul_f32_e32 v4, 0x5f7ffffc, v4
	s_delay_alu instid0(VALU_DEP_1) | instskip(NEXT) | instid1(VALU_DEP_1)
	v_mul_f32_e32 v5, 0x2f800000, v4
	v_trunc_f32_e32 v5, v5
	s_delay_alu instid0(VALU_DEP_1) | instskip(SKIP_1) | instid1(VALU_DEP_2)
	v_fmac_f32_e32 v4, 0xcf800000, v5
	v_cvt_u32_f32_e32 v5, v5
	v_cvt_u32_f32_e32 v4, v4
	s_delay_alu instid0(VALU_DEP_2) | instskip(NEXT) | instid1(VALU_DEP_2)
	v_readfirstlane_b32 s7, v5
	v_readfirstlane_b32 s8, v4
	s_delay_alu instid0(VALU_DEP_2) | instskip(NEXT) | instid1(VALU_DEP_1)
	s_mul_i32 s13, s9, s7
	s_mul_hi_u32 s47, s9, s8
	s_mul_i32 s26, s12, s8
	s_add_i32 s13, s47, s13
	s_mul_i32 s59, s9, s8
	s_add_i32 s13, s13, s26
	s_mul_hi_u32 s47, s8, s59
	s_mul_hi_u32 s75, s7, s59
	s_mul_i32 s26, s7, s59
	s_mul_hi_u32 s59, s8, s13
	s_mul_i32 s8, s8, s13
	s_mul_hi_u32 s76, s7, s13
	s_add_u32 s8, s47, s8
	s_addc_u32 s47, 0, s59
	s_add_u32 s8, s8, s26
	s_mul_i32 s13, s7, s13
	s_addc_u32 s8, s47, s75
	s_addc_u32 s26, s76, 0
	s_add_u32 s8, s8, s13
	s_addc_u32 s13, 0, s26
	v_add_co_u32 v4, s8, v4, s8
	s_delay_alu instid0(VALU_DEP_1) | instskip(SKIP_1) | instid1(VALU_DEP_1)
	s_cmp_lg_u32 s8, 0
	s_addc_u32 s7, s7, s13
	v_readfirstlane_b32 s8, v4
	s_mul_i32 s13, s9, s7
	s_delay_alu instid0(VALU_DEP_1)
	s_mul_hi_u32 s26, s9, s8
	s_mul_i32 s12, s12, s8
	s_add_i32 s13, s26, s13
	s_mul_i32 s9, s9, s8
	s_add_i32 s13, s13, s12
	s_mul_hi_u32 s26, s7, s9
	s_mul_i32 s47, s7, s9
	s_mul_hi_u32 s9, s8, s9
	s_mul_hi_u32 s59, s8, s13
	s_mul_i32 s8, s8, s13
	s_mul_hi_u32 s12, s7, s13
	s_add_u32 s8, s9, s8
	s_addc_u32 s9, 0, s59
	s_add_u32 s8, s8, s47
	s_mul_i32 s13, s7, s13
	s_addc_u32 s8, s9, s26
	s_addc_u32 s9, s12, 0
	s_add_u32 s8, s8, s13
	s_addc_u32 s9, 0, s9
	v_add_co_u32 v4, s8, v4, s8
	s_delay_alu instid0(VALU_DEP_1) | instskip(SKIP_1) | instid1(VALU_DEP_1)
	s_cmp_lg_u32 s8, 0
	s_addc_u32 s7, s7, s9
	v_readfirstlane_b32 s8, v4
	s_mul_i32 s12, s87, s7
	s_mul_hi_u32 s9, s87, s7
	s_mul_hi_u32 s13, s27, s7
	s_mul_i32 s7, s27, s7
	s_mul_hi_u32 s26, s87, s8
	s_mul_hi_u32 s47, s27, s8
	s_mul_i32 s8, s27, s8
	s_add_u32 s12, s26, s12
	s_addc_u32 s9, 0, s9
	s_add_u32 s8, s12, s8
	s_addc_u32 s8, s9, s47
	s_addc_u32 s9, s13, 0
	s_add_u32 s7, s8, s7
	s_addc_u32 s8, 0, s9
	s_mul_hi_u32 s9, s33, s7
	s_mul_i32 s7, s33, s7
	s_mul_i32 s8, s33, s8
	v_sub_co_u32 v4, s7, s87, s7
	s_add_i32 s9, s9, s8
	s_cmp_lg_u32 s7, 0
	s_delay_alu instid0(VALU_DEP_1) | instskip(SKIP_3) | instid1(VALU_DEP_2)
	v_sub_co_u32 v5, s7, v4, s33
	s_subb_u32 s8, s27, s9
	s_cmp_lg_u32 s7, 0
	v_cmp_le_u32_e32 vcc_lo, s33, v4
	v_cmp_le_u32_e64 s7, s33, v5
	v_sub_co_u32 v6, s9, v5, s33
	s_subb_u32 s12, s8, 0
	s_cmp_lg_u32 s9, 0
	s_delay_alu instid0(VALU_DEP_2)
	v_cndmask_b32_e64 v7, 0, -1, s7
	s_subb_u32 s9, s12, 0
	s_cmp_eq_u32 s12, 0
	v_mov_b32_e32 v9, s9
	v_cndmask_b32_e64 v8, 0, -1, vcc_lo
	s_cselect_b32 vcc_lo, -1, 0
	s_cmp_eq_u32 s8, 0
	v_cndmask_b32_e32 v7, -1, v7, vcc_lo
	s_cselect_b32 vcc_lo, -1, 0
	v_cndmask_b32_e32 v8, -1, v8, vcc_lo
	s_delay_alu instid0(VALU_DEP_2) | instskip(NEXT) | instid1(VALU_DEP_2)
	v_cmp_ne_u32_e32 vcc_lo, 0, v7
	v_cmp_ne_u32_e64 s7, 0, v8
	v_cndmask_b32_e32 v7, s12, v9, vcc_lo
	v_cndmask_b32_e32 v6, v5, v6, vcc_lo
	s_delay_alu instid0(VALU_DEP_2) | instskip(NEXT) | instid1(VALU_DEP_2)
	v_cndmask_b32_e64 v5, s8, v7, s7
	v_cndmask_b32_e64 v4, v4, v6, s7
	s_mov_b32 s7, 0
	s_branch .LBB201_465
.LBB201_464:                            ;   in Loop: Header=BB201_31 Depth=1
	s_mov_b32 s7, -1
                                        ; implicit-def: $vgpr4_vgpr5
.LBB201_465:                            ;   in Loop: Header=BB201_31 Depth=1
	s_delay_alu instid0(SALU_CYCLE_1)
	s_and_not1_b32 vcc_lo, exec_lo, s7
	s_cbranch_vccnz .LBB201_467
; %bb.466:                              ;   in Loop: Header=BB201_31 Depth=1
	v_cvt_f32_u32_e32 v4, s33
	s_sub_i32 s7, 0, s33
	s_delay_alu instid0(VALU_DEP_1) | instskip(SKIP_2) | instid1(VALU_DEP_1)
	v_rcp_iflag_f32_e32 v4, v4
	s_waitcnt_depctr 0xfff
	v_mul_f32_e32 v4, 0x4f7ffffe, v4
	v_cvt_u32_f32_e32 v4, v4
	s_delay_alu instid0(VALU_DEP_1) | instskip(NEXT) | instid1(VALU_DEP_1)
	v_mul_lo_u32 v5, s7, v4
	v_mul_hi_u32 v5, v4, v5
	s_delay_alu instid0(VALU_DEP_1) | instskip(NEXT) | instid1(VALU_DEP_1)
	v_add_nc_u32_e32 v4, v4, v5
	v_mul_hi_u32 v4, s87, v4
	s_delay_alu instid0(VALU_DEP_1) | instskip(NEXT) | instid1(VALU_DEP_1)
	v_mul_lo_u32 v4, v4, s33
	v_sub_nc_u32_e32 v4, s87, v4
	s_delay_alu instid0(VALU_DEP_1) | instskip(SKIP_1) | instid1(VALU_DEP_2)
	v_subrev_nc_u32_e32 v5, s33, v4
	v_cmp_le_u32_e32 vcc_lo, s33, v4
	v_cndmask_b32_e32 v4, v4, v5, vcc_lo
	s_delay_alu instid0(VALU_DEP_1) | instskip(SKIP_1) | instid1(VALU_DEP_2)
	v_subrev_nc_u32_e32 v5, s33, v4
	v_cmp_le_u32_e32 vcc_lo, s33, v4
	v_cndmask_b32_e32 v12, v4, v5, vcc_lo
	s_delay_alu instid0(VALU_DEP_1)
	v_dual_mov_b32 v4, v12 :: v_dual_mov_b32 v5, v13
.LBB201_467:                            ;   in Loop: Header=BB201_31 Depth=1
	s_delay_alu instid0(VALU_DEP_1) | instskip(NEXT) | instid1(VALU_DEP_2)
	v_sub_co_u32 v4, vcc_lo, s87, v4
	v_sub_co_ci_u32_e32 v5, vcc_lo, s27, v5, vcc_lo
	s_mov_b32 s13, 0
	s_mov_b32 s8, exec_lo
                                        ; implicit-def: $vgpr28
	s_delay_alu instid0(VALU_DEP_1)
	v_cmpx_gt_u64_e64 v[4:5], v[0:1]
	s_cbranch_execz .LBB201_476
; %bb.468:                              ;   in Loop: Header=BB201_31 Depth=1
	v_dual_mov_b32 v6, v24 :: v_dual_mov_b32 v7, v25
	v_dual_mov_b32 v9, v1 :: v_dual_mov_b32 v8, v0
	s_mov_b32 s9, 0
                                        ; implicit-def: $sgpr12
	s_set_inst_prefetch_distance 0x1
	s_branch .LBB201_470
	.p2align	6
.LBB201_469:                            ;   in Loop: Header=BB201_470 Depth=2
	s_or_b32 exec_lo, exec_lo, s7
	s_waitcnt vmcnt(0) lgkmcnt(0)
	s_barrier
	buffer_gl0_inv
	ds_load_b64 v[27:28], v13 offset:3072
	v_add_co_u32 v8, vcc_lo, v8, s33
	v_add_co_ci_u32_e32 v9, vcc_lo, 0, v9, vcc_lo
	s_waitcnt lgkmcnt(0)
	s_barrier
	buffer_gl0_inv
	v_cmp_ge_u64_e32 vcc_lo, v[8:9], v[4:5]
	v_cmp_neq_f32_e64 s7, 0, v27
	s_delay_alu instid0(VALU_DEP_1)
	s_or_b32 s13, vcc_lo, s7
	v_add_co_u32 v6, vcc_lo, v6, s34
	s_and_b32 s13, exec_lo, s13
	v_add_co_ci_u32_e32 v7, vcc_lo, s35, v7, vcc_lo
	s_or_b32 s9, s13, s9
	s_and_not1_b32 s12, s12, exec_lo
	s_and_b32 s7, s7, exec_lo
	s_delay_alu instid0(SALU_CYCLE_1)
	s_or_b32 s12, s12, s7
	s_and_not1_b32 exec_lo, exec_lo, s9
	s_cbranch_execz .LBB201_475
.LBB201_470:                            ;   Parent Loop BB201_31 Depth=1
                                        ; =>  This Inner Loop Header: Depth=2
	s_delay_alu instid0(VALU_DEP_1)
	v_cmp_gt_u64_e32 vcc_lo, s[36:37], v[8:9]
	v_mov_b32_e32 v27, 0
	s_and_saveexec_b32 s7, vcc_lo
	s_cbranch_execz .LBB201_472
; %bb.471:                              ;   in Loop: Header=BB201_470 Depth=2
	global_load_b32 v27, v[6:7], off
.LBB201_472:                            ;   in Loop: Header=BB201_470 Depth=2
	s_or_b32 exec_lo, exec_lo, s7
	s_and_saveexec_b32 s7, vcc_lo
	s_cbranch_execz .LBB201_469
; %bb.473:                              ;   in Loop: Header=BB201_470 Depth=2
	s_waitcnt vmcnt(0)
	v_cmp_lt_i32_e32 vcc_lo, -1, v27
	v_cndmask_b32_e64 v12, -1, 0x80000000, vcc_lo
	v_cmp_o_f32_e32 vcc_lo, v27, v27
	s_delay_alu instid0(VALU_DEP_2) | instskip(NEXT) | instid1(VALU_DEP_1)
	v_xor_b32_e32 v12, v12, v27
	v_cndmask_b32_e32 v12, -1, v12, vcc_lo
	s_delay_alu instid0(VALU_DEP_1) | instskip(NEXT) | instid1(VALU_DEP_1)
	v_and_b32_e32 v12, v12, v49
	v_cmp_eq_u32_e32 vcc_lo, v12, v50
	s_and_b32 exec_lo, exec_lo, vcc_lo
	s_cbranch_execz .LBB201_469
; %bb.474:                              ;   in Loop: Header=BB201_470 Depth=2
	ds_store_b64 v13, v[26:27] offset:3072
	s_branch .LBB201_469
.LBB201_475:                            ;   in Loop: Header=BB201_31 Depth=1
	s_set_inst_prefetch_distance 0x2
	s_or_b32 exec_lo, exec_lo, s9
	s_delay_alu instid0(SALU_CYCLE_1)
	s_and_b32 s13, s12, exec_lo
.LBB201_476:                            ;   in Loop: Header=BB201_31 Depth=1
	s_or_b32 exec_lo, exec_lo, s8
	s_mov_b32 s8, 0
	s_mov_b32 s7, -1
	s_mov_b32 s9, 0
.LBB201_477:                            ;   in Loop: Header=BB201_31 Depth=1
	s_or_not1_b32 s13, s13, exec_lo
.LBB201_478:                            ;   in Loop: Header=BB201_31 Depth=1
	s_or_b32 exec_lo, exec_lo, s46
	s_mov_b32 s26, 0
                                        ; implicit-def: $vgpr8
                                        ; implicit-def: $vgpr4_vgpr5
	s_and_saveexec_b32 s12, s13
	s_cbranch_execz .LBB201_490
; %bb.479:                              ;   in Loop: Header=BB201_31 Depth=1
	v_mov_b32_e32 v4, 1
	v_dual_mov_b32 v5, 0 :: v_dual_mov_b32 v8, 1
	s_xor_b32 s26, s58, -1
	s_delay_alu instid0(SALU_CYCLE_1)
	s_and_saveexec_b32 s13, s26
	s_cbranch_execz .LBB201_489
; %bb.480:                              ;   in Loop: Header=BB201_31 Depth=1
	s_mov_b32 s26, exec_lo
                                        ; implicit-def: $sgpr46
	v_cmpx_ge_u64_e64 s[10:11], v[2:3]
	s_xor_b32 s26, exec_lo, s26
	s_cbranch_execz .LBB201_486
; %bb.481:                              ;   in Loop: Header=BB201_31 Depth=1
	ds_load_b64 v[4:5], v13 offset:5120
	s_waitcnt lgkmcnt(0)
	v_cmp_ne_u64_e32 vcc_lo, 0, v[4:5]
	s_cbranch_vccnz .LBB201_485
; %bb.482:                              ;   in Loop: Header=BB201_31 Depth=1
	s_and_saveexec_b32 s46, s5
	s_cbranch_execz .LBB201_484
; %bb.483:                              ;   in Loop: Header=BB201_31 Depth=1
	v_dual_mov_b32 v4, s10 :: v_dual_mov_b32 v5, s11
	ds_store_b64 v13, v[4:5] offset:5128
.LBB201_484:                            ;   in Loop: Header=BB201_31 Depth=1
	s_or_b32 exec_lo, exec_lo, s46
	s_waitcnt lgkmcnt(0)
	s_barrier
	buffer_gl0_inv
.LBB201_485:                            ;   in Loop: Header=BB201_31 Depth=1
	v_and_b32_e32 v50, s21, v50
	v_or_b32_e32 v49, s20, v49
	s_mov_b32 s46, 5
.LBB201_486:                            ;   in Loop: Header=BB201_31 Depth=1
	s_or_saveexec_b32 s20, s26
	v_mov_b32_e32 v8, s46
	s_xor_b32 exec_lo, exec_lo, s20
; %bb.487:                              ;   in Loop: Header=BB201_31 Depth=1
	v_sub_co_u32 v2, vcc_lo, v2, s10
	v_subrev_co_ci_u32_e32 v3, vcc_lo, s11, v3, vcc_lo
	v_mov_b32_e32 v8, 5
; %bb.488:                              ;   in Loop: Header=BB201_31 Depth=1
	s_or_b32 exec_lo, exec_lo, s20
	s_delay_alu instid0(VALU_DEP_2)
	v_dual_mov_b32 v5, v3 :: v_dual_mov_b32 v4, v2
.LBB201_489:                            ;   in Loop: Header=BB201_31 Depth=1
	s_or_b32 exec_lo, exec_lo, s13
	s_delay_alu instid0(SALU_CYCLE_1)
	s_mov_b32 s26, exec_lo
.LBB201_490:                            ;   in Loop: Header=BB201_31 Depth=1
	s_or_b32 exec_lo, exec_lo, s12
	s_delay_alu instid0(VALU_DEP_1)
	v_dual_mov_b32 v2, v4 :: v_dual_mov_b32 v3, v5
	s_or_not1_b32 s12, s26, exec_lo
.LBB201_491:                            ;   in Loop: Header=BB201_31 Depth=1
	s_or_b32 exec_lo, exec_lo, s22
	s_delay_alu instid0(SALU_CYCLE_1)
	s_and_not1_b32 s10, s14, exec_lo
	s_and_b32 s7, s7, exec_lo
	s_and_b32 s8, s8, exec_lo
	s_or_b32 s14, s10, s7
	s_and_not1_b32 s7, s15, exec_lo
	s_and_not1_b32 s10, s73, exec_lo
	s_and_b32 s9, s9, exec_lo
	v_dual_mov_b32 v5, v3 :: v_dual_mov_b32 v4, v2
	s_or_b32 s15, s7, s8
	s_or_b32 s73, s10, s9
	s_and_b32 s26, s12, exec_lo
.LBB201_492:                            ;   in Loop: Header=BB201_31 Depth=1
	s_or_b32 exec_lo, exec_lo, s74
	s_delay_alu instid0(SALU_CYCLE_1)
	s_and_b32 s14, s14, exec_lo
	s_and_b32 s9, s15, exec_lo
	;; [unrolled: 1-line block ×3, first 2 shown]
	s_or_not1_b32 s7, s26, exec_lo
.LBB201_493:                            ;   in Loop: Header=BB201_31 Depth=1
	s_or_b32 exec_lo, exec_lo, s72
	s_delay_alu instid0(SALU_CYCLE_1)
	s_and_not1_b32 s10, s16, exec_lo
	s_and_b32 s11, s14, exec_lo
	s_and_b32 s9, s9, exec_lo
	s_or_b32 s16, s10, s11
	s_and_not1_b32 s10, s17, exec_lo
	s_and_not1_b32 s11, s70, exec_lo
	s_and_b32 s8, s8, exec_lo
	v_dual_mov_b32 v2, v4 :: v_dual_mov_b32 v3, v5
	s_or_b32 s17, s10, s9
	s_or_b32 s70, s11, s8
	s_and_b32 s26, s7, exec_lo
.LBB201_494:                            ;   in Loop: Header=BB201_31 Depth=1
	s_or_b32 exec_lo, exec_lo, s71
	s_delay_alu instid0(SALU_CYCLE_1)
	s_and_b32 s16, s16, exec_lo
	s_and_b32 s9, s17, exec_lo
	;; [unrolled: 1-line block ×3, first 2 shown]
	s_or_not1_b32 s17, s26, exec_lo
.LBB201_495:                            ;   in Loop: Header=BB201_31 Depth=1
	s_or_b32 exec_lo, exec_lo, s60
	s_mov_b32 s7, s25
	s_mov_b32 s10, s24
	s_and_saveexec_b32 s11, s17
; %bb.496:                              ;   in Loop: Header=BB201_31 Depth=1
	v_cmp_eq_u32_e32 vcc_lo, 5, v8
	v_cmp_ne_u32_e64 s7, 5, v8
	s_and_not1_b32 s10, s24, exec_lo
	s_and_not1_b32 s12, s25, exec_lo
	s_and_not1_b32 s16, s16, exec_lo
	s_and_b32 s13, vcc_lo, exec_lo
	s_and_b32 s7, s7, exec_lo
	s_and_not1_b32 s9, s9, exec_lo
	s_and_not1_b32 s8, s8, exec_lo
	s_or_b32 s10, s10, s7
	s_or_b32 s7, s12, s13
; %bb.497:                              ;   in Loop: Header=BB201_31 Depth=1
	s_or_b32 exec_lo, exec_lo, s11
	s_delay_alu instid0(SALU_CYCLE_1)
	s_and_not1_b32 s3, s18, exec_lo
	s_and_b32 s11, s16, exec_lo
	s_and_b32 s9, s9, exec_lo
	s_or_b32 s18, s3, s11
	s_and_not1_b32 s3, s19, exec_lo
	s_and_not1_b32 s11, s23, exec_lo
	s_and_b32 s8, s8, exec_lo
	v_dual_mov_b32 v33, v50 :: v_dual_mov_b32 v34, v49
	v_mov_b32_e32 v5, v28
	s_or_b32 s19, s3, s9
	s_or_b32 s23, s11, s8
	s_and_not1_b32 s3, s24, exec_lo
	s_and_b32 s8, s10, exec_lo
	s_and_not1_b32 s9, s25, exec_lo
	s_and_b32 s7, s7, exec_lo
	s_or_b32 s24, s3, s8
	s_or_b32 s25, s9, s7
.LBB201_498:                            ;   in Loop: Header=BB201_31 Depth=1
	s_or_b32 exec_lo, exec_lo, s55
	s_mov_b32 s60, s23
	s_mov_b32 s55, s23
	s_and_saveexec_b32 s7, s25
.LBB201_499:                            ;   in Loop: Header=BB201_31 Depth=1
	v_mov_b32_e32 v8, 0
	s_and_not1_b32 s23, s23, exec_lo
	s_and_not1_b32 s18, s18, exec_lo
	;; [unrolled: 1-line block ×5, first 2 shown]
	s_or_b32 s24, s24, exec_lo
.LBB201_500:                            ;   in Loop: Header=BB201_31 Depth=1
	s_or_b32 exec_lo, exec_lo, s7
	s_delay_alu instid0(SALU_CYCLE_1)
	s_and_not1_b32 s3, s54, exec_lo
	s_and_b32 s7, s23, exec_lo
	s_and_not1_b32 s9, s103, exec_lo
	s_or_b32 s54, s3, s7
	s_and_not1_b32 s3, vcc_hi, exec_lo
	s_and_b32 s7, s18, exec_lo
	s_and_b32 s10, s19, exec_lo
	s_or_b32 vcc_hi, s3, s7
	s_or_b32 s103, s9, s10
	s_and_not1_b32 s3, s104, exec_lo
	s_and_b32 s7, s60, exec_lo
	s_and_not1_b32 s9, s102, exec_lo
	s_and_b32 s10, s55, exec_lo
	s_mov_b32 s8, -1
	s_or_b32 s104, s3, s7
	s_or_b32 s102, s9, s10
                                        ; implicit-def: $vgpr49
                                        ; implicit-def: $vgpr50
                                        ; implicit-def: $vgpr29_vgpr30
                                        ; implicit-def: $vgpr28
	s_and_saveexec_b32 s3, s24
	s_delay_alu instid0(SALU_CYCLE_1)
	s_xor_b32 s7, exec_lo, s3
	s_cbranch_execz .LBB201_30
; %bb.501:                              ;   in Loop: Header=BB201_31 Depth=1
	s_mov_b32 s9, -1
	s_mov_b32 s10, exec_lo
	v_cmpx_eq_u32_e32 0, v8
	s_cbranch_execz .LBB201_29
; %bb.502:                              ;   in Loop: Header=BB201_31 Depth=1
	s_xor_b32 s96, s96, 1
	s_add_i32 s11, s100, -2
	s_cmp_eq_u32 s100, 0
	s_mov_b32 s100, s11
	s_cselect_b32 s8, -1, 0
	s_xor_b32 s9, exec_lo, -1
	s_or_not1_b32 s8, s8, exec_lo
	s_branch .LBB201_29
.LBB201_503:
	s_or_b32 exec_lo, exec_lo, s94
	s_xor_b32 s7, s101, -1
	s_xor_b32 s9, s98, -1
	;; [unrolled: 1-line block ×5, first 2 shown]
	s_mov_b32 s8, 0
	s_and_saveexec_b32 s11, s3
	s_delay_alu instid0(SALU_CYCLE_1)
	s_xor_b32 s12, exec_lo, s11
	s_cbranch_execz .LBB201_562
; %bb.504:
	s_and_saveexec_b32 s3, s10
	s_delay_alu instid0(SALU_CYCLE_1)
	s_xor_b32 s13, exec_lo, s3
	s_cbranch_execz .LBB201_560
; %bb.505:
	;; [unrolled: 5-line block ×4, first 2 shown]
	s_and_saveexec_b32 s3, s6
	s_delay_alu instid0(SALU_CYCLE_1)
	s_xor_b32 s6, exec_lo, s3
; %bb.508:
	v_cmp_lt_i32_e32 vcc_lo, -1, v33
	v_cndmask_b32_e64 v2, 0x80000000, -1, vcc_lo
	s_delay_alu instid0(VALU_DEP_1)
	v_xor_b32_e32 v5, v2, v33
; %bb.509:
	s_or_b32 exec_lo, exec_lo, s6
	s_and_saveexec_b32 s6, s5
	s_load_b64 s[42:43], s[0:1], 0x0
	v_readlane_b32 s46, v51, 4
	s_cbranch_execz .LBB201_511
; %bb.510:
	v_mov_b32_e32 v2, 0
	s_delay_alu instid0(VALU_DEP_1)
	v_mov_b32_e32 v3, v2
	ds_store_b64 v2, v[2:3] offset:5136
.LBB201_511:
	s_or_b32 exec_lo, exec_lo, s6
	v_mov_b32_e32 v18, 0
	s_waitcnt lgkmcnt(0)
	s_barrier
	buffer_gl0_inv
	s_and_saveexec_b32 s5, s4
	s_cbranch_execz .LBB201_513
; %bb.512:
	global_load_b32 v18, v[10:11], off
.LBB201_513:
	s_or_b32 exec_lo, exec_lo, s5
	s_clause 0x1
	s_load_b64 s[18:19], s[0:1], 0x440
	s_load_b64 s[22:23], s[0:1], 0x1c8
	v_readlane_b32 s8, v51, 0
	v_readlane_b32 s9, v51, 1
	s_add_u32 s3, s36, 31
	s_addc_u32 s7, s37, 0
	s_and_b32 s6, s3, 0xffffffe0
	s_mul_i32 s3, s8, s41
	s_mul_hi_u32 s5, s8, s40
	s_mul_i32 s8, s8, s40
	s_add_i32 s3, s5, s3
	s_mul_i32 s5, s9, s40
	v_cmp_lt_i32_e32 vcc_lo, -1, v5
	s_add_i32 s9, s3, s5
	s_mov_b32 s21, -1
	s_lshl_b64 s[16:17], s[8:9], 2
	s_clause 0x1
	s_load_b64 s[8:9], s[0:1], 0x368
	s_load_b64 s[10:11], s[0:1], 0x510
	v_cndmask_b32_e64 v2, -1, 0x80000000, vcc_lo
	v_cmp_o_f32_e32 vcc_lo, v5, v5
	v_add_nc_u32_e32 v17, s33, v0
	s_waitcnt lgkmcnt(0)
	s_mul_i32 s3, s18, s53
	s_mul_hi_u32 s5, s18, s52
	s_mul_i32 s18, s18, s52
	s_add_i32 s3, s5, s3
	s_mul_i32 s5, s19, s52
	v_xor_b32_e32 v2, v2, v5
	s_add_i32 s19, s3, s5
	s_add_u32 s3, s22, s16
	s_addc_u32 s0, s23, s17
	s_lshl_b64 s[16:17], s[28:29], 2
	v_cndmask_b32_e32 v16, -1, v2, vcc_lo
	s_add_u32 s1, s3, s16
	s_addc_u32 s5, s0, s17
	s_lshl_b64 s[16:17], s[18:19], 3
	v_readlane_b32 s18, v51, 2
	v_readlane_b32 s19, v51, 3
	s_mov_b32 s20, exec_lo
	s_delay_alu instid0(VALU_DEP_2) | instskip(NEXT) | instid1(VALU_DEP_1)
	s_add_u32 s0, s18, s16
	s_addc_u32 s3, s19, s17
	s_lshl_b64 s[16:17], s[44:45], 3
	s_mov_b32 s19, 0
	s_add_u32 s16, s0, s16
	s_addc_u32 s17, s3, s17
	s_mov_b32 s18, 0
	v_cmpx_gt_u64_e64 s[6:7], v[0:1]
	s_cbranch_execz .LBB201_531
; %bb.514:
	v_mad_u64_u32 v[2:3], null, s30, v17, 0
	v_readlane_b32 s22, v51, 5
	v_readlane_b32 s23, v51, 6
	s_add_u32 s0, s42, s48
	s_addc_u32 s3, s43, s49
	v_mov_b32_e32 v13, v1
	s_add_u32 s0, s0, s22
	s_delay_alu instid0(VALU_DEP_4) | instskip(SKIP_2) | instid1(VALU_DEP_2)
	v_mad_u64_u32 v[4:5], null, s31, v17, v[3:4]
	s_addc_u32 s3, s3, s23
                                        ; implicit-def: $sgpr21
                                        ; implicit-def: $vgpr8_vgpr9
	v_mov_b32_e32 v12, v0
	v_mov_b32_e32 v3, v4
	s_delay_alu instid0(VALU_DEP_1) | instskip(SKIP_1) | instid1(VALU_DEP_2)
	v_lshlrev_b64 v[4:5], 2, v[2:3]
	v_mov_b32_e32 v3, 0
	v_add_co_u32 v4, vcc_lo, s0, v4
	s_delay_alu instid0(VALU_DEP_3)
	v_add_co_ci_u32_e32 v5, vcc_lo, s3, v5, vcc_lo
	s_branch .LBB201_516
.LBB201_515:                            ;   in Loop: Header=BB201_516 Depth=1
	s_or_b32 exec_lo, exec_lo, s22
	s_xor_b32 s3, s24, -1
	s_and_b32 s0, exec_lo, s0
	s_waitcnt vmcnt(0)
	v_mov_b32_e32 v18, v19
	s_or_b32 s18, s0, s18
	v_dual_mov_b32 v13, v7 :: v_dual_mov_b32 v12, v6
	s_and_not1_b32 s0, s21, exec_lo
	s_and_b32 s3, s3, exec_lo
	s_delay_alu instid0(SALU_CYCLE_1)
	s_or_b32 s21, s0, s3
	s_and_not1_b32 exec_lo, exec_lo, s18
	s_cbranch_execz .LBB201_530
.LBB201_516:                            ; =>This Inner Loop Header: Depth=1
	v_add_co_u32 v6, vcc_lo, v12, s33
	v_add_co_ci_u32_e32 v7, vcc_lo, 0, v13, vcc_lo
	v_mov_b32_e32 v19, 0
	s_mov_b32 s0, exec_lo
	s_delay_alu instid0(VALU_DEP_2)
	v_cmpx_gt_u64_e64 s[36:37], v[6:7]
	s_cbranch_execz .LBB201_518
; %bb.517:                              ;   in Loop: Header=BB201_516 Depth=1
	global_load_b32 v19, v[4:5], off
.LBB201_518:                            ;   in Loop: Header=BB201_516 Depth=1
	s_or_b32 exec_lo, exec_lo, s0
	s_mov_b32 s22, 0
	s_mov_b32 s0, exec_lo
	v_cmpx_gt_u64_e64 s[36:37], v[12:13]
	s_cbranch_execz .LBB201_520
; %bb.519:                              ;   in Loop: Header=BB201_516 Depth=1
	s_waitcnt vmcnt(0)
	v_cmp_lt_i32_e32 vcc_lo, -1, v18
	v_cndmask_b32_e64 v2, -1, 0x80000000, vcc_lo
	v_cmp_o_f32_e32 vcc_lo, v18, v18
	s_delay_alu instid0(VALU_DEP_2) | instskip(NEXT) | instid1(VALU_DEP_1)
	v_xor_b32_e32 v2, v2, v18
	v_cndmask_b32_e32 v2, -1, v2, vcc_lo
	s_delay_alu instid0(VALU_DEP_1) | instskip(SKIP_3) | instid1(VALU_DEP_1)
	v_cmp_gt_u32_e32 vcc_lo, v2, v16
	v_cndmask_b32_e64 v14, 0, 1, vcc_lo
	v_cmp_lt_u32_e32 vcc_lo, v2, v16
	v_cndmask_b32_e64 v2, 0, 1, vcc_lo
	v_cndmask_b32_e64 v2, v2, v14, s46
	s_delay_alu instid0(VALU_DEP_1) | instskip(NEXT) | instid1(VALU_DEP_1)
	v_and_b32_e32 v2, 1, v2
	v_cmp_eq_u32_e32 vcc_lo, 1, v2
	s_and_b32 s22, vcc_lo, exec_lo
.LBB201_520:                            ;   in Loop: Header=BB201_516 Depth=1
	s_or_b32 exec_lo, exec_lo, s0
	v_cndmask_b32_e64 v2, 0, 1, s22
	s_delay_alu instid0(VALU_DEP_1) | instskip(SKIP_2) | instid1(SALU_CYCLE_1)
	v_cmp_ne_u32_e32 vcc_lo, 0, v2
	s_cmp_lg_u32 vcc_lo, 0
	s_cselect_b32 s0, -1, 0
	s_and_b32 s0, s2, s0
	s_delay_alu instid0(SALU_CYCLE_1)
	s_and_saveexec_b32 s23, s0
	s_cbranch_execz .LBB201_524
; %bb.521:                              ;   in Loop: Header=BB201_516 Depth=1
	s_mov_b32 s26, exec_lo
	s_bcnt1_i32_b32 s24, vcc_lo
	v_mbcnt_lo_u32_b32 v14, s26, 0
	s_mov_b32 s25, exec_lo
                                        ; implicit-def: $vgpr8_vgpr9
	s_delay_alu instid0(VALU_DEP_1)
	v_cmpx_eq_u32_e32 0, v14
	s_cbranch_execz .LBB201_523
; %bb.522:                              ;   in Loop: Header=BB201_516 Depth=1
	s_bcnt1_i32_b32 s0, s26
	s_delay_alu instid0(SALU_CYCLE_1) | instskip(NEXT) | instid1(SALU_CYCLE_1)
	s_mul_i32 s0, s24, s0
	v_mov_b32_e32 v2, s0
	s_waitcnt lgkmcnt(0)
	ds_add_rtn_u64 v[8:9], v3, v[2:3] offset:5136
.LBB201_523:                            ;   in Loop: Header=BB201_516 Depth=1
	s_or_b32 exec_lo, exec_lo, s25
	s_waitcnt lgkmcnt(0)
	v_readfirstlane_b32 s27, v9
	v_readfirstlane_b32 s26, v8
	s_delay_alu instid0(VALU_DEP_1)
	v_mad_u64_u32 v[8:9], null, s24, v14, s[26:27]
.LBB201_524:                            ;   in Loop: Header=BB201_516 Depth=1
	s_or_b32 exec_lo, exec_lo, s23
	s_waitcnt lgkmcnt(1)
	ds_bpermute_b32 v8, v3, v8
	s_waitcnt lgkmcnt(1)
	ds_bpermute_b32 v9, v3, v9
	s_mov_b32 s0, -1
	s_mov_b32 s25, -1
                                        ; implicit-def: $sgpr24
	s_and_saveexec_b32 s23, s22
	s_cbranch_execz .LBB201_528
; %bb.525:                              ;   in Loop: Header=BB201_516 Depth=1
	v_and_b32_e32 v2, vcc_lo, v43
	s_mov_b32 s22, 0
	s_mov_b32 s24, exec_lo
	s_delay_alu instid0(VALU_DEP_1) | instskip(SKIP_1) | instid1(VALU_DEP_1)
	v_bcnt_u32_b32 v2, v2, 0
	s_waitcnt lgkmcnt(1)
	v_add_co_u32 v14, vcc_lo, v8, v2
	s_waitcnt lgkmcnt(0)
	v_add_co_ci_u32_e32 v15, vcc_lo, 0, v9, vcc_lo
	s_delay_alu instid0(VALU_DEP_1)
	v_cmpx_gt_u64_e64 s[38:39], v[14:15]
	s_cbranch_execz .LBB201_527
; %bb.526:                              ;   in Loop: Header=BB201_516 Depth=1
	v_mul_lo_u32 v2, v15, s8
	v_mul_lo_u32 v24, v14, s9
	v_mad_u64_u32 v[20:21], null, v14, s8, 0
	v_mul_lo_u32 v15, v15, s10
	v_mul_lo_u32 v25, v14, s11
	v_mad_u64_u32 v[22:23], null, v14, s10, 0
	s_mov_b32 s22, exec_lo
	s_delay_alu instid0(VALU_DEP_4) | instskip(NEXT) | instid1(VALU_DEP_2)
	v_add3_u32 v21, v21, v24, v2
	v_add3_u32 v23, v23, v25, v15
	s_delay_alu instid0(VALU_DEP_2) | instskip(NEXT) | instid1(VALU_DEP_2)
	v_lshlrev_b64 v[14:15], 2, v[20:21]
	v_lshlrev_b64 v[20:21], 3, v[22:23]
	s_delay_alu instid0(VALU_DEP_2) | instskip(NEXT) | instid1(VALU_DEP_3)
	v_add_co_u32 v14, vcc_lo, s1, v14
	v_add_co_ci_u32_e32 v15, vcc_lo, s5, v15, vcc_lo
	s_delay_alu instid0(VALU_DEP_3) | instskip(NEXT) | instid1(VALU_DEP_4)
	v_add_co_u32 v20, vcc_lo, s16, v20
	v_add_co_ci_u32_e32 v21, vcc_lo, s17, v21, vcc_lo
	s_waitcnt vmcnt(0)
	global_store_b32 v[14:15], v18, off
	global_store_b64 v[20:21], v[12:13], off
.LBB201_527:                            ;   in Loop: Header=BB201_516 Depth=1
	s_or_b32 exec_lo, exec_lo, s24
	s_mov_b32 s24, -1
	s_or_not1_b32 s25, s22, exec_lo
.LBB201_528:                            ;   in Loop: Header=BB201_516 Depth=1
	s_or_b32 exec_lo, exec_lo, s23
	s_and_saveexec_b32 s22, s25
	s_cbranch_execz .LBB201_515
; %bb.529:                              ;   in Loop: Header=BB201_516 Depth=1
	v_cmp_le_u64_e32 vcc_lo, s[6:7], v[6:7]
	v_add_co_u32 v4, s0, v4, s34
	s_delay_alu instid0(VALU_DEP_1)
	v_add_co_ci_u32_e64 v5, s0, s35, v5, s0
	s_and_not1_b32 s24, s24, exec_lo
	s_or_not1_b32 s0, vcc_lo, exec_lo
	s_branch .LBB201_515
.LBB201_530:
	s_or_b32 exec_lo, exec_lo, s18
	s_delay_alu instid0(SALU_CYCLE_1)
	s_mov_b32 s18, exec_lo
	s_or_not1_b32 s21, s21, exec_lo
.LBB201_531:
	s_or_b32 exec_lo, exec_lo, s20
	s_and_saveexec_b32 s3, s21
	s_cbranch_execz .LBB201_554
; %bb.532:
	v_dual_mov_b32 v3, 0 :: v_dual_mov_b32 v12, 0
	s_waitcnt vmcnt(0) lgkmcnt(0)
	s_waitcnt_vscnt null, 0x0
	s_barrier
	buffer_gl0_inv
	s_and_saveexec_b32 s0, s4
	s_cbranch_execz .LBB201_534
; %bb.533:
	global_load_b32 v12, v[10:11], off
.LBB201_534:
	s_or_b32 exec_lo, exec_lo, s0
	v_mad_u64_u32 v[4:5], null, s30, v17, 0
	v_readlane_b32 s20, v51, 5
	v_readlane_b32 s21, v51, 6
	s_add_u32 s0, s42, s48
	s_addc_u32 s4, s43, s49
	s_mov_b32 s19, 0
	s_add_u32 s0, s0, s20
	s_delay_alu instid0(VALU_DEP_3) | instskip(SKIP_1) | instid1(VALU_DEP_1)
	v_mov_b32_e32 v2, v5
	s_addc_u32 s4, s4, s21
                                        ; implicit-def: $sgpr20
                                        ; implicit-def: $sgpr21
	v_mad_u64_u32 v[5:6], null, s31, v17, v[2:3]
                                        ; implicit-def: $vgpr6_vgpr7
	s_delay_alu instid0(VALU_DEP_1) | instskip(NEXT) | instid1(VALU_DEP_1)
	v_lshlrev_b64 v[4:5], 2, v[4:5]
	v_add_co_u32 v4, vcc_lo, s0, v4
	s_delay_alu instid0(VALU_DEP_2)
	v_add_co_ci_u32_e32 v5, vcc_lo, s4, v5, vcc_lo
                                        ; implicit-def: $sgpr4
	s_branch .LBB201_537
.LBB201_535:                            ;   in Loop: Header=BB201_537 Depth=1
	s_or_b32 exec_lo, exec_lo, s24
	v_dual_mov_b32 v0, v8 :: v_dual_mov_b32 v1, v9
	v_mov_b32_e32 v12, v2
	s_and_not1_b32 s0, s21, exec_lo
	s_and_b32 s21, s26, exec_lo
	s_and_not1_b32 s20, s20, exec_lo
	s_and_b32 s23, s23, exec_lo
	s_or_b32 s21, s0, s21
	s_or_b32 s20, s20, s23
.LBB201_536:                            ;   in Loop: Header=BB201_537 Depth=1
	s_or_b32 exec_lo, exec_lo, s22
	s_xor_b32 s0, s21, -1
	s_and_b32 s22, exec_lo, s20
	s_delay_alu instid0(SALU_CYCLE_1) | instskip(SKIP_2) | instid1(SALU_CYCLE_1)
	s_or_b32 s19, s22, s19
	s_and_not1_b32 s4, s4, exec_lo
	s_and_b32 s0, s0, exec_lo
	s_or_b32 s4, s4, s0
	s_and_not1_b32 exec_lo, exec_lo, s19
	s_cbranch_execz .LBB201_552
.LBB201_537:                            ; =>This Inner Loop Header: Depth=1
	s_or_b32 s21, s21, exec_lo
	s_or_b32 s20, s20, exec_lo
	s_mov_b32 s22, exec_lo
	v_cmpx_gt_u64_e64 s[6:7], v[0:1]
	s_cbranch_execz .LBB201_536
; %bb.538:                              ;   in Loop: Header=BB201_537 Depth=1
	v_add_co_u32 v8, vcc_lo, v0, s33
	v_add_co_ci_u32_e32 v9, vcc_lo, 0, v1, vcc_lo
	v_mov_b32_e32 v13, 0
	s_mov_b32 s0, exec_lo
	s_delay_alu instid0(VALU_DEP_2)
	v_cmpx_gt_u64_e64 s[36:37], v[8:9]
	s_cbranch_execz .LBB201_540
; %bb.539:                              ;   in Loop: Header=BB201_537 Depth=1
	global_load_b32 v13, v[4:5], off
.LBB201_540:                            ;   in Loop: Header=BB201_537 Depth=1
	s_or_b32 exec_lo, exec_lo, s0
	s_waitcnt vmcnt(0)
	v_cmp_lt_i32_e32 vcc_lo, -1, v12
	v_cndmask_b32_e64 v2, -1, 0x80000000, vcc_lo
	v_cmp_o_f32_e32 vcc_lo, v12, v12
	s_delay_alu instid0(VALU_DEP_2) | instskip(NEXT) | instid1(VALU_DEP_1)
	v_xor_b32_e32 v2, v2, v12
	v_cndmask_b32_e32 v2, -1, v2, vcc_lo
	v_cmp_gt_u64_e32 vcc_lo, s[36:37], v[0:1]
	s_delay_alu instid0(VALU_DEP_2) | instskip(NEXT) | instid1(VALU_DEP_1)
	v_cmp_eq_u32_e64 s0, v2, v16
	s_and_b32 s24, vcc_lo, s0
	s_delay_alu instid0(SALU_CYCLE_1) | instskip(NEXT) | instid1(VALU_DEP_1)
	v_cndmask_b32_e64 v2, 0, 1, s24
	v_cmp_ne_u32_e32 vcc_lo, 0, v2
	s_cmp_lg_u32 vcc_lo, 0
	s_cselect_b32 s0, -1, 0
	s_delay_alu instid0(SALU_CYCLE_1) | instskip(NEXT) | instid1(SALU_CYCLE_1)
	s_and_b32 s0, s2, s0
	s_and_saveexec_b32 s23, s0
	s_cbranch_execz .LBB201_544
; %bb.541:                              ;   in Loop: Header=BB201_537 Depth=1
	s_mov_b32 s27, exec_lo
	s_bcnt1_i32_b32 s25, vcc_lo
	v_mbcnt_lo_u32_b32 v10, s27, 0
	s_mov_b32 s26, exec_lo
                                        ; implicit-def: $vgpr6_vgpr7
	s_delay_alu instid0(VALU_DEP_1)
	v_cmpx_eq_u32_e32 0, v10
	s_cbranch_execz .LBB201_543
; %bb.542:                              ;   in Loop: Header=BB201_537 Depth=1
	s_bcnt1_i32_b32 s0, s27
	s_delay_alu instid0(SALU_CYCLE_1) | instskip(NEXT) | instid1(SALU_CYCLE_1)
	s_mul_i32 s0, s25, s0
	v_mov_b32_e32 v2, s0
	ds_add_rtn_u64 v[6:7], v3, v[2:3] offset:5136
.LBB201_543:                            ;   in Loop: Header=BB201_537 Depth=1
	s_or_b32 exec_lo, exec_lo, s26
	s_waitcnt lgkmcnt(0)
	v_readfirstlane_b32 s27, v7
	v_readfirstlane_b32 s26, v6
	s_delay_alu instid0(VALU_DEP_1)
	v_mad_u64_u32 v[6:7], null, s25, v10, s[26:27]
.LBB201_544:                            ;   in Loop: Header=BB201_537 Depth=1
	s_or_b32 exec_lo, exec_lo, s23
	ds_bpermute_b32 v6, v3, v6
	ds_bpermute_b32 v7, v3, v7
	s_cmp_eq_u32 vcc_lo, 0
	s_mov_b32 s23, -1
	s_cselect_b32 s25, -1, 0
	s_mov_b32 s26, -1
	s_waitcnt lgkmcnt(0)
	v_cmp_gt_u64_e64 s0, s[38:39], v[6:7]
	s_delay_alu instid0(VALU_DEP_1) | instskip(SKIP_3) | instid1(SALU_CYCLE_1)
	s_or_b32 s0, s25, s0
	s_mov_b32 s25, -1
	v_cndmask_b32_e64 v2, v12, v13, s0
	s_and_b32 s27, s24, s0
	s_and_saveexec_b32 s24, s27
	s_cbranch_execz .LBB201_550
; %bb.545:                              ;   in Loop: Header=BB201_537 Depth=1
	v_and_b32_e32 v2, vcc_lo, v43
	v_sub_co_u32 v10, vcc_lo, s38, v6
	v_sub_co_ci_u32_e32 v11, vcc_lo, s39, v7, vcc_lo
	s_delay_alu instid0(VALU_DEP_3) | instskip(SKIP_2) | instid1(VALU_DEP_1)
	v_bcnt_u32_b32 v2, v2, 0
	s_mov_b32 s27, -1
	s_mov_b32 s26, exec_lo
	v_cmp_le_u64_e64 s25, v[10:11], v[2:3]
	v_cmpx_gt_u64_e64 v[10:11], v[2:3]
	s_cbranch_execz .LBB201_549
; %bb.546:                              ;   in Loop: Header=BB201_537 Depth=1
	v_add_co_u32 v10, vcc_lo, v6, v2
	v_add_co_ci_u32_e32 v11, vcc_lo, 0, v7, vcc_lo
	s_delay_alu instid0(VALU_DEP_4) | instskip(SKIP_1) | instid1(VALU_DEP_1)
	s_mov_b32 s28, s25
	s_mov_b32 s27, exec_lo
	v_cmpx_gt_u64_e64 s[38:39], v[10:11]
	s_cbranch_execz .LBB201_548
; %bb.547:                              ;   in Loop: Header=BB201_537 Depth=1
	v_mul_lo_u32 v2, v11, s8
	v_mul_lo_u32 v19, v10, s9
	v_mad_u64_u32 v[14:15], null, v10, s8, 0
	v_mul_lo_u32 v11, v11, s10
	v_mul_lo_u32 v20, v10, s11
	v_mad_u64_u32 v[17:18], null, v10, s10, 0
	s_or_b32 s28, s25, exec_lo
	s_delay_alu instid0(VALU_DEP_4) | instskip(NEXT) | instid1(VALU_DEP_2)
	v_add3_u32 v15, v15, v19, v2
	v_add3_u32 v18, v18, v20, v11
	s_delay_alu instid0(VALU_DEP_2) | instskip(NEXT) | instid1(VALU_DEP_2)
	v_lshlrev_b64 v[10:11], 2, v[14:15]
	v_lshlrev_b64 v[14:15], 3, v[17:18]
	s_delay_alu instid0(VALU_DEP_2) | instskip(NEXT) | instid1(VALU_DEP_3)
	v_add_co_u32 v10, vcc_lo, s1, v10
	v_add_co_ci_u32_e32 v11, vcc_lo, s5, v11, vcc_lo
	s_delay_alu instid0(VALU_DEP_3) | instskip(NEXT) | instid1(VALU_DEP_4)
	v_add_co_u32 v14, vcc_lo, s16, v14
	v_add_co_ci_u32_e32 v15, vcc_lo, s17, v15, vcc_lo
	global_store_b32 v[10:11], v12, off
	global_store_b64 v[14:15], v[0:1], off
.LBB201_548:                            ;   in Loop: Header=BB201_537 Depth=1
	s_or_b32 exec_lo, exec_lo, s27
	s_delay_alu instid0(SALU_CYCLE_1)
	s_and_not1_b32 s25, s25, exec_lo
	s_and_b32 s28, s28, exec_lo
	s_xor_b32 s27, exec_lo, -1
	s_or_b32 s25, s25, s28
.LBB201_549:                            ;   in Loop: Header=BB201_537 Depth=1
	s_or_b32 exec_lo, exec_lo, s26
	v_mov_b32_e32 v2, v13
	s_or_not1_b32 s26, s27, exec_lo
	s_or_b32 s0, s0, exec_lo
	s_or_not1_b32 s25, s25, exec_lo
.LBB201_550:                            ;   in Loop: Header=BB201_537 Depth=1
	s_or_b32 exec_lo, exec_lo, s24
	s_and_saveexec_b32 s24, s25
	s_cbranch_execz .LBB201_535
; %bb.551:                              ;   in Loop: Header=BB201_537 Depth=1
	v_add_co_u32 v4, vcc_lo, v4, s34
	v_add_co_ci_u32_e32 v5, vcc_lo, s35, v5, vcc_lo
	s_xor_b32 s0, s0, -1
	s_or_b32 s26, s26, exec_lo
	s_or_not1_b32 s23, s0, exec_lo
	s_branch .LBB201_535
.LBB201_552:
	s_or_b32 exec_lo, exec_lo, s19
	s_mov_b32 s0, 0
	s_and_saveexec_b32 s1, s4
	s_delay_alu instid0(SALU_CYCLE_1)
	s_xor_b32 s1, exec_lo, s1
	s_cbranch_execnz .LBB201_584
.LBB201_553:
	s_or_b32 exec_lo, exec_lo, s1
	s_delay_alu instid0(SALU_CYCLE_1)
	s_and_b32 s19, s0, exec_lo
	s_and_not1_b32 s18, s18, exec_lo
.LBB201_554:
	s_or_b32 exec_lo, exec_lo, s3
	s_and_saveexec_b32 s0, s18
	s_delay_alu instid0(SALU_CYCLE_1)
	s_xor_b32 s0, exec_lo, s0
	s_cbranch_execnz .LBB201_580
.LBB201_555:
	s_or_b32 exec_lo, exec_lo, s0
	s_delay_alu instid0(SALU_CYCLE_1)
	s_and_b32 s8, s19, exec_lo
.LBB201_556:
	s_and_not1_saveexec_b32 s0, s15
	s_cbranch_execnz .LBB201_576
.LBB201_557:
	s_or_b32 exec_lo, exec_lo, s0
	s_delay_alu instid0(SALU_CYCLE_1)
	s_and_b32 s8, s8, exec_lo
.LBB201_558:
	s_and_not1_saveexec_b32 s0, s14
	s_cbranch_execnz .LBB201_572
.LBB201_559:
	s_or_b32 exec_lo, exec_lo, s0
	s_delay_alu instid0(SALU_CYCLE_1)
	s_and_b32 s8, s8, exec_lo
.LBB201_560:
	s_and_not1_saveexec_b32 s0, s13
	s_cbranch_execnz .LBB201_568
.LBB201_561:
	s_or_b32 exec_lo, exec_lo, s0
	s_delay_alu instid0(SALU_CYCLE_1)
	s_and_b32 s8, s8, exec_lo
.LBB201_562:
	s_and_not1_saveexec_b32 s0, s12
	s_cbranch_execnz .LBB201_566
; %bb.563:
	s_or_b32 exec_lo, exec_lo, s0
	s_and_saveexec_b32 s0, s8
.LBB201_564:
	; divergent unreachable
.LBB201_565:
	s_nop 0
	s_sendmsg sendmsg(MSG_DEALLOC_VGPRS)
	s_endpgm
.LBB201_566:
	s_cbranch_execnz .LBB201_570
; %bb.567:
	s_or_b32 s8, s8, exec_lo
	s_or_b32 exec_lo, exec_lo, s0
	s_and_saveexec_b32 s0, s8
	s_cbranch_execnz .LBB201_564
	s_branch .LBB201_565
.LBB201_568:
	s_cbranch_execnz .LBB201_574
; %bb.569:
	s_or_b32 s8, s8, exec_lo
	s_branch .LBB201_561
.LBB201_570:
	s_trap 2
	s_sendmsg_rtn_b32 s0, sendmsg(MSG_RTN_GET_DOORBELL)
	s_mov_b32 ttmp2, m0
	s_waitcnt lgkmcnt(0)
	s_and_b32 s0, s0, 0x3ff
	s_delay_alu instid0(SALU_CYCLE_1) | instskip(NEXT) | instid1(SALU_CYCLE_1)
	s_bitset1_b32 s0, 10
	s_mov_b32 m0, s0
	s_sendmsg sendmsg(MSG_INTERRUPT)
	s_mov_b32 m0, ttmp2
.LBB201_571:                            ; =>This Inner Loop Header: Depth=1
	s_sethalt 5
	s_branch .LBB201_571
.LBB201_572:
	s_cbranch_execnz .LBB201_578
; %bb.573:
	s_or_b32 s8, s8, exec_lo
	s_branch .LBB201_559
.LBB201_574:
	s_trap 2
	s_sendmsg_rtn_b32 s0, sendmsg(MSG_RTN_GET_DOORBELL)
	s_mov_b32 ttmp2, m0
	s_waitcnt lgkmcnt(0)
	s_and_b32 s0, s0, 0x3ff
	s_delay_alu instid0(SALU_CYCLE_1) | instskip(NEXT) | instid1(SALU_CYCLE_1)
	s_bitset1_b32 s0, 10
	s_mov_b32 m0, s0
	s_sendmsg sendmsg(MSG_INTERRUPT)
	s_mov_b32 m0, ttmp2
.LBB201_575:                            ; =>This Inner Loop Header: Depth=1
	s_sethalt 5
	s_branch .LBB201_575
.LBB201_576:
	s_cbranch_execnz .LBB201_582
; %bb.577:
	s_or_b32 s8, s8, exec_lo
	s_branch .LBB201_557
.LBB201_578:
	s_trap 2
	s_sendmsg_rtn_b32 s0, sendmsg(MSG_RTN_GET_DOORBELL)
	s_mov_b32 ttmp2, m0
	s_waitcnt lgkmcnt(0)
	s_and_b32 s0, s0, 0x3ff
	s_delay_alu instid0(SALU_CYCLE_1) | instskip(NEXT) | instid1(SALU_CYCLE_1)
	s_bitset1_b32 s0, 10
	s_mov_b32 m0, s0
	s_sendmsg sendmsg(MSG_INTERRUPT)
	s_mov_b32 m0, ttmp2
.LBB201_579:                            ; =>This Inner Loop Header: Depth=1
	s_sethalt 5
	s_branch .LBB201_579
.LBB201_580:
	s_cbranch_execnz .LBB201_586
; %bb.581:
	s_or_b32 s19, s19, exec_lo
	s_branch .LBB201_555
.LBB201_582:
	s_trap 2
	s_sendmsg_rtn_b32 s0, sendmsg(MSG_RTN_GET_DOORBELL)
	s_mov_b32 ttmp2, m0
	s_waitcnt lgkmcnt(0)
	s_and_b32 s0, s0, 0x3ff
	s_delay_alu instid0(SALU_CYCLE_1) | instskip(NEXT) | instid1(SALU_CYCLE_1)
	s_bitset1_b32 s0, 10
	s_mov_b32 m0, s0
	s_sendmsg sendmsg(MSG_INTERRUPT)
	s_mov_b32 m0, ttmp2
.LBB201_583:                            ; =>This Inner Loop Header: Depth=1
	s_sethalt 5
	s_branch .LBB201_583
.LBB201_584:
	s_cbranch_execnz .LBB201_588
; %bb.585:
	s_mov_b32 s0, exec_lo
	s_branch .LBB201_553
.LBB201_586:
	s_trap 2
	s_sendmsg_rtn_b32 s0, sendmsg(MSG_RTN_GET_DOORBELL)
	s_mov_b32 ttmp2, m0
	s_waitcnt lgkmcnt(0)
	s_and_b32 s0, s0, 0x3ff
	s_delay_alu instid0(SALU_CYCLE_1) | instskip(NEXT) | instid1(SALU_CYCLE_1)
	s_bitset1_b32 s0, 10
	s_mov_b32 m0, s0
	s_sendmsg sendmsg(MSG_INTERRUPT)
	s_mov_b32 m0, ttmp2
.LBB201_587:                            ; =>This Inner Loop Header: Depth=1
	s_sethalt 5
	s_branch .LBB201_587
.LBB201_588:
	s_trap 2
	s_sendmsg_rtn_b32 s0, sendmsg(MSG_RTN_GET_DOORBELL)
	s_mov_b32 ttmp2, m0
	s_waitcnt lgkmcnt(0)
	s_and_b32 s0, s0, 0x3ff
	s_delay_alu instid0(SALU_CYCLE_1) | instskip(NEXT) | instid1(SALU_CYCLE_1)
	s_bitset1_b32 s0, 10
	s_mov_b32 m0, s0
	s_sendmsg sendmsg(MSG_INTERRUPT)
	s_mov_b32 m0, ttmp2
.LBB201_589:                            ; =>This Inner Loop Header: Depth=1
	s_sethalt 5
	s_branch .LBB201_589
	.section	.rodata,"a",@progbits
	.p2align	6, 0x0
	.amdhsa_kernel _ZN2at6native6sbtopk10gatherTopKIfmLin1ELb0EEEvNS_4cuda6detail10TensorInfoIKT_T0_EES8_S8_bS8_S8_NS5_IS6_S8_EES8_NS5_IlS8_EES8_PS6_
		.amdhsa_group_segment_fixed_size 5152
		.amdhsa_private_segment_fixed_size 0
		.amdhsa_kernarg_size 1568
		.amdhsa_user_sgpr_count 13
		.amdhsa_user_sgpr_dispatch_ptr 0
		.amdhsa_user_sgpr_queue_ptr 0
		.amdhsa_user_sgpr_kernarg_segment_ptr 1
		.amdhsa_user_sgpr_dispatch_id 0
		.amdhsa_user_sgpr_private_segment_size 0
		.amdhsa_wavefront_size32 1
		.amdhsa_uses_dynamic_stack 0
		.amdhsa_enable_private_segment 0
		.amdhsa_system_sgpr_workgroup_id_x 1
		.amdhsa_system_sgpr_workgroup_id_y 1
		.amdhsa_system_sgpr_workgroup_id_z 1
		.amdhsa_system_sgpr_workgroup_info 0
		.amdhsa_system_vgpr_workitem_id 0
		.amdhsa_next_free_vgpr 52
		.amdhsa_next_free_sgpr 105
		.amdhsa_reserve_vcc 1
		.amdhsa_float_round_mode_32 0
		.amdhsa_float_round_mode_16_64 0
		.amdhsa_float_denorm_mode_32 3
		.amdhsa_float_denorm_mode_16_64 3
		.amdhsa_dx10_clamp 1
		.amdhsa_ieee_mode 1
		.amdhsa_fp16_overflow 0
		.amdhsa_workgroup_processor_mode 1
		.amdhsa_memory_ordered 1
		.amdhsa_forward_progress 0
		.amdhsa_shared_vgpr_count 0
		.amdhsa_exception_fp_ieee_invalid_op 0
		.amdhsa_exception_fp_denorm_src 0
		.amdhsa_exception_fp_ieee_div_zero 0
		.amdhsa_exception_fp_ieee_overflow 0
		.amdhsa_exception_fp_ieee_underflow 0
		.amdhsa_exception_fp_ieee_inexact 0
		.amdhsa_exception_int_div_zero 0
	.end_amdhsa_kernel
	.section	.text._ZN2at6native6sbtopk10gatherTopKIfmLin1ELb0EEEvNS_4cuda6detail10TensorInfoIKT_T0_EES8_S8_bS8_S8_NS5_IS6_S8_EES8_NS5_IlS8_EES8_PS6_,"axG",@progbits,_ZN2at6native6sbtopk10gatherTopKIfmLin1ELb0EEEvNS_4cuda6detail10TensorInfoIKT_T0_EES8_S8_bS8_S8_NS5_IS6_S8_EES8_NS5_IlS8_EES8_PS6_,comdat
.Lfunc_end201:
	.size	_ZN2at6native6sbtopk10gatherTopKIfmLin1ELb0EEEvNS_4cuda6detail10TensorInfoIKT_T0_EES8_S8_bS8_S8_NS5_IS6_S8_EES8_NS5_IlS8_EES8_PS6_, .Lfunc_end201-_ZN2at6native6sbtopk10gatherTopKIfmLin1ELb0EEEvNS_4cuda6detail10TensorInfoIKT_T0_EES8_S8_bS8_S8_NS5_IS6_S8_EES8_NS5_IlS8_EES8_PS6_
                                        ; -- End function
	.section	.AMDGPU.csdata,"",@progbits
; Kernel info:
; codeLenInByte = 32000
; NumSgprs: 107
; NumVgprs: 52
; ScratchSize: 0
; MemoryBound: 0
; FloatMode: 240
; IeeeMode: 1
; LDSByteSize: 5152 bytes/workgroup (compile time only)
; SGPRBlocks: 13
; VGPRBlocks: 6
; NumSGPRsForWavesPerEU: 107
; NumVGPRsForWavesPerEU: 52
; Occupancy: 16
; WaveLimiterHint : 1
; COMPUTE_PGM_RSRC2:SCRATCH_EN: 0
; COMPUTE_PGM_RSRC2:USER_SGPR: 13
; COMPUTE_PGM_RSRC2:TRAP_HANDLER: 0
; COMPUTE_PGM_RSRC2:TGID_X_EN: 1
; COMPUTE_PGM_RSRC2:TGID_Y_EN: 1
; COMPUTE_PGM_RSRC2:TGID_Z_EN: 1
; COMPUTE_PGM_RSRC2:TIDIG_COMP_CNT: 0
	.section	.text._ZN2at6native6mbtopk23computeBlockDigitCountsIN3c104HalfEmjLi1EEEvNS_4cuda6detail10TensorInfoIKT_T0_EEjPjjSA_iijT1_PSD_Ps,"axG",@progbits,_ZN2at6native6mbtopk23computeBlockDigitCountsIN3c104HalfEmjLi1EEEvNS_4cuda6detail10TensorInfoIKT_T0_EEjPjjSA_iijT1_PSD_Ps,comdat
	.protected	_ZN2at6native6mbtopk23computeBlockDigitCountsIN3c104HalfEmjLi1EEEvNS_4cuda6detail10TensorInfoIKT_T0_EEjPjjSA_iijT1_PSD_Ps ; -- Begin function _ZN2at6native6mbtopk23computeBlockDigitCountsIN3c104HalfEmjLi1EEEvNS_4cuda6detail10TensorInfoIKT_T0_EEjPjjSA_iijT1_PSD_Ps
	.globl	_ZN2at6native6mbtopk23computeBlockDigitCountsIN3c104HalfEmjLi1EEEvNS_4cuda6detail10TensorInfoIKT_T0_EEjPjjSA_iijT1_PSD_Ps
	.p2align	8
	.type	_ZN2at6native6mbtopk23computeBlockDigitCountsIN3c104HalfEmjLi1EEEvNS_4cuda6detail10TensorInfoIKT_T0_EEjPjjSA_iijT1_PSD_Ps,@function
_ZN2at6native6mbtopk23computeBlockDigitCountsIN3c104HalfEmjLi1EEEvNS_4cuda6detail10TensorInfoIKT_T0_EEjPjjSA_iijT1_PSD_Ps: ; @_ZN2at6native6mbtopk23computeBlockDigitCountsIN3c104HalfEmjLi1EEEvNS_4cuda6detail10TensorInfoIKT_T0_EEjPjjSA_iijT1_PSD_Ps
; %bb.0:
	s_clause 0x2
	s_load_b128 s[8:11], s[0:1], 0x1c0
	s_load_b32 s5, s[0:1], 0x1b0
	s_load_b64 s[2:3], s[0:1], 0x1e0
	s_waitcnt lgkmcnt(0)
	v_cvt_f32_u32_e32 v1, s10
	s_sub_i32 s6, 0, s10
	s_mul_i32 s3, s3, s15
	s_delay_alu instid0(SALU_CYCLE_1) | instskip(NEXT) | instid1(VALU_DEP_1)
	s_add_i32 s3, s3, s14
	v_rcp_iflag_f32_e32 v1, v1
	s_mul_i32 s14, s3, s2
	s_delay_alu instid0(SALU_CYCLE_1) | instskip(SKIP_3) | instid1(VALU_DEP_1)
	s_add_i32 s14, s14, s13
	s_mov_b32 s13, 0
	s_waitcnt_depctr 0xfff
	v_mul_f32_e32 v1, 0x4f7ffffe, v1
	v_cvt_u32_f32_e32 v1, v1
	s_delay_alu instid0(VALU_DEP_1) | instskip(NEXT) | instid1(VALU_DEP_1)
	v_readfirstlane_b32 s4, v1
	s_mul_i32 s6, s6, s4
	s_delay_alu instid0(SALU_CYCLE_1) | instskip(NEXT) | instid1(SALU_CYCLE_1)
	s_mul_hi_u32 s2, s4, s6
	s_add_i32 s4, s4, s2
	s_delay_alu instid0(SALU_CYCLE_1) | instskip(NEXT) | instid1(SALU_CYCLE_1)
	s_mul_hi_u32 s2, s14, s4
	s_mul_i32 s3, s2, s10
	s_add_i32 s4, s2, 1
	s_sub_i32 s3, s14, s3
	s_delay_alu instid0(SALU_CYCLE_1)
	s_sub_i32 s6, s3, s10
	s_cmp_ge_u32 s3, s10
	s_cselect_b32 s2, s4, s2
	s_cselect_b32 s3, s6, s3
	s_add_i32 s4, s2, 1
	s_cmp_ge_u32 s3, s10
	s_cselect_b32 s12, s4, s2
	s_delay_alu instid0(SALU_CYCLE_1)
	s_cmp_ge_u32 s12, s5
	s_cbranch_scc1 .LBB202_23
; %bb.1:
	s_load_b128 s[4:7], s[0:1], 0x1d0
	s_lshl_b64 s[2:3], s[12:13], 2
	v_cmp_gt_u32_e32 vcc_lo, 0x100, v0
	v_lshlrev_b32_e32 v1, 2, v0
	s_waitcnt lgkmcnt(0)
	s_add_u32 s4, s4, s2
	s_addc_u32 s5, s5, s3
	s_and_saveexec_b32 s2, vcc_lo
	s_cbranch_execz .LBB202_3
; %bb.2:
	v_mov_b32_e32 v2, 0
	ds_store_b32 v1, v2
.LBB202_3:
	s_or_b32 exec_lo, exec_lo, s2
	s_load_b32 s13, s[0:1], 0x1a0
	s_mul_i32 s2, s12, s10
	s_waitcnt lgkmcnt(0)
	s_sub_i32 s2, s14, s2
	s_barrier
	s_mul_i32 s3, s9, s2
	s_add_i32 s2, s2, 1
	s_lshl_b32 s16, s3, 8
	buffer_gl0_inv
	s_sub_i32 s3, s13, s16
	s_delay_alu instid0(SALU_CYCLE_1) | instskip(SKIP_4) | instid1(VALU_DEP_1)
	s_add_u32 s3, s3, 0xff
	s_addc_u32 s15, 0, 0
	s_cmp_lt_u32 s2, s10
	v_alignbit_b32 v2, s15, s3, 8
	s_mov_b32 s15, 0
	v_readfirstlane_b32 s3, v2
	s_delay_alu instid0(VALU_DEP_1) | instskip(NEXT) | instid1(SALU_CYCLE_1)
	s_cselect_b32 s9, s9, s3
	s_cmp_lt_i32 s9, 1
	s_cbranch_scc1 .LBB202_19
; %bb.4:
	s_clause 0x2
	s_load_b64 s[18:19], s[0:1], 0xd0
	s_load_b64 s[2:3], s[0:1], 0x1b8
	;; [unrolled: 1-line block ×3, first 2 shown]
	s_load_b32 s1, s[4:5], 0x0
	v_add_nc_u32_e32 v2, s16, v0
	s_waitcnt lgkmcnt(0)
	s_mul_i32 s0, s19, s12
	s_mul_hi_u32 s5, s18, s12
	s_mul_i32 s4, s18, s12
	s_add_i32 s5, s5, s0
	s_delay_alu instid0(SALU_CYCLE_1) | instskip(NEXT) | instid1(SALU_CYCLE_1)
	s_lshl_b64 s[18:19], s[4:5], 1
	s_add_u32 s5, s20, s18
	s_addc_u32 s10, s21, s19
	s_and_b32 s4, s8, 0xff
	s_cmp_eq_u32 s9, 1
	s_cbranch_scc1 .LBB202_14
; %bb.5:
	v_dual_mov_b32 v3, 1 :: v_dual_mov_b32 v4, 0x8000
	v_mov_b32_e32 v5, v2
	s_and_b32 s8, s9, 0x7ffffffe
	s_mov_b32 s12, 0
	s_branch .LBB202_7
.LBB202_6:                              ;   in Loop: Header=BB202_7 Depth=1
	s_or_b32 exec_lo, exec_lo, s15
	v_add_nc_u32_e32 v5, 0x200, v5
	s_add_i32 s12, s12, 2
	s_delay_alu instid0(SALU_CYCLE_1)
	s_cmp_eq_u32 s8, s12
	s_cbranch_scc1 .LBB202_13
.LBB202_7:                              ; =>This Inner Loop Header: Depth=1
	s_mov_b32 s15, exec_lo
	v_cmpx_gt_u32_e64 s13, v5
	s_cbranch_execz .LBB202_10
; %bb.8:                                ;   in Loop: Header=BB202_7 Depth=1
	v_mad_u64_u32 v[6:7], null, v5, s2, 0
	s_delay_alu instid0(VALU_DEP_1) | instskip(NEXT) | instid1(VALU_DEP_1)
	v_mad_u64_u32 v[8:9], null, v5, s3, v[7:8]
	v_mov_b32_e32 v7, v8
	s_delay_alu instid0(VALU_DEP_1) | instskip(NEXT) | instid1(VALU_DEP_1)
	v_lshlrev_b64 v[6:7], 1, v[6:7]
	v_add_co_u32 v6, s0, s5, v6
	s_delay_alu instid0(VALU_DEP_1) | instskip(SKIP_4) | instid1(VALU_DEP_2)
	v_add_co_ci_u32_e64 v7, s0, s10, v7, s0
	global_load_u16 v6, v[6:7], off
	s_waitcnt vmcnt(0)
	v_cmp_lt_i16_e64 s0, -1, v6
	v_and_b32_e32 v7, 0xffff, v6
	v_cndmask_b32_e64 v8, 0xffff, v4, s0
	v_cmp_o_f16_e64 s0, v6, v6
	s_delay_alu instid0(VALU_DEP_2) | instskip(NEXT) | instid1(VALU_DEP_1)
	v_xor_b32_e32 v7, v8, v7
	v_cndmask_b32_e64 v6, 0xffff, v7, s0
	s_delay_alu instid0(VALU_DEP_1) | instskip(NEXT) | instid1(VALU_DEP_1)
	v_xor_b32_e32 v7, s1, v6
	v_and_b32_e32 v7, s11, v7
	s_delay_alu instid0(VALU_DEP_1) | instskip(NEXT) | instid1(VALU_DEP_1)
	v_cmp_eq_u32_e64 s0, 0, v7
	s_and_b32 exec_lo, exec_lo, s0
	s_cbranch_execz .LBB202_10
; %bb.9:                                ;   in Loop: Header=BB202_7 Depth=1
	v_bfe_u32 v6, v6, s4, 8
	s_delay_alu instid0(VALU_DEP_1)
	v_lshlrev_b32_e32 v6, 2, v6
	ds_add_u32 v6, v3
.LBB202_10:                             ;   in Loop: Header=BB202_7 Depth=1
	s_or_b32 exec_lo, exec_lo, s15
	v_add_nc_u32_e32 v6, 0x100, v5
	s_mov_b32 s15, exec_lo
	s_delay_alu instid0(VALU_DEP_1)
	v_cmpx_gt_u32_e64 s13, v6
	s_cbranch_execz .LBB202_6
; %bb.11:                               ;   in Loop: Header=BB202_7 Depth=1
	v_mad_u64_u32 v[7:8], null, v6, s2, 0
	s_delay_alu instid0(VALU_DEP_1) | instskip(NEXT) | instid1(VALU_DEP_1)
	v_mad_u64_u32 v[9:10], null, v6, s3, v[8:9]
	v_mov_b32_e32 v8, v9
	s_delay_alu instid0(VALU_DEP_1) | instskip(NEXT) | instid1(VALU_DEP_1)
	v_lshlrev_b64 v[6:7], 1, v[7:8]
	v_add_co_u32 v6, s0, s5, v6
	s_delay_alu instid0(VALU_DEP_1) | instskip(SKIP_4) | instid1(VALU_DEP_1)
	v_add_co_ci_u32_e64 v7, s0, s10, v7, s0
	global_load_u16 v6, v[6:7], off
	s_waitcnt vmcnt(0)
	v_and_b32_e32 v7, 0xffff, v6
	v_cmp_lt_i16_e64 s0, -1, v6
	v_cndmask_b32_e64 v8, 0xffff, v4, s0
	v_cmp_o_f16_e64 s0, v6, v6
	s_delay_alu instid0(VALU_DEP_2) | instskip(NEXT) | instid1(VALU_DEP_1)
	v_xor_b32_e32 v7, v8, v7
	v_cndmask_b32_e64 v6, 0xffff, v7, s0
	s_delay_alu instid0(VALU_DEP_1) | instskip(NEXT) | instid1(VALU_DEP_1)
	v_xor_b32_e32 v7, s1, v6
	v_and_b32_e32 v7, s11, v7
	s_delay_alu instid0(VALU_DEP_1) | instskip(NEXT) | instid1(VALU_DEP_1)
	v_cmp_eq_u32_e64 s0, 0, v7
	s_and_b32 exec_lo, exec_lo, s0
	s_cbranch_execz .LBB202_6
; %bb.12:                               ;   in Loop: Header=BB202_7 Depth=1
	v_bfe_u32 v6, v6, s4, 8
	s_delay_alu instid0(VALU_DEP_1)
	v_lshlrev_b32_e32 v6, 2, v6
	ds_add_u32 v6, v3
	s_branch .LBB202_6
.LBB202_13:
	s_lshl_b32 s15, s8, 8
.LBB202_14:
	s_bitcmp0_b32 s9, 0
	s_cbranch_scc1 .LBB202_19
; %bb.15:
	v_add_nc_u32_e32 v2, s15, v2
	s_mov_b32 s8, exec_lo
	s_delay_alu instid0(VALU_DEP_1)
	v_cmpx_gt_u32_e64 s13, v2
	s_cbranch_execz .LBB202_18
; %bb.16:
	v_mad_u64_u32 v[3:4], null, v2, s2, 0
	s_delay_alu instid0(VALU_DEP_1) | instskip(NEXT) | instid1(VALU_DEP_1)
	v_mad_u64_u32 v[5:6], null, v2, s3, v[4:5]
	v_mov_b32_e32 v4, v5
	s_delay_alu instid0(VALU_DEP_1) | instskip(NEXT) | instid1(VALU_DEP_1)
	v_lshlrev_b64 v[2:3], 1, v[3:4]
	v_add_co_u32 v2, s0, s5, v2
	s_delay_alu instid0(VALU_DEP_1)
	v_add_co_ci_u32_e64 v3, s0, s10, v3, s0
	global_load_u16 v2, v[2:3], off
	v_mov_b32_e32 v3, 0x8000
	s_waitcnt vmcnt(0)
	v_cmp_lt_i16_e64 s0, -1, v2
	v_and_b32_e32 v4, 0xffff, v2
	s_delay_alu instid0(VALU_DEP_2) | instskip(SKIP_1) | instid1(VALU_DEP_2)
	v_cndmask_b32_e64 v3, 0xffff, v3, s0
	v_cmp_o_f16_e64 s0, v2, v2
	v_xor_b32_e32 v3, v3, v4
	s_delay_alu instid0(VALU_DEP_1) | instskip(NEXT) | instid1(VALU_DEP_1)
	v_cndmask_b32_e64 v2, 0xffff, v3, s0
	v_xor_b32_e32 v3, s1, v2
	s_delay_alu instid0(VALU_DEP_1) | instskip(NEXT) | instid1(VALU_DEP_1)
	v_and_b32_e32 v3, s11, v3
	v_cmp_eq_u32_e64 s0, 0, v3
	s_delay_alu instid0(VALU_DEP_1)
	s_and_b32 exec_lo, exec_lo, s0
	s_cbranch_execz .LBB202_18
; %bb.17:
	v_bfe_u32 v2, v2, s4, 8
	s_delay_alu instid0(VALU_DEP_1)
	v_dual_mov_b32 v3, 1 :: v_dual_lshlrev_b32 v2, 2, v2
	ds_add_u32 v2, v3
.LBB202_18:
	s_or_b32 exec_lo, exec_lo, s8
.LBB202_19:
	v_mov_b32_e32 v2, 0
	s_waitcnt lgkmcnt(0)
	s_barrier
	buffer_gl0_inv
	s_and_saveexec_b32 s0, vcc_lo
	s_cbranch_execz .LBB202_21
; %bb.20:
	ds_load_b32 v2, v1
.LBB202_21:
	s_or_b32 exec_lo, exec_lo, s0
	s_and_saveexec_b32 s0, vcc_lo
	s_cbranch_execz .LBB202_23
; %bb.22:
	v_lshl_or_b32 v0, s14, 8, v0
	v_mov_b32_e32 v1, 0
	s_delay_alu instid0(VALU_DEP_1) | instskip(NEXT) | instid1(VALU_DEP_1)
	v_lshlrev_b64 v[0:1], 1, v[0:1]
	v_add_co_u32 v0, vcc_lo, s6, v0
	s_delay_alu instid0(VALU_DEP_2)
	v_add_co_ci_u32_e32 v1, vcc_lo, s7, v1, vcc_lo
	s_waitcnt lgkmcnt(0)
	global_store_b16 v[0:1], v2, off
.LBB202_23:
	s_nop 0
	s_sendmsg sendmsg(MSG_DEALLOC_VGPRS)
	s_endpgm
	.section	.rodata,"a",@progbits
	.p2align	6, 0x0
	.amdhsa_kernel _ZN2at6native6mbtopk23computeBlockDigitCountsIN3c104HalfEmjLi1EEEvNS_4cuda6detail10TensorInfoIKT_T0_EEjPjjSA_iijT1_PSD_Ps
		.amdhsa_group_segment_fixed_size 1024
		.amdhsa_private_segment_fixed_size 0
		.amdhsa_kernarg_size 736
		.amdhsa_user_sgpr_count 13
		.amdhsa_user_sgpr_dispatch_ptr 0
		.amdhsa_user_sgpr_queue_ptr 0
		.amdhsa_user_sgpr_kernarg_segment_ptr 1
		.amdhsa_user_sgpr_dispatch_id 0
		.amdhsa_user_sgpr_private_segment_size 0
		.amdhsa_wavefront_size32 1
		.amdhsa_uses_dynamic_stack 0
		.amdhsa_enable_private_segment 0
		.amdhsa_system_sgpr_workgroup_id_x 1
		.amdhsa_system_sgpr_workgroup_id_y 1
		.amdhsa_system_sgpr_workgroup_id_z 1
		.amdhsa_system_sgpr_workgroup_info 0
		.amdhsa_system_vgpr_workitem_id 0
		.amdhsa_next_free_vgpr 11
		.amdhsa_next_free_sgpr 22
		.amdhsa_reserve_vcc 1
		.amdhsa_float_round_mode_32 0
		.amdhsa_float_round_mode_16_64 0
		.amdhsa_float_denorm_mode_32 3
		.amdhsa_float_denorm_mode_16_64 3
		.amdhsa_dx10_clamp 1
		.amdhsa_ieee_mode 1
		.amdhsa_fp16_overflow 0
		.amdhsa_workgroup_processor_mode 1
		.amdhsa_memory_ordered 1
		.amdhsa_forward_progress 0
		.amdhsa_shared_vgpr_count 0
		.amdhsa_exception_fp_ieee_invalid_op 0
		.amdhsa_exception_fp_denorm_src 0
		.amdhsa_exception_fp_ieee_div_zero 0
		.amdhsa_exception_fp_ieee_overflow 0
		.amdhsa_exception_fp_ieee_underflow 0
		.amdhsa_exception_fp_ieee_inexact 0
		.amdhsa_exception_int_div_zero 0
	.end_amdhsa_kernel
	.section	.text._ZN2at6native6mbtopk23computeBlockDigitCountsIN3c104HalfEmjLi1EEEvNS_4cuda6detail10TensorInfoIKT_T0_EEjPjjSA_iijT1_PSD_Ps,"axG",@progbits,_ZN2at6native6mbtopk23computeBlockDigitCountsIN3c104HalfEmjLi1EEEvNS_4cuda6detail10TensorInfoIKT_T0_EEjPjjSA_iijT1_PSD_Ps,comdat
.Lfunc_end202:
	.size	_ZN2at6native6mbtopk23computeBlockDigitCountsIN3c104HalfEmjLi1EEEvNS_4cuda6detail10TensorInfoIKT_T0_EEjPjjSA_iijT1_PSD_Ps, .Lfunc_end202-_ZN2at6native6mbtopk23computeBlockDigitCountsIN3c104HalfEmjLi1EEEvNS_4cuda6detail10TensorInfoIKT_T0_EEjPjjSA_iijT1_PSD_Ps
                                        ; -- End function
	.section	.AMDGPU.csdata,"",@progbits
; Kernel info:
; codeLenInByte = 1248
; NumSgprs: 24
; NumVgprs: 11
; ScratchSize: 0
; MemoryBound: 0
; FloatMode: 240
; IeeeMode: 1
; LDSByteSize: 1024 bytes/workgroup (compile time only)
; SGPRBlocks: 2
; VGPRBlocks: 1
; NumSGPRsForWavesPerEU: 24
; NumVGPRsForWavesPerEU: 11
; Occupancy: 16
; WaveLimiterHint : 1
; COMPUTE_PGM_RSRC2:SCRATCH_EN: 0
; COMPUTE_PGM_RSRC2:USER_SGPR: 13
; COMPUTE_PGM_RSRC2:TRAP_HANDLER: 0
; COMPUTE_PGM_RSRC2:TGID_X_EN: 1
; COMPUTE_PGM_RSRC2:TGID_Y_EN: 1
; COMPUTE_PGM_RSRC2:TGID_Z_EN: 1
; COMPUTE_PGM_RSRC2:TIDIG_COMP_CNT: 0
	.section	.text._ZN2at6native6mbtopk10gatherTopKIN3c104HalfEmLi1EEEvNS_4cuda6detail10TensorInfoIKT_T0_EESA_SA_bjSA_NS7_IS8_SA_EESA_NS7_IlSA_EESA_jjPS8_PjSF_j,"axG",@progbits,_ZN2at6native6mbtopk10gatherTopKIN3c104HalfEmLi1EEEvNS_4cuda6detail10TensorInfoIKT_T0_EESA_SA_bjSA_NS7_IS8_SA_EESA_NS7_IlSA_EESA_jjPS8_PjSF_j,comdat
	.protected	_ZN2at6native6mbtopk10gatherTopKIN3c104HalfEmLi1EEEvNS_4cuda6detail10TensorInfoIKT_T0_EESA_SA_bjSA_NS7_IS8_SA_EESA_NS7_IlSA_EESA_jjPS8_PjSF_j ; -- Begin function _ZN2at6native6mbtopk10gatherTopKIN3c104HalfEmLi1EEEvNS_4cuda6detail10TensorInfoIKT_T0_EESA_SA_bjSA_NS7_IS8_SA_EESA_NS7_IlSA_EESA_jjPS8_PjSF_j
	.globl	_ZN2at6native6mbtopk10gatherTopKIN3c104HalfEmLi1EEEvNS_4cuda6detail10TensorInfoIKT_T0_EESA_SA_bjSA_NS7_IS8_SA_EESA_NS7_IlSA_EESA_jjPS8_PjSF_j
	.p2align	8
	.type	_ZN2at6native6mbtopk10gatherTopKIN3c104HalfEmLi1EEEvNS_4cuda6detail10TensorInfoIKT_T0_EESA_SA_bjSA_NS7_IS8_SA_EESA_NS7_IlSA_EESA_jjPS8_PjSF_j,@function
_ZN2at6native6mbtopk10gatherTopKIN3c104HalfEmLi1EEEvNS_4cuda6detail10TensorInfoIKT_T0_EESA_SA_bjSA_NS7_IS8_SA_EESA_NS7_IlSA_EESA_jjPS8_PjSF_j: ; @_ZN2at6native6mbtopk10gatherTopKIN3c104HalfEmLi1EEEvNS_4cuda6detail10TensorInfoIKT_T0_EESA_SA_bjSA_NS7_IS8_SA_EESA_NS7_IlSA_EESA_jjPS8_PjSF_j
; %bb.0:
	s_clause 0x1
	s_load_b64 s[2:3], s[0:1], 0x538
	s_load_b32 s4, s[0:1], 0x530
	s_waitcnt lgkmcnt(0)
	s_mul_i32 s3, s3, s15
	s_delay_alu instid0(SALU_CYCLE_1) | instskip(NEXT) | instid1(SALU_CYCLE_1)
	s_add_i32 s3, s3, s14
	s_mul_i32 s2, s3, s2
	s_delay_alu instid0(SALU_CYCLE_1) | instskip(NEXT) | instid1(SALU_CYCLE_1)
	s_add_i32 s2, s2, s13
	s_cmp_ge_u32 s2, s4
	s_cbranch_scc1 .LBB203_42
; %bb.1:
	s_load_b64 s[16:17], s[0:1], 0x510
	s_mov_b32 s19, 0
	s_waitcnt lgkmcnt(0)
	v_cvt_f32_u32_e32 v1, s17
	s_sub_i32 s4, 0, s17
	s_lshl_b32 s33, s16, 8
	s_delay_alu instid0(VALU_DEP_1) | instskip(SKIP_2) | instid1(VALU_DEP_1)
	v_rcp_iflag_f32_e32 v1, v1
	s_waitcnt_depctr 0xfff
	v_mul_f32_e32 v1, 0x4f7ffffe, v1
	v_cvt_u32_f32_e32 v1, v1
	s_delay_alu instid0(VALU_DEP_1) | instskip(NEXT) | instid1(VALU_DEP_1)
	v_readfirstlane_b32 s3, v1
	s_mul_i32 s4, s4, s3
	s_delay_alu instid0(SALU_CYCLE_1) | instskip(NEXT) | instid1(SALU_CYCLE_1)
	s_mul_hi_u32 s4, s3, s4
	s_add_i32 s3, s3, s4
	s_load_b128 s[4:7], s[0:1], 0x1a0
	s_mul_hi_u32 s3, s2, s3
	s_delay_alu instid0(SALU_CYCLE_1) | instskip(SKIP_2) | instid1(SALU_CYCLE_1)
	s_mul_i32 s8, s3, s17
	s_add_i32 s9, s3, 1
	s_sub_i32 s8, s2, s8
	s_sub_i32 s10, s8, s17
	s_cmp_ge_u32 s8, s17
	s_cselect_b32 s3, s9, s3
	s_cselect_b32 s8, s10, s8
	s_add_i32 s9, s3, 1
	s_cmp_ge_u32 s8, s17
	s_cselect_b32 s18, s9, s3
	s_delay_alu instid0(SALU_CYCLE_1) | instskip(NEXT) | instid1(SALU_CYCLE_1)
	s_mul_i32 s24, s18, s17
	s_sub_i32 s36, s2, s24
	s_delay_alu instid0(SALU_CYCLE_1) | instskip(NEXT) | instid1(SALU_CYCLE_1)
	s_add_i32 s2, s36, 1
	s_cmp_lt_u32 s2, s17
	s_cbranch_scc1 .LBB203_3
; %bb.2:
	s_mul_i32 s2, s36, s33
	s_waitcnt lgkmcnt(0)
	s_sub_u32 s2, s4, s2
	s_subb_u32 s3, s5, 0
	s_add_u32 s2, s2, 0xff
	s_addc_u32 s3, s3, 0
	s_delay_alu instid0(SALU_CYCLE_1) | instskip(NEXT) | instid1(SALU_CYCLE_1)
	s_ashr_i32 s8, s3, 31
	s_lshr_b32 s8, s8, 24
	s_delay_alu instid0(SALU_CYCLE_1) | instskip(SKIP_1) | instid1(SALU_CYCLE_1)
	s_add_u32 s2, s2, s8
	s_addc_u32 s3, s3, 0
	v_alignbit_b32 v1, s3, s2, 8
	s_delay_alu instid0(VALU_DEP_1)
	v_readfirstlane_b32 s16, v1
.LBB203_3:
	s_load_b128 s[8:11], s[0:1], 0x518
	s_lshl_b64 s[2:3], s[18:19], 1
	v_mov_b32_e32 v1, 0
	s_waitcnt lgkmcnt(0)
	s_add_u32 s2, s8, s2
	s_addc_u32 s3, s9, s3
	global_load_u16 v1, v1, s[2:3]
	s_clause 0x3
	s_load_b64 s[22:23], s[0:1], 0x0
	s_load_b64 s[28:29], s[0:1], 0xd0
	;; [unrolled: 1-line block ×4, first 2 shown]
	v_cmp_ne_u32_e64 s2, 0, v0
	v_cmp_eq_u32_e64 s3, 0, v0
	s_waitcnt vmcnt(0)
	v_readfirstlane_b32 s37, v1
	s_delay_alu instid0(VALU_DEP_2)
	s_and_saveexec_b32 s19, s3
	s_cbranch_execz .LBB203_19
; %bb.4:
	s_load_b64 s[8:9], s[0:1], 0x528
	s_mov_b32 s25, 0
	s_mov_b32 s38, 0
	s_lshl_b64 s[30:31], s[24:25], 2
	s_mov_b32 s24, 0
	s_add_u32 s12, s10, s30
	s_addc_u32 s13, s11, s31
	s_waitcnt lgkmcnt(0)
	s_add_u32 s14, s8, s30
	s_addc_u32 s15, s9, s31
	s_cmp_lt_u32 s17, 4
	s_cbranch_scc1 .LBB203_16
; %bb.5:
	s_mov_b32 s39, 0
.LBB203_6:                              ; =>This Inner Loop Header: Depth=1
	s_add_u32 s12, s10, s30
	s_addc_u32 s13, s11, s31
	s_add_u32 s34, s8, s30
	s_load_b128 s[12:15], s[12:13], 0x0
	s_addc_u32 s35, s9, s31
	s_cmp_ge_u32 s39, s36
	s_cbranch_scc0 .LBB203_13
; %bb.7:                                ;   in Loop: Header=BB203_6 Depth=1
	s_add_i32 s40, s39, 1
	s_delay_alu instid0(SALU_CYCLE_1)
	s_cmp_ge_u32 s40, s36
	s_cbranch_scc0 .LBB203_14
.LBB203_8:                              ;   in Loop: Header=BB203_6 Depth=1
	s_add_i32 s40, s40, 1
	s_delay_alu instid0(SALU_CYCLE_1)
	s_cmp_ge_u32 s40, s36
	s_cbranch_scc0 .LBB203_15
.LBB203_9:                              ;   in Loop: Header=BB203_6 Depth=1
	s_add_i32 s40, s40, 1
	s_delay_alu instid0(SALU_CYCLE_1)
	s_cmp_ge_u32 s40, s36
	s_cbranch_scc1 .LBB203_11
.LBB203_10:                             ;   in Loop: Header=BB203_6 Depth=1
	s_load_b32 s34, s[34:35], 0xc
	s_waitcnt lgkmcnt(0)
	s_add_i32 s25, s25, s15
	s_add_i32 s24, s34, s24
.LBB203_11:                             ;   in Loop: Header=BB203_6 Depth=1
	s_waitcnt lgkmcnt(0)
	s_add_i32 s12, s12, s38
	s_delay_alu instid0(SALU_CYCLE_1) | instskip(NEXT) | instid1(SALU_CYCLE_1)
	s_add_i32 s12, s12, s13
	s_add_i32 s12, s12, s14
	s_delay_alu instid0(SALU_CYCLE_1)
	s_add_i32 s38, s12, s15
	s_add_u32 s10, s10, 16
	s_addc_u32 s11, s11, 0
	s_add_u32 s8, s8, 16
	s_addc_u32 s9, s9, 0
	s_add_i32 s35, s40, 4
	s_add_u32 s14, s8, s30
	s_addc_u32 s15, s9, s31
	s_add_u32 s12, s10, s30
	s_addc_u32 s13, s11, s31
	s_add_i32 s34, s40, 1
	s_cmp_ge_u32 s35, s17
	s_cbranch_scc1 .LBB203_17
; %bb.12:                               ;   in Loop: Header=BB203_6 Depth=1
	s_mov_b32 s39, s34
	s_branch .LBB203_6
.LBB203_13:                             ;   in Loop: Header=BB203_6 Depth=1
	s_load_b32 s40, s[34:35], 0x0
	s_waitcnt lgkmcnt(0)
	s_add_i32 s25, s12, s25
	s_add_i32 s24, s40, s24
	;; [unrolled: 1-line block ×3, first 2 shown]
	s_delay_alu instid0(SALU_CYCLE_1)
	s_cmp_ge_u32 s40, s36
	s_cbranch_scc1 .LBB203_8
.LBB203_14:                             ;   in Loop: Header=BB203_6 Depth=1
	s_load_b32 s41, s[34:35], 0x4
	s_waitcnt lgkmcnt(0)
	s_add_i32 s25, s25, s13
	s_add_i32 s24, s41, s24
	;; [unrolled: 1-line block ×3, first 2 shown]
	s_delay_alu instid0(SALU_CYCLE_1)
	s_cmp_ge_u32 s40, s36
	s_cbranch_scc1 .LBB203_9
.LBB203_15:                             ;   in Loop: Header=BB203_6 Depth=1
	s_load_b32 s41, s[34:35], 0x8
	s_waitcnt lgkmcnt(0)
	s_add_i32 s25, s25, s14
	s_add_i32 s24, s41, s24
	;; [unrolled: 1-line block ×3, first 2 shown]
	s_delay_alu instid0(SALU_CYCLE_1)
	s_cmp_ge_u32 s40, s36
	s_cbranch_scc0 .LBB203_10
	s_branch .LBB203_11
.LBB203_16:
	s_mov_b32 s8, 0
	s_delay_alu instid0(SALU_CYCLE_1)
	s_cmp_ge_u32 s8, s17
	s_cbranch_scc0 .LBB203_40
	s_branch .LBB203_18
.LBB203_17:
	s_add_i32 s8, s39, 4
	s_delay_alu instid0(SALU_CYCLE_1)
	s_cmp_ge_u32 s8, s17
	s_cbranch_scc0 .LBB203_40
.LBB203_18:
	v_dual_mov_b32 v1, s24 :: v_dual_mov_b32 v2, s38
	v_dual_mov_b32 v3, s25 :: v_dual_mov_b32 v4, 0
	ds_store_b96 v4, v[1:3] offset:1056
.LBB203_19:
	s_or_b32 exec_lo, exec_lo, s19
	s_clause 0x1
	s_load_b128 s[8:11], s[0:1], 0x1b8
	s_load_b128 s[12:15], s[0:1], 0x360
	s_cmp_eq_u32 s16, 0
	s_waitcnt lgkmcnt(0)
	s_barrier
	buffer_gl0_inv
	s_cbranch_scc1 .LBB203_42
; %bb.20:
	v_dual_mov_b32 v5, 0 :: v_dual_add_nc_u32 v10, -1, v0
	s_mul_i32 s17, s29, s18
	s_mul_hi_u32 s19, s28, s18
	s_mul_i32 s24, s28, s18
	s_add_i32 s25, s19, s17
	s_mul_i32 s17, s27, s18
	s_mul_hi_u32 s19, s26, s18
	ds_load_b96 v[1:3], v5 offset:1056
	s_add_i32 s27, s19, s17
	s_mul_i32 s17, s21, s18
	s_mul_hi_u32 s19, s20, s18
	s_lshl_b64 s[24:25], s[24:25], 1
	s_mul_i32 s26, s26, s18
	s_add_i32 s29, s19, s17
	s_add_u32 s17, s22, s24
	s_addc_u32 s19, s23, s25
	s_lshl_b64 s[22:23], s[26:27], 1
	s_mul_i32 s28, s20, s18
	s_add_u32 s18, s10, s22
	s_addc_u32 s20, s11, s23
	s_lshl_b64 s[10:11], s[28:29], 3
	v_cmp_o_f16_e64 s21, s37, s37
	s_add_u32 s14, s14, s10
	s_sext_i32_i16 s10, s37
	s_addc_u32 s15, s15, s11
	s_and_b32 s11, 0xffff, s37
	s_cmp_gt_i32 s10, -1
	s_mov_b32 s10, 0x8000
	s_load_b32 s22, s[0:1], 0x1b0
	s_cselect_b32 s10, s10, 0xffff
	s_waitcnt lgkmcnt(0)
	v_dual_mov_b32 v14, 0x8000 :: v_dual_add_nc_u32 v1, v1, v2
	s_xor_b32 s10, s10, s11
	s_and_b32 s11, s21, exec_lo
	s_cselect_b32 s21, s10, 0xffff
	s_load_b64 s[10:11], s[0:1], 0x508
	v_lshrrev_b32_e32 v4, 5, v0
	v_mad_u64_u32 v[6:7], null, s36, s33, v[0:1]
	v_lshlrev_b32_e32 v2, 3, v0
	v_lshrrev_b32_e32 v11, 5, v10
	s_delay_alu instid0(VALU_DEP_4) | instskip(SKIP_4) | instid1(VALU_DEP_4)
	v_add_lshl_u32 v8, v4, v0, 2
	v_lshrrev_b32_e32 v4, 2, v0
	v_mbcnt_lo_u32_b32 v9, -1, 0
	v_cmp_gt_u32_e64 s0, 32, v0
	v_add_lshl_u32 v10, v11, v10, 2
                                        ; implicit-def: $vgpr15
	v_add_lshl_u32 v0, v4, v2, 2
	s_delay_alu instid0(VALU_DEP_4)
	v_dual_mov_b32 v4, v6 :: v_dual_and_b32 v11, 15, v9
	v_bfe_i32 v12, v9, 4, 1
	v_add_nc_u32_e32 v13, -1, v9
	s_bitcmp1_b32 s22, 0
	s_cselect_b32 s1, -1, 0
	s_branch .LBB203_23
.LBB203_21:                             ;   in Loop: Header=BB203_23 Depth=1
	s_or_b32 exec_lo, exec_lo, s22
	v_add_nc_u32_e32 v1, v2, v1
.LBB203_22:                             ;   in Loop: Header=BB203_23 Depth=1
	v_add_nc_u32_e32 v3, v16, v3
	v_add_nc_u32_e32 v4, 0x100, v4
	s_add_i32 s16, s16, -1
	s_delay_alu instid0(SALU_CYCLE_1)
	s_cmp_lg_u32 s16, 0
	s_cbranch_scc0 .LBB203_42
.LBB203_23:                             ; =>This Inner Loop Header: Depth=1
	v_mov_b32_e32 v2, v5
	v_mov_b32_e32 v6, v5
	s_mov_b32 s22, exec_lo
	v_cmpx_gt_u64_e64 s[4:5], v[4:5]
	s_cbranch_execz .LBB203_25
; %bb.24:                               ;   in Loop: Header=BB203_23 Depth=1
	v_mad_u64_u32 v[6:7], null, v4, s8, 0
	s_delay_alu instid0(VALU_DEP_1) | instskip(NEXT) | instid1(VALU_DEP_1)
	v_mov_b32_e32 v2, v7
	v_mad_u64_u32 v[15:16], null, v4, s9, v[2:3]
	s_delay_alu instid0(VALU_DEP_1) | instskip(NEXT) | instid1(VALU_DEP_1)
	v_mov_b32_e32 v7, v15
	v_lshlrev_b64 v[6:7], 1, v[6:7]
	s_delay_alu instid0(VALU_DEP_1) | instskip(NEXT) | instid1(VALU_DEP_2)
	v_add_co_u32 v6, vcc_lo, s17, v6
	v_add_co_ci_u32_e32 v7, vcc_lo, s19, v7, vcc_lo
	global_load_u16 v15, v[6:7], off
	s_waitcnt vmcnt(0)
	v_and_b32_e32 v2, 0xffff, v15
	v_cmp_lt_i16_e32 vcc_lo, -1, v15
	v_cndmask_b32_e32 v6, 0xffff, v14, vcc_lo
	v_cmp_o_f16_e32 vcc_lo, v15, v15
	s_delay_alu instid0(VALU_DEP_2) | instskip(NEXT) | instid1(VALU_DEP_1)
	v_xor_b32_e32 v2, v6, v2
	v_cndmask_b32_e32 v6, 0xffff, v2, vcc_lo
	s_delay_alu instid0(VALU_DEP_1) | instskip(SKIP_4) | instid1(VALU_DEP_2)
	v_cmp_lt_u32_e32 vcc_lo, s21, v6
	v_cndmask_b32_e64 v2, 0, 1, vcc_lo
	v_cmp_gt_u32_e32 vcc_lo, s21, v6
	v_cndmask_b32_e64 v7, 0, 1, vcc_lo
	v_cmp_eq_u32_e32 vcc_lo, s21, v6
	v_cndmask_b32_e64 v2, v7, v2, s1
	v_cndmask_b32_e64 v6, 0, 1, vcc_lo
	s_delay_alu instid0(VALU_DEP_2)
	v_and_b32_e32 v2, 1, v2
.LBB203_25:                             ;   in Loop: Header=BB203_23 Depth=1
	s_or_b32 exec_lo, exec_lo, s22
	ds_store_b32 v8, v2
	s_waitcnt lgkmcnt(0)
	s_waitcnt_vscnt null, 0x0
	s_barrier
	buffer_gl0_inv
	s_and_saveexec_b32 s22, s0
	s_cbranch_execz .LBB203_27
; %bb.26:                               ;   in Loop: Header=BB203_23 Depth=1
	ds_load_2addr_b32 v[16:17], v0 offset1:1
	ds_load_2addr_b32 v[18:19], v0 offset0:2 offset1:3
	ds_load_2addr_b32 v[20:21], v0 offset0:4 offset1:5
	;; [unrolled: 1-line block ×3, first 2 shown]
	v_cmp_ne_u32_e32 vcc_lo, 0, v11
	; wave barrier
	s_waitcnt lgkmcnt(3)
	v_add_nc_u32_e32 v7, v17, v16
	s_waitcnt lgkmcnt(2)
	s_delay_alu instid0(VALU_DEP_1) | instskip(SKIP_1) | instid1(VALU_DEP_1)
	v_add3_u32 v7, v7, v18, v19
	s_waitcnt lgkmcnt(1)
	v_add3_u32 v7, v7, v20, v21
	s_waitcnt lgkmcnt(0)
	s_delay_alu instid0(VALU_DEP_1) | instskip(NEXT) | instid1(VALU_DEP_1)
	v_add3_u32 v7, v7, v22, v23
	v_mov_b32_dpp v17, v7 row_shr:1 row_mask:0xf bank_mask:0xf
	s_delay_alu instid0(VALU_DEP_1) | instskip(SKIP_1) | instid1(VALU_DEP_2)
	v_cndmask_b32_e32 v17, 0, v17, vcc_lo
	v_cmp_lt_u32_e32 vcc_lo, 1, v11
	v_add_nc_u32_e32 v7, v17, v7
	s_delay_alu instid0(VALU_DEP_1) | instskip(NEXT) | instid1(VALU_DEP_1)
	v_mov_b32_dpp v17, v7 row_shr:2 row_mask:0xf bank_mask:0xf
	v_cndmask_b32_e32 v17, 0, v17, vcc_lo
	v_cmp_lt_u32_e32 vcc_lo, 3, v11
	s_delay_alu instid0(VALU_DEP_2) | instskip(NEXT) | instid1(VALU_DEP_1)
	v_add_nc_u32_e32 v7, v7, v17
	v_mov_b32_dpp v17, v7 row_shr:4 row_mask:0xf bank_mask:0xf
	s_delay_alu instid0(VALU_DEP_1) | instskip(SKIP_1) | instid1(VALU_DEP_2)
	v_cndmask_b32_e32 v17, 0, v17, vcc_lo
	v_cmp_lt_u32_e32 vcc_lo, 7, v11
	v_add_nc_u32_e32 v7, v7, v17
	s_delay_alu instid0(VALU_DEP_1) | instskip(NEXT) | instid1(VALU_DEP_1)
	v_mov_b32_dpp v17, v7 row_shr:8 row_mask:0xf bank_mask:0xf
	v_cndmask_b32_e32 v17, 0, v17, vcc_lo
	v_cmp_gt_i32_e32 vcc_lo, 0, v13
	s_delay_alu instid0(VALU_DEP_2)
	v_add_nc_u32_e32 v7, v7, v17
	v_cndmask_b32_e32 v18, v13, v9, vcc_lo
	ds_swizzle_b32 v17, v7 offset:swizzle(BROADCAST,32,15)
	v_lshlrev_b32_e32 v18, 2, v18
	s_waitcnt lgkmcnt(0)
	v_and_b32_e32 v17, v12, v17
	s_delay_alu instid0(VALU_DEP_1) | instskip(SKIP_3) | instid1(VALU_DEP_1)
	v_add_nc_u32_e32 v7, v7, v17
	ds_bpermute_b32 v7, v18, v7
	s_waitcnt lgkmcnt(0)
	v_add_nc_u32_e32 v7, v7, v16
	v_cndmask_b32_e64 v7, v7, v2, s3
	ds_store_b32 v0, v7
	; wave barrier
	ds_load_2addr_b32 v[16:17], v0 offset0:1 offset1:2
	ds_load_2addr_b32 v[18:19], v0 offset0:3 offset1:4
	;; [unrolled: 1-line block ×3, first 2 shown]
	ds_load_b32 v22, v0 offset:28
	s_waitcnt lgkmcnt(3)
	v_add_nc_u32_e32 v7, v16, v7
	s_delay_alu instid0(VALU_DEP_1) | instskip(SKIP_1) | instid1(VALU_DEP_1)
	v_add_nc_u32_e32 v16, v17, v7
	s_waitcnt lgkmcnt(2)
	v_add_nc_u32_e32 v17, v18, v16
	s_delay_alu instid0(VALU_DEP_1) | instskip(SKIP_1) | instid1(VALU_DEP_1)
	v_add_nc_u32_e32 v18, v19, v17
	;; [unrolled: 4-line block ×3, first 2 shown]
	s_waitcnt lgkmcnt(0)
	v_add_nc_u32_e32 v21, v22, v20
	ds_store_2addr_b32 v0, v7, v16 offset0:1 offset1:2
	ds_store_2addr_b32 v0, v17, v18 offset0:3 offset1:4
	;; [unrolled: 1-line block ×3, first 2 shown]
	ds_store_b32 v0, v21 offset:28
.LBB203_27:                             ;   in Loop: Header=BB203_23 Depth=1
	s_or_b32 exec_lo, exec_lo, s22
	v_mov_b32_e32 v7, 0
	s_waitcnt lgkmcnt(0)
	s_barrier
	buffer_gl0_inv
	s_and_saveexec_b32 s22, s2
	s_cbranch_execz .LBB203_29
; %bb.28:                               ;   in Loop: Header=BB203_23 Depth=1
	ds_load_b32 v7, v10
.LBB203_29:                             ;   in Loop: Header=BB203_23 Depth=1
	s_or_b32 exec_lo, exec_lo, s22
	ds_load_b32 v16, v5 offset:1048
	s_mov_b32 s22, exec_lo
	s_waitcnt lgkmcnt(0)
	s_barrier
	buffer_gl0_inv
	v_cmpx_ne_u32_e32 0, v2
	s_cbranch_execz .LBB203_31
; %bb.30:                               ;   in Loop: Header=BB203_23 Depth=1
	v_add_nc_u32_e32 v23, v7, v3
	s_delay_alu instid0(VALU_DEP_1) | instskip(NEXT) | instid1(VALU_DEP_1)
	v_mad_u64_u32 v[17:18], null, v23, s12, 0
	v_mov_b32_e32 v2, v18
	v_mad_u64_u32 v[19:20], null, v23, s10, 0
	s_delay_alu instid0(VALU_DEP_1) | instskip(NEXT) | instid1(VALU_DEP_3)
	v_mov_b32_e32 v7, v20
	v_mad_u64_u32 v[20:21], null, v23, s13, v[2:3]
	s_delay_alu instid0(VALU_DEP_2) | instskip(NEXT) | instid1(VALU_DEP_2)
	v_mad_u64_u32 v[21:22], null, v23, s11, v[7:8]
	v_mov_b32_e32 v18, v20
	s_delay_alu instid0(VALU_DEP_2) | instskip(NEXT) | instid1(VALU_DEP_2)
	v_mov_b32_e32 v20, v21
	v_lshlrev_b64 v[17:18], 1, v[17:18]
	s_delay_alu instid0(VALU_DEP_2) | instskip(NEXT) | instid1(VALU_DEP_2)
	v_lshlrev_b64 v[19:20], 3, v[19:20]
	v_add_co_u32 v17, vcc_lo, s18, v17
	s_delay_alu instid0(VALU_DEP_3) | instskip(NEXT) | instid1(VALU_DEP_3)
	v_add_co_ci_u32_e32 v18, vcc_lo, s20, v18, vcc_lo
	v_add_co_u32 v19, vcc_lo, s14, v19
	s_delay_alu instid0(VALU_DEP_4)
	v_add_co_ci_u32_e32 v20, vcc_lo, s15, v20, vcc_lo
	global_store_b16 v[17:18], v15, off
	global_store_b64 v[19:20], v[4:5], off
.LBB203_31:                             ;   in Loop: Header=BB203_23 Depth=1
	s_or_b32 exec_lo, exec_lo, s22
	v_mov_b32_e32 v2, v5
	s_delay_alu instid0(VALU_DEP_1)
	v_cmp_le_u64_e32 vcc_lo, s[6:7], v[1:2]
	s_cbranch_vccnz .LBB203_22
; %bb.32:                               ;   in Loop: Header=BB203_23 Depth=1
	ds_store_b32 v8, v6
	s_waitcnt lgkmcnt(0)
	s_waitcnt_vscnt null, 0x0
	s_barrier
	buffer_gl0_inv
	s_and_saveexec_b32 s22, s0
	s_cbranch_execz .LBB203_34
; %bb.33:                               ;   in Loop: Header=BB203_23 Depth=1
	ds_load_2addr_b32 v[17:18], v0 offset1:1
	ds_load_2addr_b32 v[19:20], v0 offset0:2 offset1:3
	ds_load_2addr_b32 v[21:22], v0 offset0:4 offset1:5
	;; [unrolled: 1-line block ×3, first 2 shown]
	v_cmp_ne_u32_e32 vcc_lo, 0, v11
	; wave barrier
	s_waitcnt lgkmcnt(3)
	v_add_nc_u32_e32 v2, v18, v17
	s_waitcnt lgkmcnt(2)
	s_delay_alu instid0(VALU_DEP_1) | instskip(SKIP_1) | instid1(VALU_DEP_1)
	v_add3_u32 v2, v2, v19, v20
	s_waitcnt lgkmcnt(1)
	v_add3_u32 v2, v2, v21, v22
	s_waitcnt lgkmcnt(0)
	s_delay_alu instid0(VALU_DEP_1) | instskip(NEXT) | instid1(VALU_DEP_1)
	v_add3_u32 v2, v2, v23, v24
	v_mov_b32_dpp v7, v2 row_shr:1 row_mask:0xf bank_mask:0xf
	s_delay_alu instid0(VALU_DEP_1) | instskip(SKIP_1) | instid1(VALU_DEP_2)
	v_cndmask_b32_e32 v7, 0, v7, vcc_lo
	v_cmp_lt_u32_e32 vcc_lo, 1, v11
	v_add_nc_u32_e32 v2, v7, v2
	s_delay_alu instid0(VALU_DEP_1) | instskip(NEXT) | instid1(VALU_DEP_1)
	v_mov_b32_dpp v7, v2 row_shr:2 row_mask:0xf bank_mask:0xf
	v_cndmask_b32_e32 v7, 0, v7, vcc_lo
	v_cmp_lt_u32_e32 vcc_lo, 3, v11
	s_delay_alu instid0(VALU_DEP_2) | instskip(NEXT) | instid1(VALU_DEP_1)
	v_add_nc_u32_e32 v2, v2, v7
	v_mov_b32_dpp v7, v2 row_shr:4 row_mask:0xf bank_mask:0xf
	s_delay_alu instid0(VALU_DEP_1) | instskip(SKIP_1) | instid1(VALU_DEP_2)
	v_cndmask_b32_e32 v7, 0, v7, vcc_lo
	v_cmp_lt_u32_e32 vcc_lo, 7, v11
	v_add_nc_u32_e32 v2, v2, v7
	s_delay_alu instid0(VALU_DEP_1) | instskip(NEXT) | instid1(VALU_DEP_1)
	v_mov_b32_dpp v7, v2 row_shr:8 row_mask:0xf bank_mask:0xf
	v_cndmask_b32_e32 v7, 0, v7, vcc_lo
	v_cmp_gt_i32_e32 vcc_lo, 0, v13
	v_cndmask_b32_e32 v18, v13, v9, vcc_lo
	s_delay_alu instid0(VALU_DEP_1) | instskip(NEXT) | instid1(VALU_DEP_4)
	v_lshlrev_b32_e32 v18, 2, v18
	v_add_nc_u32_e32 v2, v2, v7
	ds_swizzle_b32 v7, v2 offset:swizzle(BROADCAST,32,15)
	s_waitcnt lgkmcnt(0)
	v_and_b32_e32 v7, v12, v7
	s_delay_alu instid0(VALU_DEP_1) | instskip(SKIP_3) | instid1(VALU_DEP_1)
	v_add_nc_u32_e32 v2, v2, v7
	ds_bpermute_b32 v2, v18, v2
	s_waitcnt lgkmcnt(0)
	v_add_nc_u32_e32 v2, v2, v17
	v_cndmask_b32_e64 v2, v2, v6, s3
	ds_store_b32 v0, v2
	; wave barrier
	ds_load_2addr_b32 v[17:18], v0 offset0:1 offset1:2
	ds_load_2addr_b32 v[19:20], v0 offset0:3 offset1:4
	;; [unrolled: 1-line block ×3, first 2 shown]
	ds_load_b32 v7, v0 offset:28
	s_waitcnt lgkmcnt(3)
	v_add_nc_u32_e32 v2, v17, v2
	s_delay_alu instid0(VALU_DEP_1) | instskip(SKIP_1) | instid1(VALU_DEP_1)
	v_add_nc_u32_e32 v17, v18, v2
	s_waitcnt lgkmcnt(2)
	v_add_nc_u32_e32 v18, v19, v17
	s_delay_alu instid0(VALU_DEP_1) | instskip(SKIP_1) | instid1(VALU_DEP_1)
	v_add_nc_u32_e32 v19, v20, v18
	;; [unrolled: 4-line block ×3, first 2 shown]
	s_waitcnt lgkmcnt(0)
	v_add_nc_u32_e32 v7, v7, v21
	ds_store_2addr_b32 v0, v2, v17 offset0:1 offset1:2
	ds_store_2addr_b32 v0, v18, v19 offset0:3 offset1:4
	;; [unrolled: 1-line block ×3, first 2 shown]
	ds_store_b32 v0, v7 offset:28
.LBB203_34:                             ;   in Loop: Header=BB203_23 Depth=1
	s_or_b32 exec_lo, exec_lo, s22
	v_mov_b32_e32 v7, 0
	s_waitcnt lgkmcnt(0)
	s_barrier
	buffer_gl0_inv
	s_and_saveexec_b32 s22, s2
	s_cbranch_execz .LBB203_36
; %bb.35:                               ;   in Loop: Header=BB203_23 Depth=1
	ds_load_b32 v7, v10
.LBB203_36:                             ;   in Loop: Header=BB203_23 Depth=1
	s_or_b32 exec_lo, exec_lo, s22
	ds_load_b32 v2, v5 offset:1048
	s_mov_b32 s22, exec_lo
	s_waitcnt lgkmcnt(0)
	s_barrier
	buffer_gl0_inv
	v_cmpx_ne_u32_e32 0, v6
	s_cbranch_execz .LBB203_21
; %bb.37:                               ;   in Loop: Header=BB203_23 Depth=1
	v_dual_mov_b32 v7, v5 :: v_dual_add_nc_u32 v6, v7, v1
	s_delay_alu instid0(VALU_DEP_1)
	v_cmp_gt_u64_e32 vcc_lo, s[6:7], v[6:7]
	s_and_b32 exec_lo, exec_lo, vcc_lo
	s_cbranch_execz .LBB203_21
; %bb.38:                               ;   in Loop: Header=BB203_23 Depth=1
	v_mad_u64_u32 v[17:18], null, v6, s12, 0
	v_mad_u64_u32 v[19:20], null, v6, s10, 0
	s_delay_alu instid0(VALU_DEP_1) | instskip(NEXT) | instid1(VALU_DEP_1)
	v_dual_mov_b32 v7, v18 :: v_dual_mov_b32 v18, v20
	v_mad_u64_u32 v[20:21], null, v6, s13, v[7:8]
	s_delay_alu instid0(VALU_DEP_2) | instskip(NEXT) | instid1(VALU_DEP_2)
	v_mad_u64_u32 v[21:22], null, v6, s11, v[18:19]
	v_mov_b32_e32 v18, v20
	s_delay_alu instid0(VALU_DEP_2) | instskip(NEXT) | instid1(VALU_DEP_2)
	v_mov_b32_e32 v20, v21
	v_lshlrev_b64 v[6:7], 1, v[17:18]
	s_delay_alu instid0(VALU_DEP_2) | instskip(NEXT) | instid1(VALU_DEP_2)
	v_lshlrev_b64 v[17:18], 3, v[19:20]
	v_add_co_u32 v6, vcc_lo, s18, v6
	s_delay_alu instid0(VALU_DEP_3) | instskip(NEXT) | instid1(VALU_DEP_3)
	v_add_co_ci_u32_e32 v7, vcc_lo, s20, v7, vcc_lo
	v_add_co_u32 v17, vcc_lo, s14, v17
	s_delay_alu instid0(VALU_DEP_4)
	v_add_co_ci_u32_e32 v18, vcc_lo, s15, v18, vcc_lo
	global_store_b16 v[6:7], v15, off
	global_store_b64 v[17:18], v[4:5], off
	s_branch .LBB203_21
	.p2align	6
.LBB203_39:                             ;   in Loop: Header=BB203_40 Depth=1
	s_add_u32 s12, s12, 4
	s_addc_u32 s13, s13, 0
	s_waitcnt lgkmcnt(0)
	s_add_i32 s38, s9, s38
	s_add_u32 s14, s14, 4
	s_addc_u32 s15, s15, 0
	s_add_i32 s8, s8, 1
	s_delay_alu instid0(SALU_CYCLE_1)
	s_cmp_lt_u32 s8, s17
	s_cbranch_scc0 .LBB203_18
.LBB203_40:                             ; =>This Inner Loop Header: Depth=1
	s_load_b32 s9, s[12:13], 0x0
	s_cmp_ge_u32 s8, s36
	s_cbranch_scc1 .LBB203_39
; %bb.41:                               ;   in Loop: Header=BB203_40 Depth=1
	s_load_b32 s10, s[14:15], 0x0
	s_waitcnt lgkmcnt(0)
	s_add_i32 s25, s9, s25
	s_add_i32 s24, s10, s24
	s_branch .LBB203_39
.LBB203_42:
	s_nop 0
	s_sendmsg sendmsg(MSG_DEALLOC_VGPRS)
	s_endpgm
	.section	.rodata,"a",@progbits
	.p2align	6, 0x0
	.amdhsa_kernel _ZN2at6native6mbtopk10gatherTopKIN3c104HalfEmLi1EEEvNS_4cuda6detail10TensorInfoIKT_T0_EESA_SA_bjSA_NS7_IS8_SA_EESA_NS7_IlSA_EESA_jjPS8_PjSF_j
		.amdhsa_group_segment_fixed_size 1068
		.amdhsa_private_segment_fixed_size 0
		.amdhsa_kernarg_size 1592
		.amdhsa_user_sgpr_count 13
		.amdhsa_user_sgpr_dispatch_ptr 0
		.amdhsa_user_sgpr_queue_ptr 0
		.amdhsa_user_sgpr_kernarg_segment_ptr 1
		.amdhsa_user_sgpr_dispatch_id 0
		.amdhsa_user_sgpr_private_segment_size 0
		.amdhsa_wavefront_size32 1
		.amdhsa_uses_dynamic_stack 0
		.amdhsa_enable_private_segment 0
		.amdhsa_system_sgpr_workgroup_id_x 1
		.amdhsa_system_sgpr_workgroup_id_y 1
		.amdhsa_system_sgpr_workgroup_id_z 1
		.amdhsa_system_sgpr_workgroup_info 0
		.amdhsa_system_vgpr_workitem_id 0
		.amdhsa_next_free_vgpr 25
		.amdhsa_next_free_sgpr 42
		.amdhsa_reserve_vcc 1
		.amdhsa_float_round_mode_32 0
		.amdhsa_float_round_mode_16_64 0
		.amdhsa_float_denorm_mode_32 3
		.amdhsa_float_denorm_mode_16_64 3
		.amdhsa_dx10_clamp 1
		.amdhsa_ieee_mode 1
		.amdhsa_fp16_overflow 0
		.amdhsa_workgroup_processor_mode 1
		.amdhsa_memory_ordered 1
		.amdhsa_forward_progress 0
		.amdhsa_shared_vgpr_count 0
		.amdhsa_exception_fp_ieee_invalid_op 0
		.amdhsa_exception_fp_denorm_src 0
		.amdhsa_exception_fp_ieee_div_zero 0
		.amdhsa_exception_fp_ieee_overflow 0
		.amdhsa_exception_fp_ieee_underflow 0
		.amdhsa_exception_fp_ieee_inexact 0
		.amdhsa_exception_int_div_zero 0
	.end_amdhsa_kernel
	.section	.text._ZN2at6native6mbtopk10gatherTopKIN3c104HalfEmLi1EEEvNS_4cuda6detail10TensorInfoIKT_T0_EESA_SA_bjSA_NS7_IS8_SA_EESA_NS7_IlSA_EESA_jjPS8_PjSF_j,"axG",@progbits,_ZN2at6native6mbtopk10gatherTopKIN3c104HalfEmLi1EEEvNS_4cuda6detail10TensorInfoIKT_T0_EESA_SA_bjSA_NS7_IS8_SA_EESA_NS7_IlSA_EESA_jjPS8_PjSF_j,comdat
.Lfunc_end203:
	.size	_ZN2at6native6mbtopk10gatherTopKIN3c104HalfEmLi1EEEvNS_4cuda6detail10TensorInfoIKT_T0_EESA_SA_bjSA_NS7_IS8_SA_EESA_NS7_IlSA_EESA_jjPS8_PjSF_j, .Lfunc_end203-_ZN2at6native6mbtopk10gatherTopKIN3c104HalfEmLi1EEEvNS_4cuda6detail10TensorInfoIKT_T0_EESA_SA_bjSA_NS7_IS8_SA_EESA_NS7_IlSA_EESA_jjPS8_PjSF_j
                                        ; -- End function
	.section	.AMDGPU.csdata,"",@progbits
; Kernel info:
; codeLenInByte = 2760
; NumSgprs: 44
; NumVgprs: 25
; ScratchSize: 0
; MemoryBound: 0
; FloatMode: 240
; IeeeMode: 1
; LDSByteSize: 1068 bytes/workgroup (compile time only)
; SGPRBlocks: 5
; VGPRBlocks: 3
; NumSGPRsForWavesPerEU: 44
; NumVGPRsForWavesPerEU: 25
; Occupancy: 16
; WaveLimiterHint : 1
; COMPUTE_PGM_RSRC2:SCRATCH_EN: 0
; COMPUTE_PGM_RSRC2:USER_SGPR: 13
; COMPUTE_PGM_RSRC2:TRAP_HANDLER: 0
; COMPUTE_PGM_RSRC2:TGID_X_EN: 1
; COMPUTE_PGM_RSRC2:TGID_Y_EN: 1
; COMPUTE_PGM_RSRC2:TGID_Z_EN: 1
; COMPUTE_PGM_RSRC2:TIDIG_COMP_CNT: 0
	.section	.text._ZN2at6native6sbtopk10gatherTopKIN3c104HalfEmLi1ELb0EEEvNS_4cuda6detail10TensorInfoIKT_T0_EESA_SA_bSA_SA_NS7_IS8_SA_EESA_NS7_IlSA_EESA_PS8_,"axG",@progbits,_ZN2at6native6sbtopk10gatherTopKIN3c104HalfEmLi1ELb0EEEvNS_4cuda6detail10TensorInfoIKT_T0_EESA_SA_bSA_SA_NS7_IS8_SA_EESA_NS7_IlSA_EESA_PS8_,comdat
	.protected	_ZN2at6native6sbtopk10gatherTopKIN3c104HalfEmLi1ELb0EEEvNS_4cuda6detail10TensorInfoIKT_T0_EESA_SA_bSA_SA_NS7_IS8_SA_EESA_NS7_IlSA_EESA_PS8_ ; -- Begin function _ZN2at6native6sbtopk10gatherTopKIN3c104HalfEmLi1ELb0EEEvNS_4cuda6detail10TensorInfoIKT_T0_EESA_SA_bSA_SA_NS7_IS8_SA_EESA_NS7_IlSA_EESA_PS8_
	.globl	_ZN2at6native6sbtopk10gatherTopKIN3c104HalfEmLi1ELb0EEEvNS_4cuda6detail10TensorInfoIKT_T0_EESA_SA_bSA_SA_NS7_IS8_SA_EESA_NS7_IlSA_EESA_PS8_
	.p2align	8
	.type	_ZN2at6native6sbtopk10gatherTopKIN3c104HalfEmLi1ELb0EEEvNS_4cuda6detail10TensorInfoIKT_T0_EESA_SA_bSA_SA_NS7_IS8_SA_EESA_NS7_IlSA_EESA_PS8_,@function
_ZN2at6native6sbtopk10gatherTopKIN3c104HalfEmLi1ELb0EEEvNS_4cuda6detail10TensorInfoIKT_T0_EESA_SA_bSA_SA_NS7_IS8_SA_EESA_NS7_IlSA_EESA_PS8_: ; @_ZN2at6native6sbtopk10gatherTopKIN3c104HalfEmLi1ELb0EEEvNS_4cuda6detail10TensorInfoIKT_T0_EESA_SA_bSA_SA_NS7_IS8_SA_EESA_NS7_IlSA_EESA_PS8_
; %bb.0:
	s_clause 0x1
	s_load_b64 s[10:11], s[0:1], 0x520
	s_load_b128 s[36:39], s[0:1], 0x1b8
	s_add_u32 s8, s0, 0x520
	s_addc_u32 s9, s1, 0
	s_mov_b32 s43, 0
	s_waitcnt lgkmcnt(0)
	s_mul_i32 s2, s11, s15
	s_delay_alu instid0(SALU_CYCLE_1) | instskip(NEXT) | instid1(SALU_CYCLE_1)
	s_add_i32 s2, s2, s14
	s_mul_i32 s2, s2, s10
	s_delay_alu instid0(SALU_CYCLE_1) | instskip(NEXT) | instid1(SALU_CYCLE_1)
	s_add_i32 s42, s2, s13
	v_cmp_ge_u64_e64 s2, s[42:43], s[36:37]
	s_delay_alu instid0(VALU_DEP_1)
	s_and_b32 vcc_lo, exec_lo, s2
	s_cbranch_vccnz .LBB204_537
; %bb.1:
	s_clause 0x1
	s_load_b64 s[46:47], s[0:1], 0x440
	s_load_b64 s[2:3], s[0:1], 0x370
                                        ; implicit-def: $vgpr45 : SGPR spill to VGPR lane
	v_cmp_eq_u32_e64 s5, 0, v0
	s_waitcnt lgkmcnt(0)
	v_writelane_b32 v45, s2, 0
	v_writelane_b32 v45, s3, 1
	s_clause 0x2
	s_load_b64 s[50:51], s[0:1], 0x298
	s_load_b128 s[28:31], s[0:1], 0x1a0
	s_load_b64 s[2:3], s[0:1], 0x1c8
	s_waitcnt lgkmcnt(0)
	v_writelane_b32 v45, s2, 2
	v_writelane_b32 v45, s3, 3
	s_clause 0x1
	s_load_b64 s[2:3], s[0:1], 0xd0
	s_load_b64 s[36:37], s[0:1], 0x0
	s_and_saveexec_b32 s4, s5
	s_cbranch_execz .LBB204_3
; %bb.2:
	v_dual_mov_b32 v1, 0 :: v_dual_mov_b32 v4, s29
	s_delay_alu instid0(VALU_DEP_1)
	v_dual_mov_b32 v3, s28 :: v_dual_mov_b32 v2, v1
	ds_store_b32 v1, v1 offset:5144
	ds_store_b128 v1, v[1:4] offset:5120
.LBB204_3:
	s_or_b32 exec_lo, exec_lo, s4
	v_mad_u64_u32 v[2:3], null, v0, s38, 0
	s_load_b32 s6, s[0:1], 0x1b0
	s_waitcnt lgkmcnt(0)
	s_mul_i32 s3, s3, s42
	s_mul_hi_u32 s4, s2, s42
	v_mbcnt_lo_u32_b32 v30, -1, 0
	s_mul_i32 s2, s2, s42
	s_add_i32 s3, s4, s3
	v_dual_mov_b32 v1, v3 :: v_dual_lshlrev_b32 v14, 2, v0
	s_lshl_b64 s[40:41], s[2:3], 1
	v_cmp_gt_u32_e32 vcc_lo, 32, v0
	v_cmp_gt_i32_e64 s3, 4, v30
	s_delay_alu instid0(VALU_DEP_3)
	v_mad_u64_u32 v[3:4], null, v0, s39, v[1:2]
	s_add_u32 s54, s36, s40
	s_addc_u32 s55, s37, s41
	s_barrier
	buffer_gl0_inv
	s_load_b32 s7, s[8:9], 0xc
	v_lshlrev_b64 v[4:5], 1, v[2:3]
	s_bitcmp1_b32 s6, 0
	v_cmp_lt_u64_e64 s43, 0x600, s[28:29]
	s_cselect_b32 s4, -1, 0
	s_and_b32 s74, vcc_lo, s3
	s_xor_b32 s75, s4, -1
	v_add_co_u32 v10, vcc_lo, s54, v4
	v_lshrrev_b32_e32 v4, 3, v0
	v_mov_b32_e32 v13, 0
	v_add_co_ci_u32_e32 v11, vcc_lo, s55, v5, vcc_lo
	v_lshlrev_b32_e32 v34, 3, v0
	s_delay_alu instid0(VALU_DEP_3) | instskip(SKIP_2) | instid1(VALU_DEP_4)
	v_dual_mov_b32 v1, v13 :: v_dual_and_b32 v32, 0x7c, v4
	v_lshlrev_b64 v[4:5], v30, -1
	v_mov_b32_e32 v23, s30
	v_or_b32_e32 v9, 6, v34
	v_or_b32_e32 v12, 4, v34
	;; [unrolled: 1-line block ×3, first 2 shown]
	s_waitcnt lgkmcnt(0)
	s_and_b32 s33, s7, 0xffff
	v_not_b32_e32 v29, v4
	v_mad_u64_u32 v[16:17], null, s38, v9, 0
	v_mad_u64_u32 v[18:19], null, s38, v12, 0
	v_lshlrev_b32_e32 v31, 1, v0
	v_mad_u64_u32 v[20:21], null, s38, v22, 0
	s_bfe_u32 s11, s7, 0xb0005
	s_delay_alu instid0(VALU_DEP_4) | instskip(NEXT) | instid1(VALU_DEP_4)
	v_mov_b32_e32 v4, v17
	v_dual_mov_b32 v40, 0 :: v_dual_mov_b32 v5, v19
	s_add_u32 s76, s33, -1
	s_addc_u32 s77, 0, -1
	s_delay_alu instid0(VALU_DEP_3) | instskip(NEXT) | instid1(VALU_DEP_2)
	v_dual_mov_b32 v6, v21 :: v_dual_add_nc_u32 v33, 0xc00, v31
	v_mad_u64_u32 v[7:8], null, s39, v9, v[4:5]
	s_add_u32 s78, s76, s28
	s_addc_u32 s27, s77, s29
	s_cmp_lt_u32 s13, s10
	v_mad_u64_u32 v[8:9], null, s39, v12, v[5:6]
	s_cselect_b32 s10, 12, 18
	s_delay_alu instid0(VALU_DEP_2)
	v_mad_u64_u32 v[4:5], null, s39, v22, v[6:7]
	s_add_u32 s56, s8, s10
	s_addc_u32 s57, s9, 0
	s_add_i32 s8, s11, -1
	s_bfe_u32 s79, s33, 0x30005
	s_cmp_gt_u32 s8, 6
	v_cmp_gt_u64_e64 s3, s[28:29], v[0:1]
	s_cselect_b32 s80, -1, 0
	s_and_b32 s81, s11, 0x7f8
	s_cmp_lg_u32 s79, 0
	v_cmp_gt_u16_e64 s82, s7, 31
	v_lshlrev_b64 v[21:22], 3, v[2:3]
	s_mul_i32 s7, s39, s33
	s_mul_hi_u32 s8, s38, s33
	v_cmp_eq_u32_e64 s2, 0, v30
	v_dual_mov_b32 v15, v13 :: v_dual_mov_b32 v24, s31
	v_cmp_gt_u32_e64 s6, 2, v0
	v_dual_mov_b32 v17, v7 :: v_dual_mov_b32 v38, 0
	v_mov_b32_e32 v19, v8
	v_mov_b32_e32 v35, v4
	v_lshl_or_b32 v36, v30, 3, 0xc00
	v_mov_b32_e32 v37, 0x8000
	v_mov_b32_e32 v39, 0
	s_cselect_b32 s83, -1, 0
	s_add_i32 s9, s8, s7
	s_mul_i32 s8, s38, s33
	s_mov_b32 s53, 0
	s_lshl_b64 s[58:59], s[38:39], 1
	s_lshl_b64 s[60:61], s[38:39], 3
	s_lshl_b32 s84, s33, 1
	s_lshl_b64 s[34:35], s[8:9], 1
	s_mov_b32 s85, 14
	s_movk_i32 s87, 0x3c00
	s_mov_b32 s86, 0
	s_mov_b32 s89, 0
                                        ; implicit-def: $sgpr88
                                        ; implicit-def: $sgpr92
                                        ; implicit-def: $sgpr91
                                        ; implicit-def: $sgpr93
                                        ; implicit-def: $sgpr90
                                        ; implicit-def: $sgpr94
                                        ; implicit-def: $sgpr96
                                        ; implicit-def: $sgpr95
                                        ; implicit-def: $sgpr97
                                        ; implicit-def: $sgpr98
	s_branch .LBB204_6
.LBB204_4:                              ;   in Loop: Header=BB204_6 Depth=1
	s_or_b32 exec_lo, exec_lo, s10
	v_dual_mov_b32 v38, v26 :: v_dual_mov_b32 v39, v25
	v_dual_mov_b32 v24, v3 :: v_dual_mov_b32 v23, v2
	v_mov_b32_e32 v40, v6
	s_and_not1_b32 s10, s98, exec_lo
	s_and_b32 s9, s9, exec_lo
	s_and_not1_b32 s97, s97, exec_lo
	s_or_b32 s98, s10, s9
	s_and_not1_b32 s95, s95, exec_lo
	s_and_not1_b32 s96, s96, exec_lo
	;; [unrolled: 1-line block ×3, first 2 shown]
	s_or_not1_b32 s8, s8, exec_lo
.LBB204_5:                              ;   in Loop: Header=BB204_6 Depth=1
	s_or_b32 exec_lo, exec_lo, s7
	s_delay_alu instid0(SALU_CYCLE_1) | instskip(NEXT) | instid1(SALU_CYCLE_1)
	s_and_b32 s7, exec_lo, s8
	s_or_b32 s86, s7, s86
	s_and_not1_b32 s7, s90, exec_lo
	s_and_b32 s8, s98, exec_lo
	s_and_not1_b32 s9, s93, exec_lo
	s_or_b32 s90, s7, s8
	s_and_b32 s7, s97, exec_lo
	s_and_not1_b32 s8, s91, exec_lo
	s_and_b32 s10, s95, exec_lo
	s_or_b32 s93, s9, s7
	s_or_b32 s91, s8, s10
	s_and_not1_b32 s7, s92, exec_lo
	s_and_b32 s8, s96, exec_lo
	s_and_not1_b32 s9, s88, exec_lo
	s_and_b32 s10, s94, exec_lo
	s_or_b32 s92, s7, s8
	s_or_b32 s88, s9, s10
	s_and_not1_b32 exec_lo, exec_lo, s86
	s_cbranch_execz .LBB204_475
.LBB204_6:                              ; =>This Loop Header: Depth=1
                                        ;     Child Loop BB204_11 Depth 2
                                        ;     Child Loop BB204_29 Depth 2
	;; [unrolled: 1-line block ×24, first 2 shown]
	ds_load_b128 v[2:5], v13 offset:5120
	s_waitcnt lgkmcnt(0)
	v_readfirstlane_b32 s63, v3
	v_readfirstlane_b32 s62, v2
	s_delay_alu instid0(VALU_DEP_1)
	s_cmp_lg_u64 s[62:63], 0
	s_cbranch_scc1 .LBB204_36
; %bb.7:                                ;   in Loop: Header=BB204_6 Depth=1
	s_and_b32 vcc_lo, exec_lo, s43
	s_cbranch_vccz .LBB204_19
; %bb.8:                                ;   in Loop: Header=BB204_6 Depth=1
	v_cmp_gt_u64_e32 vcc_lo, 0x601, v[4:5]
	s_mov_b32 s9, 0
	s_mov_b32 s7, 0
	s_cbranch_vccz .LBB204_20
; %bb.9:                                ;   in Loop: Header=BB204_6 Depth=1
	global_load_u16 v6, v13, s[56:57]
	global_load_u16 v7, v[10:11], off
	s_mov_b32 s11, 0
	s_waitcnt vmcnt(1)
	v_readfirstlane_b32 s7, v6
	v_and_b32_e32 v6, 0xffff, v6
	s_delay_alu instid0(VALU_DEP_2) | instskip(NEXT) | instid1(SALU_CYCLE_1)
	s_and_b32 s7, 0xffff, s7
	v_add_nc_u32_e32 v8, s7, v0
	s_mul_i32 s8, s59, s7
	s_mul_hi_u32 s10, s58, s7
	s_mul_i32 s12, s58, s7
	s_add_i32 s10, s10, s8
	v_mad_u64_u32 v[2:3], null, s58, v8, s[54:55]
	s_delay_alu instid0(VALU_DEP_1) | instskip(NEXT) | instid1(VALU_DEP_1)
	v_mad_u64_u32 v[4:5], null, s59, v8, v[3:4]
	v_mov_b32_e32 v3, v4
	v_dual_mov_b32 v5, v1 :: v_dual_mov_b32 v4, v0
	s_branch .LBB204_11
.LBB204_10:                             ;   in Loop: Header=BB204_11 Depth=2
	s_or_b32 exec_lo, exec_lo, s8
	v_add_co_u32 v2, vcc_lo, v2, s12
	v_add_co_ci_u32_e32 v3, vcc_lo, s10, v3, vcc_lo
	v_mov_b32_e32 v7, v8
	s_and_not1_b32 exec_lo, exec_lo, s11
	s_cbranch_execz .LBB204_21
.LBB204_11:                             ;   Parent Loop BB204_6 Depth=1
                                        ; =>  This Inner Loop Header: Depth=2
	s_delay_alu instid0(VALU_DEP_1) | instskip(NEXT) | instid1(VALU_DEP_2)
	v_add_co_u32 v4, vcc_lo, v4, v6
	v_add_co_ci_u32_e32 v5, vcc_lo, 0, v5, vcc_lo
	s_waitcnt lgkmcnt(0)
	v_dual_mov_b32 v9, 0 :: v_dual_mov_b32 v8, 0
	s_mov_b32 s8, exec_lo
	s_delay_alu instid0(VALU_DEP_2)
	v_cmp_le_u64_e32 vcc_lo, s[28:29], v[4:5]
	v_cmpx_gt_u64_e64 s[28:29], v[4:5]
	s_cbranch_execz .LBB204_13
; %bb.12:                               ;   in Loop: Header=BB204_11 Depth=2
	global_load_u16 v8, v[2:3], off
.LBB204_13:                             ;   in Loop: Header=BB204_11 Depth=2
	s_or_b32 exec_lo, exec_lo, s8
	s_waitcnt vmcnt(0)
	v_cmp_lt_i16_e64 s7, -1, v7
	v_and_b32_e32 v12, 0xffff, v7
	s_delay_alu instid0(VALU_DEP_2) | instskip(SKIP_1) | instid1(VALU_DEP_2)
	v_cndmask_b32_e64 v25, 0xffff, v37, s7
	v_cmp_o_f16_e64 s7, v7, v7
	v_xor_b32_e32 v12, v25, v12
	s_delay_alu instid0(VALU_DEP_1) | instskip(NEXT) | instid1(VALU_DEP_1)
	v_cndmask_b32_e64 v12, 0xffff, v12, s7
	v_and_b32_e32 v12, v12, v38
	s_delay_alu instid0(VALU_DEP_1) | instskip(NEXT) | instid1(VALU_DEP_1)
	v_cmp_eq_u32_e64 s7, v12, v39
	s_cmp_lg_u32 s7, 0
	s_cselect_b32 s8, -1, 0
	s_delay_alu instid0(SALU_CYCLE_1) | instskip(NEXT) | instid1(SALU_CYCLE_1)
	s_and_b32 s8, s2, s8
	s_and_saveexec_b32 s13, s8
	s_cbranch_execz .LBB204_17
; %bb.14:                               ;   in Loop: Header=BB204_11 Depth=2
	s_mov_b32 s16, exec_lo
	s_bcnt1_i32_b32 s14, s7
	v_mbcnt_lo_u32_b32 v9, s16, 0
	s_mov_b32 s15, exec_lo
                                        ; implicit-def: $vgpr12
	s_delay_alu instid0(VALU_DEP_1)
	v_cmpx_eq_u32_e32 0, v9
	s_cbranch_execz .LBB204_16
; %bb.15:                               ;   in Loop: Header=BB204_11 Depth=2
	s_bcnt1_i32_b32 s8, s16
	s_delay_alu instid0(SALU_CYCLE_1) | instskip(NEXT) | instid1(SALU_CYCLE_1)
	s_mul_i32 s8, s14, s8
	v_mov_b32_e32 v12, s8
	ds_add_rtn_u32 v12, v13, v12 offset:5144
.LBB204_16:                             ;   in Loop: Header=BB204_11 Depth=2
	s_or_b32 exec_lo, exec_lo, s15
	s_waitcnt lgkmcnt(0)
	v_readfirstlane_b32 s8, v12
	s_delay_alu instid0(VALU_DEP_1)
	v_mad_u32_u24 v9, s14, v9, s8
.LBB204_17:                             ;   in Loop: Header=BB204_11 Depth=2
	s_or_b32 exec_lo, exec_lo, s13
	ds_bpermute_b32 v9, v13, v9
	s_and_b32 s8, exec_lo, vcc_lo
	s_delay_alu instid0(SALU_CYCLE_1)
	s_or_b32 s11, s8, s11
	s_and_saveexec_b32 s8, s7
	s_cbranch_execz .LBB204_10
; %bb.18:                               ;   in Loop: Header=BB204_11 Depth=2
	v_and_b32_e32 v12, s7, v29
	s_delay_alu instid0(VALU_DEP_1) | instskip(NEXT) | instid1(VALU_DEP_1)
	v_bcnt_u32_b32 v12, v12, 0
	v_lshlrev_b32_e32 v12, 1, v12
	s_waitcnt lgkmcnt(0)
	s_delay_alu instid0(VALU_DEP_1)
	v_lshl_add_u32 v9, v9, 1, v12
	ds_store_b16 v9, v7
	s_branch .LBB204_10
.LBB204_19:                             ;   in Loop: Header=BB204_6 Depth=1
	s_mov_b32 s7, 0
                                        ; implicit-def: $sgpr62_sgpr63
	s_cbranch_execnz .LBB204_24
	s_branch .LBB204_34
.LBB204_20:                             ;   in Loop: Header=BB204_6 Depth=1
	s_mov_b64 s[62:63], 0
	s_and_b32 vcc_lo, exec_lo, s9
	s_cbranch_vccnz .LBB204_24
	s_branch .LBB204_34
.LBB204_21:                             ;   in Loop: Header=BB204_6 Depth=1
	s_or_b32 exec_lo, exec_lo, s11
	s_waitcnt lgkmcnt(0)
	s_barrier
	buffer_gl0_inv
	s_and_saveexec_b32 s7, s5
	s_cbranch_execz .LBB204_23
; %bb.22:                               ;   in Loop: Header=BB204_6 Depth=1
	ds_load_b32 v2, v13 offset:5144
	s_waitcnt lgkmcnt(0)
	v_ashrrev_i32_e32 v3, 31, v2
	ds_store_b64 v13, v[2:3] offset:5120
.LBB204_23:                             ;   in Loop: Header=BB204_6 Depth=1
	s_or_b32 exec_lo, exec_lo, s7
	s_waitcnt lgkmcnt(0)
	s_mov_b32 s7, -1
	s_barrier
	s_mov_b64 s[62:63], 0
	s_and_b32 vcc_lo, exec_lo, s9
	s_cbranch_vccz .LBB204_34
.LBB204_24:                             ;   in Loop: Header=BB204_6 Depth=1
	v_mov_b32_e32 v6, 0
	s_and_saveexec_b32 s7, s3
	s_cbranch_execz .LBB204_26
; %bb.25:                               ;   in Loop: Header=BB204_6 Depth=1
	global_load_u16 v6, v[10:11], off
.LBB204_26:                             ;   in Loop: Header=BB204_6 Depth=1
	s_or_b32 exec_lo, exec_lo, s7
	s_and_saveexec_b32 s8, s3
	s_cbranch_execz .LBB204_31
; %bb.27:                               ;   in Loop: Header=BB204_6 Depth=1
	global_load_u16 v8, v13, s[56:57]
	s_mov_b32 s12, 0
	s_waitcnt vmcnt(0)
	v_readfirstlane_b32 s7, v8
	v_and_b32_e32 v8, 0xffff, v8
	s_delay_alu instid0(VALU_DEP_2) | instskip(NEXT) | instid1(SALU_CYCLE_1)
	s_and_b32 s7, 0xffff, s7
	v_add_nc_u32_e32 v7, s7, v0
	s_mul_i32 s10, s59, s7
	s_mul_hi_u32 s11, s58, s7
	s_lshl_b32 s9, s7, 1
	s_add_i32 s10, s11, s10
	v_mad_u64_u32 v[2:3], null, s58, v7, s[54:55]
	s_mul_i32 s11, s58, s7
	s_delay_alu instid0(VALU_DEP_1) | instskip(SKIP_1) | instid1(VALU_DEP_2)
	v_mad_u64_u32 v[4:5], null, s59, v7, v[3:4]
	v_mov_b32_e32 v7, v31
	v_mov_b32_e32 v3, v4
	v_dual_mov_b32 v5, v1 :: v_dual_mov_b32 v4, v0
	s_branch .LBB204_29
	.p2align	6
.LBB204_28:                             ;   in Loop: Header=BB204_29 Depth=2
	s_or_b32 exec_lo, exec_lo, s13
	s_delay_alu instid0(SALU_CYCLE_1)
	s_and_b32 s7, exec_lo, vcc_lo
	v_add_co_u32 v2, vcc_lo, v2, s11
	ds_store_b16 v7, v6
	s_waitcnt vmcnt(0)
	v_dual_mov_b32 v6, v9 :: v_dual_add_nc_u32 v7, s9, v7
	v_add_co_ci_u32_e32 v3, vcc_lo, s10, v3, vcc_lo
	s_or_b32 s12, s7, s12
	s_delay_alu instid0(SALU_CYCLE_1)
	s_and_not1_b32 exec_lo, exec_lo, s12
	s_cbranch_execz .LBB204_31
.LBB204_29:                             ;   Parent Loop BB204_6 Depth=1
                                        ; =>  This Inner Loop Header: Depth=2
	s_delay_alu instid0(VALU_DEP_1) | instskip(NEXT) | instid1(VALU_DEP_2)
	v_add_co_u32 v4, vcc_lo, v4, v8
	v_add_co_ci_u32_e32 v5, vcc_lo, 0, v5, vcc_lo
	v_mov_b32_e32 v9, 0
	s_mov_b32 s13, exec_lo
	s_delay_alu instid0(VALU_DEP_2)
	v_cmp_le_u64_e32 vcc_lo, s[28:29], v[4:5]
	v_cmpx_gt_u64_e64 s[28:29], v[4:5]
	s_cbranch_execz .LBB204_28
; %bb.30:                               ;   in Loop: Header=BB204_29 Depth=2
	global_load_u16 v9, v[2:3], off
	s_branch .LBB204_28
.LBB204_31:                             ;   in Loop: Header=BB204_6 Depth=1
	s_or_b32 exec_lo, exec_lo, s8
	s_waitcnt vmcnt(0) lgkmcnt(0)
	s_barrier
	buffer_gl0_inv
	s_and_saveexec_b32 s7, s5
	s_cbranch_execz .LBB204_33
; %bb.32:                               ;   in Loop: Header=BB204_6 Depth=1
	v_dual_mov_b32 v2, s28 :: v_dual_mov_b32 v3, s29
	ds_store_b64 v13, v[2:3] offset:5120
.LBB204_33:                             ;   in Loop: Header=BB204_6 Depth=1
	s_or_b32 exec_lo, exec_lo, s7
	s_mov_b32 s7, -1
	s_waitcnt lgkmcnt(0)
	s_barrier
                                        ; implicit-def: $sgpr62_sgpr63
.LBB204_34:                             ;   in Loop: Header=BB204_6 Depth=1
	s_and_b32 vcc_lo, exec_lo, s7
	s_cbranch_vccz .LBB204_36
; %bb.35:                               ;   in Loop: Header=BB204_6 Depth=1
	buffer_gl0_inv
	ds_load_b64 v[2:3], v13 offset:5120
	s_waitcnt lgkmcnt(0)
	v_readfirstlane_b32 s62, v2
.LBB204_36:                             ;   in Loop: Header=BB204_6 Depth=1
	s_delay_alu instid0(VALU_DEP_1)
	s_cmp_lt_i32 s62, 1
	s_cbranch_scc0 .LBB204_51
; %bb.37:                               ;   in Loop: Header=BB204_6 Depth=1
	global_load_u16 v2, v13, s[56:57]
	s_mov_b32 s8, s53
	s_mov_b32 s9, s29
	s_waitcnt vmcnt(0)
	v_readfirstlane_b32 s7, v2
	s_delay_alu instid0(VALU_DEP_1) | instskip(NEXT) | instid1(SALU_CYCLE_1)
	s_and_b32 s52, s7, 0xffff
	s_lshl_b32 s63, s52, 2
	s_cmp_lg_u64 s[8:9], 0
	s_cbranch_scc0 .LBB204_71
; %bb.38:                               ;   in Loop: Header=BB204_6 Depth=1
	v_cvt_f32_u32_e32 v2, s63
	s_sub_u32 s9, 0, s63
	s_subb_u32 s10, 0, 0
	s_delay_alu instid0(VALU_DEP_1) | instskip(NEXT) | instid1(VALU_DEP_1)
	v_fmac_f32_e64 v2, 0, 0x4f800000
	v_rcp_f32_e32 v2, v2
	s_waitcnt_depctr 0xfff
	v_mul_f32_e32 v2, 0x5f7ffffc, v2
	s_delay_alu instid0(VALU_DEP_1) | instskip(NEXT) | instid1(VALU_DEP_1)
	v_mul_f32_e32 v3, 0x2f800000, v2
	v_trunc_f32_e32 v3, v3
	s_delay_alu instid0(VALU_DEP_1) | instskip(SKIP_1) | instid1(VALU_DEP_2)
	v_fmac_f32_e32 v2, 0xcf800000, v3
	v_cvt_u32_f32_e32 v3, v3
	v_cvt_u32_f32_e32 v2, v2
	s_delay_alu instid0(VALU_DEP_2) | instskip(NEXT) | instid1(VALU_DEP_2)
	v_readfirstlane_b32 s7, v3
	v_readfirstlane_b32 s8, v2
	s_delay_alu instid0(VALU_DEP_2) | instskip(NEXT) | instid1(VALU_DEP_1)
	s_mul_i32 s11, s9, s7
	s_mul_hi_u32 s13, s9, s8
	s_mul_i32 s12, s10, s8
	s_add_i32 s11, s13, s11
	s_mul_i32 s14, s9, s8
	s_add_i32 s11, s11, s12
	s_mul_hi_u32 s13, s8, s14
	s_mul_hi_u32 s15, s7, s14
	s_mul_i32 s12, s7, s14
	s_mul_hi_u32 s14, s8, s11
	s_mul_i32 s8, s8, s11
	s_mul_hi_u32 s16, s7, s11
	s_add_u32 s8, s13, s8
	s_addc_u32 s13, 0, s14
	s_add_u32 s8, s8, s12
	s_mul_i32 s11, s7, s11
	s_addc_u32 s8, s13, s15
	s_addc_u32 s12, s16, 0
	s_add_u32 s8, s8, s11
	s_addc_u32 s11, 0, s12
	v_add_co_u32 v2, s8, v2, s8
	s_delay_alu instid0(VALU_DEP_1) | instskip(SKIP_1) | instid1(VALU_DEP_1)
	s_cmp_lg_u32 s8, 0
	s_addc_u32 s7, s7, s11
	v_readfirstlane_b32 s8, v2
	s_mul_i32 s11, s9, s7
	s_delay_alu instid0(VALU_DEP_1)
	s_mul_hi_u32 s12, s9, s8
	s_mul_i32 s10, s10, s8
	s_add_i32 s11, s12, s11
	s_mul_i32 s9, s9, s8
	s_add_i32 s11, s11, s10
	s_mul_hi_u32 s12, s7, s9
	s_mul_i32 s13, s7, s9
	s_mul_hi_u32 s9, s8, s9
	s_mul_hi_u32 s14, s8, s11
	s_mul_i32 s8, s8, s11
	s_mul_hi_u32 s10, s7, s11
	s_add_u32 s8, s9, s8
	s_addc_u32 s9, 0, s14
	s_add_u32 s8, s8, s13
	s_mul_i32 s11, s7, s11
	s_addc_u32 s8, s9, s12
	s_addc_u32 s9, s10, 0
	s_add_u32 s8, s8, s11
	s_addc_u32 s9, 0, s9
	v_add_co_u32 v2, s8, v2, s8
	s_delay_alu instid0(VALU_DEP_1) | instskip(SKIP_1) | instid1(VALU_DEP_1)
	s_cmp_lg_u32 s8, 0
	s_addc_u32 s7, s7, s9
	v_readfirstlane_b32 s8, v2
	s_mul_i32 s10, s28, s7
	s_mul_hi_u32 s9, s28, s7
	s_mul_hi_u32 s11, s29, s7
	s_mul_i32 s7, s29, s7
	s_mul_hi_u32 s12, s28, s8
	s_mul_hi_u32 s13, s29, s8
	s_mul_i32 s8, s29, s8
	s_add_u32 s10, s12, s10
	s_addc_u32 s9, 0, s9
	s_add_u32 s8, s10, s8
	s_addc_u32 s8, s9, s13
	s_addc_u32 s9, s11, 0
	s_add_u32 s7, s8, s7
	s_addc_u32 s8, 0, s9
	s_mul_hi_u32 s9, s63, s7
	s_mul_i32 s7, s63, s7
	s_mul_i32 s8, s63, s8
	v_sub_co_u32 v2, s7, s28, s7
	s_add_i32 s9, s9, s8
	s_cmp_lg_u32 s7, 0
	s_delay_alu instid0(VALU_DEP_1) | instskip(SKIP_2) | instid1(VALU_DEP_1)
	v_sub_co_u32 v3, s7, v2, s63
	s_subb_u32 s8, s29, s9
	s_cmp_lg_u32 s7, 0
	v_cmp_le_u32_e32 vcc_lo, s63, v3
	v_sub_co_u32 v4, s7, v3, s63
	s_subb_u32 s9, s8, 0
	s_cmp_lg_u32 s7, 0
	v_cndmask_b32_e64 v5, 0, -1, vcc_lo
	s_subb_u32 s7, s9, 0
	s_cmp_eq_u32 s9, 0
	v_mov_b32_e32 v7, s7
	s_cselect_b32 vcc_lo, -1, 0
	s_cmp_eq_u32 s8, 0
	v_cndmask_b32_e32 v5, -1, v5, vcc_lo
	v_cmp_le_u32_e32 vcc_lo, s63, v2
	s_cselect_b32 s7, -1, 0
	v_cndmask_b32_e64 v6, 0, -1, vcc_lo
	s_delay_alu instid0(VALU_DEP_3) | instskip(NEXT) | instid1(VALU_DEP_2)
	v_cmp_ne_u32_e32 vcc_lo, 0, v5
	v_cndmask_b32_e64 v5, -1, v6, s7
	v_cndmask_b32_e32 v6, s9, v7, vcc_lo
	v_cndmask_b32_e32 v4, v3, v4, vcc_lo
	s_delay_alu instid0(VALU_DEP_3) | instskip(NEXT) | instid1(VALU_DEP_3)
	v_cmp_ne_u32_e32 vcc_lo, 0, v5
	v_cndmask_b32_e32 v3, s8, v6, vcc_lo
	s_delay_alu instid0(VALU_DEP_3)
	v_cndmask_b32_e32 v2, v2, v4, vcc_lo
	s_cbranch_execnz .LBB204_40
.LBB204_39:                             ;   in Loop: Header=BB204_6 Depth=1
	v_cvt_f32_u32_e32 v2, s63
	s_sub_i32 s7, 0, s63
	s_delay_alu instid0(VALU_DEP_1) | instskip(SKIP_2) | instid1(VALU_DEP_1)
	v_rcp_iflag_f32_e32 v2, v2
	s_waitcnt_depctr 0xfff
	v_mul_f32_e32 v2, 0x4f7ffffe, v2
	v_cvt_u32_f32_e32 v2, v2
	s_delay_alu instid0(VALU_DEP_1) | instskip(NEXT) | instid1(VALU_DEP_1)
	v_mul_lo_u32 v3, s7, v2
	v_mul_hi_u32 v3, v2, v3
	s_delay_alu instid0(VALU_DEP_1) | instskip(NEXT) | instid1(VALU_DEP_1)
	v_add_nc_u32_e32 v2, v2, v3
	v_mul_hi_u32 v2, s28, v2
	s_delay_alu instid0(VALU_DEP_1) | instskip(NEXT) | instid1(VALU_DEP_1)
	v_mul_lo_u32 v2, v2, s63
	v_sub_nc_u32_e32 v2, s28, v2
	s_delay_alu instid0(VALU_DEP_1) | instskip(SKIP_1) | instid1(VALU_DEP_2)
	v_subrev_nc_u32_e32 v3, s63, v2
	v_cmp_le_u32_e32 vcc_lo, s63, v2
	v_cndmask_b32_e32 v2, v2, v3, vcc_lo
	s_delay_alu instid0(VALU_DEP_1) | instskip(SKIP_1) | instid1(VALU_DEP_2)
	v_subrev_nc_u32_e32 v3, s63, v2
	v_cmp_le_u32_e32 vcc_lo, s63, v2
	v_cndmask_b32_e32 v12, v2, v3, vcc_lo
	s_delay_alu instid0(VALU_DEP_1)
	v_dual_mov_b32 v2, v12 :: v_dual_mov_b32 v3, v13
.LBB204_40:                             ;   in Loop: Header=BB204_6 Depth=1
	s_delay_alu instid0(VALU_DEP_1) | instskip(NEXT) | instid1(VALU_DEP_2)
	v_sub_co_u32 v25, vcc_lo, s28, v2
	v_sub_co_ci_u32_e32 v26, vcc_lo, s29, v3, vcc_lo
	v_mov_b32_e32 v2, 0
	v_mov_b32_e32 v3, 0
	s_mov_b64 s[64:65], 0
	s_mov_b32 s99, exec_lo
	s_delay_alu instid0(VALU_DEP_1)
	v_dual_mov_b32 v5, v3 :: v_dual_mov_b32 v4, v2
	v_dual_mov_b32 v7, v3 :: v_dual_mov_b32 v6, v2
	;; [unrolled: 1-line block ×3, first 2 shown]
	v_cmpx_gt_u64_e64 v[25:26], v[14:15]
	s_cbranch_execz .LBB204_44
; %bb.41:                               ;   in Loop: Header=BB204_6 Depth=1
	v_dual_mov_b32 v28, v15 :: v_dual_mov_b32 v27, v14
	s_mul_i32 s7, s61, s52
	s_mul_hi_u32 s8, s60, s52
	s_and_b32 s100, s85, 0xfe
	s_add_i32 s101, s8, s7
	s_mul_i32 s102, s60, s52
	s_mov_b32 s103, 0
	s_mov_b64 s[66:67], s[54:55]
	s_mov_b64 s[68:69], 0
	;; [unrolled: 1-line block ×4, first 2 shown]
.LBB204_42:                             ;   Parent Loop BB204_6 Depth=1
                                        ; =>  This Inner Loop Header: Depth=2
	v_add_co_u32 v2, vcc_lo, s66, v21
	v_add_co_ci_u32_e32 v3, vcc_lo, s67, v22, vcc_lo
	v_add_co_u32 v4, vcc_lo, s66, v20
	v_add_co_ci_u32_e32 v5, vcc_lo, s67, v35, vcc_lo
	;; [unrolled: 2-line block ×4, first 2 shown]
	s_clause 0x3
	global_load_u16 v2, v[2:3], off
	global_load_u16 v3, v[4:5], off
	;; [unrolled: 1-line block ×4, first 2 shown]
	v_add_co_u32 v27, vcc_lo, v27, s63
	v_add_co_ci_u32_e32 v28, vcc_lo, 0, v28, vcc_lo
	s_delay_alu instid0(VALU_DEP_1)
	v_cmp_ge_u64_e32 vcc_lo, v[27:28], v[25:26]
	s_waitcnt vmcnt(3)
	v_cmp_lt_i16_e64 s7, -1, v2
	v_and_b32_e32 v6, 0xffff, v2
	s_waitcnt vmcnt(2)
	v_and_b32_e32 v8, 0xffff, v3
	s_waitcnt vmcnt(1)
	v_and_b32_e32 v12, 0xffff, v4
	v_cmp_o_f16_e64 s10, v2, v2
	v_cndmask_b32_e64 v7, 0xffff, v37, s7
	v_cmp_lt_i16_e64 s7, -1, v3
	s_waitcnt vmcnt(0)
	v_and_b32_e32 v42, 0xffff, v5
	v_cmp_o_f16_e64 s8, v4, v4
	v_cmp_o_f16_e64 s9, v5, v5
	v_xor_b32_e32 v6, v7, v6
	v_cndmask_b32_e64 v9, 0xffff, v37, s7
	v_cmp_lt_i16_e64 s7, -1, v4
	s_delay_alu instid0(VALU_DEP_3) | instskip(NEXT) | instid1(VALU_DEP_3)
	v_cndmask_b32_e64 v2, 0xffff, v6, s10
	v_xor_b32_e32 v7, v9, v8
	s_delay_alu instid0(VALU_DEP_3) | instskip(SKIP_1) | instid1(VALU_DEP_4)
	v_cndmask_b32_e64 v41, 0xffff, v37, s7
	v_cmp_lt_i16_e64 s7, -1, v5
	v_and_b32_e32 v6, v2, v38
	v_bfe_u32 v2, v2, s100, 2
	s_delay_alu instid0(VALU_DEP_3) | instskip(SKIP_2) | instid1(VALU_DEP_4)
	v_cndmask_b32_e64 v43, 0xffff, v37, s7
	v_cmp_o_f16_e64 s7, v3, v3
	v_xor_b32_e32 v3, v41, v12
	v_cmp_eq_u32_e64 s11, 0, v2
	v_cmp_eq_u32_e64 s15, 1, v2
	v_xor_b32_e32 v4, v43, v42
	v_cndmask_b32_e64 v5, 0xffff, v7, s7
	v_cndmask_b32_e64 v3, 0xffff, v3, s8
	v_cmp_eq_u32_e64 s7, v6, v39
	v_cmp_eq_u32_e64 s19, 2, v2
	v_cndmask_b32_e64 v4, 0xffff, v4, s9
	v_and_b32_e32 v7, v5, v38
	v_bfe_u32 v5, v5, s100, 2
	v_and_b32_e32 v8, v3, v38
	v_bfe_u32 v3, v3, s100, 2
	;; [unrolled: 2-line block ×3, first 2 shown]
	v_cmp_eq_u32_e64 s8, v7, v39
	v_cmp_eq_u32_e64 s12, 0, v5
	;; [unrolled: 1-line block ×4, first 2 shown]
	s_and_b32 s11, s7, s11
	v_cmp_eq_u32_e64 s10, v9, v39
	v_cmp_eq_u32_e64 s14, 0, v4
	v_cmp_eq_u32_e64 s23, 3, v2
	v_cndmask_b32_e64 v2, 0, 1, s11
	s_and_b32 s11, s8, s12
	v_cmp_eq_u32_e64 s17, 1, v3
	v_cmp_eq_u32_e64 s21, 2, v3
	v_cmp_eq_u32_e64 s25, 3, v3
	v_cndmask_b32_e64 v3, 0, 1, s11
	;; [unrolled: 5-line block ×4, first 2 shown]
	v_cmp_ne_u32_e64 s11, 0, v2
	v_cmp_ne_u32_e64 s12, 0, v3
	;; [unrolled: 1-line block ×3, first 2 shown]
	s_delay_alu instid0(VALU_DEP_4) | instskip(NEXT) | instid1(VALU_DEP_4)
	v_cmp_ne_u32_e64 s14, 0, v5
	s_bcnt1_i32_b32 s11, s11
	s_delay_alu instid0(VALU_DEP_3) | instskip(NEXT) | instid1(VALU_DEP_2)
	s_bcnt1_i32_b32 s12, s12
	s_bcnt1_i32_b32 s13, s13
	s_add_i32 s11, s12, s11
	s_bcnt1_i32_b32 s14, s14
	s_add_i32 s11, s11, s13
	s_delay_alu instid0(SALU_CYCLE_1) | instskip(NEXT) | instid1(SALU_CYCLE_1)
	s_add_i32 s11, s11, s14
	s_add_u32 s72, s72, s11
	s_addc_u32 s73, s73, 0
	s_and_b32 s11, s7, s15
	v_mov_b32_e32 v2, s72
	v_cndmask_b32_e64 v4, 0, 1, s11
	s_and_b32 s11, s8, s16
	v_mov_b32_e32 v3, s73
	v_cndmask_b32_e64 v5, 0, 1, s11
	s_and_b32 s11, s9, s17
	s_delay_alu instid0(SALU_CYCLE_1) | instskip(SKIP_1) | instid1(VALU_DEP_2)
	v_cndmask_b32_e64 v6, 0, 1, s11
	s_and_b32 s11, s10, s18
	v_cmp_ne_u32_e64 s12, 0, v5
	v_cndmask_b32_e64 v7, 0, 1, s11
	v_cmp_ne_u32_e64 s11, 0, v4
	v_cmp_ne_u32_e64 s13, 0, v6
	s_delay_alu instid0(VALU_DEP_4) | instskip(NEXT) | instid1(VALU_DEP_3)
	s_bcnt1_i32_b32 s12, s12
	v_cmp_ne_u32_e64 s14, 0, v7
	s_delay_alu instid0(VALU_DEP_3) | instskip(NEXT) | instid1(VALU_DEP_2)
	s_bcnt1_i32_b32 s11, s11
	s_bcnt1_i32_b32 s13, s13
	s_add_i32 s11, s12, s11
	s_delay_alu instid0(VALU_DEP_1) | instskip(SKIP_1) | instid1(SALU_CYCLE_1)
	s_bcnt1_i32_b32 s14, s14
	s_add_i32 s11, s11, s13
	s_add_i32 s11, s11, s14
	s_delay_alu instid0(SALU_CYCLE_1) | instskip(SKIP_2) | instid1(SALU_CYCLE_1)
	s_add_u32 s70, s70, s11
	s_addc_u32 s71, s71, 0
	s_and_b32 s11, s7, s19
	v_cndmask_b32_e64 v4, 0, 1, s11
	s_and_b32 s11, s8, s20
	s_delay_alu instid0(SALU_CYCLE_1) | instskip(SKIP_1) | instid1(SALU_CYCLE_1)
	v_cndmask_b32_e64 v5, 0, 1, s11
	s_and_b32 s11, s9, s21
	v_cndmask_b32_e64 v6, 0, 1, s11
	s_and_b32 s11, s10, s22
	s_delay_alu instid0(VALU_DEP_2) | instskip(SKIP_3) | instid1(VALU_DEP_4)
	v_cmp_ne_u32_e64 s12, 0, v5
	v_cndmask_b32_e64 v7, 0, 1, s11
	v_cmp_ne_u32_e64 s11, 0, v4
	v_cmp_ne_u32_e64 s13, 0, v6
	s_bcnt1_i32_b32 s12, s12
	s_delay_alu instid0(VALU_DEP_3) | instskip(NEXT) | instid1(VALU_DEP_3)
	v_cmp_ne_u32_e64 s14, 0, v7
	s_bcnt1_i32_b32 s11, s11
	s_delay_alu instid0(VALU_DEP_2) | instskip(SKIP_1) | instid1(VALU_DEP_1)
	s_bcnt1_i32_b32 s13, s13
	s_add_i32 s11, s12, s11
	s_bcnt1_i32_b32 s14, s14
	s_add_i32 s11, s11, s13
	s_delay_alu instid0(SALU_CYCLE_1) | instskip(NEXT) | instid1(SALU_CYCLE_1)
	s_add_i32 s11, s11, s14
	s_add_u32 s68, s68, s11
	s_addc_u32 s69, s69, 0
	s_and_b32 s7, s7, s23
	s_delay_alu instid0(SALU_CYCLE_1) | instskip(SKIP_1) | instid1(SALU_CYCLE_1)
	v_cndmask_b32_e64 v4, 0, 1, s7
	s_and_b32 s7, s8, s24
	v_cndmask_b32_e64 v5, 0, 1, s7
	s_and_b32 s7, s9, s25
	s_delay_alu instid0(SALU_CYCLE_1) | instskip(SKIP_1) | instid1(VALU_DEP_2)
	v_cndmask_b32_e64 v6, 0, 1, s7
	s_and_b32 s7, s10, s26
	v_cmp_ne_u32_e64 s8, 0, v5
	v_cndmask_b32_e64 v7, 0, 1, s7
	v_cmp_ne_u32_e64 s7, 0, v4
	v_mov_b32_e32 v4, s70
	v_cmp_ne_u32_e64 s9, 0, v6
	s_bcnt1_i32_b32 s8, s8
	v_cmp_ne_u32_e64 s10, 0, v7
	s_bcnt1_i32_b32 s7, s7
	v_mov_b32_e32 v6, s68
	s_bcnt1_i32_b32 s9, s9
	s_add_i32 s7, s8, s7
	s_bcnt1_i32_b32 s8, s10
	s_add_i32 s7, s7, s9
	v_mov_b32_e32 v5, s71
	s_add_i32 s7, s7, s8
	v_mov_b32_e32 v7, s69
	s_add_u32 s64, s64, s7
	s_addc_u32 s65, s65, 0
	s_delay_alu instid0(SALU_CYCLE_1) | instskip(SKIP_3) | instid1(SALU_CYCLE_1)
	v_dual_mov_b32 v8, s64 :: v_dual_mov_b32 v9, s65
	s_add_u32 s66, s66, s102
	s_addc_u32 s67, s67, s101
	s_or_b32 s103, vcc_lo, s103
	s_and_not1_b32 exec_lo, exec_lo, s103
	s_cbranch_execnz .LBB204_42
; %bb.43:                               ;   in Loop: Header=BB204_6 Depth=1
	s_or_b32 exec_lo, exec_lo, s103
.LBB204_44:                             ;   in Loop: Header=BB204_6 Depth=1
	s_delay_alu instid0(SALU_CYCLE_1) | instskip(SKIP_3) | instid1(VALU_DEP_2)
	s_or_b32 exec_lo, exec_lo, s99
	v_add_co_u32 v25, vcc_lo, v25, v0
	v_add_co_ci_u32_e32 v26, vcc_lo, 0, v26, vcc_lo
	v_mov_b32_e32 v27, 0
	v_cmp_gt_u64_e32 vcc_lo, s[28:29], v[25:26]
	s_and_saveexec_b32 s8, vcc_lo
	s_cbranch_execz .LBB204_46
; %bb.45:                               ;   in Loop: Header=BB204_6 Depth=1
	v_mul_lo_u32 v12, v26, s38
	v_mul_lo_u32 v41, v25, s39
	v_mad_u64_u32 v[27:28], null, v25, s38, 0
	s_delay_alu instid0(VALU_DEP_1) | instskip(NEXT) | instid1(VALU_DEP_1)
	v_add3_u32 v28, v28, v41, v12
	v_lshlrev_b64 v[27:28], 1, v[27:28]
	s_delay_alu instid0(VALU_DEP_1) | instskip(NEXT) | instid1(VALU_DEP_1)
	v_add_co_u32 v27, s7, s54, v27
	v_add_co_ci_u32_e64 v28, s7, s55, v28, s7
	global_load_u16 v27, v[27:28], off
.LBB204_46:                             ;   in Loop: Header=BB204_6 Depth=1
	s_or_b32 exec_lo, exec_lo, s8
	s_and_saveexec_b32 s11, vcc_lo
	s_cbranch_execz .LBB204_53
; %bb.47:                               ;   in Loop: Header=BB204_6 Depth=1
	s_and_b32 s13, s85, 0xfe
	s_mov_b32 s12, 0
	s_branch .LBB204_49
.LBB204_48:                             ;   in Loop: Header=BB204_49 Depth=2
	s_or_b32 exec_lo, exec_lo, s8
	s_waitcnt vmcnt(0)
	v_cmp_lt_i16_e64 s7, -1, v27
	v_and_b32_e32 v28, 0xffff, v27
	s_and_b32 s8, exec_lo, vcc_lo
	s_delay_alu instid0(SALU_CYCLE_1) | instskip(NEXT) | instid1(VALU_DEP_2)
	s_or_b32 s12, s8, s12
	v_cndmask_b32_e64 v41, 0xffff, v37, s7
	v_cmp_o_f16_e64 s7, v27, v27
	s_delay_alu instid0(VALU_DEP_2) | instskip(NEXT) | instid1(VALU_DEP_1)
	v_xor_b32_e32 v28, v41, v28
	v_cndmask_b32_e64 v27, 0xffff, v28, s7
	s_delay_alu instid0(VALU_DEP_1) | instskip(SKIP_1) | instid1(VALU_DEP_2)
	v_and_b32_e32 v28, v27, v38
	v_bfe_u32 v27, v27, s13, 2
	v_cmp_eq_u32_e32 vcc_lo, v28, v39
	s_delay_alu instid0(VALU_DEP_2) | instskip(SKIP_3) | instid1(VALU_DEP_4)
	v_cmp_eq_u32_e64 s7, 0, v27
	v_cmp_eq_u32_e64 s8, 1, v27
	;; [unrolled: 1-line block ×4, first 2 shown]
	s_and_b32 s7, vcc_lo, s7
	s_delay_alu instid0(SALU_CYCLE_1) | instskip(SKIP_1) | instid1(SALU_CYCLE_1)
	v_cndmask_b32_e64 v27, 0, 1, s7
	s_and_b32 s7, vcc_lo, s8
	v_cndmask_b32_e64 v28, 0, 1, s7
	s_and_b32 s7, vcc_lo, s9
	s_delay_alu instid0(SALU_CYCLE_1)
	v_cndmask_b32_e64 v41, 0, 1, s7
	s_and_b32 s7, vcc_lo, s10
	v_cmp_ne_u32_e32 vcc_lo, 0, v27
	v_mov_b32_e32 v27, v12
	v_cndmask_b32_e64 v42, 0, 1, s7
	v_cmp_ne_u32_e64 s7, 0, v28
	v_cmp_ne_u32_e64 s8, 0, v41
	s_bcnt1_i32_b32 s10, vcc_lo
	s_delay_alu instid0(SALU_CYCLE_1) | instskip(NEXT) | instid1(VALU_DEP_3)
	v_add_co_u32 v2, vcc_lo, v2, s10
	s_bcnt1_i32_b32 s7, s7
	v_cmp_ne_u32_e64 s9, 0, v42
	v_add_co_ci_u32_e32 v3, vcc_lo, 0, v3, vcc_lo
	v_add_co_u32 v4, vcc_lo, v4, s7
	s_bcnt1_i32_b32 s8, s8
	v_add_co_ci_u32_e32 v5, vcc_lo, 0, v5, vcc_lo
	v_add_co_u32 v6, vcc_lo, v6, s8
	s_bcnt1_i32_b32 s7, s9
	v_add_co_ci_u32_e32 v7, vcc_lo, 0, v7, vcc_lo
	v_add_co_u32 v8, vcc_lo, v8, s7
	v_add_co_ci_u32_e32 v9, vcc_lo, 0, v9, vcc_lo
	s_and_not1_b32 exec_lo, exec_lo, s12
	s_cbranch_execz .LBB204_52
.LBB204_49:                             ;   Parent Loop BB204_6 Depth=1
                                        ; =>  This Inner Loop Header: Depth=2
	v_add_co_u32 v25, vcc_lo, v25, s52
	v_add_co_ci_u32_e32 v26, vcc_lo, 0, v26, vcc_lo
	v_mov_b32_e32 v12, 0
	s_mov_b32 s8, exec_lo
	s_delay_alu instid0(VALU_DEP_2)
	v_cmp_le_u64_e32 vcc_lo, s[28:29], v[25:26]
	v_cmpx_gt_u64_e64 s[28:29], v[25:26]
	s_cbranch_execz .LBB204_48
; %bb.50:                               ;   in Loop: Header=BB204_49 Depth=2
	v_mul_lo_u32 v12, v26, s38
	v_mul_lo_u32 v28, v25, s39
	v_mad_u64_u32 v[41:42], null, v25, s38, 0
	s_delay_alu instid0(VALU_DEP_1) | instskip(NEXT) | instid1(VALU_DEP_1)
	v_add3_u32 v42, v42, v28, v12
	v_lshlrev_b64 v[41:42], 1, v[41:42]
	s_delay_alu instid0(VALU_DEP_1) | instskip(NEXT) | instid1(VALU_DEP_1)
	v_add_co_u32 v41, s7, s54, v41
	v_add_co_ci_u32_e64 v42, s7, s55, v42, s7
	global_load_u16 v12, v[41:42], off
	s_branch .LBB204_48
.LBB204_51:                             ;   in Loop: Header=BB204_6 Depth=1
                                        ; implicit-def: $vgpr8_vgpr9
                                        ; implicit-def: $vgpr4_vgpr5
	s_cbranch_execnz .LBB204_54
	s_branch .LBB204_63
.LBB204_52:                             ;   in Loop: Header=BB204_6 Depth=1
	s_or_b32 exec_lo, exec_lo, s12
.LBB204_53:                             ;   in Loop: Header=BB204_6 Depth=1
	s_delay_alu instid0(SALU_CYCLE_1)
	s_or_b32 exec_lo, exec_lo, s11
	s_branch .LBB204_63
.LBB204_54:                             ;   in Loop: Header=BB204_6 Depth=1
	global_load_u16 v8, v13, s[56:57]
	s_mov_b64 s[64:65], 0
	s_mov_b32 s72, exec_lo
	s_waitcnt vmcnt(0)
	v_readfirstlane_b32 s7, v8
	v_and_b32_e32 v27, 0xffff, v8
	s_delay_alu instid0(VALU_DEP_2) | instskip(NEXT) | instid1(SALU_CYCLE_1)
	s_and_b32 s7, 0xffff, s7
	s_lshl_b32 s63, s7, 2
	s_delay_alu instid0(SALU_CYCLE_1) | instskip(SKIP_1) | instid1(VALU_DEP_1)
	v_cvt_f32_u32_e32 v2, s63
	s_sub_i32 s8, 0, s63
	v_rcp_iflag_f32_e32 v2, v2
	s_waitcnt_depctr 0xfff
	v_mul_f32_e32 v2, 0x4f7ffffe, v2
	s_delay_alu instid0(VALU_DEP_1) | instskip(NEXT) | instid1(VALU_DEP_1)
	v_cvt_u32_f32_e32 v2, v2
	v_readfirstlane_b32 s7, v2
	v_mov_b32_e32 v2, 0
	v_mov_b32_e32 v3, 0
	s_delay_alu instid0(VALU_DEP_3) | instskip(NEXT) | instid1(VALU_DEP_1)
	s_mul_i32 s8, s8, s7
	v_dual_mov_b32 v5, v3 :: v_dual_mov_b32 v4, v2
	s_mul_hi_u32 s8, s7, s8
	v_dual_mov_b32 v7, v3 :: v_dual_mov_b32 v6, v2
	s_add_i32 s7, s7, s8
	v_dual_mov_b32 v9, v3 :: v_dual_mov_b32 v8, v2
	s_mul_hi_u32 s7, s62, s7
	s_delay_alu instid0(SALU_CYCLE_1) | instskip(NEXT) | instid1(SALU_CYCLE_1)
	s_mul_i32 s7, s7, s63
	s_sub_i32 s7, s62, s7
	s_delay_alu instid0(SALU_CYCLE_1) | instskip(SKIP_2) | instid1(SALU_CYCLE_1)
	s_sub_i32 s8, s7, s63
	s_cmp_ge_u32 s7, s63
	s_cselect_b32 s7, s8, s7
	s_sub_i32 s8, s7, s63
	s_cmp_ge_u32 s7, s63
	s_cselect_b32 s7, s8, s7
	s_delay_alu instid0(SALU_CYCLE_1) | instskip(NEXT) | instid1(SALU_CYCLE_1)
	s_sub_i32 s52, s62, s7
	v_cmpx_gt_u32_e64 s52, v14
	s_cbranch_execz .LBB204_58
; %bb.55:                               ;   in Loop: Header=BB204_6 Depth=1
	v_mov_b32_e32 v26, v15
	v_dual_mov_b32 v25, v14 :: v_dual_lshlrev_b32 v12, 3, v27
	v_mov_b32_e32 v28, v34
	s_and_b32 s73, s85, 0xfe
	s_mov_b32 s99, 0
	s_mov_b64 s[66:67], 0
	s_mov_b64 s[68:69], 0
	;; [unrolled: 1-line block ×3, first 2 shown]
.LBB204_56:                             ;   Parent Loop BB204_6 Depth=1
                                        ; =>  This Inner Loop Header: Depth=2
	ds_load_b64 v[2:3], v28
	v_add_co_u32 v25, vcc_lo, v25, s63
	v_add_co_ci_u32_e32 v26, vcc_lo, 0, v26, vcc_lo
	s_delay_alu instid0(VALU_DEP_1)
	v_cmp_le_u64_e32 vcc_lo, s[52:53], v[25:26]
	s_waitcnt lgkmcnt(0)
	v_cmp_lt_i16_e64 s7, -1, v2
	v_lshrrev_b32_e32 v4, 16, v2
	v_lshrrev_b32_e32 v9, 16, v3
	v_and_b32_e32 v5, 0xffff, v2
	v_and_b32_e32 v7, 0xffff, v3
	v_cndmask_b32_e64 v6, 0xffff, v37, s7
	v_cmp_lt_i16_e64 s7, -1, v3
	v_cmp_lt_i16_e64 s8, -1, v9
	s_delay_alu instid0(VALU_DEP_3) | instskip(NEXT) | instid1(VALU_DEP_3)
	v_xor_b32_e32 v5, v6, v5
	v_cndmask_b32_e64 v8, 0xffff, v37, s7
	v_cmp_lt_i16_e64 s7, -1, v4
	s_delay_alu instid0(VALU_DEP_2) | instskip(NEXT) | instid1(VALU_DEP_2)
	v_xor_b32_e32 v7, v8, v7
	v_cndmask_b32_e64 v6, 0xffff, v37, s7
	v_cmp_o_f16_e64 s7, v3, v3
	v_cndmask_b32_e64 v3, 0xffff, v37, s8
	v_cmp_o_f16_e64 s8, v2, v2
	s_delay_alu instid0(VALU_DEP_2) | instskip(NEXT) | instid1(VALU_DEP_2)
	v_xor_b32_e32 v3, v3, v9
	v_cndmask_b32_e64 v2, 0xffff, v5, s8
	v_xor_b32_e32 v5, v6, v4
	v_cmp_o_f16_e64 s8, v4, v4
	v_cndmask_b32_e64 v6, 0xffff, v7, s7
	v_cmp_o_f16_e64 s7, v9, v9
	s_delay_alu instid0(VALU_DEP_3) | instskip(SKIP_1) | instid1(VALU_DEP_3)
	v_cndmask_b32_e64 v4, 0xffff, v5, s8
	v_and_b32_e32 v5, v2, v38
	v_cndmask_b32_e64 v3, 0xffff, v3, s7
	v_and_b32_e32 v7, v6, v38
	v_bfe_u32 v2, v2, s73, 2
	v_bfe_u32 v6, v6, s73, 2
	v_cmp_eq_u32_e64 s7, v5, v39
	v_and_b32_e32 v5, v4, v38
	v_bfe_u32 v4, v4, s73, 2
	v_cmp_eq_u32_e64 s8, v7, v39
	v_and_b32_e32 v7, v3, v38
	v_bfe_u32 v3, v3, s73, 2
	v_cmp_eq_u32_e64 s9, 0, v2
	v_cmp_eq_u32_e64 s17, v5, v39
	;; [unrolled: 1-line block ×6, first 2 shown]
	s_and_b32 s9, s7, s9
	s_and_b32 s19, s17, s19
	v_cmp_eq_u32_e64 s11, 1, v2
	v_cmp_eq_u32_e64 s13, 2, v2
	v_cmp_eq_u32_e64 s15, 3, v2
	v_cndmask_b32_e64 v2, 0, 1, s9
	s_and_b32 s9, s8, s10
	v_cmp_eq_u32_e64 s10, 1, v3
	v_cmp_eq_u32_e64 s22, 2, v3
	;; [unrolled: 1-line block ×3, first 2 shown]
	v_cndmask_b32_e64 v3, 0, 1, s19
	v_cndmask_b32_e64 v5, 0, 1, s9
	s_and_b32 s19, s18, s20
	v_cmp_eq_u32_e64 s9, 1, v4
	v_cmp_eq_u32_e64 s21, 2, v4
	;; [unrolled: 1-line block ×3, first 2 shown]
	v_cndmask_b32_e64 v4, 0, 1, s19
	v_cmp_ne_u32_e64 s19, 0, v2
	v_cmp_ne_u32_e64 s25, 0, v3
	;; [unrolled: 1-line block ×3, first 2 shown]
	v_cmp_eq_u32_e64 s12, 1, v6
	v_cmp_ne_u32_e64 s26, 0, v4
	s_bcnt1_i32_b32 s19, s19
	s_bcnt1_i32_b32 s25, s25
	;; [unrolled: 1-line block ×3, first 2 shown]
	s_add_i32 s19, s25, s19
	s_bcnt1_i32_b32 s26, s26
	s_add_i32 s19, s19, s20
	v_cmp_eq_u32_e64 s14, 2, v6
	s_add_i32 s19, s19, s26
	v_cmp_eq_u32_e64 s16, 3, v6
	s_add_u32 s70, s70, s19
	s_addc_u32 s71, s71, 0
	s_and_b32 s11, s7, s11
	s_and_b32 s9, s17, s9
	v_cndmask_b32_e64 v2, 0, 1, s11
	v_cndmask_b32_e64 v3, 0, 1, s9
	s_and_b32 s9, s8, s12
	v_add_nc_u32_e32 v28, v28, v12
	v_cndmask_b32_e64 v4, 0, 1, s9
	s_and_b32 s9, s18, s10
	v_cmp_ne_u32_e64 s10, 0, v3
	v_cndmask_b32_e64 v5, 0, 1, s9
	v_cmp_ne_u32_e64 s9, 0, v2
	v_cmp_ne_u32_e64 s11, 0, v4
	s_delay_alu instid0(VALU_DEP_4) | instskip(NEXT) | instid1(VALU_DEP_3)
	s_bcnt1_i32_b32 s10, s10
	v_cmp_ne_u32_e64 s12, 0, v5
	s_delay_alu instid0(VALU_DEP_3) | instskip(NEXT) | instid1(VALU_DEP_2)
	s_bcnt1_i32_b32 s9, s9
	s_bcnt1_i32_b32 s11, s11
	s_add_i32 s9, s10, s9
	s_delay_alu instid0(VALU_DEP_1) | instskip(SKIP_1) | instid1(SALU_CYCLE_1)
	s_bcnt1_i32_b32 s12, s12
	s_add_i32 s9, s9, s11
	s_add_i32 s9, s9, s12
	s_delay_alu instid0(SALU_CYCLE_1) | instskip(SKIP_2) | instid1(SALU_CYCLE_1)
	s_add_u32 s68, s68, s9
	s_addc_u32 s69, s69, 0
	s_and_b32 s9, s7, s13
	v_cndmask_b32_e64 v2, 0, 1, s9
	s_and_b32 s9, s17, s21
	s_delay_alu instid0(SALU_CYCLE_1) | instskip(SKIP_1) | instid1(SALU_CYCLE_1)
	v_cndmask_b32_e64 v3, 0, 1, s9
	s_and_b32 s9, s8, s14
	v_cndmask_b32_e64 v4, 0, 1, s9
	s_and_b32 s9, s18, s22
	s_delay_alu instid0(VALU_DEP_2) | instskip(SKIP_3) | instid1(VALU_DEP_4)
	v_cmp_ne_u32_e64 s10, 0, v3
	v_cndmask_b32_e64 v5, 0, 1, s9
	v_cmp_ne_u32_e64 s9, 0, v2
	v_cmp_ne_u32_e64 s11, 0, v4
	s_bcnt1_i32_b32 s10, s10
	s_delay_alu instid0(VALU_DEP_3) | instskip(NEXT) | instid1(VALU_DEP_3)
	v_cmp_ne_u32_e64 s12, 0, v5
	s_bcnt1_i32_b32 s9, s9
	s_delay_alu instid0(VALU_DEP_2) | instskip(SKIP_1) | instid1(VALU_DEP_1)
	s_bcnt1_i32_b32 s11, s11
	s_add_i32 s9, s10, s9
	s_bcnt1_i32_b32 s12, s12
	s_add_i32 s9, s9, s11
	s_delay_alu instid0(SALU_CYCLE_1) | instskip(NEXT) | instid1(SALU_CYCLE_1)
	s_add_i32 s9, s9, s12
	s_add_u32 s66, s66, s9
	s_addc_u32 s67, s67, 0
	s_and_b32 s7, s7, s15
	v_mov_b32_e32 v6, s66
	v_cndmask_b32_e64 v2, 0, 1, s7
	s_and_b32 s7, s17, s23
	v_mov_b32_e32 v7, s67
	v_cndmask_b32_e64 v3, 0, 1, s7
	s_and_b32 s7, s8, s16
	s_delay_alu instid0(SALU_CYCLE_1) | instskip(SKIP_1) | instid1(VALU_DEP_2)
	v_cndmask_b32_e64 v4, 0, 1, s7
	s_and_b32 s7, s18, s24
	v_cmp_ne_u32_e64 s8, 0, v3
	v_cndmask_b32_e64 v5, 0, 1, s7
	v_cmp_ne_u32_e64 s7, 0, v2
	v_cmp_ne_u32_e64 s9, 0, v4
	v_dual_mov_b32 v2, s70 :: v_dual_mov_b32 v3, s71
	s_delay_alu instid0(VALU_DEP_4) | instskip(NEXT) | instid1(VALU_DEP_4)
	v_cmp_ne_u32_e64 s10, 0, v5
	s_bcnt1_i32_b32 s7, s7
	s_bcnt1_i32_b32 s8, s8
	;; [unrolled: 1-line block ×3, first 2 shown]
	s_add_i32 s7, s8, s7
	s_bcnt1_i32_b32 s8, s10
	s_add_i32 s7, s7, s9
	v_mov_b32_e32 v4, s68
	s_add_i32 s7, s7, s8
	v_mov_b32_e32 v5, s69
	s_add_u32 s64, s64, s7
	s_addc_u32 s65, s65, 0
	s_delay_alu instid0(SALU_CYCLE_1) | instskip(SKIP_1) | instid1(SALU_CYCLE_1)
	v_dual_mov_b32 v8, s64 :: v_dual_mov_b32 v9, s65
	s_or_b32 s99, vcc_lo, s99
	s_and_not1_b32 exec_lo, exec_lo, s99
	s_cbranch_execnz .LBB204_56
; %bb.57:                               ;   in Loop: Header=BB204_6 Depth=1
	s_or_b32 exec_lo, exec_lo, s99
.LBB204_58:                             ;   in Loop: Header=BB204_6 Depth=1
	s_delay_alu instid0(SALU_CYCLE_1) | instskip(SKIP_2) | instid1(VALU_DEP_1)
	s_or_b32 exec_lo, exec_lo, s72
	v_add_nc_u32_e32 v12, s52, v0
	s_mov_b32 s14, exec_lo
	v_cmpx_gt_u32_e64 s62, v12
	s_cbranch_execz .LBB204_62
; %bb.59:                               ;   in Loop: Header=BB204_6 Depth=1
	v_dual_mov_b32 v26, v13 :: v_dual_lshlrev_b32 v41, 1, v27
	v_dual_mov_b32 v25, v12 :: v_dual_lshlrev_b32 v28, 1, v12
	s_mov_b32 s13, 0
	s_and_b32 s12, s62, 0x7fffffff
	s_and_b32 s16, s85, 0xfe
	s_mov_b32 s15, s13
.LBB204_60:                             ;   Parent Loop BB204_6 Depth=1
                                        ; =>  This Inner Loop Header: Depth=2
	ds_load_u16 v12, v28
	v_add_co_u32 v25, vcc_lo, v25, v27
	v_add_co_ci_u32_e32 v26, vcc_lo, 0, v26, vcc_lo
	v_add_nc_u32_e32 v28, v28, v41
	s_delay_alu instid0(VALU_DEP_2) | instskip(SKIP_3) | instid1(VALU_DEP_2)
	v_cmp_le_u64_e32 vcc_lo, s[12:13], v[25:26]
	s_waitcnt lgkmcnt(0)
	v_cmp_lt_i16_e64 s7, -1, v12
	v_and_b32_e32 v42, 0xffff, v12
	v_cndmask_b32_e64 v43, 0xffff, v37, s7
	v_cmp_o_f16_e64 s7, v12, v12
	s_delay_alu instid0(VALU_DEP_2) | instskip(NEXT) | instid1(VALU_DEP_1)
	v_xor_b32_e32 v42, v43, v42
	v_cndmask_b32_e64 v12, 0xffff, v42, s7
	s_delay_alu instid0(VALU_DEP_1) | instskip(SKIP_1) | instid1(VALU_DEP_2)
	v_and_b32_e32 v42, v12, v38
	v_bfe_u32 v12, v12, s16, 2
	v_cmp_eq_u32_e64 s7, v42, v39
	s_delay_alu instid0(VALU_DEP_2) | instskip(SKIP_3) | instid1(VALU_DEP_4)
	v_cmp_eq_u32_e64 s8, 0, v12
	v_cmp_eq_u32_e64 s9, 1, v12
	;; [unrolled: 1-line block ×4, first 2 shown]
	s_and_b32 s8, s7, s8
	s_delay_alu instid0(SALU_CYCLE_1) | instskip(SKIP_1) | instid1(SALU_CYCLE_1)
	v_cndmask_b32_e64 v12, 0, 1, s8
	s_and_b32 s8, s7, s9
	v_cndmask_b32_e64 v42, 0, 1, s8
	s_and_b32 s8, s7, s10
	s_and_b32 s7, s7, s11
	v_cndmask_b32_e64 v43, 0, 1, s8
	v_cndmask_b32_e64 v44, 0, 1, s7
	v_cmp_ne_u32_e64 s7, 0, v12
	v_cmp_ne_u32_e64 s8, 0, v42
	s_delay_alu instid0(VALU_DEP_4) | instskip(NEXT) | instid1(VALU_DEP_4)
	v_cmp_ne_u32_e64 s9, 0, v43
	v_cmp_ne_u32_e64 s10, 0, v44
	s_delay_alu instid0(VALU_DEP_4) | instskip(NEXT) | instid1(VALU_DEP_3)
	s_bcnt1_i32_b32 s7, s7
	s_bcnt1_i32_b32 s8, s8
	v_add_co_u32 v2, s7, v2, s7
	s_delay_alu instid0(VALU_DEP_1)
	v_add_co_ci_u32_e64 v3, s7, 0, v3, s7
	v_add_co_u32 v4, s7, v4, s8
	s_bcnt1_i32_b32 s9, s9
	v_add_co_ci_u32_e64 v5, s7, 0, v5, s7
	v_add_co_u32 v6, s7, v6, s9
	s_bcnt1_i32_b32 s10, s10
	v_add_co_ci_u32_e64 v7, s7, 0, v7, s7
	v_add_co_u32 v8, s7, v8, s10
	s_delay_alu instid0(VALU_DEP_1) | instskip(SKIP_1) | instid1(SALU_CYCLE_1)
	v_add_co_ci_u32_e64 v9, s7, 0, v9, s7
	s_or_b32 s15, vcc_lo, s15
	s_and_not1_b32 exec_lo, exec_lo, s15
	s_cbranch_execnz .LBB204_60
; %bb.61:                               ;   in Loop: Header=BB204_6 Depth=1
	s_or_b32 exec_lo, exec_lo, s15
.LBB204_62:                             ;   in Loop: Header=BB204_6 Depth=1
	s_delay_alu instid0(SALU_CYCLE_1)
	s_or_b32 exec_lo, exec_lo, s14
.LBB204_63:                             ;   in Loop: Header=BB204_6 Depth=1
	s_lshl_b32 s7, s89, 7
	s_and_saveexec_b32 s8, s2
	s_cbranch_execz .LBB204_65
; %bb.64:                               ;   in Loop: Header=BB204_6 Depth=1
	v_or_b32_e32 v12, s7, v32
	s_delay_alu instid0(VALU_DEP_1)
	v_lshlrev_b32_e32 v12, 3, v12
	ds_store_b128 v12, v[2:5] offset:3072
	ds_store_b128 v12, v[6:9] offset:3088
.LBB204_65:                             ;   in Loop: Header=BB204_6 Depth=1
	s_or_b32 exec_lo, exec_lo, s8
	s_waitcnt vmcnt(0) lgkmcnt(0)
	s_barrier
	buffer_gl0_inv
	s_and_saveexec_b32 s8, s74
	s_cbranch_execz .LBB204_76
; %bb.66:                               ;   in Loop: Header=BB204_6 Depth=1
	v_mov_b32_e32 v2, 0
	v_mov_b32_e32 v3, 0
	s_and_not1_b32 vcc_lo, exec_lo, s82
	s_cbranch_vccnz .LBB204_75
; %bb.67:                               ;   in Loop: Header=BB204_6 Depth=1
	v_mov_b32_e32 v2, 0
	v_mov_b32_e32 v3, 0
	s_and_not1_b32 vcc_lo, exec_lo, s80
	s_cbranch_vccnz .LBB204_72
; %bb.68:                               ;   in Loop: Header=BB204_6 Depth=1
	v_lshl_add_u32 v4, s89, 10, v36
	s_mov_b32 s9, 0
	s_set_inst_prefetch_distance 0x1
	.p2align	6
.LBB204_69:                             ;   Parent Loop BB204_6 Depth=1
                                        ; =>  This Inner Loop Header: Depth=2
	ds_load_2addr_b64 v[5:8], v4 offset1:4
	ds_load_2addr_b64 v[25:28], v4 offset0:8 offset1:12
	ds_load_2addr_b64 v[41:44], v4 offset0:16 offset1:20
	s_add_i32 s9, s9, 8
	s_delay_alu instid0(SALU_CYCLE_1) | instskip(SKIP_3) | instid1(VALU_DEP_2)
	s_cmp_eq_u32 s81, s9
	s_waitcnt lgkmcnt(2)
	v_add_co_u32 v2, vcc_lo, v5, v2
	v_add_co_ci_u32_e32 v3, vcc_lo, v6, v3, vcc_lo
	v_add_co_u32 v2, vcc_lo, v7, v2
	s_delay_alu instid0(VALU_DEP_2)
	v_add_co_ci_u32_e32 v3, vcc_lo, v8, v3, vcc_lo
	ds_load_2addr_b64 v[5:8], v4 offset0:24 offset1:28
	s_waitcnt lgkmcnt(2)
	v_add_co_u32 v2, vcc_lo, v25, v2
	v_add_co_ci_u32_e32 v3, vcc_lo, v26, v3, vcc_lo
	v_add_nc_u32_e32 v4, 0x100, v4
	s_delay_alu instid0(VALU_DEP_3) | instskip(NEXT) | instid1(VALU_DEP_3)
	v_add_co_u32 v2, vcc_lo, v27, v2
	v_add_co_ci_u32_e32 v3, vcc_lo, v28, v3, vcc_lo
	s_waitcnt lgkmcnt(1)
	s_delay_alu instid0(VALU_DEP_2) | instskip(NEXT) | instid1(VALU_DEP_2)
	v_add_co_u32 v2, vcc_lo, v41, v2
	v_add_co_ci_u32_e32 v3, vcc_lo, v42, v3, vcc_lo
	s_delay_alu instid0(VALU_DEP_2) | instskip(NEXT) | instid1(VALU_DEP_2)
	v_add_co_u32 v2, vcc_lo, v43, v2
	v_add_co_ci_u32_e32 v3, vcc_lo, v44, v3, vcc_lo
	s_waitcnt lgkmcnt(0)
	s_delay_alu instid0(VALU_DEP_2) | instskip(NEXT) | instid1(VALU_DEP_2)
	v_add_co_u32 v2, vcc_lo, v5, v2
	v_add_co_ci_u32_e32 v3, vcc_lo, v6, v3, vcc_lo
	s_delay_alu instid0(VALU_DEP_2) | instskip(NEXT) | instid1(VALU_DEP_2)
	v_add_co_u32 v2, vcc_lo, v7, v2
	v_add_co_ci_u32_e32 v3, vcc_lo, v8, v3, vcc_lo
	s_cbranch_scc0 .LBB204_69
; %bb.70:                               ;   in Loop: Header=BB204_6 Depth=1
	s_set_inst_prefetch_distance 0x2
	s_mov_b32 s9, s81
	s_and_not1_b32 vcc_lo, exec_lo, s83
	s_cbranch_vccz .LBB204_73
	s_branch .LBB204_75
.LBB204_71:                             ;   in Loop: Header=BB204_6 Depth=1
                                        ; implicit-def: $vgpr2_vgpr3
	s_branch .LBB204_39
.LBB204_72:                             ;   in Loop: Header=BB204_6 Depth=1
	s_mov_b32 s9, 0
	s_and_not1_b32 vcc_lo, exec_lo, s83
	s_cbranch_vccnz .LBB204_75
.LBB204_73:                             ;   in Loop: Header=BB204_6 Depth=1
	s_lshl_b32 s10, s89, 10
	s_lshl_b32 s9, s9, 5
	s_delay_alu instid0(SALU_CYCLE_1)
	v_add3_u32 v4, s10, s9, v36
	s_mov_b32 s9, s79
.LBB204_74:                             ;   Parent Loop BB204_6 Depth=1
                                        ; =>  This Inner Loop Header: Depth=2
	ds_load_b64 v[5:6], v4
	v_add_nc_u32_e32 v4, 32, v4
	s_add_i32 s9, s9, -1
	s_delay_alu instid0(SALU_CYCLE_1)
	s_cmp_lg_u32 s9, 0
	s_waitcnt lgkmcnt(0)
	v_add_co_u32 v2, vcc_lo, v5, v2
	v_add_co_ci_u32_e32 v3, vcc_lo, v6, v3, vcc_lo
	s_cbranch_scc1 .LBB204_74
.LBB204_75:                             ;   in Loop: Header=BB204_6 Depth=1
	v_add_lshl_u32 v4, s7, v30, 3
	ds_store_b64 v4, v[2:3] offset:3072
.LBB204_76:                             ;   in Loop: Header=BB204_6 Depth=1
	s_or_b32 exec_lo, exec_lo, s8
	s_lshl_b32 s7, s7, 3
	s_waitcnt lgkmcnt(0)
	v_mov_b32_e32 v6, s7
	s_barrier
	buffer_gl0_inv
	s_and_b32 s22, s85, 0xfe
	v_cmp_eq_u64_e64 s7, 1, v[23:24]
	ds_load_b128 v[2:5], v6 offset:3072
	ds_load_b128 v[6:9], v6 offset:3088
	s_lshl_b32 s20, 3, s22
	s_and_not1_b32 vcc_lo, exec_lo, s75
	s_not_b32 s21, s20
	s_waitcnt lgkmcnt(1)
	v_readfirstlane_b32 s11, v3
	v_readfirstlane_b32 s10, v2
	;; [unrolled: 1-line block ×4, first 2 shown]
	s_waitcnt lgkmcnt(0)
	v_readfirstlane_b32 s15, v7
	v_readfirstlane_b32 s14, v6
	;; [unrolled: 1-line block ×4, first 2 shown]
	s_cbranch_vccnz .LBB204_92
; %bb.77:                               ;   in Loop: Header=BB204_6 Depth=1
	s_cmp_eq_u64 s[10:11], 1
	v_dual_mov_b32 v25, v39 :: v_dual_mov_b32 v26, v38
	v_mov_b32_e32 v6, v40
	s_cselect_b32 s8, -1, 0
                                        ; implicit-def: $sgpr23
                                        ; implicit-def: $sgpr62
                                        ; implicit-def: $sgpr52
	s_delay_alu instid0(SALU_CYCLE_1)
	s_and_b32 s65, s8, s7
	s_mov_b32 s8, -1
	s_and_saveexec_b32 s24, s65
	s_cbranch_execz .LBB204_111
; %bb.78:                               ;   in Loop: Header=BB204_6 Depth=1
	ds_load_b64 v[2:3], v13 offset:5120
	s_waitcnt lgkmcnt(0)
	s_barrier
	buffer_gl0_inv
	v_readfirstlane_b32 s18, v2
	v_readfirstlane_b32 s19, v3
	s_and_saveexec_b32 s8, s6
	s_cbranch_execz .LBB204_80
; %bb.79:                               ;   in Loop: Header=BB204_6 Depth=1
	ds_store_b16 v33, v13
.LBB204_80:                             ;   in Loop: Header=BB204_6 Depth=1
	s_or_b32 exec_lo, exec_lo, s8
	v_and_b32_e32 v25, s21, v39
	v_or_b32_e32 v26, s20, v38
	s_cmp_eq_u64 s[18:19], 0
	s_waitcnt lgkmcnt(0)
	s_barrier
	buffer_gl0_inv
	s_cbranch_scc1 .LBB204_94
; %bb.81:                               ;   in Loop: Header=BB204_6 Depth=1
	s_add_u32 s23, s76, s18
	s_addc_u32 s9, s77, s19
	s_mov_b32 s8, s53
	s_delay_alu instid0(SALU_CYCLE_1)
	s_cmp_lg_u64 s[8:9], 0
	s_cbranch_scc0 .LBB204_138
; %bb.82:                               ;   in Loop: Header=BB204_6 Depth=1
	v_cvt_f32_u32_e32 v2, s33
	s_sub_u32 s26, 0, s33
	s_subb_u32 s44, 0, 0
	s_delay_alu instid0(VALU_DEP_1) | instskip(NEXT) | instid1(VALU_DEP_1)
	v_fmac_f32_e64 v2, 0, 0x4f800000
	v_rcp_f32_e32 v2, v2
	s_waitcnt_depctr 0xfff
	v_mul_f32_e32 v2, 0x5f7ffffc, v2
	s_delay_alu instid0(VALU_DEP_1) | instskip(NEXT) | instid1(VALU_DEP_1)
	v_mul_f32_e32 v3, 0x2f800000, v2
	v_trunc_f32_e32 v3, v3
	s_delay_alu instid0(VALU_DEP_1) | instskip(SKIP_1) | instid1(VALU_DEP_2)
	v_fmac_f32_e32 v2, 0xcf800000, v3
	v_cvt_u32_f32_e32 v3, v3
	v_cvt_u32_f32_e32 v2, v2
	s_delay_alu instid0(VALU_DEP_2) | instskip(NEXT) | instid1(VALU_DEP_2)
	v_readfirstlane_b32 s8, v3
	v_readfirstlane_b32 s25, v2
	s_delay_alu instid0(VALU_DEP_2) | instskip(NEXT) | instid1(VALU_DEP_1)
	s_mul_i32 s45, s26, s8
	s_mul_hi_u32 s49, s26, s25
	s_mul_i32 s48, s44, s25
	s_add_i32 s45, s49, s45
	s_mul_i32 s52, s26, s25
	s_add_i32 s45, s45, s48
	s_mul_hi_u32 s49, s25, s52
	s_mul_hi_u32 s62, s8, s52
	s_mul_i32 s48, s8, s52
	s_mul_hi_u32 s52, s25, s45
	s_mul_i32 s25, s25, s45
	s_mul_hi_u32 s63, s8, s45
	s_add_u32 s25, s49, s25
	s_addc_u32 s49, 0, s52
	s_add_u32 s25, s25, s48
	s_mul_i32 s45, s8, s45
	s_addc_u32 s25, s49, s62
	s_addc_u32 s48, s63, 0
	s_add_u32 s25, s25, s45
	s_addc_u32 s45, 0, s48
	v_add_co_u32 v2, s25, v2, s25
	s_delay_alu instid0(VALU_DEP_1) | instskip(SKIP_1) | instid1(VALU_DEP_1)
	s_cmp_lg_u32 s25, 0
	s_addc_u32 s8, s8, s45
	v_readfirstlane_b32 s25, v2
	s_mul_i32 s45, s26, s8
	s_delay_alu instid0(VALU_DEP_1)
	s_mul_hi_u32 s48, s26, s25
	s_mul_i32 s44, s44, s25
	s_add_i32 s45, s48, s45
	s_mul_i32 s26, s26, s25
	s_add_i32 s45, s45, s44
	s_mul_hi_u32 s48, s8, s26
	s_mul_i32 s49, s8, s26
	s_mul_hi_u32 s26, s25, s26
	s_mul_hi_u32 s52, s25, s45
	s_mul_i32 s25, s25, s45
	s_mul_hi_u32 s44, s8, s45
	s_add_u32 s25, s26, s25
	s_addc_u32 s26, 0, s52
	s_add_u32 s25, s25, s49
	s_mul_i32 s45, s8, s45
	s_addc_u32 s25, s26, s48
	s_addc_u32 s26, s44, 0
	s_add_u32 s25, s25, s45
	s_addc_u32 s26, 0, s26
	v_add_co_u32 v2, s25, v2, s25
	s_delay_alu instid0(VALU_DEP_1) | instskip(SKIP_1) | instid1(VALU_DEP_1)
	s_cmp_lg_u32 s25, 0
	s_addc_u32 s8, s8, s26
	v_readfirstlane_b32 s25, v2
	s_mul_i32 s44, s23, s8
	s_mul_hi_u32 s26, s23, s8
	s_mul_hi_u32 s45, s9, s8
	s_mul_i32 s8, s9, s8
	s_mul_hi_u32 s48, s23, s25
	s_mul_hi_u32 s49, s9, s25
	s_mul_i32 s25, s9, s25
	s_add_u32 s44, s48, s44
	s_addc_u32 s26, 0, s26
	s_add_u32 s25, s44, s25
	s_addc_u32 s25, s26, s49
	s_addc_u32 s26, s45, 0
	s_add_u32 s8, s25, s8
	s_addc_u32 s25, 0, s26
	s_mul_hi_u32 s26, s33, s8
	s_mul_i32 s8, s33, s8
	s_mul_i32 s25, s33, s25
	v_sub_co_u32 v2, s8, s23, s8
	s_add_i32 s26, s26, s25
	s_cmp_lg_u32 s8, 0
	s_delay_alu instid0(VALU_DEP_1) | instskip(SKIP_2) | instid1(VALU_DEP_1)
	v_sub_co_u32 v3, s8, v2, s33
	s_subb_u32 s25, s9, s26
	s_cmp_lg_u32 s8, 0
	v_cmp_le_u32_e32 vcc_lo, s33, v3
	v_sub_co_u32 v4, s8, v3, s33
	s_subb_u32 s26, s25, 0
	s_cmp_lg_u32 s8, 0
	v_cndmask_b32_e64 v5, 0, -1, vcc_lo
	s_subb_u32 s8, s26, 0
	s_cmp_eq_u32 s26, 0
	v_mov_b32_e32 v7, s8
	s_cselect_b32 vcc_lo, -1, 0
	s_cmp_eq_u32 s25, 0
	v_cndmask_b32_e32 v5, -1, v5, vcc_lo
	v_cmp_le_u32_e32 vcc_lo, s33, v2
	s_cselect_b32 s8, -1, 0
	v_cndmask_b32_e64 v6, 0, -1, vcc_lo
	s_delay_alu instid0(VALU_DEP_3) | instskip(NEXT) | instid1(VALU_DEP_2)
	v_cmp_ne_u32_e32 vcc_lo, 0, v5
	v_cndmask_b32_e64 v5, -1, v6, s8
	v_cndmask_b32_e32 v6, s26, v7, vcc_lo
	v_cndmask_b32_e32 v4, v3, v4, vcc_lo
	s_delay_alu instid0(VALU_DEP_3) | instskip(NEXT) | instid1(VALU_DEP_3)
	v_cmp_ne_u32_e32 vcc_lo, 0, v5
	v_cndmask_b32_e32 v3, s25, v6, vcc_lo
	s_delay_alu instid0(VALU_DEP_3)
	v_cndmask_b32_e32 v2, v2, v4, vcc_lo
	s_cbranch_execnz .LBB204_84
.LBB204_83:                             ;   in Loop: Header=BB204_6 Depth=1
	v_cvt_f32_u32_e32 v2, s33
	s_sub_i32 s8, 0, s33
	s_delay_alu instid0(VALU_DEP_1) | instskip(SKIP_2) | instid1(VALU_DEP_1)
	v_rcp_iflag_f32_e32 v2, v2
	s_waitcnt_depctr 0xfff
	v_mul_f32_e32 v2, 0x4f7ffffe, v2
	v_cvt_u32_f32_e32 v2, v2
	s_delay_alu instid0(VALU_DEP_1) | instskip(NEXT) | instid1(VALU_DEP_1)
	v_mul_lo_u32 v3, s8, v2
	v_mul_hi_u32 v3, v2, v3
	s_delay_alu instid0(VALU_DEP_1) | instskip(NEXT) | instid1(VALU_DEP_1)
	v_add_nc_u32_e32 v2, v2, v3
	v_mul_hi_u32 v2, s23, v2
	s_delay_alu instid0(VALU_DEP_1) | instskip(NEXT) | instid1(VALU_DEP_1)
	v_mul_lo_u32 v2, v2, s33
	v_sub_nc_u32_e32 v2, s23, v2
	s_delay_alu instid0(VALU_DEP_1) | instskip(SKIP_1) | instid1(VALU_DEP_2)
	v_subrev_nc_u32_e32 v3, s33, v2
	v_cmp_le_u32_e32 vcc_lo, s33, v2
	v_cndmask_b32_e32 v2, v2, v3, vcc_lo
	s_delay_alu instid0(VALU_DEP_1) | instskip(SKIP_1) | instid1(VALU_DEP_2)
	v_subrev_nc_u32_e32 v3, s33, v2
	v_cmp_le_u32_e32 vcc_lo, s33, v2
	v_cndmask_b32_e32 v12, v2, v3, vcc_lo
	s_delay_alu instid0(VALU_DEP_1)
	v_dual_mov_b32 v2, v12 :: v_dual_mov_b32 v3, v13
.LBB204_84:                             ;   in Loop: Header=BB204_6 Depth=1
	s_delay_alu instid0(VALU_DEP_1) | instskip(NEXT) | instid1(VALU_DEP_2)
	v_sub_co_u32 v2, vcc_lo, s23, v2
	v_sub_co_ci_u32_e32 v3, vcc_lo, s9, v3, vcc_lo
	s_mov_b32 s8, 0
	s_mov_b32 s9, exec_lo
                                        ; implicit-def: $vgpr6
	s_delay_alu instid0(VALU_DEP_1)
	v_cmpx_gt_u64_e64 v[2:3], v[0:1]
	s_cbranch_execz .LBB204_96
; %bb.85:                               ;   in Loop: Header=BB204_6 Depth=1
	v_dual_mov_b32 v6, v31 :: v_dual_mov_b32 v5, v1
	v_mov_b32_e32 v4, v0
	s_mov_b32 s23, 0
                                        ; implicit-def: $sgpr25
	s_set_inst_prefetch_distance 0x1
	s_branch .LBB204_87
	.p2align	6
.LBB204_86:                             ;   in Loop: Header=BB204_87 Depth=2
	s_or_b32 exec_lo, exec_lo, s8
	s_waitcnt lgkmcnt(0)
	s_barrier
	buffer_gl0_inv
	ds_load_b32 v7, v13 offset:3072
	v_add_co_u32 v4, vcc_lo, v4, s33
	v_add_co_ci_u32_e32 v5, vcc_lo, 0, v5, vcc_lo
	v_add_nc_u32_e32 v6, s84, v6
	s_waitcnt lgkmcnt(0)
	s_barrier
	s_delay_alu instid0(VALU_DEP_2) | instskip(SKIP_2) | instid1(VALU_DEP_1)
	v_cmp_ge_u64_e32 vcc_lo, v[4:5], v[2:3]
	buffer_gl0_inv
	v_cmp_neq_f16_e64 s8, 0, v7
	s_or_b32 s26, vcc_lo, s8
	s_delay_alu instid0(SALU_CYCLE_1) | instskip(NEXT) | instid1(SALU_CYCLE_1)
	s_and_b32 s26, exec_lo, s26
	s_or_b32 s23, s26, s23
	s_and_not1_b32 s25, s25, exec_lo
	s_and_b32 s8, s8, exec_lo
	s_delay_alu instid0(SALU_CYCLE_1)
	s_or_b32 s25, s25, s8
	s_and_not1_b32 exec_lo, exec_lo, s23
	s_cbranch_execz .LBB204_95
.LBB204_87:                             ;   Parent Loop BB204_6 Depth=1
                                        ; =>  This Inner Loop Header: Depth=2
	s_delay_alu instid0(VALU_DEP_1)
	v_cmp_gt_u64_e32 vcc_lo, s[18:19], v[4:5]
	v_mov_b32_e32 v7, 0
	s_and_saveexec_b32 s8, vcc_lo
	s_cbranch_execz .LBB204_89
; %bb.88:                               ;   in Loop: Header=BB204_87 Depth=2
	ds_load_u16 v7, v6
.LBB204_89:                             ;   in Loop: Header=BB204_87 Depth=2
	s_or_b32 exec_lo, exec_lo, s8
	s_and_saveexec_b32 s8, vcc_lo
	s_cbranch_execz .LBB204_86
; %bb.90:                               ;   in Loop: Header=BB204_87 Depth=2
	s_waitcnt lgkmcnt(0)
	v_cmp_lt_i16_e32 vcc_lo, -1, v7
	v_dual_cndmask_b32 v9, 0xffff, v37 :: v_dual_and_b32 v8, 0xffff, v7
	v_cmp_o_f16_e32 vcc_lo, v7, v7
	s_delay_alu instid0(VALU_DEP_2) | instskip(NEXT) | instid1(VALU_DEP_1)
	v_xor_b32_e32 v8, v9, v8
	v_cndmask_b32_e32 v8, 0xffff, v8, vcc_lo
	s_delay_alu instid0(VALU_DEP_1) | instskip(NEXT) | instid1(VALU_DEP_1)
	v_and_b32_e32 v8, v8, v26
	v_cmp_eq_u32_e32 vcc_lo, v8, v25
	s_and_b32 exec_lo, exec_lo, vcc_lo
	s_cbranch_execz .LBB204_86
; %bb.91:                               ;   in Loop: Header=BB204_87 Depth=2
	v_perm_b32 v7, v7, s87, 0x5040100
	ds_store_b32 v13, v7 offset:3072
	s_branch .LBB204_86
.LBB204_92:                             ;   in Loop: Header=BB204_6 Depth=1
	s_mov_b32 s25, 0
	s_mov_b32 s24, 0
                                        ; implicit-def: $sgpr52
                                        ; implicit-def: $sgpr62
                                        ; implicit-def: $sgpr23
                                        ; implicit-def: $vgpr7
                                        ; implicit-def: $vgpr2_vgpr3
                                        ; implicit-def: $vgpr25
                                        ; implicit-def: $vgpr26
                                        ; implicit-def: $vgpr6
	s_cbranch_execnz .LBB204_275
.LBB204_93:                             ;   in Loop: Header=BB204_6 Depth=1
	s_mov_b32 s18, s23
	s_mov_b32 s19, s23
	s_and_saveexec_b32 s7, s25
	s_cbranch_execnz .LBB204_471
	s_branch .LBB204_472
.LBB204_94:                             ;   in Loop: Header=BB204_6 Depth=1
	s_mov_b32 s23, -1
	s_mov_b32 s8, 0
                                        ; implicit-def: $sgpr52
                                        ; implicit-def: $vgpr6
	s_mov_b32 s62, s23
	s_cbranch_execnz .LBB204_97
	s_branch .LBB204_110
.LBB204_95:                             ;   in Loop: Header=BB204_6 Depth=1
	s_set_inst_prefetch_distance 0x2
	s_or_b32 exec_lo, exec_lo, s23
	v_lshrrev_b32_e32 v6, 16, v7
	s_and_b32 s8, s25, exec_lo
.LBB204_96:                             ;   in Loop: Header=BB204_6 Depth=1
	s_or_b32 exec_lo, exec_lo, s9
	s_mov_b32 s52, -1
	s_mov_b32 s23, 0
	s_delay_alu instid0(SALU_CYCLE_1)
	s_mov_b32 s62, s23
	s_branch .LBB204_110
.LBB204_97:                             ;   in Loop: Header=BB204_6 Depth=1
	s_mov_b32 s26, s53
	s_delay_alu instid0(SALU_CYCLE_1)
	s_cmp_lg_u64 s[26:27], 0
	s_cbranch_scc0 .LBB204_139
; %bb.98:                               ;   in Loop: Header=BB204_6 Depth=1
	v_cvt_f32_u32_e32 v2, s33
	s_sub_u32 s18, 0, s33
	s_subb_u32 s19, 0, 0
	s_delay_alu instid0(VALU_DEP_1) | instskip(NEXT) | instid1(VALU_DEP_1)
	v_fmac_f32_e64 v2, 0, 0x4f800000
	v_rcp_f32_e32 v2, v2
	s_waitcnt_depctr 0xfff
	v_mul_f32_e32 v2, 0x5f7ffffc, v2
	s_delay_alu instid0(VALU_DEP_1) | instskip(NEXT) | instid1(VALU_DEP_1)
	v_mul_f32_e32 v3, 0x2f800000, v2
	v_trunc_f32_e32 v3, v3
	s_delay_alu instid0(VALU_DEP_1) | instskip(SKIP_1) | instid1(VALU_DEP_2)
	v_fmac_f32_e32 v2, 0xcf800000, v3
	v_cvt_u32_f32_e32 v3, v3
	v_cvt_u32_f32_e32 v2, v2
	s_delay_alu instid0(VALU_DEP_2) | instskip(NEXT) | instid1(VALU_DEP_2)
	v_readfirstlane_b32 s8, v3
	v_readfirstlane_b32 s9, v2
	s_delay_alu instid0(VALU_DEP_2) | instskip(NEXT) | instid1(VALU_DEP_1)
	s_mul_i32 s23, s18, s8
	s_mul_hi_u32 s26, s18, s9
	s_mul_i32 s25, s19, s9
	s_add_i32 s23, s26, s23
	s_mul_i32 s44, s18, s9
	s_add_i32 s23, s23, s25
	s_mul_hi_u32 s26, s9, s44
	s_mul_hi_u32 s45, s8, s44
	s_mul_i32 s25, s8, s44
	s_mul_hi_u32 s44, s9, s23
	s_mul_i32 s9, s9, s23
	s_mul_hi_u32 s48, s8, s23
	s_add_u32 s9, s26, s9
	s_addc_u32 s26, 0, s44
	s_add_u32 s9, s9, s25
	s_mul_i32 s23, s8, s23
	s_addc_u32 s9, s26, s45
	s_addc_u32 s25, s48, 0
	s_add_u32 s9, s9, s23
	s_addc_u32 s23, 0, s25
	v_add_co_u32 v2, s9, v2, s9
	s_delay_alu instid0(VALU_DEP_1) | instskip(SKIP_1) | instid1(VALU_DEP_1)
	s_cmp_lg_u32 s9, 0
	s_addc_u32 s8, s8, s23
	v_readfirstlane_b32 s9, v2
	s_mul_i32 s23, s18, s8
	s_delay_alu instid0(VALU_DEP_1)
	s_mul_hi_u32 s25, s18, s9
	s_mul_i32 s19, s19, s9
	s_add_i32 s23, s25, s23
	s_mul_i32 s18, s18, s9
	s_add_i32 s23, s23, s19
	s_mul_hi_u32 s25, s8, s18
	s_mul_i32 s26, s8, s18
	s_mul_hi_u32 s18, s9, s18
	s_mul_hi_u32 s44, s9, s23
	s_mul_i32 s9, s9, s23
	s_mul_hi_u32 s19, s8, s23
	s_add_u32 s9, s18, s9
	s_addc_u32 s18, 0, s44
	s_add_u32 s9, s9, s26
	s_mul_i32 s23, s8, s23
	s_addc_u32 s9, s18, s25
	s_addc_u32 s18, s19, 0
	s_add_u32 s9, s9, s23
	s_addc_u32 s18, 0, s18
	v_add_co_u32 v2, s9, v2, s9
	s_delay_alu instid0(VALU_DEP_1) | instskip(SKIP_1) | instid1(VALU_DEP_1)
	s_cmp_lg_u32 s9, 0
	s_addc_u32 s8, s8, s18
	v_readfirstlane_b32 s9, v2
	s_mul_i32 s19, s78, s8
	s_mul_hi_u32 s18, s78, s8
	s_mul_hi_u32 s23, s27, s8
	s_mul_i32 s8, s27, s8
	s_mul_hi_u32 s25, s78, s9
	s_mul_hi_u32 s26, s27, s9
	s_mul_i32 s9, s27, s9
	s_add_u32 s19, s25, s19
	s_addc_u32 s18, 0, s18
	s_add_u32 s9, s19, s9
	s_addc_u32 s9, s18, s26
	s_addc_u32 s18, s23, 0
	s_add_u32 s8, s9, s8
	s_addc_u32 s9, 0, s18
	s_mul_hi_u32 s18, s33, s8
	s_mul_i32 s8, s33, s8
	s_mul_i32 s9, s33, s9
	v_sub_co_u32 v2, s8, s78, s8
	s_add_i32 s18, s18, s9
	s_cmp_lg_u32 s8, 0
	s_delay_alu instid0(VALU_DEP_1) | instskip(SKIP_2) | instid1(VALU_DEP_1)
	v_sub_co_u32 v3, s8, v2, s33
	s_subb_u32 s9, s27, s18
	s_cmp_lg_u32 s8, 0
	v_cmp_le_u32_e32 vcc_lo, s33, v3
	v_sub_co_u32 v4, s8, v3, s33
	s_subb_u32 s18, s9, 0
	s_cmp_lg_u32 s8, 0
	v_cndmask_b32_e64 v5, 0, -1, vcc_lo
	s_subb_u32 s8, s18, 0
	s_cmp_eq_u32 s18, 0
	v_mov_b32_e32 v7, s8
	s_cselect_b32 vcc_lo, -1, 0
	s_cmp_eq_u32 s9, 0
	v_cndmask_b32_e32 v5, -1, v5, vcc_lo
	v_cmp_le_u32_e32 vcc_lo, s33, v2
	s_cselect_b32 s8, -1, 0
	v_cndmask_b32_e64 v6, 0, -1, vcc_lo
	s_delay_alu instid0(VALU_DEP_3) | instskip(NEXT) | instid1(VALU_DEP_2)
	v_cmp_ne_u32_e32 vcc_lo, 0, v5
	v_cndmask_b32_e64 v5, -1, v6, s8
	v_cndmask_b32_e32 v6, s18, v7, vcc_lo
	v_cndmask_b32_e32 v4, v3, v4, vcc_lo
	s_delay_alu instid0(VALU_DEP_3) | instskip(NEXT) | instid1(VALU_DEP_3)
	v_cmp_ne_u32_e32 vcc_lo, 0, v5
	v_cndmask_b32_e32 v3, s9, v6, vcc_lo
	s_delay_alu instid0(VALU_DEP_3)
	v_cndmask_b32_e32 v2, v2, v4, vcc_lo
	s_cbranch_execnz .LBB204_100
.LBB204_99:                             ;   in Loop: Header=BB204_6 Depth=1
	v_cvt_f32_u32_e32 v2, s33
	s_sub_i32 s8, 0, s33
	s_delay_alu instid0(VALU_DEP_1) | instskip(SKIP_2) | instid1(VALU_DEP_1)
	v_rcp_iflag_f32_e32 v2, v2
	s_waitcnt_depctr 0xfff
	v_mul_f32_e32 v2, 0x4f7ffffe, v2
	v_cvt_u32_f32_e32 v2, v2
	s_delay_alu instid0(VALU_DEP_1) | instskip(NEXT) | instid1(VALU_DEP_1)
	v_mul_lo_u32 v3, s8, v2
	v_mul_hi_u32 v3, v2, v3
	s_delay_alu instid0(VALU_DEP_1) | instskip(NEXT) | instid1(VALU_DEP_1)
	v_add_nc_u32_e32 v2, v2, v3
	v_mul_hi_u32 v2, s78, v2
	s_delay_alu instid0(VALU_DEP_1) | instskip(NEXT) | instid1(VALU_DEP_1)
	v_mul_lo_u32 v2, v2, s33
	v_sub_nc_u32_e32 v2, s78, v2
	s_delay_alu instid0(VALU_DEP_1) | instskip(SKIP_1) | instid1(VALU_DEP_2)
	v_subrev_nc_u32_e32 v3, s33, v2
	v_cmp_le_u32_e32 vcc_lo, s33, v2
	v_cndmask_b32_e32 v2, v2, v3, vcc_lo
	s_delay_alu instid0(VALU_DEP_1) | instskip(SKIP_1) | instid1(VALU_DEP_2)
	v_subrev_nc_u32_e32 v3, s33, v2
	v_cmp_le_u32_e32 vcc_lo, s33, v2
	v_cndmask_b32_e32 v12, v2, v3, vcc_lo
	s_delay_alu instid0(VALU_DEP_1)
	v_dual_mov_b32 v2, v12 :: v_dual_mov_b32 v3, v13
.LBB204_100:                            ;   in Loop: Header=BB204_6 Depth=1
	s_delay_alu instid0(VALU_DEP_1) | instskip(NEXT) | instid1(VALU_DEP_2)
	v_sub_co_u32 v2, vcc_lo, s78, v2
	v_sub_co_ci_u32_e32 v3, vcc_lo, s27, v3, vcc_lo
	s_mov_b32 s8, 0
	s_mov_b32 s9, exec_lo
                                        ; implicit-def: $vgpr6
	s_delay_alu instid0(VALU_DEP_1)
	v_cmpx_gt_u64_e64 v[2:3], v[0:1]
	s_cbranch_execz .LBB204_109
; %bb.101:                              ;   in Loop: Header=BB204_6 Depth=1
	v_dual_mov_b32 v4, v10 :: v_dual_mov_b32 v5, v11
	v_dual_mov_b32 v7, v1 :: v_dual_mov_b32 v6, v0
	s_mov_b32 s18, 0
                                        ; implicit-def: $sgpr19
	s_branch .LBB204_103
.LBB204_102:                            ;   in Loop: Header=BB204_103 Depth=2
	s_or_b32 exec_lo, exec_lo, s8
	s_waitcnt vmcnt(0) lgkmcnt(0)
	s_barrier
	buffer_gl0_inv
	ds_load_b32 v8, v13 offset:3072
	v_add_co_u32 v6, vcc_lo, v6, s33
	v_add_co_ci_u32_e32 v7, vcc_lo, 0, v7, vcc_lo
	s_waitcnt lgkmcnt(0)
	s_barrier
	buffer_gl0_inv
	v_cmp_ge_u64_e32 vcc_lo, v[6:7], v[2:3]
	v_cmp_neq_f16_e64 s8, 0, v8
	s_delay_alu instid0(VALU_DEP_1)
	s_or_b32 s23, vcc_lo, s8
	v_add_co_u32 v4, vcc_lo, v4, s34
	s_and_b32 s23, exec_lo, s23
	v_add_co_ci_u32_e32 v5, vcc_lo, s35, v5, vcc_lo
	s_or_b32 s18, s23, s18
	s_and_not1_b32 s19, s19, exec_lo
	s_and_b32 s8, s8, exec_lo
	s_delay_alu instid0(SALU_CYCLE_1)
	s_or_b32 s19, s19, s8
	s_and_not1_b32 exec_lo, exec_lo, s18
	s_cbranch_execz .LBB204_108
.LBB204_103:                            ;   Parent Loop BB204_6 Depth=1
                                        ; =>  This Inner Loop Header: Depth=2
	s_delay_alu instid0(VALU_DEP_1)
	v_cmp_gt_u64_e32 vcc_lo, s[28:29], v[6:7]
	v_mov_b32_e32 v8, 0
	s_and_saveexec_b32 s8, vcc_lo
	s_cbranch_execz .LBB204_105
; %bb.104:                              ;   in Loop: Header=BB204_103 Depth=2
	global_load_u16 v8, v[4:5], off
.LBB204_105:                            ;   in Loop: Header=BB204_103 Depth=2
	s_or_b32 exec_lo, exec_lo, s8
	s_and_saveexec_b32 s8, vcc_lo
	s_cbranch_execz .LBB204_102
; %bb.106:                              ;   in Loop: Header=BB204_103 Depth=2
	s_waitcnt vmcnt(0)
	v_cmp_lt_i16_e32 vcc_lo, -1, v8
	v_dual_cndmask_b32 v12, 0xffff, v37 :: v_dual_and_b32 v9, 0xffff, v8
	v_cmp_o_f16_e32 vcc_lo, v8, v8
	s_delay_alu instid0(VALU_DEP_2) | instskip(NEXT) | instid1(VALU_DEP_1)
	v_xor_b32_e32 v9, v12, v9
	v_cndmask_b32_e32 v9, 0xffff, v9, vcc_lo
	s_delay_alu instid0(VALU_DEP_1) | instskip(NEXT) | instid1(VALU_DEP_1)
	v_and_b32_e32 v9, v9, v26
	v_cmp_eq_u32_e32 vcc_lo, v9, v25
	s_and_b32 exec_lo, exec_lo, vcc_lo
	s_cbranch_execz .LBB204_102
; %bb.107:                              ;   in Loop: Header=BB204_103 Depth=2
	v_perm_b32 v8, v8, s87, 0x5040100
	ds_store_b32 v13, v8 offset:3072
	s_branch .LBB204_102
.LBB204_108:                            ;   in Loop: Header=BB204_6 Depth=1
	s_or_b32 exec_lo, exec_lo, s18
	v_lshrrev_b32_e32 v6, 16, v8
	s_and_b32 s8, s19, exec_lo
.LBB204_109:                            ;   in Loop: Header=BB204_6 Depth=1
	s_or_b32 exec_lo, exec_lo, s9
	s_mov_b32 s62, -1
	s_mov_b32 s23, 0
	s_mov_b32 s52, 0
.LBB204_110:                            ;   in Loop: Header=BB204_6 Depth=1
	s_or_not1_b32 s8, s8, exec_lo
.LBB204_111:                            ;   in Loop: Header=BB204_6 Depth=1
	s_or_b32 exec_lo, exec_lo, s24
	s_mov_b32 s63, 0
	s_mov_b32 s25, 0
	;; [unrolled: 1-line block ×3, first 2 shown]
                                        ; implicit-def: $vgpr7
                                        ; implicit-def: $vgpr2_vgpr3
	s_and_saveexec_b32 s64, s8
	s_cbranch_execz .LBB204_274
; %bb.112:                              ;   in Loop: Header=BB204_6 Depth=1
	v_dual_mov_b32 v2, 1 :: v_dual_mov_b32 v7, 1
	v_mov_b32_e32 v3, 0
	s_xor_b32 s9, s65, -1
	s_delay_alu instid0(SALU_CYCLE_1)
	s_and_saveexec_b32 s8, s9
	s_cbranch_execz .LBB204_122
; %bb.113:                              ;   in Loop: Header=BB204_6 Depth=1
	s_mov_b32 s18, exec_lo
                                        ; implicit-def: $sgpr19
                                        ; implicit-def: $sgpr9
	v_cmpx_ge_u64_e64 s[10:11], v[23:24]
	s_xor_b32 s18, exec_lo, s18
	s_cbranch_execz .LBB204_119
; %bb.114:                              ;   in Loop: Header=BB204_6 Depth=1
	ds_load_b64 v[2:3], v13 offset:5120
	s_waitcnt lgkmcnt(0)
	v_cmp_ne_u64_e32 vcc_lo, 0, v[2:3]
	s_cbranch_vccnz .LBB204_118
; %bb.115:                              ;   in Loop: Header=BB204_6 Depth=1
	s_and_saveexec_b32 s9, s5
	s_cbranch_execz .LBB204_117
; %bb.116:                              ;   in Loop: Header=BB204_6 Depth=1
	v_dual_mov_b32 v2, s10 :: v_dual_mov_b32 v3, s11
	ds_store_b64 v13, v[2:3] offset:5128
.LBB204_117:                            ;   in Loop: Header=BB204_6 Depth=1
	s_or_b32 exec_lo, exec_lo, s9
	s_waitcnt lgkmcnt(0)
	s_barrier
	buffer_gl0_inv
.LBB204_118:                            ;   in Loop: Header=BB204_6 Depth=1
	v_and_b32_e32 v25, s21, v25
	v_or_b32_e32 v26, s20, v26
	s_mov_b32 s9, 0
	s_mov_b32 s19, 8
.LBB204_119:                            ;   in Loop: Header=BB204_6 Depth=1
	s_or_saveexec_b32 s18, s18
	v_dual_mov_b32 v7, s19 :: v_dual_mov_b32 v2, v23
	v_mov_b32_e32 v3, v24
	s_xor_b32 exec_lo, exec_lo, s18
; %bb.120:                              ;   in Loop: Header=BB204_6 Depth=1
	v_sub_co_u32 v2, vcc_lo, v23, s10
	v_subrev_co_ci_u32_e32 v3, vcc_lo, s11, v24, vcc_lo
	v_mov_b32_e32 v7, 0
	s_or_b32 s9, s9, exec_lo
; %bb.121:                              ;   in Loop: Header=BB204_6 Depth=1
	s_or_b32 exec_lo, exec_lo, s18
	s_delay_alu instid0(SALU_CYCLE_1)
	s_and_b32 s24, s9, exec_lo
.LBB204_122:                            ;   in Loop: Header=BB204_6 Depth=1
	s_or_b32 exec_lo, exec_lo, s8
	s_mov_b32 s25, -1
                                        ; implicit-def: $sgpr9
                                        ; implicit-def: $sgpr18
                                        ; implicit-def: $sgpr19
	s_and_saveexec_b32 s8, s24
	s_delay_alu instid0(SALU_CYCLE_1)
	s_xor_b32 s24, exec_lo, s8
	s_cbranch_execz .LBB204_271
; %bb.123:                              ;   in Loop: Header=BB204_6 Depth=1
	v_cmp_eq_u64_e32 vcc_lo, 1, v[2:3]
	s_cmp_eq_u64 s[12:13], 1
                                        ; implicit-def: $sgpr25
                                        ; implicit-def: $sgpr66
                                        ; implicit-def: $sgpr65
	s_cselect_b32 s8, -1, 0
	s_delay_alu instid0(SALU_CYCLE_1)
	s_and_b32 s68, s8, vcc_lo
	s_mov_b32 s8, -1
	s_and_saveexec_b32 s67, s68
	s_cbranch_execz .LBB204_157
; %bb.124:                              ;   in Loop: Header=BB204_6 Depth=1
	ds_load_b64 v[4:5], v13 offset:5120
	s_waitcnt lgkmcnt(0)
	s_barrier
	buffer_gl0_inv
	v_readfirstlane_b32 s18, v4
	v_readfirstlane_b32 s19, v5
	s_and_saveexec_b32 s8, s6
	s_cbranch_execz .LBB204_126
; %bb.125:                              ;   in Loop: Header=BB204_6 Depth=1
	ds_store_b16 v33, v13
.LBB204_126:                            ;   in Loop: Header=BB204_6 Depth=1
	s_or_b32 exec_lo, exec_lo, s8
	s_lshl_b32 s8, 1, s22
	v_or_b32_e32 v26, s20, v26
	v_and_or_b32 v25, v25, s21, s8
	s_cmp_eq_u64 s[18:19], 0
	s_waitcnt lgkmcnt(0)
	s_barrier
	buffer_gl0_inv
	s_cbranch_scc1 .LBB204_140
; %bb.127:                              ;   in Loop: Header=BB204_6 Depth=1
	s_add_u32 s25, s76, s18
	s_addc_u32 s9, s77, s19
	s_mov_b32 s8, s53
	s_delay_alu instid0(SALU_CYCLE_1)
	s_cmp_lg_u64 s[8:9], 0
	s_cbranch_scc0 .LBB204_184
; %bb.128:                              ;   in Loop: Header=BB204_6 Depth=1
	v_cvt_f32_u32_e32 v4, s33
	s_sub_u32 s65, 0, s33
	s_subb_u32 s66, 0, 0
	s_delay_alu instid0(VALU_DEP_1) | instskip(NEXT) | instid1(VALU_DEP_1)
	v_fmac_f32_e64 v4, 0, 0x4f800000
	v_rcp_f32_e32 v4, v4
	s_waitcnt_depctr 0xfff
	v_mul_f32_e32 v4, 0x5f7ffffc, v4
	s_delay_alu instid0(VALU_DEP_1) | instskip(NEXT) | instid1(VALU_DEP_1)
	v_mul_f32_e32 v5, 0x2f800000, v4
	v_trunc_f32_e32 v5, v5
	s_delay_alu instid0(VALU_DEP_1) | instskip(SKIP_1) | instid1(VALU_DEP_2)
	v_fmac_f32_e32 v4, 0xcf800000, v5
	v_cvt_u32_f32_e32 v5, v5
	v_cvt_u32_f32_e32 v4, v4
	s_delay_alu instid0(VALU_DEP_2) | instskip(NEXT) | instid1(VALU_DEP_2)
	v_readfirstlane_b32 s8, v5
	v_readfirstlane_b32 s26, v4
	s_delay_alu instid0(VALU_DEP_2) | instskip(NEXT) | instid1(VALU_DEP_1)
	s_mul_i32 s69, s65, s8
	s_mul_hi_u32 s71, s65, s26
	s_mul_i32 s70, s66, s26
	s_add_i32 s69, s71, s69
	s_mul_i32 s72, s65, s26
	s_add_i32 s69, s69, s70
	s_mul_hi_u32 s71, s26, s72
	s_mul_hi_u32 s73, s8, s72
	s_mul_i32 s70, s8, s72
	s_mul_hi_u32 s72, s26, s69
	s_mul_i32 s26, s26, s69
	s_mul_hi_u32 s99, s8, s69
	s_add_u32 s26, s71, s26
	s_addc_u32 s71, 0, s72
	s_add_u32 s26, s26, s70
	s_mul_i32 s69, s8, s69
	s_addc_u32 s26, s71, s73
	s_addc_u32 s70, s99, 0
	s_add_u32 s26, s26, s69
	s_addc_u32 s69, 0, s70
	v_add_co_u32 v4, s26, v4, s26
	s_delay_alu instid0(VALU_DEP_1) | instskip(SKIP_1) | instid1(VALU_DEP_1)
	s_cmp_lg_u32 s26, 0
	s_addc_u32 s8, s8, s69
	v_readfirstlane_b32 s26, v4
	s_mul_i32 s69, s65, s8
	s_delay_alu instid0(VALU_DEP_1)
	s_mul_hi_u32 s70, s65, s26
	s_mul_i32 s66, s66, s26
	s_add_i32 s69, s70, s69
	s_mul_i32 s65, s65, s26
	s_add_i32 s69, s69, s66
	s_mul_hi_u32 s70, s8, s65
	s_mul_i32 s71, s8, s65
	s_mul_hi_u32 s65, s26, s65
	s_mul_hi_u32 s72, s26, s69
	s_mul_i32 s26, s26, s69
	s_mul_hi_u32 s66, s8, s69
	s_add_u32 s26, s65, s26
	s_addc_u32 s65, 0, s72
	s_add_u32 s26, s26, s71
	s_mul_i32 s69, s8, s69
	s_addc_u32 s26, s65, s70
	s_addc_u32 s65, s66, 0
	s_add_u32 s26, s26, s69
	s_addc_u32 s65, 0, s65
	v_add_co_u32 v4, s26, v4, s26
	s_delay_alu instid0(VALU_DEP_1) | instskip(SKIP_1) | instid1(VALU_DEP_1)
	s_cmp_lg_u32 s26, 0
	s_addc_u32 s8, s8, s65
	v_readfirstlane_b32 s26, v4
	s_mul_i32 s66, s25, s8
	s_mul_hi_u32 s65, s25, s8
	s_mul_hi_u32 s69, s9, s8
	s_mul_i32 s8, s9, s8
	s_mul_hi_u32 s70, s25, s26
	s_mul_hi_u32 s71, s9, s26
	s_mul_i32 s26, s9, s26
	s_add_u32 s66, s70, s66
	s_addc_u32 s65, 0, s65
	s_add_u32 s26, s66, s26
	s_addc_u32 s26, s65, s71
	s_addc_u32 s65, s69, 0
	s_add_u32 s8, s26, s8
	s_addc_u32 s26, 0, s65
	s_mul_hi_u32 s65, s33, s8
	s_mul_i32 s8, s33, s8
	s_mul_i32 s26, s33, s26
	v_sub_co_u32 v4, s8, s25, s8
	s_add_i32 s65, s65, s26
	s_cmp_lg_u32 s8, 0
	s_delay_alu instid0(VALU_DEP_1) | instskip(SKIP_2) | instid1(VALU_DEP_1)
	v_sub_co_u32 v5, s8, v4, s33
	s_subb_u32 s26, s9, s65
	s_cmp_lg_u32 s8, 0
	v_cmp_le_u32_e32 vcc_lo, s33, v5
	v_sub_co_u32 v6, s8, v5, s33
	s_subb_u32 s65, s26, 0
	s_cmp_lg_u32 s8, 0
	v_cndmask_b32_e64 v7, 0, -1, vcc_lo
	s_subb_u32 s8, s65, 0
	s_cmp_eq_u32 s65, 0
	v_mov_b32_e32 v9, s8
	s_cselect_b32 vcc_lo, -1, 0
	s_cmp_eq_u32 s26, 0
	v_cndmask_b32_e32 v7, -1, v7, vcc_lo
	v_cmp_le_u32_e32 vcc_lo, s33, v4
	s_cselect_b32 s8, -1, 0
	v_cndmask_b32_e64 v8, 0, -1, vcc_lo
	s_delay_alu instid0(VALU_DEP_3) | instskip(NEXT) | instid1(VALU_DEP_2)
	v_cmp_ne_u32_e32 vcc_lo, 0, v7
	v_cndmask_b32_e64 v7, -1, v8, s8
	v_cndmask_b32_e32 v8, s65, v9, vcc_lo
	v_cndmask_b32_e32 v6, v5, v6, vcc_lo
	s_delay_alu instid0(VALU_DEP_3) | instskip(NEXT) | instid1(VALU_DEP_3)
	v_cmp_ne_u32_e32 vcc_lo, 0, v7
	v_cndmask_b32_e32 v5, s26, v8, vcc_lo
	s_delay_alu instid0(VALU_DEP_3)
	v_cndmask_b32_e32 v4, v4, v6, vcc_lo
	s_cbranch_execnz .LBB204_130
.LBB204_129:                            ;   in Loop: Header=BB204_6 Depth=1
	v_cvt_f32_u32_e32 v4, s33
	s_sub_i32 s8, 0, s33
	s_delay_alu instid0(VALU_DEP_1) | instskip(SKIP_2) | instid1(VALU_DEP_1)
	v_rcp_iflag_f32_e32 v4, v4
	s_waitcnt_depctr 0xfff
	v_mul_f32_e32 v4, 0x4f7ffffe, v4
	v_cvt_u32_f32_e32 v4, v4
	s_delay_alu instid0(VALU_DEP_1) | instskip(NEXT) | instid1(VALU_DEP_1)
	v_mul_lo_u32 v5, s8, v4
	v_mul_hi_u32 v5, v4, v5
	s_delay_alu instid0(VALU_DEP_1) | instskip(NEXT) | instid1(VALU_DEP_1)
	v_add_nc_u32_e32 v4, v4, v5
	v_mul_hi_u32 v4, s25, v4
	s_delay_alu instid0(VALU_DEP_1) | instskip(NEXT) | instid1(VALU_DEP_1)
	v_mul_lo_u32 v4, v4, s33
	v_sub_nc_u32_e32 v4, s25, v4
	s_delay_alu instid0(VALU_DEP_1) | instskip(SKIP_1) | instid1(VALU_DEP_2)
	v_subrev_nc_u32_e32 v5, s33, v4
	v_cmp_le_u32_e32 vcc_lo, s33, v4
	v_cndmask_b32_e32 v4, v4, v5, vcc_lo
	s_delay_alu instid0(VALU_DEP_1) | instskip(SKIP_1) | instid1(VALU_DEP_2)
	v_subrev_nc_u32_e32 v5, s33, v4
	v_cmp_le_u32_e32 vcc_lo, s33, v4
	v_cndmask_b32_e32 v12, v4, v5, vcc_lo
	s_delay_alu instid0(VALU_DEP_1)
	v_dual_mov_b32 v4, v12 :: v_dual_mov_b32 v5, v13
.LBB204_130:                            ;   in Loop: Header=BB204_6 Depth=1
	s_delay_alu instid0(VALU_DEP_1) | instskip(NEXT) | instid1(VALU_DEP_2)
	v_sub_co_u32 v4, vcc_lo, s25, v4
	v_sub_co_ci_u32_e32 v5, vcc_lo, s9, v5, vcc_lo
	s_mov_b32 s8, 0
	s_mov_b32 s9, exec_lo
                                        ; implicit-def: $vgpr6
	s_delay_alu instid0(VALU_DEP_1)
	v_cmpx_gt_u64_e64 v[4:5], v[0:1]
	s_cbranch_execz .LBB204_142
; %bb.131:                              ;   in Loop: Header=BB204_6 Depth=1
	v_dual_mov_b32 v8, v31 :: v_dual_mov_b32 v7, v1
	v_mov_b32_e32 v6, v0
	s_mov_b32 s25, 0
                                        ; implicit-def: $sgpr26
	s_set_inst_prefetch_distance 0x1
	s_branch .LBB204_133
	.p2align	6
.LBB204_132:                            ;   in Loop: Header=BB204_133 Depth=2
	s_or_b32 exec_lo, exec_lo, s8
	s_waitcnt lgkmcnt(0)
	s_barrier
	buffer_gl0_inv
	ds_load_b32 v9, v13 offset:3072
	v_add_co_u32 v6, vcc_lo, v6, s33
	v_add_co_ci_u32_e32 v7, vcc_lo, 0, v7, vcc_lo
	v_add_nc_u32_e32 v8, s84, v8
	s_waitcnt lgkmcnt(0)
	s_barrier
	s_delay_alu instid0(VALU_DEP_2) | instskip(SKIP_2) | instid1(VALU_DEP_1)
	v_cmp_ge_u64_e32 vcc_lo, v[6:7], v[4:5]
	buffer_gl0_inv
	v_cmp_neq_f16_e64 s8, 0, v9
	s_or_b32 s65, vcc_lo, s8
	s_delay_alu instid0(SALU_CYCLE_1) | instskip(NEXT) | instid1(SALU_CYCLE_1)
	s_and_b32 s65, exec_lo, s65
	s_or_b32 s25, s65, s25
	s_and_not1_b32 s26, s26, exec_lo
	s_and_b32 s8, s8, exec_lo
	s_delay_alu instid0(SALU_CYCLE_1)
	s_or_b32 s26, s26, s8
	s_and_not1_b32 exec_lo, exec_lo, s25
	s_cbranch_execz .LBB204_141
.LBB204_133:                            ;   Parent Loop BB204_6 Depth=1
                                        ; =>  This Inner Loop Header: Depth=2
	s_delay_alu instid0(VALU_DEP_1)
	v_cmp_gt_u64_e32 vcc_lo, s[18:19], v[6:7]
	v_mov_b32_e32 v9, 0
	s_and_saveexec_b32 s8, vcc_lo
	s_cbranch_execz .LBB204_135
; %bb.134:                              ;   in Loop: Header=BB204_133 Depth=2
	ds_load_u16 v9, v8
.LBB204_135:                            ;   in Loop: Header=BB204_133 Depth=2
	s_or_b32 exec_lo, exec_lo, s8
	s_and_saveexec_b32 s8, vcc_lo
	s_cbranch_execz .LBB204_132
; %bb.136:                              ;   in Loop: Header=BB204_133 Depth=2
	s_waitcnt lgkmcnt(0)
	v_cmp_lt_i16_e32 vcc_lo, -1, v9
	v_and_b32_e32 v12, 0xffff, v9
	v_cndmask_b32_e32 v27, 0xffff, v37, vcc_lo
	v_cmp_o_f16_e32 vcc_lo, v9, v9
	s_delay_alu instid0(VALU_DEP_2) | instskip(NEXT) | instid1(VALU_DEP_1)
	v_xor_b32_e32 v12, v27, v12
	v_cndmask_b32_e32 v12, 0xffff, v12, vcc_lo
	s_delay_alu instid0(VALU_DEP_1) | instskip(NEXT) | instid1(VALU_DEP_1)
	v_and_b32_e32 v12, v12, v26
	v_cmp_eq_u32_e32 vcc_lo, v12, v25
	s_and_b32 exec_lo, exec_lo, vcc_lo
	s_cbranch_execz .LBB204_132
; %bb.137:                              ;   in Loop: Header=BB204_133 Depth=2
	v_perm_b32 v9, v9, s87, 0x5040100
	ds_store_b32 v13, v9 offset:3072
	s_branch .LBB204_132
.LBB204_138:                            ;   in Loop: Header=BB204_6 Depth=1
                                        ; implicit-def: $vgpr2_vgpr3
	s_branch .LBB204_83
.LBB204_139:                            ;   in Loop: Header=BB204_6 Depth=1
                                        ; implicit-def: $vgpr2_vgpr3
	s_branch .LBB204_99
.LBB204_140:                            ;   in Loop: Header=BB204_6 Depth=1
	s_mov_b32 s25, -1
	s_mov_b32 s8, 0
                                        ; implicit-def: $sgpr65
                                        ; implicit-def: $vgpr6
	s_mov_b32 s66, s25
	s_cbranch_execnz .LBB204_143
	s_branch .LBB204_156
.LBB204_141:                            ;   in Loop: Header=BB204_6 Depth=1
	s_set_inst_prefetch_distance 0x2
	s_or_b32 exec_lo, exec_lo, s25
	v_lshrrev_b32_e32 v6, 16, v9
	s_and_b32 s8, s26, exec_lo
.LBB204_142:                            ;   in Loop: Header=BB204_6 Depth=1
	s_or_b32 exec_lo, exec_lo, s9
	s_mov_b32 s65, -1
	s_mov_b32 s25, 0
	s_delay_alu instid0(SALU_CYCLE_1)
	s_mov_b32 s66, s25
	s_branch .LBB204_156
.LBB204_143:                            ;   in Loop: Header=BB204_6 Depth=1
	s_mov_b32 s26, s53
	s_delay_alu instid0(SALU_CYCLE_1)
	s_cmp_lg_u64 s[26:27], 0
	s_cbranch_scc0 .LBB204_185
; %bb.144:                              ;   in Loop: Header=BB204_6 Depth=1
	v_cvt_f32_u32_e32 v4, s33
	s_sub_u32 s18, 0, s33
	s_subb_u32 s19, 0, 0
	s_delay_alu instid0(VALU_DEP_1) | instskip(NEXT) | instid1(VALU_DEP_1)
	v_fmac_f32_e64 v4, 0, 0x4f800000
	v_rcp_f32_e32 v4, v4
	s_waitcnt_depctr 0xfff
	v_mul_f32_e32 v4, 0x5f7ffffc, v4
	s_delay_alu instid0(VALU_DEP_1) | instskip(NEXT) | instid1(VALU_DEP_1)
	v_mul_f32_e32 v5, 0x2f800000, v4
	v_trunc_f32_e32 v5, v5
	s_delay_alu instid0(VALU_DEP_1) | instskip(SKIP_1) | instid1(VALU_DEP_2)
	v_fmac_f32_e32 v4, 0xcf800000, v5
	v_cvt_u32_f32_e32 v5, v5
	v_cvt_u32_f32_e32 v4, v4
	s_delay_alu instid0(VALU_DEP_2) | instskip(NEXT) | instid1(VALU_DEP_2)
	v_readfirstlane_b32 s8, v5
	v_readfirstlane_b32 s9, v4
	s_delay_alu instid0(VALU_DEP_2) | instskip(NEXT) | instid1(VALU_DEP_1)
	s_mul_i32 s25, s18, s8
	s_mul_hi_u32 s65, s18, s9
	s_mul_i32 s26, s19, s9
	s_add_i32 s25, s65, s25
	s_mul_i32 s66, s18, s9
	s_add_i32 s25, s25, s26
	s_mul_hi_u32 s65, s9, s66
	s_mul_hi_u32 s69, s8, s66
	s_mul_i32 s26, s8, s66
	s_mul_hi_u32 s66, s9, s25
	s_mul_i32 s9, s9, s25
	s_mul_hi_u32 s70, s8, s25
	s_add_u32 s9, s65, s9
	s_addc_u32 s65, 0, s66
	s_add_u32 s9, s9, s26
	s_mul_i32 s25, s8, s25
	s_addc_u32 s9, s65, s69
	s_addc_u32 s26, s70, 0
	s_add_u32 s9, s9, s25
	s_addc_u32 s25, 0, s26
	v_add_co_u32 v4, s9, v4, s9
	s_delay_alu instid0(VALU_DEP_1) | instskip(SKIP_1) | instid1(VALU_DEP_1)
	s_cmp_lg_u32 s9, 0
	s_addc_u32 s8, s8, s25
	v_readfirstlane_b32 s9, v4
	s_mul_i32 s25, s18, s8
	s_delay_alu instid0(VALU_DEP_1)
	s_mul_hi_u32 s26, s18, s9
	s_mul_i32 s19, s19, s9
	s_add_i32 s25, s26, s25
	s_mul_i32 s18, s18, s9
	s_add_i32 s25, s25, s19
	s_mul_hi_u32 s26, s8, s18
	s_mul_i32 s65, s8, s18
	s_mul_hi_u32 s18, s9, s18
	s_mul_hi_u32 s66, s9, s25
	s_mul_i32 s9, s9, s25
	s_mul_hi_u32 s19, s8, s25
	s_add_u32 s9, s18, s9
	s_addc_u32 s18, 0, s66
	s_add_u32 s9, s9, s65
	s_mul_i32 s25, s8, s25
	s_addc_u32 s9, s18, s26
	s_addc_u32 s18, s19, 0
	s_add_u32 s9, s9, s25
	s_addc_u32 s18, 0, s18
	v_add_co_u32 v4, s9, v4, s9
	s_delay_alu instid0(VALU_DEP_1) | instskip(SKIP_1) | instid1(VALU_DEP_1)
	s_cmp_lg_u32 s9, 0
	s_addc_u32 s8, s8, s18
	v_readfirstlane_b32 s9, v4
	s_mul_i32 s19, s78, s8
	s_mul_hi_u32 s18, s78, s8
	s_mul_hi_u32 s25, s27, s8
	s_mul_i32 s8, s27, s8
	s_mul_hi_u32 s26, s78, s9
	s_mul_hi_u32 s65, s27, s9
	s_mul_i32 s9, s27, s9
	s_add_u32 s19, s26, s19
	s_addc_u32 s18, 0, s18
	s_add_u32 s9, s19, s9
	s_addc_u32 s9, s18, s65
	s_addc_u32 s18, s25, 0
	s_add_u32 s8, s9, s8
	s_addc_u32 s9, 0, s18
	s_mul_hi_u32 s18, s33, s8
	s_mul_i32 s8, s33, s8
	s_mul_i32 s9, s33, s9
	v_sub_co_u32 v4, s8, s78, s8
	s_add_i32 s18, s18, s9
	s_cmp_lg_u32 s8, 0
	s_delay_alu instid0(VALU_DEP_1) | instskip(SKIP_2) | instid1(VALU_DEP_1)
	v_sub_co_u32 v5, s8, v4, s33
	s_subb_u32 s9, s27, s18
	s_cmp_lg_u32 s8, 0
	v_cmp_le_u32_e32 vcc_lo, s33, v5
	v_sub_co_u32 v6, s8, v5, s33
	s_subb_u32 s18, s9, 0
	s_cmp_lg_u32 s8, 0
	v_cndmask_b32_e64 v7, 0, -1, vcc_lo
	s_subb_u32 s8, s18, 0
	s_cmp_eq_u32 s18, 0
	v_mov_b32_e32 v9, s8
	s_cselect_b32 vcc_lo, -1, 0
	s_cmp_eq_u32 s9, 0
	v_cndmask_b32_e32 v7, -1, v7, vcc_lo
	v_cmp_le_u32_e32 vcc_lo, s33, v4
	s_cselect_b32 s8, -1, 0
	v_cndmask_b32_e64 v8, 0, -1, vcc_lo
	s_delay_alu instid0(VALU_DEP_3) | instskip(NEXT) | instid1(VALU_DEP_2)
	v_cmp_ne_u32_e32 vcc_lo, 0, v7
	v_cndmask_b32_e64 v7, -1, v8, s8
	v_cndmask_b32_e32 v8, s18, v9, vcc_lo
	v_cndmask_b32_e32 v6, v5, v6, vcc_lo
	s_delay_alu instid0(VALU_DEP_3) | instskip(NEXT) | instid1(VALU_DEP_3)
	v_cmp_ne_u32_e32 vcc_lo, 0, v7
	v_cndmask_b32_e32 v5, s9, v8, vcc_lo
	s_delay_alu instid0(VALU_DEP_3)
	v_cndmask_b32_e32 v4, v4, v6, vcc_lo
	s_cbranch_execnz .LBB204_146
.LBB204_145:                            ;   in Loop: Header=BB204_6 Depth=1
	v_cvt_f32_u32_e32 v4, s33
	s_sub_i32 s8, 0, s33
	s_delay_alu instid0(VALU_DEP_1) | instskip(SKIP_2) | instid1(VALU_DEP_1)
	v_rcp_iflag_f32_e32 v4, v4
	s_waitcnt_depctr 0xfff
	v_mul_f32_e32 v4, 0x4f7ffffe, v4
	v_cvt_u32_f32_e32 v4, v4
	s_delay_alu instid0(VALU_DEP_1) | instskip(NEXT) | instid1(VALU_DEP_1)
	v_mul_lo_u32 v5, s8, v4
	v_mul_hi_u32 v5, v4, v5
	s_delay_alu instid0(VALU_DEP_1) | instskip(NEXT) | instid1(VALU_DEP_1)
	v_add_nc_u32_e32 v4, v4, v5
	v_mul_hi_u32 v4, s78, v4
	s_delay_alu instid0(VALU_DEP_1) | instskip(NEXT) | instid1(VALU_DEP_1)
	v_mul_lo_u32 v4, v4, s33
	v_sub_nc_u32_e32 v4, s78, v4
	s_delay_alu instid0(VALU_DEP_1) | instskip(SKIP_1) | instid1(VALU_DEP_2)
	v_subrev_nc_u32_e32 v5, s33, v4
	v_cmp_le_u32_e32 vcc_lo, s33, v4
	v_cndmask_b32_e32 v4, v4, v5, vcc_lo
	s_delay_alu instid0(VALU_DEP_1) | instskip(SKIP_1) | instid1(VALU_DEP_2)
	v_subrev_nc_u32_e32 v5, s33, v4
	v_cmp_le_u32_e32 vcc_lo, s33, v4
	v_cndmask_b32_e32 v12, v4, v5, vcc_lo
	s_delay_alu instid0(VALU_DEP_1)
	v_dual_mov_b32 v4, v12 :: v_dual_mov_b32 v5, v13
.LBB204_146:                            ;   in Loop: Header=BB204_6 Depth=1
	s_delay_alu instid0(VALU_DEP_1) | instskip(NEXT) | instid1(VALU_DEP_2)
	v_sub_co_u32 v4, vcc_lo, s78, v4
	v_sub_co_ci_u32_e32 v5, vcc_lo, s27, v5, vcc_lo
	s_mov_b32 s8, 0
	s_mov_b32 s9, exec_lo
                                        ; implicit-def: $vgpr6
	s_delay_alu instid0(VALU_DEP_1)
	v_cmpx_gt_u64_e64 v[4:5], v[0:1]
	s_cbranch_execz .LBB204_155
; %bb.147:                              ;   in Loop: Header=BB204_6 Depth=1
	v_dual_mov_b32 v6, v10 :: v_dual_mov_b32 v7, v11
	v_dual_mov_b32 v9, v1 :: v_dual_mov_b32 v8, v0
	s_mov_b32 s18, 0
                                        ; implicit-def: $sgpr19
	s_branch .LBB204_149
.LBB204_148:                            ;   in Loop: Header=BB204_149 Depth=2
	s_or_b32 exec_lo, exec_lo, s8
	s_waitcnt vmcnt(0) lgkmcnt(0)
	s_barrier
	buffer_gl0_inv
	ds_load_b32 v12, v13 offset:3072
	v_add_co_u32 v8, vcc_lo, v8, s33
	v_add_co_ci_u32_e32 v9, vcc_lo, 0, v9, vcc_lo
	s_waitcnt lgkmcnt(0)
	s_barrier
	buffer_gl0_inv
	v_cmp_ge_u64_e32 vcc_lo, v[8:9], v[4:5]
	v_cmp_neq_f16_e64 s8, 0, v12
	s_delay_alu instid0(VALU_DEP_1)
	s_or_b32 s25, vcc_lo, s8
	v_add_co_u32 v6, vcc_lo, v6, s34
	s_and_b32 s25, exec_lo, s25
	v_add_co_ci_u32_e32 v7, vcc_lo, s35, v7, vcc_lo
	s_or_b32 s18, s25, s18
	s_and_not1_b32 s19, s19, exec_lo
	s_and_b32 s8, s8, exec_lo
	s_delay_alu instid0(SALU_CYCLE_1)
	s_or_b32 s19, s19, s8
	s_and_not1_b32 exec_lo, exec_lo, s18
	s_cbranch_execz .LBB204_154
.LBB204_149:                            ;   Parent Loop BB204_6 Depth=1
                                        ; =>  This Inner Loop Header: Depth=2
	s_delay_alu instid0(VALU_DEP_1)
	v_cmp_gt_u64_e32 vcc_lo, s[28:29], v[8:9]
	v_mov_b32_e32 v12, 0
	s_and_saveexec_b32 s8, vcc_lo
	s_cbranch_execz .LBB204_151
; %bb.150:                              ;   in Loop: Header=BB204_149 Depth=2
	global_load_u16 v12, v[6:7], off
.LBB204_151:                            ;   in Loop: Header=BB204_149 Depth=2
	s_or_b32 exec_lo, exec_lo, s8
	s_and_saveexec_b32 s8, vcc_lo
	s_cbranch_execz .LBB204_148
; %bb.152:                              ;   in Loop: Header=BB204_149 Depth=2
	s_waitcnt vmcnt(0)
	v_cmp_lt_i16_e32 vcc_lo, -1, v12
	v_dual_cndmask_b32 v28, 0xffff, v37 :: v_dual_and_b32 v27, 0xffff, v12
	v_cmp_o_f16_e32 vcc_lo, v12, v12
	s_delay_alu instid0(VALU_DEP_2) | instskip(NEXT) | instid1(VALU_DEP_1)
	v_xor_b32_e32 v27, v28, v27
	v_cndmask_b32_e32 v27, 0xffff, v27, vcc_lo
	s_delay_alu instid0(VALU_DEP_1) | instskip(NEXT) | instid1(VALU_DEP_1)
	v_and_b32_e32 v27, v27, v26
	v_cmp_eq_u32_e32 vcc_lo, v27, v25
	s_and_b32 exec_lo, exec_lo, vcc_lo
	s_cbranch_execz .LBB204_148
; %bb.153:                              ;   in Loop: Header=BB204_149 Depth=2
	v_perm_b32 v12, v12, s87, 0x5040100
	ds_store_b32 v13, v12 offset:3072
	s_branch .LBB204_148
.LBB204_154:                            ;   in Loop: Header=BB204_6 Depth=1
	s_or_b32 exec_lo, exec_lo, s18
	v_lshrrev_b32_e32 v6, 16, v12
	s_and_b32 s8, s19, exec_lo
.LBB204_155:                            ;   in Loop: Header=BB204_6 Depth=1
	s_or_b32 exec_lo, exec_lo, s9
	s_mov_b32 s66, -1
	s_mov_b32 s25, 0
	s_mov_b32 s65, 0
.LBB204_156:                            ;   in Loop: Header=BB204_6 Depth=1
	s_or_not1_b32 s8, s8, exec_lo
.LBB204_157:                            ;   in Loop: Header=BB204_6 Depth=1
	s_or_b32 exec_lo, exec_lo, s67
	s_mov_b32 s26, 0
                                        ; implicit-def: $vgpr7
	s_and_saveexec_b32 s67, s8
	s_cbranch_execz .LBB204_270
; %bb.158:                              ;   in Loop: Header=BB204_6 Depth=1
	v_dual_mov_b32 v4, 1 :: v_dual_mov_b32 v7, 1
	v_mov_b32_e32 v5, 0
	s_xor_b32 s9, s68, -1
	s_delay_alu instid0(SALU_CYCLE_1)
	s_and_saveexec_b32 s8, s9
	s_cbranch_execz .LBB204_168
; %bb.159:                              ;   in Loop: Header=BB204_6 Depth=1
	s_mov_b32 s18, exec_lo
                                        ; implicit-def: $sgpr19
                                        ; implicit-def: $sgpr9
	v_cmpx_ge_u64_e64 s[12:13], v[2:3]
	s_xor_b32 s18, exec_lo, s18
	s_cbranch_execz .LBB204_165
; %bb.160:                              ;   in Loop: Header=BB204_6 Depth=1
	ds_load_b64 v[4:5], v13 offset:5120
	s_waitcnt lgkmcnt(0)
	v_cmp_ne_u64_e32 vcc_lo, 0, v[4:5]
	s_cbranch_vccnz .LBB204_164
; %bb.161:                              ;   in Loop: Header=BB204_6 Depth=1
	s_and_saveexec_b32 s9, s5
	s_cbranch_execz .LBB204_163
; %bb.162:                              ;   in Loop: Header=BB204_6 Depth=1
	v_dual_mov_b32 v4, s12 :: v_dual_mov_b32 v5, s13
	ds_store_b64 v13, v[4:5] offset:5128
.LBB204_163:                            ;   in Loop: Header=BB204_6 Depth=1
	s_or_b32 exec_lo, exec_lo, s9
	s_waitcnt lgkmcnt(0)
	s_barrier
	buffer_gl0_inv
.LBB204_164:                            ;   in Loop: Header=BB204_6 Depth=1
	s_lshl_b32 s9, 1, s22
	v_or_b32_e32 v26, s20, v26
	v_and_or_b32 v25, v25, s21, s9
	s_mov_b32 s9, 0
	s_mov_b32 s19, 8
.LBB204_165:                            ;   in Loop: Header=BB204_6 Depth=1
	s_or_saveexec_b32 s18, s18
	v_mov_b32_e32 v7, s19
	s_xor_b32 exec_lo, exec_lo, s18
; %bb.166:                              ;   in Loop: Header=BB204_6 Depth=1
	v_sub_co_u32 v2, vcc_lo, v2, s12
	v_subrev_co_ci_u32_e32 v3, vcc_lo, s13, v3, vcc_lo
	v_mov_b32_e32 v7, 0
	s_or_b32 s9, s9, exec_lo
; %bb.167:                              ;   in Loop: Header=BB204_6 Depth=1
	s_or_b32 exec_lo, exec_lo, s18
	s_delay_alu instid0(VALU_DEP_2)
	v_dual_mov_b32 v5, v3 :: v_dual_mov_b32 v4, v2
	s_and_b32 s26, s9, exec_lo
.LBB204_168:                            ;   in Loop: Header=BB204_6 Depth=1
	s_or_b32 exec_lo, exec_lo, s8
	s_mov_b32 s8, -1
                                        ; implicit-def: $sgpr9
                                        ; implicit-def: $sgpr18
                                        ; implicit-def: $sgpr19
	s_and_saveexec_b32 s68, s26
	s_cbranch_execz .LBB204_269
; %bb.169:                              ;   in Loop: Header=BB204_6 Depth=1
	v_cmp_eq_u64_e32 vcc_lo, 1, v[4:5]
	s_cmp_eq_u64 s[14:15], 1
                                        ; implicit-def: $sgpr69
                                        ; implicit-def: $sgpr71
                                        ; implicit-def: $sgpr70
	s_cselect_b32 s8, -1, 0
	s_delay_alu instid0(SALU_CYCLE_1)
	s_and_b32 s73, s8, vcc_lo
	s_mov_b32 s8, -1
	s_and_saveexec_b32 s72, s73
	s_cbranch_execz .LBB204_203
; %bb.170:                              ;   in Loop: Header=BB204_6 Depth=1
	ds_load_b64 v[2:3], v13 offset:5120
	s_waitcnt lgkmcnt(0)
	s_barrier
	buffer_gl0_inv
	v_readfirstlane_b32 s18, v2
	v_readfirstlane_b32 s19, v3
	s_and_saveexec_b32 s8, s6
	s_cbranch_execz .LBB204_172
; %bb.171:                              ;   in Loop: Header=BB204_6 Depth=1
	ds_store_b16 v33, v13
.LBB204_172:                            ;   in Loop: Header=BB204_6 Depth=1
	s_or_b32 exec_lo, exec_lo, s8
	s_lshl_b32 s8, 2, s22
	v_or_b32_e32 v26, s20, v26
	v_and_or_b32 v25, v25, s21, s8
	s_cmp_eq_u64 s[18:19], 0
	s_waitcnt lgkmcnt(0)
	s_barrier
	buffer_gl0_inv
	s_cbranch_scc1 .LBB204_186
; %bb.173:                              ;   in Loop: Header=BB204_6 Depth=1
	s_add_u32 s26, s76, s18
	s_addc_u32 s9, s77, s19
	s_mov_b32 s8, s53
	s_delay_alu instid0(SALU_CYCLE_1)
	s_cmp_lg_u64 s[8:9], 0
	s_cbranch_scc0 .LBB204_221
; %bb.174:                              ;   in Loop: Header=BB204_6 Depth=1
	v_cvt_f32_u32_e32 v2, s33
	s_sub_u32 s70, 0, s33
	s_subb_u32 s71, 0, 0
	s_delay_alu instid0(VALU_DEP_1) | instskip(NEXT) | instid1(VALU_DEP_1)
	v_fmac_f32_e64 v2, 0, 0x4f800000
	v_rcp_f32_e32 v2, v2
	s_waitcnt_depctr 0xfff
	v_mul_f32_e32 v2, 0x5f7ffffc, v2
	s_delay_alu instid0(VALU_DEP_1) | instskip(NEXT) | instid1(VALU_DEP_1)
	v_mul_f32_e32 v3, 0x2f800000, v2
	v_trunc_f32_e32 v3, v3
	s_delay_alu instid0(VALU_DEP_1) | instskip(SKIP_1) | instid1(VALU_DEP_2)
	v_fmac_f32_e32 v2, 0xcf800000, v3
	v_cvt_u32_f32_e32 v3, v3
	v_cvt_u32_f32_e32 v2, v2
	s_delay_alu instid0(VALU_DEP_2) | instskip(NEXT) | instid1(VALU_DEP_2)
	v_readfirstlane_b32 s8, v3
	v_readfirstlane_b32 s69, v2
	s_delay_alu instid0(VALU_DEP_2) | instskip(NEXT) | instid1(VALU_DEP_1)
	s_mul_i32 s99, s70, s8
	s_mul_hi_u32 s101, s70, s69
	s_mul_i32 s100, s71, s69
	s_add_i32 s99, s101, s99
	s_mul_i32 s102, s70, s69
	s_add_i32 s99, s99, s100
	s_mul_hi_u32 s101, s69, s102
	s_mul_hi_u32 s103, s8, s102
	s_mul_i32 s100, s8, s102
	s_mul_hi_u32 s102, s69, s99
	s_mul_i32 s69, s69, s99
	s_mul_hi_u32 s104, s8, s99
	s_add_u32 s69, s101, s69
	s_addc_u32 s101, 0, s102
	s_add_u32 s69, s69, s100
	s_mul_i32 s99, s8, s99
	s_addc_u32 s69, s101, s103
	s_addc_u32 s100, s104, 0
	s_add_u32 s69, s69, s99
	s_addc_u32 s99, 0, s100
	v_add_co_u32 v2, s69, v2, s69
	s_delay_alu instid0(VALU_DEP_1) | instskip(SKIP_1) | instid1(VALU_DEP_1)
	s_cmp_lg_u32 s69, 0
	s_addc_u32 s8, s8, s99
	v_readfirstlane_b32 s69, v2
	s_mul_i32 s99, s70, s8
	s_delay_alu instid0(VALU_DEP_1)
	s_mul_hi_u32 s100, s70, s69
	s_mul_i32 s71, s71, s69
	s_add_i32 s99, s100, s99
	s_mul_i32 s70, s70, s69
	s_add_i32 s99, s99, s71
	s_mul_hi_u32 s100, s8, s70
	s_mul_i32 s101, s8, s70
	s_mul_hi_u32 s70, s69, s70
	s_mul_hi_u32 s102, s69, s99
	s_mul_i32 s69, s69, s99
	s_mul_hi_u32 s71, s8, s99
	s_add_u32 s69, s70, s69
	s_addc_u32 s70, 0, s102
	s_add_u32 s69, s69, s101
	s_mul_i32 s99, s8, s99
	s_addc_u32 s69, s70, s100
	s_addc_u32 s70, s71, 0
	s_add_u32 s69, s69, s99
	s_addc_u32 s70, 0, s70
	v_add_co_u32 v2, s69, v2, s69
	s_delay_alu instid0(VALU_DEP_1) | instskip(SKIP_1) | instid1(VALU_DEP_1)
	s_cmp_lg_u32 s69, 0
	s_addc_u32 s8, s8, s70
	v_readfirstlane_b32 s69, v2
	s_mul_i32 s71, s26, s8
	s_mul_hi_u32 s70, s26, s8
	s_mul_hi_u32 s99, s9, s8
	s_mul_i32 s8, s9, s8
	s_mul_hi_u32 s100, s26, s69
	s_mul_hi_u32 s101, s9, s69
	s_mul_i32 s69, s9, s69
	s_add_u32 s71, s100, s71
	s_addc_u32 s70, 0, s70
	s_add_u32 s69, s71, s69
	s_addc_u32 s69, s70, s101
	s_addc_u32 s70, s99, 0
	s_add_u32 s8, s69, s8
	s_addc_u32 s69, 0, s70
	s_mul_hi_u32 s70, s33, s8
	s_mul_i32 s8, s33, s8
	s_mul_i32 s69, s33, s69
	v_sub_co_u32 v2, s8, s26, s8
	s_add_i32 s70, s70, s69
	s_cmp_lg_u32 s8, 0
	s_delay_alu instid0(VALU_DEP_1) | instskip(SKIP_2) | instid1(VALU_DEP_1)
	v_sub_co_u32 v3, s8, v2, s33
	s_subb_u32 s69, s9, s70
	s_cmp_lg_u32 s8, 0
	v_cmp_le_u32_e32 vcc_lo, s33, v3
	v_sub_co_u32 v6, s8, v3, s33
	s_subb_u32 s70, s69, 0
	s_cmp_lg_u32 s8, 0
	v_cndmask_b32_e64 v7, 0, -1, vcc_lo
	s_subb_u32 s8, s70, 0
	s_cmp_eq_u32 s70, 0
	v_mov_b32_e32 v9, s8
	s_cselect_b32 vcc_lo, -1, 0
	s_cmp_eq_u32 s69, 0
	v_cndmask_b32_e32 v7, -1, v7, vcc_lo
	v_cmp_le_u32_e32 vcc_lo, s33, v2
	s_cselect_b32 s8, -1, 0
	v_cndmask_b32_e64 v8, 0, -1, vcc_lo
	s_delay_alu instid0(VALU_DEP_3) | instskip(NEXT) | instid1(VALU_DEP_2)
	v_cmp_ne_u32_e32 vcc_lo, 0, v7
	v_cndmask_b32_e64 v7, -1, v8, s8
	v_cndmask_b32_e32 v8, s70, v9, vcc_lo
	v_cndmask_b32_e32 v6, v3, v6, vcc_lo
	s_delay_alu instid0(VALU_DEP_3) | instskip(NEXT) | instid1(VALU_DEP_3)
	v_cmp_ne_u32_e32 vcc_lo, 0, v7
	v_cndmask_b32_e32 v3, s69, v8, vcc_lo
	s_delay_alu instid0(VALU_DEP_3)
	v_cndmask_b32_e32 v2, v2, v6, vcc_lo
	s_cbranch_execnz .LBB204_176
.LBB204_175:                            ;   in Loop: Header=BB204_6 Depth=1
	v_cvt_f32_u32_e32 v2, s33
	s_sub_i32 s8, 0, s33
	s_delay_alu instid0(VALU_DEP_1) | instskip(SKIP_2) | instid1(VALU_DEP_1)
	v_rcp_iflag_f32_e32 v2, v2
	s_waitcnt_depctr 0xfff
	v_mul_f32_e32 v2, 0x4f7ffffe, v2
	v_cvt_u32_f32_e32 v2, v2
	s_delay_alu instid0(VALU_DEP_1) | instskip(NEXT) | instid1(VALU_DEP_1)
	v_mul_lo_u32 v3, s8, v2
	v_mul_hi_u32 v3, v2, v3
	s_delay_alu instid0(VALU_DEP_1) | instskip(NEXT) | instid1(VALU_DEP_1)
	v_add_nc_u32_e32 v2, v2, v3
	v_mul_hi_u32 v2, s26, v2
	s_delay_alu instid0(VALU_DEP_1) | instskip(NEXT) | instid1(VALU_DEP_1)
	v_mul_lo_u32 v2, v2, s33
	v_sub_nc_u32_e32 v2, s26, v2
	s_delay_alu instid0(VALU_DEP_1) | instskip(SKIP_1) | instid1(VALU_DEP_2)
	v_subrev_nc_u32_e32 v3, s33, v2
	v_cmp_le_u32_e32 vcc_lo, s33, v2
	v_cndmask_b32_e32 v2, v2, v3, vcc_lo
	s_delay_alu instid0(VALU_DEP_1) | instskip(SKIP_1) | instid1(VALU_DEP_2)
	v_subrev_nc_u32_e32 v3, s33, v2
	v_cmp_le_u32_e32 vcc_lo, s33, v2
	v_cndmask_b32_e32 v12, v2, v3, vcc_lo
	s_delay_alu instid0(VALU_DEP_1)
	v_dual_mov_b32 v2, v12 :: v_dual_mov_b32 v3, v13
.LBB204_176:                            ;   in Loop: Header=BB204_6 Depth=1
	s_delay_alu instid0(VALU_DEP_1) | instskip(NEXT) | instid1(VALU_DEP_2)
	v_sub_co_u32 v2, vcc_lo, s26, v2
	v_sub_co_ci_u32_e32 v3, vcc_lo, s9, v3, vcc_lo
	s_mov_b32 s8, 0
	s_mov_b32 s9, exec_lo
                                        ; implicit-def: $vgpr6
	s_delay_alu instid0(VALU_DEP_1)
	v_cmpx_gt_u64_e64 v[2:3], v[0:1]
	s_cbranch_execz .LBB204_188
; %bb.177:                              ;   in Loop: Header=BB204_6 Depth=1
	v_dual_mov_b32 v8, v31 :: v_dual_mov_b32 v7, v1
	v_mov_b32_e32 v6, v0
	s_mov_b32 s26, 0
                                        ; implicit-def: $sgpr69
	s_set_inst_prefetch_distance 0x1
	s_branch .LBB204_179
	.p2align	6
.LBB204_178:                            ;   in Loop: Header=BB204_179 Depth=2
	s_or_b32 exec_lo, exec_lo, s8
	s_waitcnt lgkmcnt(0)
	s_barrier
	buffer_gl0_inv
	ds_load_b32 v9, v13 offset:3072
	v_add_co_u32 v6, vcc_lo, v6, s33
	v_add_co_ci_u32_e32 v7, vcc_lo, 0, v7, vcc_lo
	v_add_nc_u32_e32 v8, s84, v8
	s_waitcnt lgkmcnt(0)
	s_barrier
	s_delay_alu instid0(VALU_DEP_2) | instskip(SKIP_2) | instid1(VALU_DEP_1)
	v_cmp_ge_u64_e32 vcc_lo, v[6:7], v[2:3]
	buffer_gl0_inv
	v_cmp_neq_f16_e64 s8, 0, v9
	s_or_b32 s70, vcc_lo, s8
	s_delay_alu instid0(SALU_CYCLE_1) | instskip(NEXT) | instid1(SALU_CYCLE_1)
	s_and_b32 s70, exec_lo, s70
	s_or_b32 s26, s70, s26
	s_and_not1_b32 s69, s69, exec_lo
	s_and_b32 s8, s8, exec_lo
	s_delay_alu instid0(SALU_CYCLE_1)
	s_or_b32 s69, s69, s8
	s_and_not1_b32 exec_lo, exec_lo, s26
	s_cbranch_execz .LBB204_187
.LBB204_179:                            ;   Parent Loop BB204_6 Depth=1
                                        ; =>  This Inner Loop Header: Depth=2
	s_delay_alu instid0(VALU_DEP_1)
	v_cmp_gt_u64_e32 vcc_lo, s[18:19], v[6:7]
	v_mov_b32_e32 v9, 0
	s_and_saveexec_b32 s8, vcc_lo
	s_cbranch_execz .LBB204_181
; %bb.180:                              ;   in Loop: Header=BB204_179 Depth=2
	ds_load_u16 v9, v8
.LBB204_181:                            ;   in Loop: Header=BB204_179 Depth=2
	s_or_b32 exec_lo, exec_lo, s8
	s_and_saveexec_b32 s8, vcc_lo
	s_cbranch_execz .LBB204_178
; %bb.182:                              ;   in Loop: Header=BB204_179 Depth=2
	s_waitcnt lgkmcnt(0)
	v_cmp_lt_i16_e32 vcc_lo, -1, v9
	v_and_b32_e32 v12, 0xffff, v9
	v_cndmask_b32_e32 v27, 0xffff, v37, vcc_lo
	v_cmp_o_f16_e32 vcc_lo, v9, v9
	s_delay_alu instid0(VALU_DEP_2) | instskip(NEXT) | instid1(VALU_DEP_1)
	v_xor_b32_e32 v12, v27, v12
	v_cndmask_b32_e32 v12, 0xffff, v12, vcc_lo
	s_delay_alu instid0(VALU_DEP_1) | instskip(NEXT) | instid1(VALU_DEP_1)
	v_and_b32_e32 v12, v12, v26
	v_cmp_eq_u32_e32 vcc_lo, v12, v25
	s_and_b32 exec_lo, exec_lo, vcc_lo
	s_cbranch_execz .LBB204_178
; %bb.183:                              ;   in Loop: Header=BB204_179 Depth=2
	v_perm_b32 v9, v9, s87, 0x5040100
	ds_store_b32 v13, v9 offset:3072
	s_branch .LBB204_178
.LBB204_184:                            ;   in Loop: Header=BB204_6 Depth=1
                                        ; implicit-def: $vgpr4_vgpr5
	s_branch .LBB204_129
.LBB204_185:                            ;   in Loop: Header=BB204_6 Depth=1
                                        ; implicit-def: $vgpr4_vgpr5
	s_branch .LBB204_145
.LBB204_186:                            ;   in Loop: Header=BB204_6 Depth=1
	s_mov_b32 s69, -1
	s_mov_b32 s8, 0
                                        ; implicit-def: $sgpr70
                                        ; implicit-def: $vgpr6
	s_mov_b32 s71, s69
	s_cbranch_execnz .LBB204_189
	s_branch .LBB204_202
.LBB204_187:                            ;   in Loop: Header=BB204_6 Depth=1
	s_set_inst_prefetch_distance 0x2
	s_or_b32 exec_lo, exec_lo, s26
	v_lshrrev_b32_e32 v6, 16, v9
	s_and_b32 s8, s69, exec_lo
.LBB204_188:                            ;   in Loop: Header=BB204_6 Depth=1
	s_or_b32 exec_lo, exec_lo, s9
	s_mov_b32 s70, -1
	s_mov_b32 s69, 0
	s_delay_alu instid0(SALU_CYCLE_1)
	s_mov_b32 s71, s69
	s_branch .LBB204_202
.LBB204_189:                            ;   in Loop: Header=BB204_6 Depth=1
	s_mov_b32 s26, s53
	s_delay_alu instid0(SALU_CYCLE_1)
	s_cmp_lg_u64 s[26:27], 0
	s_cbranch_scc0 .LBB204_222
; %bb.190:                              ;   in Loop: Header=BB204_6 Depth=1
	v_cvt_f32_u32_e32 v2, s33
	s_sub_u32 s18, 0, s33
	s_subb_u32 s19, 0, 0
	s_delay_alu instid0(VALU_DEP_1) | instskip(NEXT) | instid1(VALU_DEP_1)
	v_fmac_f32_e64 v2, 0, 0x4f800000
	v_rcp_f32_e32 v2, v2
	s_waitcnt_depctr 0xfff
	v_mul_f32_e32 v2, 0x5f7ffffc, v2
	s_delay_alu instid0(VALU_DEP_1) | instskip(NEXT) | instid1(VALU_DEP_1)
	v_mul_f32_e32 v3, 0x2f800000, v2
	v_trunc_f32_e32 v3, v3
	s_delay_alu instid0(VALU_DEP_1) | instskip(SKIP_1) | instid1(VALU_DEP_2)
	v_fmac_f32_e32 v2, 0xcf800000, v3
	v_cvt_u32_f32_e32 v3, v3
	v_cvt_u32_f32_e32 v2, v2
	s_delay_alu instid0(VALU_DEP_2) | instskip(NEXT) | instid1(VALU_DEP_2)
	v_readfirstlane_b32 s8, v3
	v_readfirstlane_b32 s9, v2
	s_delay_alu instid0(VALU_DEP_2) | instskip(NEXT) | instid1(VALU_DEP_1)
	s_mul_i32 s26, s18, s8
	s_mul_hi_u32 s70, s18, s9
	s_mul_i32 s69, s19, s9
	s_add_i32 s26, s70, s26
	s_mul_i32 s71, s18, s9
	s_add_i32 s26, s26, s69
	s_mul_hi_u32 s70, s9, s71
	s_mul_hi_u32 s99, s8, s71
	s_mul_i32 s69, s8, s71
	s_mul_hi_u32 s71, s9, s26
	s_mul_i32 s9, s9, s26
	s_mul_hi_u32 s100, s8, s26
	s_add_u32 s9, s70, s9
	s_addc_u32 s70, 0, s71
	s_add_u32 s9, s9, s69
	s_mul_i32 s26, s8, s26
	s_addc_u32 s9, s70, s99
	s_addc_u32 s69, s100, 0
	s_add_u32 s9, s9, s26
	s_addc_u32 s26, 0, s69
	v_add_co_u32 v2, s9, v2, s9
	s_delay_alu instid0(VALU_DEP_1) | instskip(SKIP_1) | instid1(VALU_DEP_1)
	s_cmp_lg_u32 s9, 0
	s_addc_u32 s8, s8, s26
	v_readfirstlane_b32 s9, v2
	s_mul_i32 s26, s18, s8
	s_delay_alu instid0(VALU_DEP_1)
	s_mul_hi_u32 s69, s18, s9
	s_mul_i32 s19, s19, s9
	s_add_i32 s26, s69, s26
	s_mul_i32 s18, s18, s9
	s_add_i32 s26, s26, s19
	s_mul_hi_u32 s69, s8, s18
	s_mul_i32 s70, s8, s18
	s_mul_hi_u32 s18, s9, s18
	s_mul_hi_u32 s71, s9, s26
	s_mul_i32 s9, s9, s26
	s_mul_hi_u32 s19, s8, s26
	s_add_u32 s9, s18, s9
	s_addc_u32 s18, 0, s71
	s_add_u32 s9, s9, s70
	s_mul_i32 s26, s8, s26
	s_addc_u32 s9, s18, s69
	s_addc_u32 s18, s19, 0
	s_add_u32 s9, s9, s26
	s_addc_u32 s18, 0, s18
	v_add_co_u32 v2, s9, v2, s9
	s_delay_alu instid0(VALU_DEP_1) | instskip(SKIP_1) | instid1(VALU_DEP_1)
	s_cmp_lg_u32 s9, 0
	s_addc_u32 s8, s8, s18
	v_readfirstlane_b32 s9, v2
	s_mul_i32 s19, s78, s8
	s_mul_hi_u32 s18, s78, s8
	s_mul_hi_u32 s26, s27, s8
	s_mul_i32 s8, s27, s8
	s_mul_hi_u32 s69, s78, s9
	s_mul_hi_u32 s70, s27, s9
	s_mul_i32 s9, s27, s9
	s_add_u32 s19, s69, s19
	s_addc_u32 s18, 0, s18
	s_add_u32 s9, s19, s9
	s_addc_u32 s9, s18, s70
	s_addc_u32 s18, s26, 0
	s_add_u32 s8, s9, s8
	s_addc_u32 s9, 0, s18
	s_mul_hi_u32 s18, s33, s8
	s_mul_i32 s8, s33, s8
	s_mul_i32 s9, s33, s9
	v_sub_co_u32 v2, s8, s78, s8
	s_add_i32 s18, s18, s9
	s_cmp_lg_u32 s8, 0
	s_delay_alu instid0(VALU_DEP_1) | instskip(SKIP_2) | instid1(VALU_DEP_1)
	v_sub_co_u32 v3, s8, v2, s33
	s_subb_u32 s9, s27, s18
	s_cmp_lg_u32 s8, 0
	v_cmp_le_u32_e32 vcc_lo, s33, v3
	v_sub_co_u32 v6, s8, v3, s33
	s_subb_u32 s18, s9, 0
	s_cmp_lg_u32 s8, 0
	v_cndmask_b32_e64 v7, 0, -1, vcc_lo
	s_subb_u32 s8, s18, 0
	s_cmp_eq_u32 s18, 0
	v_mov_b32_e32 v9, s8
	s_cselect_b32 vcc_lo, -1, 0
	s_cmp_eq_u32 s9, 0
	v_cndmask_b32_e32 v7, -1, v7, vcc_lo
	v_cmp_le_u32_e32 vcc_lo, s33, v2
	s_cselect_b32 s8, -1, 0
	v_cndmask_b32_e64 v8, 0, -1, vcc_lo
	s_delay_alu instid0(VALU_DEP_3) | instskip(NEXT) | instid1(VALU_DEP_2)
	v_cmp_ne_u32_e32 vcc_lo, 0, v7
	v_cndmask_b32_e64 v7, -1, v8, s8
	v_cndmask_b32_e32 v8, s18, v9, vcc_lo
	v_cndmask_b32_e32 v6, v3, v6, vcc_lo
	s_delay_alu instid0(VALU_DEP_3) | instskip(NEXT) | instid1(VALU_DEP_3)
	v_cmp_ne_u32_e32 vcc_lo, 0, v7
	v_cndmask_b32_e32 v3, s9, v8, vcc_lo
	s_delay_alu instid0(VALU_DEP_3)
	v_cndmask_b32_e32 v2, v2, v6, vcc_lo
	s_cbranch_execnz .LBB204_192
.LBB204_191:                            ;   in Loop: Header=BB204_6 Depth=1
	v_cvt_f32_u32_e32 v2, s33
	s_sub_i32 s8, 0, s33
	s_delay_alu instid0(VALU_DEP_1) | instskip(SKIP_2) | instid1(VALU_DEP_1)
	v_rcp_iflag_f32_e32 v2, v2
	s_waitcnt_depctr 0xfff
	v_mul_f32_e32 v2, 0x4f7ffffe, v2
	v_cvt_u32_f32_e32 v2, v2
	s_delay_alu instid0(VALU_DEP_1) | instskip(NEXT) | instid1(VALU_DEP_1)
	v_mul_lo_u32 v3, s8, v2
	v_mul_hi_u32 v3, v2, v3
	s_delay_alu instid0(VALU_DEP_1) | instskip(NEXT) | instid1(VALU_DEP_1)
	v_add_nc_u32_e32 v2, v2, v3
	v_mul_hi_u32 v2, s78, v2
	s_delay_alu instid0(VALU_DEP_1) | instskip(NEXT) | instid1(VALU_DEP_1)
	v_mul_lo_u32 v2, v2, s33
	v_sub_nc_u32_e32 v2, s78, v2
	s_delay_alu instid0(VALU_DEP_1) | instskip(SKIP_1) | instid1(VALU_DEP_2)
	v_subrev_nc_u32_e32 v3, s33, v2
	v_cmp_le_u32_e32 vcc_lo, s33, v2
	v_cndmask_b32_e32 v2, v2, v3, vcc_lo
	s_delay_alu instid0(VALU_DEP_1) | instskip(SKIP_1) | instid1(VALU_DEP_2)
	v_subrev_nc_u32_e32 v3, s33, v2
	v_cmp_le_u32_e32 vcc_lo, s33, v2
	v_cndmask_b32_e32 v12, v2, v3, vcc_lo
	s_delay_alu instid0(VALU_DEP_1)
	v_dual_mov_b32 v2, v12 :: v_dual_mov_b32 v3, v13
.LBB204_192:                            ;   in Loop: Header=BB204_6 Depth=1
	s_delay_alu instid0(VALU_DEP_1) | instskip(NEXT) | instid1(VALU_DEP_2)
	v_sub_co_u32 v2, vcc_lo, s78, v2
	v_sub_co_ci_u32_e32 v3, vcc_lo, s27, v3, vcc_lo
	s_mov_b32 s8, 0
	s_mov_b32 s9, exec_lo
                                        ; implicit-def: $vgpr6
	s_delay_alu instid0(VALU_DEP_1)
	v_cmpx_gt_u64_e64 v[2:3], v[0:1]
	s_cbranch_execz .LBB204_201
; %bb.193:                              ;   in Loop: Header=BB204_6 Depth=1
	v_dual_mov_b32 v6, v10 :: v_dual_mov_b32 v7, v11
	v_dual_mov_b32 v9, v1 :: v_dual_mov_b32 v8, v0
	s_mov_b32 s18, 0
                                        ; implicit-def: $sgpr19
	s_branch .LBB204_195
.LBB204_194:                            ;   in Loop: Header=BB204_195 Depth=2
	s_or_b32 exec_lo, exec_lo, s8
	s_waitcnt vmcnt(0) lgkmcnt(0)
	s_barrier
	buffer_gl0_inv
	ds_load_b32 v12, v13 offset:3072
	v_add_co_u32 v8, vcc_lo, v8, s33
	v_add_co_ci_u32_e32 v9, vcc_lo, 0, v9, vcc_lo
	s_waitcnt lgkmcnt(0)
	s_barrier
	buffer_gl0_inv
	v_cmp_ge_u64_e32 vcc_lo, v[8:9], v[2:3]
	v_cmp_neq_f16_e64 s8, 0, v12
	s_delay_alu instid0(VALU_DEP_1)
	s_or_b32 s26, vcc_lo, s8
	v_add_co_u32 v6, vcc_lo, v6, s34
	s_and_b32 s26, exec_lo, s26
	v_add_co_ci_u32_e32 v7, vcc_lo, s35, v7, vcc_lo
	s_or_b32 s18, s26, s18
	s_and_not1_b32 s19, s19, exec_lo
	s_and_b32 s8, s8, exec_lo
	s_delay_alu instid0(SALU_CYCLE_1)
	s_or_b32 s19, s19, s8
	s_and_not1_b32 exec_lo, exec_lo, s18
	s_cbranch_execz .LBB204_200
.LBB204_195:                            ;   Parent Loop BB204_6 Depth=1
                                        ; =>  This Inner Loop Header: Depth=2
	s_delay_alu instid0(VALU_DEP_1)
	v_cmp_gt_u64_e32 vcc_lo, s[28:29], v[8:9]
	v_mov_b32_e32 v12, 0
	s_and_saveexec_b32 s8, vcc_lo
	s_cbranch_execz .LBB204_197
; %bb.196:                              ;   in Loop: Header=BB204_195 Depth=2
	global_load_u16 v12, v[6:7], off
.LBB204_197:                            ;   in Loop: Header=BB204_195 Depth=2
	s_or_b32 exec_lo, exec_lo, s8
	s_and_saveexec_b32 s8, vcc_lo
	s_cbranch_execz .LBB204_194
; %bb.198:                              ;   in Loop: Header=BB204_195 Depth=2
	s_waitcnt vmcnt(0)
	v_cmp_lt_i16_e32 vcc_lo, -1, v12
	v_dual_cndmask_b32 v28, 0xffff, v37 :: v_dual_and_b32 v27, 0xffff, v12
	v_cmp_o_f16_e32 vcc_lo, v12, v12
	s_delay_alu instid0(VALU_DEP_2) | instskip(NEXT) | instid1(VALU_DEP_1)
	v_xor_b32_e32 v27, v28, v27
	v_cndmask_b32_e32 v27, 0xffff, v27, vcc_lo
	s_delay_alu instid0(VALU_DEP_1) | instskip(NEXT) | instid1(VALU_DEP_1)
	v_and_b32_e32 v27, v27, v26
	v_cmp_eq_u32_e32 vcc_lo, v27, v25
	s_and_b32 exec_lo, exec_lo, vcc_lo
	s_cbranch_execz .LBB204_194
; %bb.199:                              ;   in Loop: Header=BB204_195 Depth=2
	v_perm_b32 v12, v12, s87, 0x5040100
	ds_store_b32 v13, v12 offset:3072
	s_branch .LBB204_194
.LBB204_200:                            ;   in Loop: Header=BB204_6 Depth=1
	s_or_b32 exec_lo, exec_lo, s18
	v_lshrrev_b32_e32 v6, 16, v12
	s_and_b32 s8, s19, exec_lo
.LBB204_201:                            ;   in Loop: Header=BB204_6 Depth=1
	s_or_b32 exec_lo, exec_lo, s9
	s_mov_b32 s71, -1
	s_mov_b32 s69, 0
	s_mov_b32 s70, 0
.LBB204_202:                            ;   in Loop: Header=BB204_6 Depth=1
	s_or_not1_b32 s8, s8, exec_lo
.LBB204_203:                            ;   in Loop: Header=BB204_6 Depth=1
	s_or_b32 exec_lo, exec_lo, s72
	s_mov_b32 s26, 0
                                        ; implicit-def: $vgpr7
	s_and_saveexec_b32 s72, s8
	s_cbranch_execz .LBB204_268
; %bb.204:                              ;   in Loop: Header=BB204_6 Depth=1
	v_dual_mov_b32 v2, 1 :: v_dual_mov_b32 v7, 1
	v_mov_b32_e32 v3, 0
	s_xor_b32 s9, s73, -1
	s_delay_alu instid0(SALU_CYCLE_1)
	s_and_saveexec_b32 s8, s9
	s_cbranch_execz .LBB204_214
; %bb.205:                              ;   in Loop: Header=BB204_6 Depth=1
	s_mov_b32 s18, exec_lo
                                        ; implicit-def: $sgpr19
                                        ; implicit-def: $sgpr9
	v_cmpx_ge_u64_e64 s[14:15], v[4:5]
	s_xor_b32 s18, exec_lo, s18
	s_cbranch_execz .LBB204_211
; %bb.206:                              ;   in Loop: Header=BB204_6 Depth=1
	ds_load_b64 v[2:3], v13 offset:5120
	s_waitcnt lgkmcnt(0)
	v_cmp_ne_u64_e32 vcc_lo, 0, v[2:3]
	s_cbranch_vccnz .LBB204_210
; %bb.207:                              ;   in Loop: Header=BB204_6 Depth=1
	s_and_saveexec_b32 s9, s5
	s_cbranch_execz .LBB204_209
; %bb.208:                              ;   in Loop: Header=BB204_6 Depth=1
	v_dual_mov_b32 v2, s14 :: v_dual_mov_b32 v3, s15
	ds_store_b64 v13, v[2:3] offset:5128
.LBB204_209:                            ;   in Loop: Header=BB204_6 Depth=1
	s_or_b32 exec_lo, exec_lo, s9
	s_waitcnt lgkmcnt(0)
	s_barrier
	buffer_gl0_inv
.LBB204_210:                            ;   in Loop: Header=BB204_6 Depth=1
	s_lshl_b32 s9, 2, s22
	v_or_b32_e32 v26, s20, v26
	v_and_or_b32 v25, v25, s21, s9
	s_mov_b32 s9, 0
	s_mov_b32 s19, 8
.LBB204_211:                            ;   in Loop: Header=BB204_6 Depth=1
	s_or_saveexec_b32 s18, s18
	v_mov_b32_e32 v7, s19
	s_xor_b32 exec_lo, exec_lo, s18
; %bb.212:                              ;   in Loop: Header=BB204_6 Depth=1
	v_sub_co_u32 v4, vcc_lo, v4, s14
	v_subrev_co_ci_u32_e32 v5, vcc_lo, s15, v5, vcc_lo
	v_mov_b32_e32 v7, 0
	s_or_b32 s9, s9, exec_lo
; %bb.213:                              ;   in Loop: Header=BB204_6 Depth=1
	s_or_b32 exec_lo, exec_lo, s18
	s_delay_alu instid0(VALU_DEP_2)
	v_dual_mov_b32 v2, v4 :: v_dual_mov_b32 v3, v5
	s_and_b32 s26, s9, exec_lo
.LBB204_214:                            ;   in Loop: Header=BB204_6 Depth=1
	s_or_b32 exec_lo, exec_lo, s8
	s_mov_b32 s19, -1
                                        ; implicit-def: $sgpr8
                                        ; implicit-def: $sgpr18
                                        ; implicit-def: $sgpr9
	s_and_saveexec_b32 s73, s26
	s_cbranch_execz .LBB204_267
; %bb.215:                              ;   in Loop: Header=BB204_6 Depth=1
	v_cmp_eq_u64_e32 vcc_lo, 1, v[2:3]
	s_cmp_eq_u64 s[16:17], 1
	s_mov_b32 s26, -1
	s_cselect_b32 s8, -1, 0
                                        ; implicit-def: $sgpr18
                                        ; implicit-def: $sgpr9
	s_delay_alu instid0(SALU_CYCLE_1) | instskip(NEXT) | instid1(SALU_CYCLE_1)
	s_and_b32 s99, s8, vcc_lo
                                        ; implicit-def: $sgpr8
	s_and_saveexec_b32 s100, s99
	s_cbranch_execz .LBB204_254
; %bb.216:                              ;   in Loop: Header=BB204_6 Depth=1
	ds_load_b64 v[4:5], v13 offset:5120
	s_waitcnt lgkmcnt(0)
	s_barrier
	buffer_gl0_inv
	v_readfirstlane_b32 s18, v4
	v_readfirstlane_b32 s19, v5
	s_and_saveexec_b32 s8, s6
	s_cbranch_execz .LBB204_218
; %bb.217:                              ;   in Loop: Header=BB204_6 Depth=1
	ds_store_b16 v33, v13
.LBB204_218:                            ;   in Loop: Header=BB204_6 Depth=1
	s_or_b32 exec_lo, exec_lo, s8
	v_or_b32_e32 v25, s20, v25
	v_or_b32_e32 v26, s20, v26
	s_cmp_eq_u64 s[18:19], 0
	s_waitcnt lgkmcnt(0)
	s_barrier
	buffer_gl0_inv
	s_cbranch_scc1 .LBB204_223
; %bb.219:                              ;   in Loop: Header=BB204_6 Depth=1
	s_add_u32 s26, s76, s18
	s_addc_u32 s9, s77, s19
	s_mov_b32 s8, s53
	s_delay_alu instid0(SALU_CYCLE_1)
	s_cmp_lg_u64 s[8:9], 0
	s_cbranch_scc0 .LBB204_224
; %bb.220:                              ;   in Loop: Header=BB204_6 Depth=1
	v_cvt_f32_u32_e32 v4, s33
	s_sub_u32 s102, 0, s33
	s_subb_u32 s103, 0, 0
	s_delay_alu instid0(VALU_DEP_1) | instskip(NEXT) | instid1(VALU_DEP_1)
	v_fmac_f32_e64 v4, 0, 0x4f800000
	v_rcp_f32_e32 v4, v4
	s_waitcnt_depctr 0xfff
	v_mul_f32_e32 v4, 0x5f7ffffc, v4
	s_delay_alu instid0(VALU_DEP_1) | instskip(NEXT) | instid1(VALU_DEP_1)
	v_mul_f32_e32 v5, 0x2f800000, v4
	v_trunc_f32_e32 v5, v5
	s_delay_alu instid0(VALU_DEP_1) | instskip(SKIP_1) | instid1(VALU_DEP_2)
	v_fmac_f32_e32 v4, 0xcf800000, v5
	v_cvt_u32_f32_e32 v5, v5
	v_cvt_u32_f32_e32 v4, v4
	s_delay_alu instid0(VALU_DEP_2) | instskip(NEXT) | instid1(VALU_DEP_2)
	v_readfirstlane_b32 s8, v5
	v_readfirstlane_b32 s101, v4
	s_delay_alu instid0(VALU_DEP_2) | instskip(NEXT) | instid1(VALU_DEP_1)
	s_mul_i32 s104, s102, s8
	s_mul_hi_u32 vcc_hi, s102, s101
	s_mul_i32 vcc_lo, s103, s101
	s_add_i32 s45, vcc_hi, s104
	s_mul_i32 s44, s102, s101
	s_add_i32 s45, s45, vcc_lo
	s_mul_hi_u32 s104, s101, s44
	s_mul_hi_u32 vcc_lo, s101, s45
	s_mul_i32 s101, s101, s45
	s_mul_hi_u32 vcc_hi, s8, s44
	s_mul_i32 s44, s8, s44
	s_add_u32 s49, s104, s101
	s_addc_u32 s101, 0, vcc_lo
	s_mul_hi_u32 s48, s8, s45
	s_add_u32 s44, s49, s44
	s_mul_i32 s45, s8, s45
	s_addc_u32 s44, s101, vcc_hi
	s_addc_u32 s48, s48, 0
	s_add_u32 s44, s44, s45
	s_addc_u32 s45, 0, s48
	v_add_co_u32 v4, s44, v4, s44
	s_delay_alu instid0(VALU_DEP_1) | instskip(SKIP_1) | instid1(VALU_DEP_1)
	s_cmp_lg_u32 s44, 0
	s_addc_u32 s8, s8, s45
	v_readfirstlane_b32 s44, v4
	s_mul_i32 s45, s102, s8
	s_delay_alu instid0(VALU_DEP_1)
	s_mul_hi_u32 s48, s102, s44
	s_mul_i32 s103, s103, s44
	s_add_i32 s45, s48, s45
	s_mul_i32 s102, s102, s44
	s_add_i32 s45, s45, s103
	s_mul_hi_u32 s101, s44, s102
	s_mul_hi_u32 s103, s44, s45
	s_mul_i32 s44, s44, s45
	s_mul_i32 s49, s8, s102
	s_add_u32 s44, s101, s44
	s_mul_hi_u32 s48, s8, s102
	s_addc_u32 s101, 0, s103
	s_mul_hi_u32 s102, s8, s45
	s_add_u32 s44, s44, s49
	s_mul_i32 s45, s8, s45
	s_addc_u32 s44, s101, s48
	s_addc_u32 s48, s102, 0
	s_add_u32 s44, s44, s45
	s_addc_u32 s45, 0, s48
	v_add_co_u32 v4, s44, v4, s44
	s_delay_alu instid0(VALU_DEP_1) | instskip(SKIP_1) | instid1(VALU_DEP_1)
	s_cmp_lg_u32 s44, 0
	s_addc_u32 s8, s8, s45
	v_readfirstlane_b32 s44, v4
	s_mul_i32 s48, s26, s8
	s_mul_hi_u32 s45, s26, s8
	s_mul_hi_u32 s49, s9, s8
	s_mul_i32 s8, s9, s8
	s_mul_hi_u32 s101, s26, s44
	s_mul_hi_u32 s102, s9, s44
	s_mul_i32 s44, s9, s44
	s_add_u32 s48, s101, s48
	s_addc_u32 s45, 0, s45
	s_add_u32 s44, s48, s44
	s_addc_u32 s44, s45, s102
	s_addc_u32 s45, s49, 0
	s_add_u32 s8, s44, s8
	s_addc_u32 s44, 0, s45
	s_mul_hi_u32 s45, s33, s8
	s_mul_i32 s8, s33, s8
	s_mul_i32 s44, s33, s44
	v_sub_co_u32 v4, s8, s26, s8
	s_add_i32 s45, s45, s44
	s_cmp_lg_u32 s8, 0
	s_delay_alu instid0(VALU_DEP_1) | instskip(SKIP_3) | instid1(VALU_DEP_2)
	v_sub_co_u32 v5, s8, v4, s33
	s_subb_u32 s44, s9, s45
	s_cmp_lg_u32 s8, 0
	v_cmp_le_u32_e32 vcc_lo, s33, v4
	v_cmp_le_u32_e64 s8, s33, v5
	v_sub_co_u32 v6, s45, v5, s33
	s_subb_u32 s48, s44, 0
	s_cmp_lg_u32 s45, 0
	s_delay_alu instid0(VALU_DEP_2)
	v_cndmask_b32_e64 v7, 0, -1, s8
	s_subb_u32 s45, s48, 0
	s_cmp_eq_u32 s48, 0
	v_mov_b32_e32 v9, s45
	v_cndmask_b32_e64 v8, 0, -1, vcc_lo
	s_cselect_b32 vcc_lo, -1, 0
	s_cmp_eq_u32 s44, 0
	v_cndmask_b32_e32 v7, -1, v7, vcc_lo
	s_cselect_b32 vcc_lo, -1, 0
	v_cndmask_b32_e32 v8, -1, v8, vcc_lo
	s_delay_alu instid0(VALU_DEP_2) | instskip(NEXT) | instid1(VALU_DEP_2)
	v_cmp_ne_u32_e32 vcc_lo, 0, v7
	v_cmp_ne_u32_e64 s8, 0, v8
	v_cndmask_b32_e32 v7, s48, v9, vcc_lo
	v_cndmask_b32_e32 v6, v5, v6, vcc_lo
	s_delay_alu instid0(VALU_DEP_2) | instskip(NEXT) | instid1(VALU_DEP_2)
	v_cndmask_b32_e64 v5, s44, v7, s8
	v_cndmask_b32_e64 v4, v4, v6, s8
	s_mov_b32 s8, 0
	s_branch .LBB204_225
.LBB204_221:                            ;   in Loop: Header=BB204_6 Depth=1
                                        ; implicit-def: $vgpr2_vgpr3
	s_branch .LBB204_175
.LBB204_222:                            ;   in Loop: Header=BB204_6 Depth=1
                                        ; implicit-def: $vgpr2_vgpr3
	s_branch .LBB204_191
.LBB204_223:                            ;   in Loop: Header=BB204_6 Depth=1
	s_mov_b32 s8, -1
	s_mov_b32 s26, 0
                                        ; implicit-def: $sgpr9
                                        ; implicit-def: $vgpr6
	s_branch .LBB204_237
.LBB204_224:                            ;   in Loop: Header=BB204_6 Depth=1
	s_mov_b32 s8, -1
                                        ; implicit-def: $vgpr4_vgpr5
.LBB204_225:                            ;   in Loop: Header=BB204_6 Depth=1
	s_delay_alu instid0(SALU_CYCLE_1)
	s_and_not1_b32 vcc_lo, exec_lo, s8
	s_cbranch_vccnz .LBB204_227
; %bb.226:                              ;   in Loop: Header=BB204_6 Depth=1
	v_cvt_f32_u32_e32 v4, s33
	s_sub_i32 s8, 0, s33
	s_delay_alu instid0(VALU_DEP_1) | instskip(SKIP_2) | instid1(VALU_DEP_1)
	v_rcp_iflag_f32_e32 v4, v4
	s_waitcnt_depctr 0xfff
	v_mul_f32_e32 v4, 0x4f7ffffe, v4
	v_cvt_u32_f32_e32 v4, v4
	s_delay_alu instid0(VALU_DEP_1) | instskip(NEXT) | instid1(VALU_DEP_1)
	v_mul_lo_u32 v5, s8, v4
	v_mul_hi_u32 v5, v4, v5
	s_delay_alu instid0(VALU_DEP_1) | instskip(NEXT) | instid1(VALU_DEP_1)
	v_add_nc_u32_e32 v4, v4, v5
	v_mul_hi_u32 v4, s26, v4
	s_delay_alu instid0(VALU_DEP_1) | instskip(NEXT) | instid1(VALU_DEP_1)
	v_mul_lo_u32 v4, v4, s33
	v_sub_nc_u32_e32 v4, s26, v4
	s_delay_alu instid0(VALU_DEP_1) | instskip(SKIP_1) | instid1(VALU_DEP_2)
	v_subrev_nc_u32_e32 v5, s33, v4
	v_cmp_le_u32_e32 vcc_lo, s33, v4
	v_cndmask_b32_e32 v4, v4, v5, vcc_lo
	s_delay_alu instid0(VALU_DEP_1) | instskip(SKIP_1) | instid1(VALU_DEP_2)
	v_subrev_nc_u32_e32 v5, s33, v4
	v_cmp_le_u32_e32 vcc_lo, s33, v4
	v_cndmask_b32_e32 v12, v4, v5, vcc_lo
	s_delay_alu instid0(VALU_DEP_1)
	v_dual_mov_b32 v4, v12 :: v_dual_mov_b32 v5, v13
.LBB204_227:                            ;   in Loop: Header=BB204_6 Depth=1
	s_delay_alu instid0(VALU_DEP_1) | instskip(NEXT) | instid1(VALU_DEP_2)
	v_sub_co_u32 v4, vcc_lo, s26, v4
	v_sub_co_ci_u32_e32 v5, vcc_lo, s9, v5, vcc_lo
	s_mov_b32 s26, 0
	s_mov_b32 s9, exec_lo
                                        ; implicit-def: $vgpr6
	s_delay_alu instid0(VALU_DEP_1)
	v_cmpx_gt_u64_e64 v[4:5], v[0:1]
	s_cbranch_execz .LBB204_236
; %bb.228:                              ;   in Loop: Header=BB204_6 Depth=1
	v_dual_mov_b32 v8, v31 :: v_dual_mov_b32 v7, v1
	v_mov_b32_e32 v6, v0
                                        ; implicit-def: $sgpr101
	s_set_inst_prefetch_distance 0x1
	s_branch .LBB204_230
	.p2align	6
.LBB204_229:                            ;   in Loop: Header=BB204_230 Depth=2
	s_or_b32 exec_lo, exec_lo, s8
	s_waitcnt lgkmcnt(0)
	s_barrier
	buffer_gl0_inv
	ds_load_b32 v9, v13 offset:3072
	v_add_co_u32 v6, vcc_lo, v6, s33
	v_add_co_ci_u32_e32 v7, vcc_lo, 0, v7, vcc_lo
	v_add_nc_u32_e32 v8, s84, v8
	s_waitcnt lgkmcnt(0)
	s_barrier
	s_delay_alu instid0(VALU_DEP_2) | instskip(SKIP_2) | instid1(VALU_DEP_1)
	v_cmp_ge_u64_e32 vcc_lo, v[6:7], v[4:5]
	buffer_gl0_inv
	v_cmp_neq_f16_e64 s8, 0, v9
	s_or_b32 s44, vcc_lo, s8
	s_delay_alu instid0(SALU_CYCLE_1) | instskip(NEXT) | instid1(SALU_CYCLE_1)
	s_and_b32 s44, exec_lo, s44
	s_or_b32 s26, s44, s26
	s_and_not1_b32 s44, s101, exec_lo
	s_and_b32 s8, s8, exec_lo
	s_delay_alu instid0(SALU_CYCLE_1)
	s_or_b32 s101, s44, s8
	s_and_not1_b32 exec_lo, exec_lo, s26
	s_cbranch_execz .LBB204_235
.LBB204_230:                            ;   Parent Loop BB204_6 Depth=1
                                        ; =>  This Inner Loop Header: Depth=2
	s_delay_alu instid0(VALU_DEP_1)
	v_cmp_gt_u64_e32 vcc_lo, s[18:19], v[6:7]
	v_mov_b32_e32 v9, 0
	s_and_saveexec_b32 s8, vcc_lo
	s_cbranch_execz .LBB204_232
; %bb.231:                              ;   in Loop: Header=BB204_230 Depth=2
	ds_load_u16 v9, v8
.LBB204_232:                            ;   in Loop: Header=BB204_230 Depth=2
	s_or_b32 exec_lo, exec_lo, s8
	s_and_saveexec_b32 s8, vcc_lo
	s_cbranch_execz .LBB204_229
; %bb.233:                              ;   in Loop: Header=BB204_230 Depth=2
	s_waitcnt lgkmcnt(0)
	v_cmp_lt_i16_e32 vcc_lo, -1, v9
	v_and_b32_e32 v12, 0xffff, v9
	v_cndmask_b32_e32 v27, 0xffff, v37, vcc_lo
	v_cmp_o_f16_e32 vcc_lo, v9, v9
	s_delay_alu instid0(VALU_DEP_2) | instskip(NEXT) | instid1(VALU_DEP_1)
	v_xor_b32_e32 v12, v27, v12
	v_cndmask_b32_e32 v12, 0xffff, v12, vcc_lo
	s_delay_alu instid0(VALU_DEP_1) | instskip(NEXT) | instid1(VALU_DEP_1)
	v_and_b32_e32 v12, v12, v26
	v_cmp_eq_u32_e32 vcc_lo, v12, v25
	s_and_b32 exec_lo, exec_lo, vcc_lo
	s_cbranch_execz .LBB204_229
; %bb.234:                              ;   in Loop: Header=BB204_230 Depth=2
	v_perm_b32 v9, v9, s87, 0x5040100
	ds_store_b32 v13, v9 offset:3072
	s_branch .LBB204_229
.LBB204_235:                            ;   in Loop: Header=BB204_6 Depth=1
	s_set_inst_prefetch_distance 0x2
	s_or_b32 exec_lo, exec_lo, s26
	v_lshrrev_b32_e32 v6, 16, v9
	s_and_b32 s26, s101, exec_lo
.LBB204_236:                            ;   in Loop: Header=BB204_6 Depth=1
	s_or_b32 exec_lo, exec_lo, s9
	s_mov_b32 s9, -1
	s_mov_b32 s8, 0
.LBB204_237:                            ;   in Loop: Header=BB204_6 Depth=1
	s_delay_alu instid0(SALU_CYCLE_1)
	s_and_b32 vcc_lo, exec_lo, s8
	s_mov_b32 s18, s8
	s_cbranch_vccz .LBB204_253
; %bb.238:                              ;   in Loop: Header=BB204_6 Depth=1
	s_mov_b32 s26, s53
	s_delay_alu instid0(SALU_CYCLE_1)
	s_cmp_lg_u64 s[26:27], 0
	s_cbranch_scc0 .LBB204_240
; %bb.239:                              ;   in Loop: Header=BB204_6 Depth=1
	v_cvt_f32_u32_e32 v4, s33
	s_sub_u32 s18, 0, s33
	s_subb_u32 s19, 0, 0
	s_delay_alu instid0(VALU_DEP_1) | instskip(NEXT) | instid1(VALU_DEP_1)
	v_fmac_f32_e64 v4, 0, 0x4f800000
	v_rcp_f32_e32 v4, v4
	s_waitcnt_depctr 0xfff
	v_mul_f32_e32 v4, 0x5f7ffffc, v4
	s_delay_alu instid0(VALU_DEP_1) | instskip(NEXT) | instid1(VALU_DEP_1)
	v_mul_f32_e32 v5, 0x2f800000, v4
	v_trunc_f32_e32 v5, v5
	s_delay_alu instid0(VALU_DEP_1) | instskip(SKIP_1) | instid1(VALU_DEP_2)
	v_fmac_f32_e32 v4, 0xcf800000, v5
	v_cvt_u32_f32_e32 v5, v5
	v_cvt_u32_f32_e32 v4, v4
	s_delay_alu instid0(VALU_DEP_2) | instskip(NEXT) | instid1(VALU_DEP_2)
	v_readfirstlane_b32 s8, v5
	v_readfirstlane_b32 s9, v4
	s_delay_alu instid0(VALU_DEP_2) | instskip(NEXT) | instid1(VALU_DEP_1)
	s_mul_i32 s26, s18, s8
	s_mul_hi_u32 s45, s18, s9
	s_mul_i32 s44, s19, s9
	s_add_i32 s26, s45, s26
	s_mul_i32 s48, s18, s9
	s_add_i32 s26, s26, s44
	s_mul_hi_u32 s45, s9, s48
	s_mul_hi_u32 s49, s8, s48
	s_mul_i32 s44, s8, s48
	s_mul_hi_u32 s48, s9, s26
	s_mul_i32 s9, s9, s26
	s_mul_hi_u32 s101, s8, s26
	s_add_u32 s9, s45, s9
	s_addc_u32 s45, 0, s48
	s_add_u32 s9, s9, s44
	s_mul_i32 s26, s8, s26
	s_addc_u32 s9, s45, s49
	s_addc_u32 s44, s101, 0
	s_add_u32 s9, s9, s26
	s_addc_u32 s26, 0, s44
	v_add_co_u32 v4, s9, v4, s9
	s_delay_alu instid0(VALU_DEP_1) | instskip(SKIP_1) | instid1(VALU_DEP_1)
	s_cmp_lg_u32 s9, 0
	s_addc_u32 s8, s8, s26
	v_readfirstlane_b32 s9, v4
	s_mul_i32 s26, s18, s8
	s_delay_alu instid0(VALU_DEP_1)
	s_mul_hi_u32 s44, s18, s9
	s_mul_i32 s19, s19, s9
	s_add_i32 s26, s44, s26
	s_mul_i32 s18, s18, s9
	s_add_i32 s26, s26, s19
	s_mul_hi_u32 s44, s8, s18
	s_mul_i32 s45, s8, s18
	s_mul_hi_u32 s18, s9, s18
	s_mul_hi_u32 s48, s9, s26
	s_mul_i32 s9, s9, s26
	s_mul_hi_u32 s19, s8, s26
	s_add_u32 s9, s18, s9
	s_addc_u32 s18, 0, s48
	s_add_u32 s9, s9, s45
	s_mul_i32 s26, s8, s26
	s_addc_u32 s9, s18, s44
	s_addc_u32 s18, s19, 0
	s_add_u32 s9, s9, s26
	s_addc_u32 s18, 0, s18
	v_add_co_u32 v4, s9, v4, s9
	s_delay_alu instid0(VALU_DEP_1) | instskip(SKIP_1) | instid1(VALU_DEP_1)
	s_cmp_lg_u32 s9, 0
	s_addc_u32 s8, s8, s18
	v_readfirstlane_b32 s9, v4
	s_mul_i32 s19, s78, s8
	s_mul_hi_u32 s18, s78, s8
	s_mul_hi_u32 s26, s27, s8
	s_mul_i32 s8, s27, s8
	s_mul_hi_u32 s44, s78, s9
	s_mul_hi_u32 s45, s27, s9
	s_mul_i32 s9, s27, s9
	s_add_u32 s19, s44, s19
	s_addc_u32 s18, 0, s18
	s_add_u32 s9, s19, s9
	s_addc_u32 s9, s18, s45
	s_addc_u32 s18, s26, 0
	s_add_u32 s8, s9, s8
	s_addc_u32 s9, 0, s18
	s_mul_hi_u32 s18, s33, s8
	s_mul_i32 s8, s33, s8
	s_mul_i32 s9, s33, s9
	v_sub_co_u32 v4, s8, s78, s8
	s_add_i32 s18, s18, s9
	s_cmp_lg_u32 s8, 0
	s_delay_alu instid0(VALU_DEP_1) | instskip(SKIP_2) | instid1(VALU_DEP_1)
	v_sub_co_u32 v5, s8, v4, s33
	s_subb_u32 s9, s27, s18
	s_cmp_lg_u32 s8, 0
	v_cmp_le_u32_e32 vcc_lo, s33, v5
	v_sub_co_u32 v6, s8, v5, s33
	s_subb_u32 s18, s9, 0
	s_cmp_lg_u32 s8, 0
	v_cndmask_b32_e64 v7, 0, -1, vcc_lo
	s_subb_u32 s8, s18, 0
	s_cmp_eq_u32 s18, 0
	v_mov_b32_e32 v9, s8
	s_cselect_b32 vcc_lo, -1, 0
	s_cmp_eq_u32 s9, 0
	v_cndmask_b32_e32 v7, -1, v7, vcc_lo
	v_cmp_le_u32_e32 vcc_lo, s33, v4
	s_cselect_b32 s8, -1, 0
	v_cndmask_b32_e64 v8, 0, -1, vcc_lo
	s_delay_alu instid0(VALU_DEP_3) | instskip(NEXT) | instid1(VALU_DEP_2)
	v_cmp_ne_u32_e32 vcc_lo, 0, v7
	v_cndmask_b32_e64 v7, -1, v8, s8
	v_cndmask_b32_e32 v8, s18, v9, vcc_lo
	v_cndmask_b32_e32 v6, v5, v6, vcc_lo
	s_mov_b32 s8, 0
	s_delay_alu instid0(VALU_DEP_3) | instskip(NEXT) | instid1(VALU_DEP_3)
	v_cmp_ne_u32_e32 vcc_lo, 0, v7
	v_cndmask_b32_e32 v5, s9, v8, vcc_lo
	s_delay_alu instid0(VALU_DEP_3)
	v_cndmask_b32_e32 v4, v4, v6, vcc_lo
	s_branch .LBB204_241
.LBB204_240:                            ;   in Loop: Header=BB204_6 Depth=1
	s_mov_b32 s8, -1
                                        ; implicit-def: $vgpr4_vgpr5
.LBB204_241:                            ;   in Loop: Header=BB204_6 Depth=1
	s_delay_alu instid0(SALU_CYCLE_1)
	s_and_not1_b32 vcc_lo, exec_lo, s8
	s_cbranch_vccnz .LBB204_243
; %bb.242:                              ;   in Loop: Header=BB204_6 Depth=1
	v_cvt_f32_u32_e32 v4, s33
	s_sub_i32 s8, 0, s33
	s_delay_alu instid0(VALU_DEP_1) | instskip(SKIP_2) | instid1(VALU_DEP_1)
	v_rcp_iflag_f32_e32 v4, v4
	s_waitcnt_depctr 0xfff
	v_mul_f32_e32 v4, 0x4f7ffffe, v4
	v_cvt_u32_f32_e32 v4, v4
	s_delay_alu instid0(VALU_DEP_1) | instskip(NEXT) | instid1(VALU_DEP_1)
	v_mul_lo_u32 v5, s8, v4
	v_mul_hi_u32 v5, v4, v5
	s_delay_alu instid0(VALU_DEP_1) | instskip(NEXT) | instid1(VALU_DEP_1)
	v_add_nc_u32_e32 v4, v4, v5
	v_mul_hi_u32 v4, s78, v4
	s_delay_alu instid0(VALU_DEP_1) | instskip(NEXT) | instid1(VALU_DEP_1)
	v_mul_lo_u32 v4, v4, s33
	v_sub_nc_u32_e32 v4, s78, v4
	s_delay_alu instid0(VALU_DEP_1) | instskip(SKIP_1) | instid1(VALU_DEP_2)
	v_subrev_nc_u32_e32 v5, s33, v4
	v_cmp_le_u32_e32 vcc_lo, s33, v4
	v_cndmask_b32_e32 v4, v4, v5, vcc_lo
	s_delay_alu instid0(VALU_DEP_1) | instskip(SKIP_1) | instid1(VALU_DEP_2)
	v_subrev_nc_u32_e32 v5, s33, v4
	v_cmp_le_u32_e32 vcc_lo, s33, v4
	v_cndmask_b32_e32 v12, v4, v5, vcc_lo
	s_delay_alu instid0(VALU_DEP_1)
	v_dual_mov_b32 v4, v12 :: v_dual_mov_b32 v5, v13
.LBB204_243:                            ;   in Loop: Header=BB204_6 Depth=1
	s_delay_alu instid0(VALU_DEP_1) | instskip(NEXT) | instid1(VALU_DEP_2)
	v_sub_co_u32 v4, vcc_lo, s78, v4
	v_sub_co_ci_u32_e32 v5, vcc_lo, s27, v5, vcc_lo
	s_mov_b32 s26, 0
	s_mov_b32 s9, exec_lo
                                        ; implicit-def: $vgpr6
	s_delay_alu instid0(VALU_DEP_1)
	v_cmpx_gt_u64_e64 v[4:5], v[0:1]
	s_cbranch_execz .LBB204_252
; %bb.244:                              ;   in Loop: Header=BB204_6 Depth=1
	v_dual_mov_b32 v6, v10 :: v_dual_mov_b32 v7, v11
	v_dual_mov_b32 v9, v1 :: v_dual_mov_b32 v8, v0
	s_mov_b32 s18, 0
                                        ; implicit-def: $sgpr19
	s_branch .LBB204_246
.LBB204_245:                            ;   in Loop: Header=BB204_246 Depth=2
	s_or_b32 exec_lo, exec_lo, s8
	s_waitcnt vmcnt(0) lgkmcnt(0)
	s_barrier
	buffer_gl0_inv
	ds_load_b32 v12, v13 offset:3072
	v_add_co_u32 v8, vcc_lo, v8, s33
	v_add_co_ci_u32_e32 v9, vcc_lo, 0, v9, vcc_lo
	s_waitcnt lgkmcnt(0)
	s_barrier
	buffer_gl0_inv
	v_cmp_ge_u64_e32 vcc_lo, v[8:9], v[4:5]
	v_cmp_neq_f16_e64 s8, 0, v12
	s_delay_alu instid0(VALU_DEP_1)
	s_or_b32 s26, vcc_lo, s8
	v_add_co_u32 v6, vcc_lo, v6, s34
	s_and_b32 s26, exec_lo, s26
	v_add_co_ci_u32_e32 v7, vcc_lo, s35, v7, vcc_lo
	s_or_b32 s18, s26, s18
	s_and_not1_b32 s19, s19, exec_lo
	s_and_b32 s8, s8, exec_lo
	s_delay_alu instid0(SALU_CYCLE_1)
	s_or_b32 s19, s19, s8
	s_and_not1_b32 exec_lo, exec_lo, s18
	s_cbranch_execz .LBB204_251
.LBB204_246:                            ;   Parent Loop BB204_6 Depth=1
                                        ; =>  This Inner Loop Header: Depth=2
	s_delay_alu instid0(VALU_DEP_1)
	v_cmp_gt_u64_e32 vcc_lo, s[28:29], v[8:9]
	v_mov_b32_e32 v12, 0
	s_and_saveexec_b32 s8, vcc_lo
	s_cbranch_execz .LBB204_248
; %bb.247:                              ;   in Loop: Header=BB204_246 Depth=2
	global_load_u16 v12, v[6:7], off
.LBB204_248:                            ;   in Loop: Header=BB204_246 Depth=2
	s_or_b32 exec_lo, exec_lo, s8
	s_and_saveexec_b32 s8, vcc_lo
	s_cbranch_execz .LBB204_245
; %bb.249:                              ;   in Loop: Header=BB204_246 Depth=2
	s_waitcnt vmcnt(0)
	v_cmp_lt_i16_e32 vcc_lo, -1, v12
	v_dual_cndmask_b32 v28, 0xffff, v37 :: v_dual_and_b32 v27, 0xffff, v12
	v_cmp_o_f16_e32 vcc_lo, v12, v12
	s_delay_alu instid0(VALU_DEP_2) | instskip(NEXT) | instid1(VALU_DEP_1)
	v_xor_b32_e32 v27, v28, v27
	v_cndmask_b32_e32 v27, 0xffff, v27, vcc_lo
	s_delay_alu instid0(VALU_DEP_1) | instskip(NEXT) | instid1(VALU_DEP_1)
	v_and_b32_e32 v27, v27, v26
	v_cmp_eq_u32_e32 vcc_lo, v27, v25
	s_and_b32 exec_lo, exec_lo, vcc_lo
	s_cbranch_execz .LBB204_245
; %bb.250:                              ;   in Loop: Header=BB204_246 Depth=2
	v_perm_b32 v12, v12, s87, 0x5040100
	ds_store_b32 v13, v12 offset:3072
	s_branch .LBB204_245
.LBB204_251:                            ;   in Loop: Header=BB204_6 Depth=1
	s_or_b32 exec_lo, exec_lo, s18
	v_lshrrev_b32_e32 v6, 16, v12
	s_and_b32 s26, s19, exec_lo
.LBB204_252:                            ;   in Loop: Header=BB204_6 Depth=1
	s_or_b32 exec_lo, exec_lo, s9
	s_mov_b32 s18, -1
	s_mov_b32 s8, 0
	s_mov_b32 s9, 0
.LBB204_253:                            ;   in Loop: Header=BB204_6 Depth=1
	s_or_not1_b32 s26, s26, exec_lo
.LBB204_254:                            ;   in Loop: Header=BB204_6 Depth=1
	s_or_b32 exec_lo, exec_lo, s100
	s_mov_b32 s100, 0
                                        ; implicit-def: $vgpr7
                                        ; implicit-def: $vgpr4_vgpr5
	s_and_saveexec_b32 s19, s26
	s_cbranch_execz .LBB204_266
; %bb.255:                              ;   in Loop: Header=BB204_6 Depth=1
	v_dual_mov_b32 v4, 1 :: v_dual_mov_b32 v7, 1
	v_mov_b32_e32 v5, 0
	s_xor_b32 s44, s99, -1
	s_delay_alu instid0(SALU_CYCLE_1)
	s_and_saveexec_b32 s26, s44
	s_cbranch_execz .LBB204_265
; %bb.256:                              ;   in Loop: Header=BB204_6 Depth=1
                                        ; implicit-def: $sgpr100
	s_mov_b32 s44, exec_lo
	v_cmpx_ge_u64_e64 s[16:17], v[2:3]
	s_xor_b32 s99, exec_lo, s44
	s_cbranch_execz .LBB204_262
; %bb.257:                              ;   in Loop: Header=BB204_6 Depth=1
	ds_load_b64 v[4:5], v13 offset:5120
	s_waitcnt lgkmcnt(0)
	v_cmp_ne_u64_e32 vcc_lo, 0, v[4:5]
	s_cbranch_vccnz .LBB204_261
; %bb.258:                              ;   in Loop: Header=BB204_6 Depth=1
	s_and_saveexec_b32 s100, s5
	s_cbranch_execz .LBB204_260
; %bb.259:                              ;   in Loop: Header=BB204_6 Depth=1
	v_dual_mov_b32 v4, s16 :: v_dual_mov_b32 v5, s17
	ds_store_b64 v13, v[4:5] offset:5128
.LBB204_260:                            ;   in Loop: Header=BB204_6 Depth=1
	s_or_b32 exec_lo, exec_lo, s100
	s_waitcnt lgkmcnt(0)
	s_barrier
	buffer_gl0_inv
.LBB204_261:                            ;   in Loop: Header=BB204_6 Depth=1
	v_or_b32_e32 v25, s20, v25
	v_or_b32_e32 v26, s20, v26
	s_mov_b32 s100, 8
.LBB204_262:                            ;   in Loop: Header=BB204_6 Depth=1
	s_or_saveexec_b32 s99, s99
	v_mov_b32_e32 v7, s100
	s_xor_b32 exec_lo, exec_lo, s99
; %bb.263:                              ;   in Loop: Header=BB204_6 Depth=1
	v_sub_co_u32 v2, vcc_lo, v2, s16
	v_subrev_co_ci_u32_e32 v3, vcc_lo, s17, v3, vcc_lo
	v_mov_b32_e32 v7, 8
; %bb.264:                              ;   in Loop: Header=BB204_6 Depth=1
	s_or_b32 exec_lo, exec_lo, s99
	s_delay_alu instid0(VALU_DEP_2)
	v_dual_mov_b32 v5, v3 :: v_dual_mov_b32 v4, v2
.LBB204_265:                            ;   in Loop: Header=BB204_6 Depth=1
	s_or_b32 exec_lo, exec_lo, s26
	s_delay_alu instid0(SALU_CYCLE_1)
	s_mov_b32 s100, exec_lo
.LBB204_266:                            ;   in Loop: Header=BB204_6 Depth=1
	s_or_b32 exec_lo, exec_lo, s19
	s_delay_alu instid0(VALU_DEP_1)
	v_dual_mov_b32 v2, v4 :: v_dual_mov_b32 v3, v5
	s_or_not1_b32 s19, s100, exec_lo
.LBB204_267:                            ;   in Loop: Header=BB204_6 Depth=1
	s_or_b32 exec_lo, exec_lo, s73
	s_delay_alu instid0(SALU_CYCLE_1)
	s_and_not1_b32 s26, s69, exec_lo
	s_and_b32 s8, s8, exec_lo
	v_dual_mov_b32 v5, v3 :: v_dual_mov_b32 v4, v2
	s_or_b32 s69, s26, s8
	s_and_not1_b32 s8, s71, exec_lo
	s_and_b32 s18, s18, exec_lo
	s_and_not1_b32 s26, s70, exec_lo
	s_and_b32 s9, s9, exec_lo
	s_or_b32 s71, s8, s18
	s_or_b32 s70, s26, s9
	s_and_b32 s26, s19, exec_lo
.LBB204_268:                            ;   in Loop: Header=BB204_6 Depth=1
	s_or_b32 exec_lo, exec_lo, s72
	s_delay_alu instid0(SALU_CYCLE_1)
	s_and_b32 s19, s69, exec_lo
	s_and_b32 s18, s71, exec_lo
	;; [unrolled: 1-line block ×3, first 2 shown]
	s_or_not1_b32 s8, s26, exec_lo
.LBB204_269:                            ;   in Loop: Header=BB204_6 Depth=1
	s_or_b32 exec_lo, exec_lo, s68
	s_delay_alu instid0(SALU_CYCLE_1)
	s_and_not1_b32 s25, s25, exec_lo
	s_and_b32 s19, s19, exec_lo
	v_dual_mov_b32 v2, v4 :: v_dual_mov_b32 v3, v5
	s_or_b32 s25, s25, s19
	s_and_not1_b32 s19, s66, exec_lo
	s_and_b32 s18, s18, exec_lo
	s_and_not1_b32 s26, s65, exec_lo
	s_and_b32 s9, s9, exec_lo
	s_or_b32 s66, s19, s18
	s_or_b32 s65, s26, s9
	s_and_b32 s26, s8, exec_lo
.LBB204_270:                            ;   in Loop: Header=BB204_6 Depth=1
	s_or_b32 exec_lo, exec_lo, s67
	s_delay_alu instid0(SALU_CYCLE_1)
	s_and_b32 s19, s25, exec_lo
	s_and_b32 s18, s66, exec_lo
	;; [unrolled: 1-line block ×3, first 2 shown]
	s_or_not1_b32 s25, s26, exec_lo
.LBB204_271:                            ;   in Loop: Header=BB204_6 Depth=1
	s_or_b32 exec_lo, exec_lo, s24
	s_mov_b32 s8, 0
	s_mov_b32 s24, 0
	s_and_saveexec_b32 s26, s25
	s_delay_alu instid0(SALU_CYCLE_1)
	s_xor_b32 s25, exec_lo, s26
; %bb.272:                              ;   in Loop: Header=BB204_6 Depth=1
	v_cmp_ne_u32_e32 vcc_lo, 8, v7
	v_cmp_eq_u32_e64 s8, 8, v7
	s_and_not1_b32 s19, s19, exec_lo
	s_and_not1_b32 s18, s18, exec_lo
	;; [unrolled: 1-line block ×3, first 2 shown]
	s_and_b32 s24, vcc_lo, exec_lo
	s_and_b32 s8, s8, exec_lo
; %bb.273:                              ;   in Loop: Header=BB204_6 Depth=1
	s_or_b32 exec_lo, exec_lo, s25
	s_delay_alu instid0(SALU_CYCLE_1)
	s_and_not1_b32 s23, s23, exec_lo
	s_and_b32 s19, s19, exec_lo
	s_and_b32 s18, s18, exec_lo
	s_or_b32 s23, s23, s19
	s_and_not1_b32 s19, s62, exec_lo
	s_and_not1_b32 s25, s52, exec_lo
	s_and_b32 s9, s9, exec_lo
	s_or_b32 s62, s19, s18
	s_or_b32 s52, s25, s9
	s_and_b32 s24, s24, exec_lo
	s_and_b32 s25, s8, exec_lo
.LBB204_274:                            ;   in Loop: Header=BB204_6 Depth=1
	s_or_b32 exec_lo, exec_lo, s64
	s_delay_alu instid0(SALU_CYCLE_1)
	s_and_b32 vcc_lo, exec_lo, s63
	s_cbranch_vccz .LBB204_93
.LBB204_275:                            ;   in Loop: Header=BB204_6 Depth=1
	s_cmp_eq_u64 s[16:17], 1
                                        ; implicit-def: $sgpr18
                                        ; implicit-def: $sgpr19
                                        ; implicit-def: $sgpr23
	s_cselect_b32 s8, -1, 0
	s_delay_alu instid0(SALU_CYCLE_1)
	s_and_b32 s62, s8, s7
	s_mov_b32 s7, -1
	s_and_saveexec_b32 s52, s62
	s_cbranch_execz .LBB204_307
; %bb.276:                              ;   in Loop: Header=BB204_6 Depth=1
	ds_load_b64 v[2:3], v13 offset:5120
	s_waitcnt lgkmcnt(0)
	s_barrier
	buffer_gl0_inv
	v_readfirstlane_b32 s8, v2
	v_readfirstlane_b32 s9, v3
	s_and_saveexec_b32 s7, s6
	s_cbranch_execz .LBB204_278
; %bb.277:                              ;   in Loop: Header=BB204_6 Depth=1
	ds_store_b16 v33, v13
.LBB204_278:                            ;   in Loop: Header=BB204_6 Depth=1
	s_or_b32 exec_lo, exec_lo, s7
	v_or_b32_e32 v39, s20, v39
	v_or_b32_e32 v38, s20, v38
	s_cmp_eq_u64 s[8:9], 0
	s_waitcnt lgkmcnt(0)
	s_barrier
	buffer_gl0_inv
	s_cbranch_scc1 .LBB204_290
; %bb.279:                              ;   in Loop: Header=BB204_6 Depth=1
	s_add_u32 s23, s76, s8
	s_addc_u32 s19, s77, s9
	s_mov_b32 s18, s53
	s_delay_alu instid0(SALU_CYCLE_1)
	s_cmp_lg_u64 s[18:19], 0
	s_cbranch_scc0 .LBB204_334
; %bb.280:                              ;   in Loop: Header=BB204_6 Depth=1
	v_cvt_f32_u32_e32 v2, s33
	s_sub_u32 s26, 0, s33
	s_subb_u32 s63, 0, 0
	s_delay_alu instid0(VALU_DEP_1) | instskip(NEXT) | instid1(VALU_DEP_1)
	v_fmac_f32_e64 v2, 0, 0x4f800000
	v_rcp_f32_e32 v2, v2
	s_waitcnt_depctr 0xfff
	v_mul_f32_e32 v2, 0x5f7ffffc, v2
	s_delay_alu instid0(VALU_DEP_1) | instskip(NEXT) | instid1(VALU_DEP_1)
	v_mul_f32_e32 v3, 0x2f800000, v2
	v_trunc_f32_e32 v3, v3
	s_delay_alu instid0(VALU_DEP_1) | instskip(SKIP_1) | instid1(VALU_DEP_2)
	v_fmac_f32_e32 v2, 0xcf800000, v3
	v_cvt_u32_f32_e32 v3, v3
	v_cvt_u32_f32_e32 v2, v2
	s_delay_alu instid0(VALU_DEP_2) | instskip(NEXT) | instid1(VALU_DEP_2)
	v_readfirstlane_b32 s7, v3
	v_readfirstlane_b32 s18, v2
	s_delay_alu instid0(VALU_DEP_2) | instskip(NEXT) | instid1(VALU_DEP_1)
	s_mul_i32 s64, s26, s7
	s_mul_hi_u32 s66, s26, s18
	s_mul_i32 s65, s63, s18
	s_add_i32 s64, s66, s64
	s_mul_i32 s67, s26, s18
	s_add_i32 s64, s64, s65
	s_mul_hi_u32 s66, s18, s67
	s_mul_hi_u32 s68, s7, s67
	s_mul_i32 s65, s7, s67
	s_mul_hi_u32 s67, s18, s64
	s_mul_i32 s18, s18, s64
	s_mul_hi_u32 s69, s7, s64
	s_add_u32 s18, s66, s18
	s_addc_u32 s66, 0, s67
	s_add_u32 s18, s18, s65
	s_mul_i32 s64, s7, s64
	s_addc_u32 s18, s66, s68
	s_addc_u32 s65, s69, 0
	s_add_u32 s18, s18, s64
	s_addc_u32 s64, 0, s65
	v_add_co_u32 v2, s18, v2, s18
	s_delay_alu instid0(VALU_DEP_1) | instskip(SKIP_1) | instid1(VALU_DEP_1)
	s_cmp_lg_u32 s18, 0
	s_addc_u32 s7, s7, s64
	v_readfirstlane_b32 s18, v2
	s_mul_i32 s64, s26, s7
	s_delay_alu instid0(VALU_DEP_1)
	s_mul_hi_u32 s65, s26, s18
	s_mul_i32 s63, s63, s18
	s_add_i32 s64, s65, s64
	s_mul_i32 s26, s26, s18
	s_add_i32 s64, s64, s63
	s_mul_hi_u32 s65, s7, s26
	s_mul_i32 s66, s7, s26
	s_mul_hi_u32 s26, s18, s26
	s_mul_hi_u32 s67, s18, s64
	s_mul_i32 s18, s18, s64
	s_mul_hi_u32 s63, s7, s64
	s_add_u32 s18, s26, s18
	s_addc_u32 s26, 0, s67
	s_add_u32 s18, s18, s66
	s_mul_i32 s64, s7, s64
	s_addc_u32 s18, s26, s65
	s_addc_u32 s26, s63, 0
	s_add_u32 s18, s18, s64
	s_addc_u32 s26, 0, s26
	v_add_co_u32 v2, s18, v2, s18
	s_delay_alu instid0(VALU_DEP_1) | instskip(SKIP_1) | instid1(VALU_DEP_1)
	s_cmp_lg_u32 s18, 0
	s_addc_u32 s7, s7, s26
	v_readfirstlane_b32 s18, v2
	s_mul_i32 s63, s23, s7
	s_mul_hi_u32 s26, s23, s7
	s_mul_hi_u32 s64, s19, s7
	s_mul_i32 s7, s19, s7
	s_mul_hi_u32 s65, s23, s18
	s_mul_hi_u32 s66, s19, s18
	s_mul_i32 s18, s19, s18
	s_add_u32 s63, s65, s63
	s_addc_u32 s26, 0, s26
	s_add_u32 s18, s63, s18
	s_addc_u32 s18, s26, s66
	s_addc_u32 s26, s64, 0
	s_add_u32 s7, s18, s7
	s_addc_u32 s18, 0, s26
	s_mul_hi_u32 s26, s33, s7
	s_mul_i32 s7, s33, s7
	s_mul_i32 s18, s33, s18
	v_sub_co_u32 v2, s7, s23, s7
	s_add_i32 s26, s26, s18
	s_cmp_lg_u32 s7, 0
	s_delay_alu instid0(VALU_DEP_1) | instskip(SKIP_2) | instid1(VALU_DEP_1)
	v_sub_co_u32 v3, s7, v2, s33
	s_subb_u32 s18, s19, s26
	s_cmp_lg_u32 s7, 0
	v_cmp_le_u32_e32 vcc_lo, s33, v3
	v_sub_co_u32 v4, s7, v3, s33
	s_subb_u32 s26, s18, 0
	s_cmp_lg_u32 s7, 0
	v_cndmask_b32_e64 v5, 0, -1, vcc_lo
	s_subb_u32 s7, s26, 0
	s_cmp_eq_u32 s26, 0
	v_mov_b32_e32 v7, s7
	s_cselect_b32 vcc_lo, -1, 0
	s_cmp_eq_u32 s18, 0
	v_cndmask_b32_e32 v5, -1, v5, vcc_lo
	v_cmp_le_u32_e32 vcc_lo, s33, v2
	s_cselect_b32 s7, -1, 0
	v_cndmask_b32_e64 v6, 0, -1, vcc_lo
	s_delay_alu instid0(VALU_DEP_3) | instskip(NEXT) | instid1(VALU_DEP_2)
	v_cmp_ne_u32_e32 vcc_lo, 0, v5
	v_cndmask_b32_e64 v5, -1, v6, s7
	v_cndmask_b32_e32 v6, s26, v7, vcc_lo
	v_cndmask_b32_e32 v4, v3, v4, vcc_lo
	s_delay_alu instid0(VALU_DEP_3) | instskip(NEXT) | instid1(VALU_DEP_3)
	v_cmp_ne_u32_e32 vcc_lo, 0, v5
	v_cndmask_b32_e32 v3, s18, v6, vcc_lo
	s_delay_alu instid0(VALU_DEP_3)
	v_cndmask_b32_e32 v2, v2, v4, vcc_lo
	s_cbranch_execnz .LBB204_282
.LBB204_281:                            ;   in Loop: Header=BB204_6 Depth=1
	v_cvt_f32_u32_e32 v2, s33
	s_sub_i32 s7, 0, s33
	s_delay_alu instid0(VALU_DEP_1) | instskip(SKIP_2) | instid1(VALU_DEP_1)
	v_rcp_iflag_f32_e32 v2, v2
	s_waitcnt_depctr 0xfff
	v_mul_f32_e32 v2, 0x4f7ffffe, v2
	v_cvt_u32_f32_e32 v2, v2
	s_delay_alu instid0(VALU_DEP_1) | instskip(NEXT) | instid1(VALU_DEP_1)
	v_mul_lo_u32 v3, s7, v2
	v_mul_hi_u32 v3, v2, v3
	s_delay_alu instid0(VALU_DEP_1) | instskip(NEXT) | instid1(VALU_DEP_1)
	v_add_nc_u32_e32 v2, v2, v3
	v_mul_hi_u32 v2, s23, v2
	s_delay_alu instid0(VALU_DEP_1) | instskip(NEXT) | instid1(VALU_DEP_1)
	v_mul_lo_u32 v2, v2, s33
	v_sub_nc_u32_e32 v2, s23, v2
	s_delay_alu instid0(VALU_DEP_1) | instskip(SKIP_1) | instid1(VALU_DEP_2)
	v_subrev_nc_u32_e32 v3, s33, v2
	v_cmp_le_u32_e32 vcc_lo, s33, v2
	v_cndmask_b32_e32 v2, v2, v3, vcc_lo
	s_delay_alu instid0(VALU_DEP_1) | instskip(SKIP_1) | instid1(VALU_DEP_2)
	v_subrev_nc_u32_e32 v3, s33, v2
	v_cmp_le_u32_e32 vcc_lo, s33, v2
	v_cndmask_b32_e32 v12, v2, v3, vcc_lo
	s_delay_alu instid0(VALU_DEP_1)
	v_dual_mov_b32 v2, v12 :: v_dual_mov_b32 v3, v13
.LBB204_282:                            ;   in Loop: Header=BB204_6 Depth=1
	s_delay_alu instid0(VALU_DEP_1) | instskip(NEXT) | instid1(VALU_DEP_2)
	v_sub_co_u32 v2, vcc_lo, s23, v2
	v_sub_co_ci_u32_e32 v3, vcc_lo, s19, v3, vcc_lo
	s_mov_b32 s7, 0
	s_mov_b32 s18, exec_lo
                                        ; implicit-def: $vgpr40
	s_delay_alu instid0(VALU_DEP_1)
	v_cmpx_gt_u64_e64 v[2:3], v[0:1]
	s_cbranch_execz .LBB204_292
; %bb.283:                              ;   in Loop: Header=BB204_6 Depth=1
	v_dual_mov_b32 v6, v31 :: v_dual_mov_b32 v5, v1
	v_mov_b32_e32 v4, v0
	s_mov_b32 s19, 0
                                        ; implicit-def: $sgpr23
	s_set_inst_prefetch_distance 0x1
	s_branch .LBB204_285
	.p2align	6
.LBB204_284:                            ;   in Loop: Header=BB204_285 Depth=2
	s_or_b32 exec_lo, exec_lo, s7
	s_waitcnt lgkmcnt(0)
	s_barrier
	buffer_gl0_inv
	ds_load_b32 v7, v13 offset:3072
	v_add_co_u32 v4, vcc_lo, v4, s33
	v_add_co_ci_u32_e32 v5, vcc_lo, 0, v5, vcc_lo
	v_add_nc_u32_e32 v6, s84, v6
	s_waitcnt lgkmcnt(0)
	s_barrier
	s_delay_alu instid0(VALU_DEP_2) | instskip(SKIP_2) | instid1(VALU_DEP_1)
	v_cmp_ge_u64_e32 vcc_lo, v[4:5], v[2:3]
	buffer_gl0_inv
	v_cmp_neq_f16_e64 s7, 0, v7
	s_or_b32 s26, vcc_lo, s7
	s_delay_alu instid0(SALU_CYCLE_1) | instskip(NEXT) | instid1(SALU_CYCLE_1)
	s_and_b32 s26, exec_lo, s26
	s_or_b32 s19, s26, s19
	s_and_not1_b32 s23, s23, exec_lo
	s_and_b32 s7, s7, exec_lo
	s_delay_alu instid0(SALU_CYCLE_1)
	s_or_b32 s23, s23, s7
	s_and_not1_b32 exec_lo, exec_lo, s19
	s_cbranch_execz .LBB204_291
.LBB204_285:                            ;   Parent Loop BB204_6 Depth=1
                                        ; =>  This Inner Loop Header: Depth=2
	s_delay_alu instid0(VALU_DEP_1)
	v_cmp_gt_u64_e32 vcc_lo, s[8:9], v[4:5]
	v_mov_b32_e32 v7, 0
	s_and_saveexec_b32 s7, vcc_lo
	s_cbranch_execz .LBB204_287
; %bb.286:                              ;   in Loop: Header=BB204_285 Depth=2
	ds_load_u16 v7, v6
.LBB204_287:                            ;   in Loop: Header=BB204_285 Depth=2
	s_or_b32 exec_lo, exec_lo, s7
	s_and_saveexec_b32 s7, vcc_lo
	s_cbranch_execz .LBB204_284
; %bb.288:                              ;   in Loop: Header=BB204_285 Depth=2
	s_waitcnt lgkmcnt(0)
	v_cmp_lt_i16_e32 vcc_lo, -1, v7
	v_dual_cndmask_b32 v9, 0xffff, v37 :: v_dual_and_b32 v8, 0xffff, v7
	v_cmp_o_f16_e32 vcc_lo, v7, v7
	s_delay_alu instid0(VALU_DEP_2) | instskip(NEXT) | instid1(VALU_DEP_1)
	v_xor_b32_e32 v8, v9, v8
	v_cndmask_b32_e32 v8, 0xffff, v8, vcc_lo
	s_delay_alu instid0(VALU_DEP_1) | instskip(NEXT) | instid1(VALU_DEP_1)
	v_and_b32_e32 v8, v8, v38
	v_cmp_eq_u32_e32 vcc_lo, v8, v39
	s_and_b32 exec_lo, exec_lo, vcc_lo
	s_cbranch_execz .LBB204_284
; %bb.289:                              ;   in Loop: Header=BB204_285 Depth=2
	v_perm_b32 v7, v7, s87, 0x5040100
	ds_store_b32 v13, v7 offset:3072
	s_branch .LBB204_284
.LBB204_290:                            ;   in Loop: Header=BB204_6 Depth=1
	s_mov_b32 s18, -1
	s_mov_b32 s7, 0
                                        ; implicit-def: $sgpr19
                                        ; implicit-def: $vgpr40
	s_mov_b32 s23, s18
	s_cbranch_execnz .LBB204_293
	s_branch .LBB204_306
.LBB204_291:                            ;   in Loop: Header=BB204_6 Depth=1
	s_set_inst_prefetch_distance 0x2
	s_or_b32 exec_lo, exec_lo, s19
	v_lshrrev_b32_e32 v40, 16, v7
	s_and_b32 s7, s23, exec_lo
.LBB204_292:                            ;   in Loop: Header=BB204_6 Depth=1
	s_or_b32 exec_lo, exec_lo, s18
	s_mov_b32 s18, 0
	s_mov_b32 s19, -1
	s_mov_b32 s23, s18
	s_branch .LBB204_306
.LBB204_293:                            ;   in Loop: Header=BB204_6 Depth=1
	s_mov_b32 s26, s53
	s_delay_alu instid0(SALU_CYCLE_1)
	s_cmp_lg_u64 s[26:27], 0
	s_cbranch_scc0 .LBB204_335
; %bb.294:                              ;   in Loop: Header=BB204_6 Depth=1
	v_cvt_f32_u32_e32 v2, s33
	s_sub_u32 s9, 0, s33
	s_subb_u32 s18, 0, 0
	s_delay_alu instid0(VALU_DEP_1) | instskip(NEXT) | instid1(VALU_DEP_1)
	v_fmac_f32_e64 v2, 0, 0x4f800000
	v_rcp_f32_e32 v2, v2
	s_waitcnt_depctr 0xfff
	v_mul_f32_e32 v2, 0x5f7ffffc, v2
	s_delay_alu instid0(VALU_DEP_1) | instskip(NEXT) | instid1(VALU_DEP_1)
	v_mul_f32_e32 v3, 0x2f800000, v2
	v_trunc_f32_e32 v3, v3
	s_delay_alu instid0(VALU_DEP_1) | instskip(SKIP_1) | instid1(VALU_DEP_2)
	v_fmac_f32_e32 v2, 0xcf800000, v3
	v_cvt_u32_f32_e32 v3, v3
	v_cvt_u32_f32_e32 v2, v2
	s_delay_alu instid0(VALU_DEP_2) | instskip(NEXT) | instid1(VALU_DEP_2)
	v_readfirstlane_b32 s7, v3
	v_readfirstlane_b32 s8, v2
	s_delay_alu instid0(VALU_DEP_2) | instskip(NEXT) | instid1(VALU_DEP_1)
	s_mul_i32 s19, s9, s7
	s_mul_hi_u32 s26, s9, s8
	s_mul_i32 s23, s18, s8
	s_add_i32 s19, s26, s19
	s_mul_i32 s63, s9, s8
	s_add_i32 s19, s19, s23
	s_mul_hi_u32 s26, s8, s63
	s_mul_hi_u32 s64, s7, s63
	s_mul_i32 s23, s7, s63
	s_mul_hi_u32 s63, s8, s19
	s_mul_i32 s8, s8, s19
	s_mul_hi_u32 s65, s7, s19
	s_add_u32 s8, s26, s8
	s_addc_u32 s26, 0, s63
	s_add_u32 s8, s8, s23
	s_mul_i32 s19, s7, s19
	s_addc_u32 s8, s26, s64
	s_addc_u32 s23, s65, 0
	s_add_u32 s8, s8, s19
	s_addc_u32 s19, 0, s23
	v_add_co_u32 v2, s8, v2, s8
	s_delay_alu instid0(VALU_DEP_1) | instskip(SKIP_1) | instid1(VALU_DEP_1)
	s_cmp_lg_u32 s8, 0
	s_addc_u32 s7, s7, s19
	v_readfirstlane_b32 s8, v2
	s_mul_i32 s19, s9, s7
	s_delay_alu instid0(VALU_DEP_1)
	s_mul_hi_u32 s23, s9, s8
	s_mul_i32 s18, s18, s8
	s_add_i32 s19, s23, s19
	s_mul_i32 s9, s9, s8
	s_add_i32 s19, s19, s18
	s_mul_hi_u32 s23, s7, s9
	s_mul_i32 s26, s7, s9
	s_mul_hi_u32 s9, s8, s9
	s_mul_hi_u32 s63, s8, s19
	s_mul_i32 s8, s8, s19
	s_mul_hi_u32 s18, s7, s19
	s_add_u32 s8, s9, s8
	s_addc_u32 s9, 0, s63
	s_add_u32 s8, s8, s26
	s_mul_i32 s19, s7, s19
	s_addc_u32 s8, s9, s23
	s_addc_u32 s9, s18, 0
	s_add_u32 s8, s8, s19
	s_addc_u32 s9, 0, s9
	v_add_co_u32 v2, s8, v2, s8
	s_delay_alu instid0(VALU_DEP_1) | instskip(SKIP_1) | instid1(VALU_DEP_1)
	s_cmp_lg_u32 s8, 0
	s_addc_u32 s7, s7, s9
	v_readfirstlane_b32 s8, v2
	s_mul_i32 s18, s78, s7
	s_mul_hi_u32 s9, s78, s7
	s_mul_hi_u32 s19, s27, s7
	s_mul_i32 s7, s27, s7
	s_mul_hi_u32 s23, s78, s8
	s_mul_hi_u32 s26, s27, s8
	s_mul_i32 s8, s27, s8
	s_add_u32 s18, s23, s18
	s_addc_u32 s9, 0, s9
	s_add_u32 s8, s18, s8
	s_addc_u32 s8, s9, s26
	s_addc_u32 s9, s19, 0
	s_add_u32 s7, s8, s7
	s_addc_u32 s8, 0, s9
	s_mul_hi_u32 s9, s33, s7
	s_mul_i32 s7, s33, s7
	s_mul_i32 s8, s33, s8
	v_sub_co_u32 v2, s7, s78, s7
	s_add_i32 s9, s9, s8
	s_cmp_lg_u32 s7, 0
	s_delay_alu instid0(VALU_DEP_1) | instskip(SKIP_2) | instid1(VALU_DEP_1)
	v_sub_co_u32 v3, s7, v2, s33
	s_subb_u32 s8, s27, s9
	s_cmp_lg_u32 s7, 0
	v_cmp_le_u32_e32 vcc_lo, s33, v3
	v_sub_co_u32 v4, s7, v3, s33
	s_subb_u32 s9, s8, 0
	s_cmp_lg_u32 s7, 0
	v_cndmask_b32_e64 v5, 0, -1, vcc_lo
	s_subb_u32 s7, s9, 0
	s_cmp_eq_u32 s9, 0
	v_mov_b32_e32 v7, s7
	s_cselect_b32 vcc_lo, -1, 0
	s_cmp_eq_u32 s8, 0
	v_cndmask_b32_e32 v5, -1, v5, vcc_lo
	v_cmp_le_u32_e32 vcc_lo, s33, v2
	s_cselect_b32 s7, -1, 0
	v_cndmask_b32_e64 v6, 0, -1, vcc_lo
	s_delay_alu instid0(VALU_DEP_3) | instskip(NEXT) | instid1(VALU_DEP_2)
	v_cmp_ne_u32_e32 vcc_lo, 0, v5
	v_cndmask_b32_e64 v5, -1, v6, s7
	v_cndmask_b32_e32 v6, s9, v7, vcc_lo
	v_cndmask_b32_e32 v4, v3, v4, vcc_lo
	s_delay_alu instid0(VALU_DEP_3) | instskip(NEXT) | instid1(VALU_DEP_3)
	v_cmp_ne_u32_e32 vcc_lo, 0, v5
	v_cndmask_b32_e32 v3, s8, v6, vcc_lo
	s_delay_alu instid0(VALU_DEP_3)
	v_cndmask_b32_e32 v2, v2, v4, vcc_lo
	s_cbranch_execnz .LBB204_296
.LBB204_295:                            ;   in Loop: Header=BB204_6 Depth=1
	v_cvt_f32_u32_e32 v2, s33
	s_sub_i32 s7, 0, s33
	s_delay_alu instid0(VALU_DEP_1) | instskip(SKIP_2) | instid1(VALU_DEP_1)
	v_rcp_iflag_f32_e32 v2, v2
	s_waitcnt_depctr 0xfff
	v_mul_f32_e32 v2, 0x4f7ffffe, v2
	v_cvt_u32_f32_e32 v2, v2
	s_delay_alu instid0(VALU_DEP_1) | instskip(NEXT) | instid1(VALU_DEP_1)
	v_mul_lo_u32 v3, s7, v2
	v_mul_hi_u32 v3, v2, v3
	s_delay_alu instid0(VALU_DEP_1) | instskip(NEXT) | instid1(VALU_DEP_1)
	v_add_nc_u32_e32 v2, v2, v3
	v_mul_hi_u32 v2, s78, v2
	s_delay_alu instid0(VALU_DEP_1) | instskip(NEXT) | instid1(VALU_DEP_1)
	v_mul_lo_u32 v2, v2, s33
	v_sub_nc_u32_e32 v2, s78, v2
	s_delay_alu instid0(VALU_DEP_1) | instskip(SKIP_1) | instid1(VALU_DEP_2)
	v_subrev_nc_u32_e32 v3, s33, v2
	v_cmp_le_u32_e32 vcc_lo, s33, v2
	v_cndmask_b32_e32 v2, v2, v3, vcc_lo
	s_delay_alu instid0(VALU_DEP_1) | instskip(SKIP_1) | instid1(VALU_DEP_2)
	v_subrev_nc_u32_e32 v3, s33, v2
	v_cmp_le_u32_e32 vcc_lo, s33, v2
	v_cndmask_b32_e32 v12, v2, v3, vcc_lo
	s_delay_alu instid0(VALU_DEP_1)
	v_dual_mov_b32 v2, v12 :: v_dual_mov_b32 v3, v13
.LBB204_296:                            ;   in Loop: Header=BB204_6 Depth=1
	s_delay_alu instid0(VALU_DEP_1) | instskip(NEXT) | instid1(VALU_DEP_2)
	v_sub_co_u32 v2, vcc_lo, s78, v2
	v_sub_co_ci_u32_e32 v3, vcc_lo, s27, v3, vcc_lo
	s_mov_b32 s7, 0
	s_mov_b32 s8, exec_lo
                                        ; implicit-def: $vgpr40
	s_delay_alu instid0(VALU_DEP_1)
	v_cmpx_gt_u64_e64 v[2:3], v[0:1]
	s_cbranch_execz .LBB204_305
; %bb.297:                              ;   in Loop: Header=BB204_6 Depth=1
	v_dual_mov_b32 v4, v10 :: v_dual_mov_b32 v5, v11
	v_dual_mov_b32 v7, v1 :: v_dual_mov_b32 v6, v0
	s_mov_b32 s9, 0
                                        ; implicit-def: $sgpr18
	s_branch .LBB204_299
.LBB204_298:                            ;   in Loop: Header=BB204_299 Depth=2
	s_or_b32 exec_lo, exec_lo, s7
	s_waitcnt vmcnt(0) lgkmcnt(0)
	s_barrier
	buffer_gl0_inv
	ds_load_b32 v8, v13 offset:3072
	v_add_co_u32 v6, vcc_lo, v6, s33
	v_add_co_ci_u32_e32 v7, vcc_lo, 0, v7, vcc_lo
	s_waitcnt lgkmcnt(0)
	s_barrier
	buffer_gl0_inv
	v_cmp_ge_u64_e32 vcc_lo, v[6:7], v[2:3]
	v_cmp_neq_f16_e64 s7, 0, v8
	s_delay_alu instid0(VALU_DEP_1)
	s_or_b32 s19, vcc_lo, s7
	v_add_co_u32 v4, vcc_lo, v4, s34
	s_and_b32 s19, exec_lo, s19
	v_add_co_ci_u32_e32 v5, vcc_lo, s35, v5, vcc_lo
	s_or_b32 s9, s19, s9
	s_and_not1_b32 s18, s18, exec_lo
	s_and_b32 s7, s7, exec_lo
	s_delay_alu instid0(SALU_CYCLE_1)
	s_or_b32 s18, s18, s7
	s_and_not1_b32 exec_lo, exec_lo, s9
	s_cbranch_execz .LBB204_304
.LBB204_299:                            ;   Parent Loop BB204_6 Depth=1
                                        ; =>  This Inner Loop Header: Depth=2
	s_delay_alu instid0(VALU_DEP_1)
	v_cmp_gt_u64_e32 vcc_lo, s[28:29], v[6:7]
	v_mov_b32_e32 v8, 0
	s_and_saveexec_b32 s7, vcc_lo
	s_cbranch_execz .LBB204_301
; %bb.300:                              ;   in Loop: Header=BB204_299 Depth=2
	global_load_u16 v8, v[4:5], off
.LBB204_301:                            ;   in Loop: Header=BB204_299 Depth=2
	s_or_b32 exec_lo, exec_lo, s7
	s_and_saveexec_b32 s7, vcc_lo
	s_cbranch_execz .LBB204_298
; %bb.302:                              ;   in Loop: Header=BB204_299 Depth=2
	s_waitcnt vmcnt(0)
	v_cmp_lt_i16_e32 vcc_lo, -1, v8
	v_dual_cndmask_b32 v12, 0xffff, v37 :: v_dual_and_b32 v9, 0xffff, v8
	v_cmp_o_f16_e32 vcc_lo, v8, v8
	s_delay_alu instid0(VALU_DEP_2) | instskip(NEXT) | instid1(VALU_DEP_1)
	v_xor_b32_e32 v9, v12, v9
	v_cndmask_b32_e32 v9, 0xffff, v9, vcc_lo
	s_delay_alu instid0(VALU_DEP_1) | instskip(NEXT) | instid1(VALU_DEP_1)
	v_and_b32_e32 v9, v9, v38
	v_cmp_eq_u32_e32 vcc_lo, v9, v39
	s_and_b32 exec_lo, exec_lo, vcc_lo
	s_cbranch_execz .LBB204_298
; %bb.303:                              ;   in Loop: Header=BB204_299 Depth=2
	v_perm_b32 v8, v8, s87, 0x5040100
	ds_store_b32 v13, v8 offset:3072
	s_branch .LBB204_298
.LBB204_304:                            ;   in Loop: Header=BB204_6 Depth=1
	s_or_b32 exec_lo, exec_lo, s9
	v_lshrrev_b32_e32 v40, 16, v8
	s_and_b32 s7, s18, exec_lo
.LBB204_305:                            ;   in Loop: Header=BB204_6 Depth=1
	s_or_b32 exec_lo, exec_lo, s8
	s_mov_b32 s19, 0
	s_mov_b32 s18, -1
	s_mov_b32 s23, 0
.LBB204_306:                            ;   in Loop: Header=BB204_6 Depth=1
	s_or_not1_b32 s7, s7, exec_lo
.LBB204_307:                            ;   in Loop: Header=BB204_6 Depth=1
	s_or_b32 exec_lo, exec_lo, s52
                                        ; implicit-def: $vgpr7
                                        ; implicit-def: $vgpr2_vgpr3
                                        ; implicit-def: $vgpr25
                                        ; implicit-def: $vgpr26
                                        ; implicit-def: $vgpr6
	s_and_saveexec_b32 s52, s7
	s_cbranch_execz .LBB204_470
; %bb.308:                              ;   in Loop: Header=BB204_6 Depth=1
	v_dual_mov_b32 v2, 1 :: v_dual_mov_b32 v7, 1
	v_mov_b32_e32 v3, 0
	s_xor_b32 s8, s62, -1
	s_mov_b32 s26, 0
	s_and_saveexec_b32 s7, s8
	s_cbranch_execz .LBB204_318
; %bb.309:                              ;   in Loop: Header=BB204_6 Depth=1
	s_mov_b32 s9, exec_lo
                                        ; implicit-def: $sgpr26
                                        ; implicit-def: $sgpr8
	v_cmpx_ge_u64_e64 s[16:17], v[23:24]
	s_xor_b32 s9, exec_lo, s9
	s_cbranch_execz .LBB204_315
; %bb.310:                              ;   in Loop: Header=BB204_6 Depth=1
	ds_load_b64 v[2:3], v13 offset:5120
	s_waitcnt lgkmcnt(0)
	v_cmp_ne_u64_e32 vcc_lo, 0, v[2:3]
	s_cbranch_vccnz .LBB204_314
; %bb.311:                              ;   in Loop: Header=BB204_6 Depth=1
	s_and_saveexec_b32 s8, s5
	s_cbranch_execz .LBB204_313
; %bb.312:                              ;   in Loop: Header=BB204_6 Depth=1
	v_dual_mov_b32 v2, s16 :: v_dual_mov_b32 v3, s17
	ds_store_b64 v13, v[2:3] offset:5128
.LBB204_313:                            ;   in Loop: Header=BB204_6 Depth=1
	s_or_b32 exec_lo, exec_lo, s8
	s_waitcnt lgkmcnt(0)
	s_barrier
	buffer_gl0_inv
.LBB204_314:                            ;   in Loop: Header=BB204_6 Depth=1
	v_or_b32_e32 v39, s20, v39
	v_or_b32_e32 v38, s20, v38
	s_mov_b32 s8, 0
	s_mov_b32 s26, 5
.LBB204_315:                            ;   in Loop: Header=BB204_6 Depth=1
	s_or_saveexec_b32 s9, s9
	v_mov_b32_e32 v7, s26
	s_xor_b32 exec_lo, exec_lo, s9
; %bb.316:                              ;   in Loop: Header=BB204_6 Depth=1
	v_sub_co_u32 v23, vcc_lo, v23, s16
	v_subrev_co_ci_u32_e32 v24, vcc_lo, s17, v24, vcc_lo
	v_mov_b32_e32 v7, 0
	s_or_b32 s8, s8, exec_lo
; %bb.317:                              ;   in Loop: Header=BB204_6 Depth=1
	s_or_b32 exec_lo, exec_lo, s9
	s_delay_alu instid0(VALU_DEP_2)
	v_dual_mov_b32 v2, v23 :: v_dual_mov_b32 v3, v24
	s_and_b32 s26, s8, exec_lo
.LBB204_318:                            ;   in Loop: Header=BB204_6 Depth=1
	s_or_b32 exec_lo, exec_lo, s7
	s_mov_b32 s17, -1
                                        ; implicit-def: $sgpr8
                                        ; implicit-def: $sgpr9
                                        ; implicit-def: $sgpr16
	s_and_saveexec_b32 s7, s26
	s_delay_alu instid0(SALU_CYCLE_1)
	s_xor_b32 s62, exec_lo, s7
	s_cbranch_execz .LBB204_467
; %bb.319:                              ;   in Loop: Header=BB204_6 Depth=1
	v_cmp_eq_u64_e32 vcc_lo, 1, v[2:3]
	s_cmp_eq_u64 s[14:15], 1
                                        ; implicit-def: $sgpr16
                                        ; implicit-def: $sgpr17
                                        ; implicit-def: $sgpr63
	s_cselect_b32 s7, -1, 0
	s_delay_alu instid0(SALU_CYCLE_1)
	s_and_b32 s65, s7, vcc_lo
	s_mov_b32 s7, -1
	s_and_saveexec_b32 s64, s65
	s_cbranch_execz .LBB204_353
; %bb.320:                              ;   in Loop: Header=BB204_6 Depth=1
	ds_load_b64 v[4:5], v13 offset:5120
	s_waitcnt lgkmcnt(0)
	s_barrier
	buffer_gl0_inv
	v_readfirstlane_b32 s8, v4
	v_readfirstlane_b32 s9, v5
	s_and_saveexec_b32 s7, s6
	s_cbranch_execz .LBB204_322
; %bb.321:                              ;   in Loop: Header=BB204_6 Depth=1
	ds_store_b16 v33, v13
.LBB204_322:                            ;   in Loop: Header=BB204_6 Depth=1
	s_or_b32 exec_lo, exec_lo, s7
	s_lshl_b32 s7, 2, s22
	v_or_b32_e32 v38, s20, v38
	v_and_or_b32 v39, v39, s21, s7
	s_cmp_eq_u64 s[8:9], 0
	s_waitcnt lgkmcnt(0)
	s_barrier
	buffer_gl0_inv
	s_cbranch_scc1 .LBB204_336
; %bb.323:                              ;   in Loop: Header=BB204_6 Depth=1
	s_add_u32 s26, s76, s8
	s_addc_u32 s17, s77, s9
	s_mov_b32 s16, s53
	s_delay_alu instid0(SALU_CYCLE_1)
	s_cmp_lg_u64 s[16:17], 0
	s_cbranch_scc0 .LBB204_380
; %bb.324:                              ;   in Loop: Header=BB204_6 Depth=1
	v_cvt_f32_u32_e32 v4, s33
	s_sub_u32 s63, 0, s33
	s_subb_u32 s66, 0, 0
	s_delay_alu instid0(VALU_DEP_1) | instskip(NEXT) | instid1(VALU_DEP_1)
	v_fmac_f32_e64 v4, 0, 0x4f800000
	v_rcp_f32_e32 v4, v4
	s_waitcnt_depctr 0xfff
	v_mul_f32_e32 v4, 0x5f7ffffc, v4
	s_delay_alu instid0(VALU_DEP_1) | instskip(NEXT) | instid1(VALU_DEP_1)
	v_mul_f32_e32 v5, 0x2f800000, v4
	v_trunc_f32_e32 v5, v5
	s_delay_alu instid0(VALU_DEP_1) | instskip(SKIP_1) | instid1(VALU_DEP_2)
	v_fmac_f32_e32 v4, 0xcf800000, v5
	v_cvt_u32_f32_e32 v5, v5
	v_cvt_u32_f32_e32 v4, v4
	s_delay_alu instid0(VALU_DEP_2) | instskip(NEXT) | instid1(VALU_DEP_2)
	v_readfirstlane_b32 s7, v5
	v_readfirstlane_b32 s16, v4
	s_delay_alu instid0(VALU_DEP_2) | instskip(NEXT) | instid1(VALU_DEP_1)
	s_mul_i32 s67, s63, s7
	s_mul_hi_u32 s69, s63, s16
	s_mul_i32 s68, s66, s16
	s_add_i32 s67, s69, s67
	s_mul_i32 s70, s63, s16
	s_add_i32 s67, s67, s68
	s_mul_hi_u32 s69, s16, s70
	s_mul_hi_u32 s71, s7, s70
	s_mul_i32 s68, s7, s70
	s_mul_hi_u32 s70, s16, s67
	s_mul_i32 s16, s16, s67
	s_mul_hi_u32 s72, s7, s67
	s_add_u32 s16, s69, s16
	s_addc_u32 s69, 0, s70
	s_add_u32 s16, s16, s68
	s_mul_i32 s67, s7, s67
	s_addc_u32 s16, s69, s71
	s_addc_u32 s68, s72, 0
	s_add_u32 s16, s16, s67
	s_addc_u32 s67, 0, s68
	v_add_co_u32 v4, s16, v4, s16
	s_delay_alu instid0(VALU_DEP_1) | instskip(SKIP_1) | instid1(VALU_DEP_1)
	s_cmp_lg_u32 s16, 0
	s_addc_u32 s7, s7, s67
	v_readfirstlane_b32 s16, v4
	s_mul_i32 s67, s63, s7
	s_delay_alu instid0(VALU_DEP_1)
	s_mul_hi_u32 s68, s63, s16
	s_mul_i32 s66, s66, s16
	s_add_i32 s67, s68, s67
	s_mul_i32 s63, s63, s16
	s_add_i32 s67, s67, s66
	s_mul_hi_u32 s68, s7, s63
	s_mul_i32 s69, s7, s63
	s_mul_hi_u32 s63, s16, s63
	s_mul_hi_u32 s70, s16, s67
	s_mul_i32 s16, s16, s67
	s_mul_hi_u32 s66, s7, s67
	s_add_u32 s16, s63, s16
	s_addc_u32 s63, 0, s70
	s_add_u32 s16, s16, s69
	s_mul_i32 s67, s7, s67
	s_addc_u32 s16, s63, s68
	s_addc_u32 s63, s66, 0
	s_add_u32 s16, s16, s67
	s_addc_u32 s63, 0, s63
	v_add_co_u32 v4, s16, v4, s16
	s_delay_alu instid0(VALU_DEP_1) | instskip(SKIP_1) | instid1(VALU_DEP_1)
	s_cmp_lg_u32 s16, 0
	s_addc_u32 s7, s7, s63
	v_readfirstlane_b32 s16, v4
	s_mul_i32 s66, s26, s7
	s_mul_hi_u32 s63, s26, s7
	s_mul_hi_u32 s67, s17, s7
	s_mul_i32 s7, s17, s7
	s_mul_hi_u32 s68, s26, s16
	s_mul_hi_u32 s69, s17, s16
	s_mul_i32 s16, s17, s16
	s_add_u32 s66, s68, s66
	s_addc_u32 s63, 0, s63
	s_add_u32 s16, s66, s16
	s_addc_u32 s16, s63, s69
	s_addc_u32 s63, s67, 0
	s_add_u32 s7, s16, s7
	s_addc_u32 s16, 0, s63
	s_mul_hi_u32 s63, s33, s7
	s_mul_i32 s7, s33, s7
	s_mul_i32 s16, s33, s16
	v_sub_co_u32 v4, s7, s26, s7
	s_add_i32 s63, s63, s16
	s_cmp_lg_u32 s7, 0
	s_delay_alu instid0(VALU_DEP_1) | instskip(SKIP_2) | instid1(VALU_DEP_1)
	v_sub_co_u32 v5, s7, v4, s33
	s_subb_u32 s16, s17, s63
	s_cmp_lg_u32 s7, 0
	v_cmp_le_u32_e32 vcc_lo, s33, v5
	v_sub_co_u32 v6, s7, v5, s33
	s_subb_u32 s63, s16, 0
	s_cmp_lg_u32 s7, 0
	v_cndmask_b32_e64 v7, 0, -1, vcc_lo
	s_subb_u32 s7, s63, 0
	s_cmp_eq_u32 s63, 0
	v_mov_b32_e32 v9, s7
	s_cselect_b32 vcc_lo, -1, 0
	s_cmp_eq_u32 s16, 0
	v_cndmask_b32_e32 v7, -1, v7, vcc_lo
	v_cmp_le_u32_e32 vcc_lo, s33, v4
	s_cselect_b32 s7, -1, 0
	v_cndmask_b32_e64 v8, 0, -1, vcc_lo
	s_delay_alu instid0(VALU_DEP_3) | instskip(NEXT) | instid1(VALU_DEP_2)
	v_cmp_ne_u32_e32 vcc_lo, 0, v7
	v_cndmask_b32_e64 v7, -1, v8, s7
	v_cndmask_b32_e32 v8, s63, v9, vcc_lo
	v_cndmask_b32_e32 v6, v5, v6, vcc_lo
	s_delay_alu instid0(VALU_DEP_3) | instskip(NEXT) | instid1(VALU_DEP_3)
	v_cmp_ne_u32_e32 vcc_lo, 0, v7
	v_cndmask_b32_e32 v5, s16, v8, vcc_lo
	s_delay_alu instid0(VALU_DEP_3)
	v_cndmask_b32_e32 v4, v4, v6, vcc_lo
	s_cbranch_execnz .LBB204_326
.LBB204_325:                            ;   in Loop: Header=BB204_6 Depth=1
	v_cvt_f32_u32_e32 v4, s33
	s_sub_i32 s7, 0, s33
	s_delay_alu instid0(VALU_DEP_1) | instskip(SKIP_2) | instid1(VALU_DEP_1)
	v_rcp_iflag_f32_e32 v4, v4
	s_waitcnt_depctr 0xfff
	v_mul_f32_e32 v4, 0x4f7ffffe, v4
	v_cvt_u32_f32_e32 v4, v4
	s_delay_alu instid0(VALU_DEP_1) | instskip(NEXT) | instid1(VALU_DEP_1)
	v_mul_lo_u32 v5, s7, v4
	v_mul_hi_u32 v5, v4, v5
	s_delay_alu instid0(VALU_DEP_1) | instskip(NEXT) | instid1(VALU_DEP_1)
	v_add_nc_u32_e32 v4, v4, v5
	v_mul_hi_u32 v4, s26, v4
	s_delay_alu instid0(VALU_DEP_1) | instskip(NEXT) | instid1(VALU_DEP_1)
	v_mul_lo_u32 v4, v4, s33
	v_sub_nc_u32_e32 v4, s26, v4
	s_delay_alu instid0(VALU_DEP_1) | instskip(SKIP_1) | instid1(VALU_DEP_2)
	v_subrev_nc_u32_e32 v5, s33, v4
	v_cmp_le_u32_e32 vcc_lo, s33, v4
	v_cndmask_b32_e32 v4, v4, v5, vcc_lo
	s_delay_alu instid0(VALU_DEP_1) | instskip(SKIP_1) | instid1(VALU_DEP_2)
	v_subrev_nc_u32_e32 v5, s33, v4
	v_cmp_le_u32_e32 vcc_lo, s33, v4
	v_cndmask_b32_e32 v12, v4, v5, vcc_lo
	s_delay_alu instid0(VALU_DEP_1)
	v_dual_mov_b32 v4, v12 :: v_dual_mov_b32 v5, v13
.LBB204_326:                            ;   in Loop: Header=BB204_6 Depth=1
	s_delay_alu instid0(VALU_DEP_1) | instskip(NEXT) | instid1(VALU_DEP_2)
	v_sub_co_u32 v4, vcc_lo, s26, v4
	v_sub_co_ci_u32_e32 v5, vcc_lo, s17, v5, vcc_lo
	s_mov_b32 s7, 0
	s_mov_b32 s16, exec_lo
                                        ; implicit-def: $vgpr40
	s_delay_alu instid0(VALU_DEP_1)
	v_cmpx_gt_u64_e64 v[4:5], v[0:1]
	s_cbranch_execz .LBB204_338
; %bb.327:                              ;   in Loop: Header=BB204_6 Depth=1
	v_dual_mov_b32 v8, v31 :: v_dual_mov_b32 v7, v1
	v_mov_b32_e32 v6, v0
	s_mov_b32 s17, 0
                                        ; implicit-def: $sgpr26
	s_set_inst_prefetch_distance 0x1
	s_branch .LBB204_329
	.p2align	6
.LBB204_328:                            ;   in Loop: Header=BB204_329 Depth=2
	s_or_b32 exec_lo, exec_lo, s7
	s_waitcnt lgkmcnt(0)
	s_barrier
	buffer_gl0_inv
	ds_load_b32 v9, v13 offset:3072
	v_add_co_u32 v6, vcc_lo, v6, s33
	v_add_co_ci_u32_e32 v7, vcc_lo, 0, v7, vcc_lo
	v_add_nc_u32_e32 v8, s84, v8
	s_waitcnt lgkmcnt(0)
	s_barrier
	s_delay_alu instid0(VALU_DEP_2) | instskip(SKIP_2) | instid1(VALU_DEP_1)
	v_cmp_ge_u64_e32 vcc_lo, v[6:7], v[4:5]
	buffer_gl0_inv
	v_cmp_neq_f16_e64 s7, 0, v9
	s_or_b32 s63, vcc_lo, s7
	s_delay_alu instid0(SALU_CYCLE_1) | instskip(NEXT) | instid1(SALU_CYCLE_1)
	s_and_b32 s63, exec_lo, s63
	s_or_b32 s17, s63, s17
	s_and_not1_b32 s26, s26, exec_lo
	s_and_b32 s7, s7, exec_lo
	s_delay_alu instid0(SALU_CYCLE_1)
	s_or_b32 s26, s26, s7
	s_and_not1_b32 exec_lo, exec_lo, s17
	s_cbranch_execz .LBB204_337
.LBB204_329:                            ;   Parent Loop BB204_6 Depth=1
                                        ; =>  This Inner Loop Header: Depth=2
	s_delay_alu instid0(VALU_DEP_1)
	v_cmp_gt_u64_e32 vcc_lo, s[8:9], v[6:7]
	v_mov_b32_e32 v9, 0
	s_and_saveexec_b32 s7, vcc_lo
	s_cbranch_execz .LBB204_331
; %bb.330:                              ;   in Loop: Header=BB204_329 Depth=2
	ds_load_u16 v9, v8
.LBB204_331:                            ;   in Loop: Header=BB204_329 Depth=2
	s_or_b32 exec_lo, exec_lo, s7
	s_and_saveexec_b32 s7, vcc_lo
	s_cbranch_execz .LBB204_328
; %bb.332:                              ;   in Loop: Header=BB204_329 Depth=2
	s_waitcnt lgkmcnt(0)
	v_cmp_lt_i16_e32 vcc_lo, -1, v9
	v_and_b32_e32 v12, 0xffff, v9
	v_cndmask_b32_e32 v23, 0xffff, v37, vcc_lo
	v_cmp_o_f16_e32 vcc_lo, v9, v9
	s_delay_alu instid0(VALU_DEP_2) | instskip(NEXT) | instid1(VALU_DEP_1)
	v_xor_b32_e32 v12, v23, v12
	v_cndmask_b32_e32 v12, 0xffff, v12, vcc_lo
	s_delay_alu instid0(VALU_DEP_1) | instskip(NEXT) | instid1(VALU_DEP_1)
	v_and_b32_e32 v12, v12, v38
	v_cmp_eq_u32_e32 vcc_lo, v12, v39
	s_and_b32 exec_lo, exec_lo, vcc_lo
	s_cbranch_execz .LBB204_328
; %bb.333:                              ;   in Loop: Header=BB204_329 Depth=2
	v_perm_b32 v9, v9, s87, 0x5040100
	ds_store_b32 v13, v9 offset:3072
	s_branch .LBB204_328
.LBB204_334:                            ;   in Loop: Header=BB204_6 Depth=1
                                        ; implicit-def: $vgpr2_vgpr3
	s_branch .LBB204_281
.LBB204_335:                            ;   in Loop: Header=BB204_6 Depth=1
                                        ; implicit-def: $vgpr2_vgpr3
	s_branch .LBB204_295
.LBB204_336:                            ;   in Loop: Header=BB204_6 Depth=1
	s_mov_b32 s16, -1
	s_mov_b32 s7, 0
                                        ; implicit-def: $sgpr17
                                        ; implicit-def: $vgpr40
	s_mov_b32 s63, s16
	s_cbranch_execnz .LBB204_339
	s_branch .LBB204_352
.LBB204_337:                            ;   in Loop: Header=BB204_6 Depth=1
	s_set_inst_prefetch_distance 0x2
	s_or_b32 exec_lo, exec_lo, s17
	v_lshrrev_b32_e32 v40, 16, v9
	s_and_b32 s7, s26, exec_lo
.LBB204_338:                            ;   in Loop: Header=BB204_6 Depth=1
	s_or_b32 exec_lo, exec_lo, s16
	s_mov_b32 s16, 0
	s_mov_b32 s17, -1
	s_mov_b32 s63, s16
	s_branch .LBB204_352
.LBB204_339:                            ;   in Loop: Header=BB204_6 Depth=1
	s_mov_b32 s26, s53
	s_delay_alu instid0(SALU_CYCLE_1)
	s_cmp_lg_u64 s[26:27], 0
	s_cbranch_scc0 .LBB204_381
; %bb.340:                              ;   in Loop: Header=BB204_6 Depth=1
	v_cvt_f32_u32_e32 v4, s33
	s_sub_u32 s9, 0, s33
	s_subb_u32 s16, 0, 0
	s_delay_alu instid0(VALU_DEP_1) | instskip(NEXT) | instid1(VALU_DEP_1)
	v_fmac_f32_e64 v4, 0, 0x4f800000
	v_rcp_f32_e32 v4, v4
	s_waitcnt_depctr 0xfff
	v_mul_f32_e32 v4, 0x5f7ffffc, v4
	s_delay_alu instid0(VALU_DEP_1) | instskip(NEXT) | instid1(VALU_DEP_1)
	v_mul_f32_e32 v5, 0x2f800000, v4
	v_trunc_f32_e32 v5, v5
	s_delay_alu instid0(VALU_DEP_1) | instskip(SKIP_1) | instid1(VALU_DEP_2)
	v_fmac_f32_e32 v4, 0xcf800000, v5
	v_cvt_u32_f32_e32 v5, v5
	v_cvt_u32_f32_e32 v4, v4
	s_delay_alu instid0(VALU_DEP_2) | instskip(NEXT) | instid1(VALU_DEP_2)
	v_readfirstlane_b32 s7, v5
	v_readfirstlane_b32 s8, v4
	s_delay_alu instid0(VALU_DEP_2) | instskip(NEXT) | instid1(VALU_DEP_1)
	s_mul_i32 s17, s9, s7
	s_mul_hi_u32 s63, s9, s8
	s_mul_i32 s26, s16, s8
	s_add_i32 s17, s63, s17
	s_mul_i32 s66, s9, s8
	s_add_i32 s17, s17, s26
	s_mul_hi_u32 s63, s8, s66
	s_mul_hi_u32 s67, s7, s66
	s_mul_i32 s26, s7, s66
	s_mul_hi_u32 s66, s8, s17
	s_mul_i32 s8, s8, s17
	s_mul_hi_u32 s68, s7, s17
	s_add_u32 s8, s63, s8
	s_addc_u32 s63, 0, s66
	s_add_u32 s8, s8, s26
	s_mul_i32 s17, s7, s17
	s_addc_u32 s8, s63, s67
	s_addc_u32 s26, s68, 0
	s_add_u32 s8, s8, s17
	s_addc_u32 s17, 0, s26
	v_add_co_u32 v4, s8, v4, s8
	s_delay_alu instid0(VALU_DEP_1) | instskip(SKIP_1) | instid1(VALU_DEP_1)
	s_cmp_lg_u32 s8, 0
	s_addc_u32 s7, s7, s17
	v_readfirstlane_b32 s8, v4
	s_mul_i32 s17, s9, s7
	s_delay_alu instid0(VALU_DEP_1)
	s_mul_hi_u32 s26, s9, s8
	s_mul_i32 s16, s16, s8
	s_add_i32 s17, s26, s17
	s_mul_i32 s9, s9, s8
	s_add_i32 s17, s17, s16
	s_mul_hi_u32 s26, s7, s9
	s_mul_i32 s63, s7, s9
	s_mul_hi_u32 s9, s8, s9
	s_mul_hi_u32 s66, s8, s17
	s_mul_i32 s8, s8, s17
	s_mul_hi_u32 s16, s7, s17
	s_add_u32 s8, s9, s8
	s_addc_u32 s9, 0, s66
	s_add_u32 s8, s8, s63
	s_mul_i32 s17, s7, s17
	s_addc_u32 s8, s9, s26
	s_addc_u32 s9, s16, 0
	s_add_u32 s8, s8, s17
	s_addc_u32 s9, 0, s9
	v_add_co_u32 v4, s8, v4, s8
	s_delay_alu instid0(VALU_DEP_1) | instskip(SKIP_1) | instid1(VALU_DEP_1)
	s_cmp_lg_u32 s8, 0
	s_addc_u32 s7, s7, s9
	v_readfirstlane_b32 s8, v4
	s_mul_i32 s16, s78, s7
	s_mul_hi_u32 s9, s78, s7
	s_mul_hi_u32 s17, s27, s7
	s_mul_i32 s7, s27, s7
	s_mul_hi_u32 s26, s78, s8
	s_mul_hi_u32 s63, s27, s8
	s_mul_i32 s8, s27, s8
	s_add_u32 s16, s26, s16
	s_addc_u32 s9, 0, s9
	s_add_u32 s8, s16, s8
	s_addc_u32 s8, s9, s63
	s_addc_u32 s9, s17, 0
	s_add_u32 s7, s8, s7
	s_addc_u32 s8, 0, s9
	s_mul_hi_u32 s9, s33, s7
	s_mul_i32 s7, s33, s7
	s_mul_i32 s8, s33, s8
	v_sub_co_u32 v4, s7, s78, s7
	s_add_i32 s9, s9, s8
	s_cmp_lg_u32 s7, 0
	s_delay_alu instid0(VALU_DEP_1) | instskip(SKIP_2) | instid1(VALU_DEP_1)
	v_sub_co_u32 v5, s7, v4, s33
	s_subb_u32 s8, s27, s9
	s_cmp_lg_u32 s7, 0
	v_cmp_le_u32_e32 vcc_lo, s33, v5
	v_sub_co_u32 v6, s7, v5, s33
	s_subb_u32 s9, s8, 0
	s_cmp_lg_u32 s7, 0
	v_cndmask_b32_e64 v7, 0, -1, vcc_lo
	s_subb_u32 s7, s9, 0
	s_cmp_eq_u32 s9, 0
	v_mov_b32_e32 v9, s7
	s_cselect_b32 vcc_lo, -1, 0
	s_cmp_eq_u32 s8, 0
	v_cndmask_b32_e32 v7, -1, v7, vcc_lo
	v_cmp_le_u32_e32 vcc_lo, s33, v4
	s_cselect_b32 s7, -1, 0
	v_cndmask_b32_e64 v8, 0, -1, vcc_lo
	s_delay_alu instid0(VALU_DEP_3) | instskip(NEXT) | instid1(VALU_DEP_2)
	v_cmp_ne_u32_e32 vcc_lo, 0, v7
	v_cndmask_b32_e64 v7, -1, v8, s7
	v_cndmask_b32_e32 v8, s9, v9, vcc_lo
	v_cndmask_b32_e32 v6, v5, v6, vcc_lo
	s_delay_alu instid0(VALU_DEP_3) | instskip(NEXT) | instid1(VALU_DEP_3)
	v_cmp_ne_u32_e32 vcc_lo, 0, v7
	v_cndmask_b32_e32 v5, s8, v8, vcc_lo
	s_delay_alu instid0(VALU_DEP_3)
	v_cndmask_b32_e32 v4, v4, v6, vcc_lo
	s_cbranch_execnz .LBB204_342
.LBB204_341:                            ;   in Loop: Header=BB204_6 Depth=1
	v_cvt_f32_u32_e32 v4, s33
	s_sub_i32 s7, 0, s33
	s_delay_alu instid0(VALU_DEP_1) | instskip(SKIP_2) | instid1(VALU_DEP_1)
	v_rcp_iflag_f32_e32 v4, v4
	s_waitcnt_depctr 0xfff
	v_mul_f32_e32 v4, 0x4f7ffffe, v4
	v_cvt_u32_f32_e32 v4, v4
	s_delay_alu instid0(VALU_DEP_1) | instskip(NEXT) | instid1(VALU_DEP_1)
	v_mul_lo_u32 v5, s7, v4
	v_mul_hi_u32 v5, v4, v5
	s_delay_alu instid0(VALU_DEP_1) | instskip(NEXT) | instid1(VALU_DEP_1)
	v_add_nc_u32_e32 v4, v4, v5
	v_mul_hi_u32 v4, s78, v4
	s_delay_alu instid0(VALU_DEP_1) | instskip(NEXT) | instid1(VALU_DEP_1)
	v_mul_lo_u32 v4, v4, s33
	v_sub_nc_u32_e32 v4, s78, v4
	s_delay_alu instid0(VALU_DEP_1) | instskip(SKIP_1) | instid1(VALU_DEP_2)
	v_subrev_nc_u32_e32 v5, s33, v4
	v_cmp_le_u32_e32 vcc_lo, s33, v4
	v_cndmask_b32_e32 v4, v4, v5, vcc_lo
	s_delay_alu instid0(VALU_DEP_1) | instskip(SKIP_1) | instid1(VALU_DEP_2)
	v_subrev_nc_u32_e32 v5, s33, v4
	v_cmp_le_u32_e32 vcc_lo, s33, v4
	v_cndmask_b32_e32 v12, v4, v5, vcc_lo
	s_delay_alu instid0(VALU_DEP_1)
	v_dual_mov_b32 v4, v12 :: v_dual_mov_b32 v5, v13
.LBB204_342:                            ;   in Loop: Header=BB204_6 Depth=1
	s_delay_alu instid0(VALU_DEP_1) | instskip(NEXT) | instid1(VALU_DEP_2)
	v_sub_co_u32 v4, vcc_lo, s78, v4
	v_sub_co_ci_u32_e32 v5, vcc_lo, s27, v5, vcc_lo
	s_mov_b32 s7, 0
	s_mov_b32 s8, exec_lo
                                        ; implicit-def: $vgpr40
	s_delay_alu instid0(VALU_DEP_1)
	v_cmpx_gt_u64_e64 v[4:5], v[0:1]
	s_cbranch_execz .LBB204_351
; %bb.343:                              ;   in Loop: Header=BB204_6 Depth=1
	v_dual_mov_b32 v6, v10 :: v_dual_mov_b32 v7, v11
	v_dual_mov_b32 v9, v1 :: v_dual_mov_b32 v8, v0
	s_mov_b32 s9, 0
                                        ; implicit-def: $sgpr16
	s_branch .LBB204_345
.LBB204_344:                            ;   in Loop: Header=BB204_345 Depth=2
	s_or_b32 exec_lo, exec_lo, s7
	s_waitcnt vmcnt(0) lgkmcnt(0)
	s_barrier
	buffer_gl0_inv
	ds_load_b32 v12, v13 offset:3072
	v_add_co_u32 v8, vcc_lo, v8, s33
	v_add_co_ci_u32_e32 v9, vcc_lo, 0, v9, vcc_lo
	s_waitcnt lgkmcnt(0)
	s_barrier
	buffer_gl0_inv
	v_cmp_ge_u64_e32 vcc_lo, v[8:9], v[4:5]
	v_cmp_neq_f16_e64 s7, 0, v12
	s_delay_alu instid0(VALU_DEP_1)
	s_or_b32 s17, vcc_lo, s7
	v_add_co_u32 v6, vcc_lo, v6, s34
	s_and_b32 s17, exec_lo, s17
	v_add_co_ci_u32_e32 v7, vcc_lo, s35, v7, vcc_lo
	s_or_b32 s9, s17, s9
	s_and_not1_b32 s16, s16, exec_lo
	s_and_b32 s7, s7, exec_lo
	s_delay_alu instid0(SALU_CYCLE_1)
	s_or_b32 s16, s16, s7
	s_and_not1_b32 exec_lo, exec_lo, s9
	s_cbranch_execz .LBB204_350
.LBB204_345:                            ;   Parent Loop BB204_6 Depth=1
                                        ; =>  This Inner Loop Header: Depth=2
	s_delay_alu instid0(VALU_DEP_1)
	v_cmp_gt_u64_e32 vcc_lo, s[28:29], v[8:9]
	v_mov_b32_e32 v12, 0
	s_and_saveexec_b32 s7, vcc_lo
	s_cbranch_execz .LBB204_347
; %bb.346:                              ;   in Loop: Header=BB204_345 Depth=2
	global_load_u16 v12, v[6:7], off
.LBB204_347:                            ;   in Loop: Header=BB204_345 Depth=2
	s_or_b32 exec_lo, exec_lo, s7
	s_and_saveexec_b32 s7, vcc_lo
	s_cbranch_execz .LBB204_344
; %bb.348:                              ;   in Loop: Header=BB204_345 Depth=2
	s_waitcnt vmcnt(0)
	v_cmp_lt_i16_e32 vcc_lo, -1, v12
	v_dual_cndmask_b32 v24, 0xffff, v37 :: v_dual_and_b32 v23, 0xffff, v12
	v_cmp_o_f16_e32 vcc_lo, v12, v12
	s_delay_alu instid0(VALU_DEP_2) | instskip(NEXT) | instid1(VALU_DEP_1)
	v_xor_b32_e32 v23, v24, v23
	v_cndmask_b32_e32 v23, 0xffff, v23, vcc_lo
	s_delay_alu instid0(VALU_DEP_1) | instskip(NEXT) | instid1(VALU_DEP_1)
	v_and_b32_e32 v23, v23, v38
	v_cmp_eq_u32_e32 vcc_lo, v23, v39
	s_and_b32 exec_lo, exec_lo, vcc_lo
	s_cbranch_execz .LBB204_344
; %bb.349:                              ;   in Loop: Header=BB204_345 Depth=2
	v_perm_b32 v12, v12, s87, 0x5040100
	ds_store_b32 v13, v12 offset:3072
	s_branch .LBB204_344
.LBB204_350:                            ;   in Loop: Header=BB204_6 Depth=1
	s_or_b32 exec_lo, exec_lo, s9
	v_lshrrev_b32_e32 v40, 16, v12
	s_and_b32 s7, s16, exec_lo
.LBB204_351:                            ;   in Loop: Header=BB204_6 Depth=1
	s_or_b32 exec_lo, exec_lo, s8
	s_mov_b32 s17, 0
	s_mov_b32 s16, -1
	s_mov_b32 s63, 0
.LBB204_352:                            ;   in Loop: Header=BB204_6 Depth=1
	s_or_not1_b32 s7, s7, exec_lo
.LBB204_353:                            ;   in Loop: Header=BB204_6 Depth=1
	s_or_b32 exec_lo, exec_lo, s64
	s_mov_b32 s26, 0
                                        ; implicit-def: $vgpr7
	s_and_saveexec_b32 s64, s7
	s_cbranch_execz .LBB204_466
; %bb.354:                              ;   in Loop: Header=BB204_6 Depth=1
	v_dual_mov_b32 v4, 1 :: v_dual_mov_b32 v7, 1
	v_mov_b32_e32 v5, 0
	s_xor_b32 s8, s65, -1
	s_delay_alu instid0(SALU_CYCLE_1)
	s_and_saveexec_b32 s7, s8
	s_cbranch_execz .LBB204_364
; %bb.355:                              ;   in Loop: Header=BB204_6 Depth=1
	s_mov_b32 s9, exec_lo
                                        ; implicit-def: $sgpr26
                                        ; implicit-def: $sgpr8
	v_cmpx_ge_u64_e64 s[14:15], v[2:3]
	s_xor_b32 s9, exec_lo, s9
	s_cbranch_execz .LBB204_361
; %bb.356:                              ;   in Loop: Header=BB204_6 Depth=1
	ds_load_b64 v[4:5], v13 offset:5120
	s_waitcnt lgkmcnt(0)
	v_cmp_ne_u64_e32 vcc_lo, 0, v[4:5]
	s_cbranch_vccnz .LBB204_360
; %bb.357:                              ;   in Loop: Header=BB204_6 Depth=1
	s_and_saveexec_b32 s8, s5
	s_cbranch_execz .LBB204_359
; %bb.358:                              ;   in Loop: Header=BB204_6 Depth=1
	v_dual_mov_b32 v4, s14 :: v_dual_mov_b32 v5, s15
	ds_store_b64 v13, v[4:5] offset:5128
.LBB204_359:                            ;   in Loop: Header=BB204_6 Depth=1
	s_or_b32 exec_lo, exec_lo, s8
	s_waitcnt lgkmcnt(0)
	s_barrier
	buffer_gl0_inv
.LBB204_360:                            ;   in Loop: Header=BB204_6 Depth=1
	s_lshl_b32 s8, 2, s22
	v_or_b32_e32 v38, s20, v38
	v_and_or_b32 v39, v39, s21, s8
	s_mov_b32 s8, 0
	s_mov_b32 s26, 5
.LBB204_361:                            ;   in Loop: Header=BB204_6 Depth=1
	s_or_saveexec_b32 s9, s9
	v_mov_b32_e32 v7, s26
	s_xor_b32 exec_lo, exec_lo, s9
; %bb.362:                              ;   in Loop: Header=BB204_6 Depth=1
	v_sub_co_u32 v2, vcc_lo, v2, s14
	v_subrev_co_ci_u32_e32 v3, vcc_lo, s15, v3, vcc_lo
	v_mov_b32_e32 v7, 0
	s_or_b32 s8, s8, exec_lo
; %bb.363:                              ;   in Loop: Header=BB204_6 Depth=1
	s_or_b32 exec_lo, exec_lo, s9
	s_delay_alu instid0(VALU_DEP_2)
	v_dual_mov_b32 v5, v3 :: v_dual_mov_b32 v4, v2
	s_and_b32 s26, s8, exec_lo
.LBB204_364:                            ;   in Loop: Header=BB204_6 Depth=1
	s_or_b32 exec_lo, exec_lo, s7
	s_mov_b32 s7, -1
                                        ; implicit-def: $sgpr8
                                        ; implicit-def: $sgpr9
                                        ; implicit-def: $sgpr14
	s_and_saveexec_b32 s65, s26
	s_cbranch_execz .LBB204_465
; %bb.365:                              ;   in Loop: Header=BB204_6 Depth=1
	v_cmp_eq_u64_e32 vcc_lo, 1, v[4:5]
	s_cmp_eq_u64 s[12:13], 1
                                        ; implicit-def: $sgpr14
                                        ; implicit-def: $sgpr15
                                        ; implicit-def: $sgpr66
	s_cselect_b32 s7, -1, 0
	s_delay_alu instid0(SALU_CYCLE_1)
	s_and_b32 s68, s7, vcc_lo
	s_mov_b32 s7, -1
	s_and_saveexec_b32 s67, s68
	s_cbranch_execz .LBB204_399
; %bb.366:                              ;   in Loop: Header=BB204_6 Depth=1
	ds_load_b64 v[2:3], v13 offset:5120
	s_waitcnt lgkmcnt(0)
	s_barrier
	buffer_gl0_inv
	v_readfirstlane_b32 s8, v2
	v_readfirstlane_b32 s9, v3
	s_and_saveexec_b32 s7, s6
	s_cbranch_execz .LBB204_368
; %bb.367:                              ;   in Loop: Header=BB204_6 Depth=1
	ds_store_b16 v33, v13
.LBB204_368:                            ;   in Loop: Header=BB204_6 Depth=1
	s_or_b32 exec_lo, exec_lo, s7
	s_lshl_b32 s7, 1, s22
	v_or_b32_e32 v38, s20, v38
	v_and_or_b32 v39, v39, s21, s7
	s_cmp_eq_u64 s[8:9], 0
	s_waitcnt lgkmcnt(0)
	s_barrier
	buffer_gl0_inv
	s_cbranch_scc1 .LBB204_382
; %bb.369:                              ;   in Loop: Header=BB204_6 Depth=1
	s_add_u32 s26, s76, s8
	s_addc_u32 s15, s77, s9
	s_mov_b32 s14, s53
	s_delay_alu instid0(SALU_CYCLE_1)
	s_cmp_lg_u64 s[14:15], 0
	s_cbranch_scc0 .LBB204_417
; %bb.370:                              ;   in Loop: Header=BB204_6 Depth=1
	v_cvt_f32_u32_e32 v2, s33
	s_sub_u32 s66, 0, s33
	s_subb_u32 s69, 0, 0
	s_delay_alu instid0(VALU_DEP_1) | instskip(NEXT) | instid1(VALU_DEP_1)
	v_fmac_f32_e64 v2, 0, 0x4f800000
	v_rcp_f32_e32 v2, v2
	s_waitcnt_depctr 0xfff
	v_mul_f32_e32 v2, 0x5f7ffffc, v2
	s_delay_alu instid0(VALU_DEP_1) | instskip(NEXT) | instid1(VALU_DEP_1)
	v_mul_f32_e32 v3, 0x2f800000, v2
	v_trunc_f32_e32 v3, v3
	s_delay_alu instid0(VALU_DEP_1) | instskip(SKIP_1) | instid1(VALU_DEP_2)
	v_fmac_f32_e32 v2, 0xcf800000, v3
	v_cvt_u32_f32_e32 v3, v3
	v_cvt_u32_f32_e32 v2, v2
	s_delay_alu instid0(VALU_DEP_2) | instskip(NEXT) | instid1(VALU_DEP_2)
	v_readfirstlane_b32 s7, v3
	v_readfirstlane_b32 s14, v2
	s_delay_alu instid0(VALU_DEP_2) | instskip(NEXT) | instid1(VALU_DEP_1)
	s_mul_i32 s70, s66, s7
	s_mul_hi_u32 s72, s66, s14
	s_mul_i32 s71, s69, s14
	s_add_i32 s70, s72, s70
	s_mul_i32 s73, s66, s14
	s_add_i32 s70, s70, s71
	s_mul_hi_u32 s72, s14, s73
	s_mul_hi_u32 s99, s7, s73
	s_mul_i32 s71, s7, s73
	s_mul_hi_u32 s73, s14, s70
	s_mul_i32 s14, s14, s70
	s_mul_hi_u32 s100, s7, s70
	s_add_u32 s14, s72, s14
	s_addc_u32 s72, 0, s73
	s_add_u32 s14, s14, s71
	s_mul_i32 s70, s7, s70
	s_addc_u32 s14, s72, s99
	s_addc_u32 s71, s100, 0
	s_add_u32 s14, s14, s70
	s_addc_u32 s70, 0, s71
	v_add_co_u32 v2, s14, v2, s14
	s_delay_alu instid0(VALU_DEP_1) | instskip(SKIP_1) | instid1(VALU_DEP_1)
	s_cmp_lg_u32 s14, 0
	s_addc_u32 s7, s7, s70
	v_readfirstlane_b32 s14, v2
	s_mul_i32 s70, s66, s7
	s_delay_alu instid0(VALU_DEP_1)
	s_mul_hi_u32 s71, s66, s14
	s_mul_i32 s69, s69, s14
	s_add_i32 s70, s71, s70
	s_mul_i32 s66, s66, s14
	s_add_i32 s70, s70, s69
	s_mul_hi_u32 s71, s7, s66
	s_mul_i32 s72, s7, s66
	s_mul_hi_u32 s66, s14, s66
	s_mul_hi_u32 s73, s14, s70
	s_mul_i32 s14, s14, s70
	s_mul_hi_u32 s69, s7, s70
	s_add_u32 s14, s66, s14
	s_addc_u32 s66, 0, s73
	s_add_u32 s14, s14, s72
	s_mul_i32 s70, s7, s70
	s_addc_u32 s14, s66, s71
	s_addc_u32 s66, s69, 0
	s_add_u32 s14, s14, s70
	s_addc_u32 s66, 0, s66
	v_add_co_u32 v2, s14, v2, s14
	s_delay_alu instid0(VALU_DEP_1) | instskip(SKIP_1) | instid1(VALU_DEP_1)
	s_cmp_lg_u32 s14, 0
	s_addc_u32 s7, s7, s66
	v_readfirstlane_b32 s14, v2
	s_mul_i32 s69, s26, s7
	s_mul_hi_u32 s66, s26, s7
	s_mul_hi_u32 s70, s15, s7
	s_mul_i32 s7, s15, s7
	s_mul_hi_u32 s71, s26, s14
	s_mul_hi_u32 s72, s15, s14
	s_mul_i32 s14, s15, s14
	s_add_u32 s69, s71, s69
	s_addc_u32 s66, 0, s66
	s_add_u32 s14, s69, s14
	s_addc_u32 s14, s66, s72
	s_addc_u32 s66, s70, 0
	s_add_u32 s7, s14, s7
	s_addc_u32 s14, 0, s66
	s_mul_hi_u32 s66, s33, s7
	s_mul_i32 s7, s33, s7
	s_mul_i32 s14, s33, s14
	v_sub_co_u32 v2, s7, s26, s7
	s_add_i32 s66, s66, s14
	s_cmp_lg_u32 s7, 0
	s_delay_alu instid0(VALU_DEP_1) | instskip(SKIP_2) | instid1(VALU_DEP_1)
	v_sub_co_u32 v3, s7, v2, s33
	s_subb_u32 s14, s15, s66
	s_cmp_lg_u32 s7, 0
	v_cmp_le_u32_e32 vcc_lo, s33, v3
	v_sub_co_u32 v6, s7, v3, s33
	s_subb_u32 s66, s14, 0
	s_cmp_lg_u32 s7, 0
	v_cndmask_b32_e64 v7, 0, -1, vcc_lo
	s_subb_u32 s7, s66, 0
	s_cmp_eq_u32 s66, 0
	v_mov_b32_e32 v9, s7
	s_cselect_b32 vcc_lo, -1, 0
	s_cmp_eq_u32 s14, 0
	v_cndmask_b32_e32 v7, -1, v7, vcc_lo
	v_cmp_le_u32_e32 vcc_lo, s33, v2
	s_cselect_b32 s7, -1, 0
	v_cndmask_b32_e64 v8, 0, -1, vcc_lo
	s_delay_alu instid0(VALU_DEP_3) | instskip(NEXT) | instid1(VALU_DEP_2)
	v_cmp_ne_u32_e32 vcc_lo, 0, v7
	v_cndmask_b32_e64 v7, -1, v8, s7
	v_cndmask_b32_e32 v8, s66, v9, vcc_lo
	v_cndmask_b32_e32 v6, v3, v6, vcc_lo
	s_delay_alu instid0(VALU_DEP_3) | instskip(NEXT) | instid1(VALU_DEP_3)
	v_cmp_ne_u32_e32 vcc_lo, 0, v7
	v_cndmask_b32_e32 v3, s14, v8, vcc_lo
	s_delay_alu instid0(VALU_DEP_3)
	v_cndmask_b32_e32 v2, v2, v6, vcc_lo
	s_cbranch_execnz .LBB204_372
.LBB204_371:                            ;   in Loop: Header=BB204_6 Depth=1
	v_cvt_f32_u32_e32 v2, s33
	s_sub_i32 s7, 0, s33
	s_delay_alu instid0(VALU_DEP_1) | instskip(SKIP_2) | instid1(VALU_DEP_1)
	v_rcp_iflag_f32_e32 v2, v2
	s_waitcnt_depctr 0xfff
	v_mul_f32_e32 v2, 0x4f7ffffe, v2
	v_cvt_u32_f32_e32 v2, v2
	s_delay_alu instid0(VALU_DEP_1) | instskip(NEXT) | instid1(VALU_DEP_1)
	v_mul_lo_u32 v3, s7, v2
	v_mul_hi_u32 v3, v2, v3
	s_delay_alu instid0(VALU_DEP_1) | instskip(NEXT) | instid1(VALU_DEP_1)
	v_add_nc_u32_e32 v2, v2, v3
	v_mul_hi_u32 v2, s26, v2
	s_delay_alu instid0(VALU_DEP_1) | instskip(NEXT) | instid1(VALU_DEP_1)
	v_mul_lo_u32 v2, v2, s33
	v_sub_nc_u32_e32 v2, s26, v2
	s_delay_alu instid0(VALU_DEP_1) | instskip(SKIP_1) | instid1(VALU_DEP_2)
	v_subrev_nc_u32_e32 v3, s33, v2
	v_cmp_le_u32_e32 vcc_lo, s33, v2
	v_cndmask_b32_e32 v2, v2, v3, vcc_lo
	s_delay_alu instid0(VALU_DEP_1) | instskip(SKIP_1) | instid1(VALU_DEP_2)
	v_subrev_nc_u32_e32 v3, s33, v2
	v_cmp_le_u32_e32 vcc_lo, s33, v2
	v_cndmask_b32_e32 v12, v2, v3, vcc_lo
	s_delay_alu instid0(VALU_DEP_1)
	v_dual_mov_b32 v2, v12 :: v_dual_mov_b32 v3, v13
.LBB204_372:                            ;   in Loop: Header=BB204_6 Depth=1
	s_delay_alu instid0(VALU_DEP_1) | instskip(NEXT) | instid1(VALU_DEP_2)
	v_sub_co_u32 v2, vcc_lo, s26, v2
	v_sub_co_ci_u32_e32 v3, vcc_lo, s15, v3, vcc_lo
	s_mov_b32 s7, 0
	s_mov_b32 s14, exec_lo
                                        ; implicit-def: $vgpr40
	s_delay_alu instid0(VALU_DEP_1)
	v_cmpx_gt_u64_e64 v[2:3], v[0:1]
	s_cbranch_execz .LBB204_384
; %bb.373:                              ;   in Loop: Header=BB204_6 Depth=1
	v_dual_mov_b32 v8, v31 :: v_dual_mov_b32 v7, v1
	v_mov_b32_e32 v6, v0
	s_mov_b32 s15, 0
                                        ; implicit-def: $sgpr26
	s_set_inst_prefetch_distance 0x1
	s_branch .LBB204_375
	.p2align	6
.LBB204_374:                            ;   in Loop: Header=BB204_375 Depth=2
	s_or_b32 exec_lo, exec_lo, s7
	s_waitcnt lgkmcnt(0)
	s_barrier
	buffer_gl0_inv
	ds_load_b32 v9, v13 offset:3072
	v_add_co_u32 v6, vcc_lo, v6, s33
	v_add_co_ci_u32_e32 v7, vcc_lo, 0, v7, vcc_lo
	v_add_nc_u32_e32 v8, s84, v8
	s_waitcnt lgkmcnt(0)
	s_barrier
	s_delay_alu instid0(VALU_DEP_2) | instskip(SKIP_2) | instid1(VALU_DEP_1)
	v_cmp_ge_u64_e32 vcc_lo, v[6:7], v[2:3]
	buffer_gl0_inv
	v_cmp_neq_f16_e64 s7, 0, v9
	s_or_b32 s66, vcc_lo, s7
	s_delay_alu instid0(SALU_CYCLE_1) | instskip(NEXT) | instid1(SALU_CYCLE_1)
	s_and_b32 s66, exec_lo, s66
	s_or_b32 s15, s66, s15
	s_and_not1_b32 s26, s26, exec_lo
	s_and_b32 s7, s7, exec_lo
	s_delay_alu instid0(SALU_CYCLE_1)
	s_or_b32 s26, s26, s7
	s_and_not1_b32 exec_lo, exec_lo, s15
	s_cbranch_execz .LBB204_383
.LBB204_375:                            ;   Parent Loop BB204_6 Depth=1
                                        ; =>  This Inner Loop Header: Depth=2
	s_delay_alu instid0(VALU_DEP_1)
	v_cmp_gt_u64_e32 vcc_lo, s[8:9], v[6:7]
	v_mov_b32_e32 v9, 0
	s_and_saveexec_b32 s7, vcc_lo
	s_cbranch_execz .LBB204_377
; %bb.376:                              ;   in Loop: Header=BB204_375 Depth=2
	ds_load_u16 v9, v8
.LBB204_377:                            ;   in Loop: Header=BB204_375 Depth=2
	s_or_b32 exec_lo, exec_lo, s7
	s_and_saveexec_b32 s7, vcc_lo
	s_cbranch_execz .LBB204_374
; %bb.378:                              ;   in Loop: Header=BB204_375 Depth=2
	s_waitcnt lgkmcnt(0)
	v_cmp_lt_i16_e32 vcc_lo, -1, v9
	v_and_b32_e32 v12, 0xffff, v9
	v_cndmask_b32_e32 v23, 0xffff, v37, vcc_lo
	v_cmp_o_f16_e32 vcc_lo, v9, v9
	s_delay_alu instid0(VALU_DEP_2) | instskip(NEXT) | instid1(VALU_DEP_1)
	v_xor_b32_e32 v12, v23, v12
	v_cndmask_b32_e32 v12, 0xffff, v12, vcc_lo
	s_delay_alu instid0(VALU_DEP_1) | instskip(NEXT) | instid1(VALU_DEP_1)
	v_and_b32_e32 v12, v12, v38
	v_cmp_eq_u32_e32 vcc_lo, v12, v39
	s_and_b32 exec_lo, exec_lo, vcc_lo
	s_cbranch_execz .LBB204_374
; %bb.379:                              ;   in Loop: Header=BB204_375 Depth=2
	v_perm_b32 v9, v9, s87, 0x5040100
	ds_store_b32 v13, v9 offset:3072
	s_branch .LBB204_374
.LBB204_380:                            ;   in Loop: Header=BB204_6 Depth=1
                                        ; implicit-def: $vgpr4_vgpr5
	s_branch .LBB204_325
.LBB204_381:                            ;   in Loop: Header=BB204_6 Depth=1
                                        ; implicit-def: $vgpr4_vgpr5
	s_branch .LBB204_341
.LBB204_382:                            ;   in Loop: Header=BB204_6 Depth=1
	s_mov_b32 s14, -1
	s_mov_b32 s7, 0
                                        ; implicit-def: $sgpr15
                                        ; implicit-def: $vgpr40
	s_mov_b32 s66, s14
	s_cbranch_execnz .LBB204_385
	s_branch .LBB204_398
.LBB204_383:                            ;   in Loop: Header=BB204_6 Depth=1
	s_set_inst_prefetch_distance 0x2
	s_or_b32 exec_lo, exec_lo, s15
	v_lshrrev_b32_e32 v40, 16, v9
	s_and_b32 s7, s26, exec_lo
.LBB204_384:                            ;   in Loop: Header=BB204_6 Depth=1
	s_or_b32 exec_lo, exec_lo, s14
	s_mov_b32 s14, 0
	s_mov_b32 s15, -1
	s_mov_b32 s66, s14
	s_branch .LBB204_398
.LBB204_385:                            ;   in Loop: Header=BB204_6 Depth=1
	s_mov_b32 s26, s53
	s_delay_alu instid0(SALU_CYCLE_1)
	s_cmp_lg_u64 s[26:27], 0
	s_cbranch_scc0 .LBB204_418
; %bb.386:                              ;   in Loop: Header=BB204_6 Depth=1
	v_cvt_f32_u32_e32 v2, s33
	s_sub_u32 s9, 0, s33
	s_subb_u32 s14, 0, 0
	s_delay_alu instid0(VALU_DEP_1) | instskip(NEXT) | instid1(VALU_DEP_1)
	v_fmac_f32_e64 v2, 0, 0x4f800000
	v_rcp_f32_e32 v2, v2
	s_waitcnt_depctr 0xfff
	v_mul_f32_e32 v2, 0x5f7ffffc, v2
	s_delay_alu instid0(VALU_DEP_1) | instskip(NEXT) | instid1(VALU_DEP_1)
	v_mul_f32_e32 v3, 0x2f800000, v2
	v_trunc_f32_e32 v3, v3
	s_delay_alu instid0(VALU_DEP_1) | instskip(SKIP_1) | instid1(VALU_DEP_2)
	v_fmac_f32_e32 v2, 0xcf800000, v3
	v_cvt_u32_f32_e32 v3, v3
	v_cvt_u32_f32_e32 v2, v2
	s_delay_alu instid0(VALU_DEP_2) | instskip(NEXT) | instid1(VALU_DEP_2)
	v_readfirstlane_b32 s7, v3
	v_readfirstlane_b32 s8, v2
	s_delay_alu instid0(VALU_DEP_2) | instskip(NEXT) | instid1(VALU_DEP_1)
	s_mul_i32 s15, s9, s7
	s_mul_hi_u32 s66, s9, s8
	s_mul_i32 s26, s14, s8
	s_add_i32 s15, s66, s15
	s_mul_i32 s69, s9, s8
	s_add_i32 s15, s15, s26
	s_mul_hi_u32 s66, s8, s69
	s_mul_hi_u32 s70, s7, s69
	s_mul_i32 s26, s7, s69
	s_mul_hi_u32 s69, s8, s15
	s_mul_i32 s8, s8, s15
	s_mul_hi_u32 s71, s7, s15
	s_add_u32 s8, s66, s8
	s_addc_u32 s66, 0, s69
	s_add_u32 s8, s8, s26
	s_mul_i32 s15, s7, s15
	s_addc_u32 s8, s66, s70
	s_addc_u32 s26, s71, 0
	s_add_u32 s8, s8, s15
	s_addc_u32 s15, 0, s26
	v_add_co_u32 v2, s8, v2, s8
	s_delay_alu instid0(VALU_DEP_1) | instskip(SKIP_1) | instid1(VALU_DEP_1)
	s_cmp_lg_u32 s8, 0
	s_addc_u32 s7, s7, s15
	v_readfirstlane_b32 s8, v2
	s_mul_i32 s15, s9, s7
	s_delay_alu instid0(VALU_DEP_1)
	s_mul_hi_u32 s26, s9, s8
	s_mul_i32 s14, s14, s8
	s_add_i32 s15, s26, s15
	s_mul_i32 s9, s9, s8
	s_add_i32 s15, s15, s14
	s_mul_hi_u32 s26, s7, s9
	s_mul_i32 s66, s7, s9
	s_mul_hi_u32 s9, s8, s9
	s_mul_hi_u32 s69, s8, s15
	s_mul_i32 s8, s8, s15
	s_mul_hi_u32 s14, s7, s15
	s_add_u32 s8, s9, s8
	s_addc_u32 s9, 0, s69
	s_add_u32 s8, s8, s66
	s_mul_i32 s15, s7, s15
	s_addc_u32 s8, s9, s26
	s_addc_u32 s9, s14, 0
	s_add_u32 s8, s8, s15
	s_addc_u32 s9, 0, s9
	v_add_co_u32 v2, s8, v2, s8
	s_delay_alu instid0(VALU_DEP_1) | instskip(SKIP_1) | instid1(VALU_DEP_1)
	s_cmp_lg_u32 s8, 0
	s_addc_u32 s7, s7, s9
	v_readfirstlane_b32 s8, v2
	s_mul_i32 s14, s78, s7
	s_mul_hi_u32 s9, s78, s7
	s_mul_hi_u32 s15, s27, s7
	s_mul_i32 s7, s27, s7
	s_mul_hi_u32 s26, s78, s8
	s_mul_hi_u32 s66, s27, s8
	s_mul_i32 s8, s27, s8
	s_add_u32 s14, s26, s14
	s_addc_u32 s9, 0, s9
	s_add_u32 s8, s14, s8
	s_addc_u32 s8, s9, s66
	s_addc_u32 s9, s15, 0
	s_add_u32 s7, s8, s7
	s_addc_u32 s8, 0, s9
	s_mul_hi_u32 s9, s33, s7
	s_mul_i32 s7, s33, s7
	s_mul_i32 s8, s33, s8
	v_sub_co_u32 v2, s7, s78, s7
	s_add_i32 s9, s9, s8
	s_cmp_lg_u32 s7, 0
	s_delay_alu instid0(VALU_DEP_1) | instskip(SKIP_2) | instid1(VALU_DEP_1)
	v_sub_co_u32 v3, s7, v2, s33
	s_subb_u32 s8, s27, s9
	s_cmp_lg_u32 s7, 0
	v_cmp_le_u32_e32 vcc_lo, s33, v3
	v_sub_co_u32 v6, s7, v3, s33
	s_subb_u32 s9, s8, 0
	s_cmp_lg_u32 s7, 0
	v_cndmask_b32_e64 v7, 0, -1, vcc_lo
	s_subb_u32 s7, s9, 0
	s_cmp_eq_u32 s9, 0
	v_mov_b32_e32 v9, s7
	s_cselect_b32 vcc_lo, -1, 0
	s_cmp_eq_u32 s8, 0
	v_cndmask_b32_e32 v7, -1, v7, vcc_lo
	v_cmp_le_u32_e32 vcc_lo, s33, v2
	s_cselect_b32 s7, -1, 0
	v_cndmask_b32_e64 v8, 0, -1, vcc_lo
	s_delay_alu instid0(VALU_DEP_3) | instskip(NEXT) | instid1(VALU_DEP_2)
	v_cmp_ne_u32_e32 vcc_lo, 0, v7
	v_cndmask_b32_e64 v7, -1, v8, s7
	v_cndmask_b32_e32 v8, s9, v9, vcc_lo
	v_cndmask_b32_e32 v6, v3, v6, vcc_lo
	s_delay_alu instid0(VALU_DEP_3) | instskip(NEXT) | instid1(VALU_DEP_3)
	v_cmp_ne_u32_e32 vcc_lo, 0, v7
	v_cndmask_b32_e32 v3, s8, v8, vcc_lo
	s_delay_alu instid0(VALU_DEP_3)
	v_cndmask_b32_e32 v2, v2, v6, vcc_lo
	s_cbranch_execnz .LBB204_388
.LBB204_387:                            ;   in Loop: Header=BB204_6 Depth=1
	v_cvt_f32_u32_e32 v2, s33
	s_sub_i32 s7, 0, s33
	s_delay_alu instid0(VALU_DEP_1) | instskip(SKIP_2) | instid1(VALU_DEP_1)
	v_rcp_iflag_f32_e32 v2, v2
	s_waitcnt_depctr 0xfff
	v_mul_f32_e32 v2, 0x4f7ffffe, v2
	v_cvt_u32_f32_e32 v2, v2
	s_delay_alu instid0(VALU_DEP_1) | instskip(NEXT) | instid1(VALU_DEP_1)
	v_mul_lo_u32 v3, s7, v2
	v_mul_hi_u32 v3, v2, v3
	s_delay_alu instid0(VALU_DEP_1) | instskip(NEXT) | instid1(VALU_DEP_1)
	v_add_nc_u32_e32 v2, v2, v3
	v_mul_hi_u32 v2, s78, v2
	s_delay_alu instid0(VALU_DEP_1) | instskip(NEXT) | instid1(VALU_DEP_1)
	v_mul_lo_u32 v2, v2, s33
	v_sub_nc_u32_e32 v2, s78, v2
	s_delay_alu instid0(VALU_DEP_1) | instskip(SKIP_1) | instid1(VALU_DEP_2)
	v_subrev_nc_u32_e32 v3, s33, v2
	v_cmp_le_u32_e32 vcc_lo, s33, v2
	v_cndmask_b32_e32 v2, v2, v3, vcc_lo
	s_delay_alu instid0(VALU_DEP_1) | instskip(SKIP_1) | instid1(VALU_DEP_2)
	v_subrev_nc_u32_e32 v3, s33, v2
	v_cmp_le_u32_e32 vcc_lo, s33, v2
	v_cndmask_b32_e32 v12, v2, v3, vcc_lo
	s_delay_alu instid0(VALU_DEP_1)
	v_dual_mov_b32 v2, v12 :: v_dual_mov_b32 v3, v13
.LBB204_388:                            ;   in Loop: Header=BB204_6 Depth=1
	s_delay_alu instid0(VALU_DEP_1) | instskip(NEXT) | instid1(VALU_DEP_2)
	v_sub_co_u32 v2, vcc_lo, s78, v2
	v_sub_co_ci_u32_e32 v3, vcc_lo, s27, v3, vcc_lo
	s_mov_b32 s7, 0
	s_mov_b32 s8, exec_lo
                                        ; implicit-def: $vgpr40
	s_delay_alu instid0(VALU_DEP_1)
	v_cmpx_gt_u64_e64 v[2:3], v[0:1]
	s_cbranch_execz .LBB204_397
; %bb.389:                              ;   in Loop: Header=BB204_6 Depth=1
	v_dual_mov_b32 v6, v10 :: v_dual_mov_b32 v7, v11
	v_dual_mov_b32 v9, v1 :: v_dual_mov_b32 v8, v0
	s_mov_b32 s9, 0
                                        ; implicit-def: $sgpr14
	s_branch .LBB204_391
.LBB204_390:                            ;   in Loop: Header=BB204_391 Depth=2
	s_or_b32 exec_lo, exec_lo, s7
	s_waitcnt vmcnt(0) lgkmcnt(0)
	s_barrier
	buffer_gl0_inv
	ds_load_b32 v12, v13 offset:3072
	v_add_co_u32 v8, vcc_lo, v8, s33
	v_add_co_ci_u32_e32 v9, vcc_lo, 0, v9, vcc_lo
	s_waitcnt lgkmcnt(0)
	s_barrier
	buffer_gl0_inv
	v_cmp_ge_u64_e32 vcc_lo, v[8:9], v[2:3]
	v_cmp_neq_f16_e64 s7, 0, v12
	s_delay_alu instid0(VALU_DEP_1)
	s_or_b32 s15, vcc_lo, s7
	v_add_co_u32 v6, vcc_lo, v6, s34
	s_and_b32 s15, exec_lo, s15
	v_add_co_ci_u32_e32 v7, vcc_lo, s35, v7, vcc_lo
	s_or_b32 s9, s15, s9
	s_and_not1_b32 s14, s14, exec_lo
	s_and_b32 s7, s7, exec_lo
	s_delay_alu instid0(SALU_CYCLE_1)
	s_or_b32 s14, s14, s7
	s_and_not1_b32 exec_lo, exec_lo, s9
	s_cbranch_execz .LBB204_396
.LBB204_391:                            ;   Parent Loop BB204_6 Depth=1
                                        ; =>  This Inner Loop Header: Depth=2
	s_delay_alu instid0(VALU_DEP_1)
	v_cmp_gt_u64_e32 vcc_lo, s[28:29], v[8:9]
	v_mov_b32_e32 v12, 0
	s_and_saveexec_b32 s7, vcc_lo
	s_cbranch_execz .LBB204_393
; %bb.392:                              ;   in Loop: Header=BB204_391 Depth=2
	global_load_u16 v12, v[6:7], off
.LBB204_393:                            ;   in Loop: Header=BB204_391 Depth=2
	s_or_b32 exec_lo, exec_lo, s7
	s_and_saveexec_b32 s7, vcc_lo
	s_cbranch_execz .LBB204_390
; %bb.394:                              ;   in Loop: Header=BB204_391 Depth=2
	s_waitcnt vmcnt(0)
	v_cmp_lt_i16_e32 vcc_lo, -1, v12
	v_dual_cndmask_b32 v24, 0xffff, v37 :: v_dual_and_b32 v23, 0xffff, v12
	v_cmp_o_f16_e32 vcc_lo, v12, v12
	s_delay_alu instid0(VALU_DEP_2) | instskip(NEXT) | instid1(VALU_DEP_1)
	v_xor_b32_e32 v23, v24, v23
	v_cndmask_b32_e32 v23, 0xffff, v23, vcc_lo
	s_delay_alu instid0(VALU_DEP_1) | instskip(NEXT) | instid1(VALU_DEP_1)
	v_and_b32_e32 v23, v23, v38
	v_cmp_eq_u32_e32 vcc_lo, v23, v39
	s_and_b32 exec_lo, exec_lo, vcc_lo
	s_cbranch_execz .LBB204_390
; %bb.395:                              ;   in Loop: Header=BB204_391 Depth=2
	v_perm_b32 v12, v12, s87, 0x5040100
	ds_store_b32 v13, v12 offset:3072
	s_branch .LBB204_390
.LBB204_396:                            ;   in Loop: Header=BB204_6 Depth=1
	s_or_b32 exec_lo, exec_lo, s9
	v_lshrrev_b32_e32 v40, 16, v12
	s_and_b32 s7, s14, exec_lo
.LBB204_397:                            ;   in Loop: Header=BB204_6 Depth=1
	s_or_b32 exec_lo, exec_lo, s8
	s_mov_b32 s15, 0
	s_mov_b32 s14, -1
	s_mov_b32 s66, 0
.LBB204_398:                            ;   in Loop: Header=BB204_6 Depth=1
	s_or_not1_b32 s7, s7, exec_lo
.LBB204_399:                            ;   in Loop: Header=BB204_6 Depth=1
	s_or_b32 exec_lo, exec_lo, s67
	s_mov_b32 s26, 0
                                        ; implicit-def: $vgpr7
	s_and_saveexec_b32 s67, s7
	s_cbranch_execz .LBB204_464
; %bb.400:                              ;   in Loop: Header=BB204_6 Depth=1
	v_dual_mov_b32 v2, 1 :: v_dual_mov_b32 v7, 1
	v_mov_b32_e32 v3, 0
	s_xor_b32 s8, s68, -1
	s_delay_alu instid0(SALU_CYCLE_1)
	s_and_saveexec_b32 s7, s8
	s_cbranch_execz .LBB204_410
; %bb.401:                              ;   in Loop: Header=BB204_6 Depth=1
	s_mov_b32 s9, exec_lo
                                        ; implicit-def: $sgpr26
                                        ; implicit-def: $sgpr8
	v_cmpx_ge_u64_e64 s[12:13], v[4:5]
	s_xor_b32 s9, exec_lo, s9
	s_cbranch_execz .LBB204_407
; %bb.402:                              ;   in Loop: Header=BB204_6 Depth=1
	ds_load_b64 v[2:3], v13 offset:5120
	s_waitcnt lgkmcnt(0)
	v_cmp_ne_u64_e32 vcc_lo, 0, v[2:3]
	s_cbranch_vccnz .LBB204_406
; %bb.403:                              ;   in Loop: Header=BB204_6 Depth=1
	s_and_saveexec_b32 s8, s5
	s_cbranch_execz .LBB204_405
; %bb.404:                              ;   in Loop: Header=BB204_6 Depth=1
	v_dual_mov_b32 v2, s12 :: v_dual_mov_b32 v3, s13
	ds_store_b64 v13, v[2:3] offset:5128
.LBB204_405:                            ;   in Loop: Header=BB204_6 Depth=1
	s_or_b32 exec_lo, exec_lo, s8
	s_waitcnt lgkmcnt(0)
	s_barrier
	buffer_gl0_inv
.LBB204_406:                            ;   in Loop: Header=BB204_6 Depth=1
	s_lshl_b32 s8, 1, s22
	v_or_b32_e32 v38, s20, v38
	v_and_or_b32 v39, v39, s21, s8
	s_mov_b32 s8, 0
	s_mov_b32 s26, 5
.LBB204_407:                            ;   in Loop: Header=BB204_6 Depth=1
	s_or_saveexec_b32 s9, s9
	v_mov_b32_e32 v7, s26
	s_xor_b32 exec_lo, exec_lo, s9
; %bb.408:                              ;   in Loop: Header=BB204_6 Depth=1
	v_sub_co_u32 v4, vcc_lo, v4, s12
	v_subrev_co_ci_u32_e32 v5, vcc_lo, s13, v5, vcc_lo
	v_mov_b32_e32 v7, 0
	s_or_b32 s8, s8, exec_lo
; %bb.409:                              ;   in Loop: Header=BB204_6 Depth=1
	s_or_b32 exec_lo, exec_lo, s9
	s_delay_alu instid0(VALU_DEP_2)
	v_dual_mov_b32 v2, v4 :: v_dual_mov_b32 v3, v5
	s_and_b32 s26, s8, exec_lo
.LBB204_410:                            ;   in Loop: Header=BB204_6 Depth=1
	s_or_b32 exec_lo, exec_lo, s7
	s_mov_b32 s12, -1
                                        ; implicit-def: $sgpr7
                                        ; implicit-def: $sgpr8
                                        ; implicit-def: $sgpr9
	s_and_saveexec_b32 s22, s26
	s_cbranch_execz .LBB204_463
; %bb.411:                              ;   in Loop: Header=BB204_6 Depth=1
	v_cmp_eq_u64_e32 vcc_lo, 1, v[2:3]
	s_cmp_eq_u64 s[10:11], 1
	s_mov_b32 s13, -1
	s_cselect_b32 s7, -1, 0
                                        ; implicit-def: $sgpr8
                                        ; implicit-def: $sgpr9
	s_delay_alu instid0(SALU_CYCLE_1) | instskip(NEXT) | instid1(SALU_CYCLE_1)
	s_and_b32 s68, s7, vcc_lo
                                        ; implicit-def: $sgpr7
	s_and_saveexec_b32 s69, s68
	s_cbranch_execz .LBB204_450
; %bb.412:                              ;   in Loop: Header=BB204_6 Depth=1
	ds_load_b64 v[4:5], v13 offset:5120
	s_waitcnt lgkmcnt(0)
	s_barrier
	buffer_gl0_inv
	v_readfirstlane_b32 s8, v4
	v_readfirstlane_b32 s9, v5
	s_and_saveexec_b32 s7, s6
	s_cbranch_execz .LBB204_414
; %bb.413:                              ;   in Loop: Header=BB204_6 Depth=1
	ds_store_b16 v33, v13
.LBB204_414:                            ;   in Loop: Header=BB204_6 Depth=1
	s_or_b32 exec_lo, exec_lo, s7
	v_and_b32_e32 v39, s21, v39
	v_or_b32_e32 v38, s20, v38
	s_cmp_eq_u64 s[8:9], 0
	s_waitcnt lgkmcnt(0)
	s_barrier
	buffer_gl0_inv
	s_cbranch_scc1 .LBB204_419
; %bb.415:                              ;   in Loop: Header=BB204_6 Depth=1
	s_add_u32 s26, s76, s8
	s_addc_u32 s13, s77, s9
	s_mov_b32 s12, s53
	s_delay_alu instid0(SALU_CYCLE_1)
	s_cmp_lg_u64 s[12:13], 0
	s_cbranch_scc0 .LBB204_420
; %bb.416:                              ;   in Loop: Header=BB204_6 Depth=1
	v_cvt_f32_u32_e32 v4, s33
	s_sub_u32 s70, 0, s33
	s_subb_u32 s71, 0, 0
	s_delay_alu instid0(VALU_DEP_1) | instskip(NEXT) | instid1(VALU_DEP_1)
	v_fmac_f32_e64 v4, 0, 0x4f800000
	v_rcp_f32_e32 v4, v4
	s_waitcnt_depctr 0xfff
	v_mul_f32_e32 v4, 0x5f7ffffc, v4
	s_delay_alu instid0(VALU_DEP_1) | instskip(NEXT) | instid1(VALU_DEP_1)
	v_mul_f32_e32 v5, 0x2f800000, v4
	v_trunc_f32_e32 v5, v5
	s_delay_alu instid0(VALU_DEP_1) | instskip(SKIP_1) | instid1(VALU_DEP_2)
	v_fmac_f32_e32 v4, 0xcf800000, v5
	v_cvt_u32_f32_e32 v5, v5
	v_cvt_u32_f32_e32 v4, v4
	s_delay_alu instid0(VALU_DEP_2) | instskip(NEXT) | instid1(VALU_DEP_2)
	v_readfirstlane_b32 s7, v5
	v_readfirstlane_b32 s12, v4
	s_delay_alu instid0(VALU_DEP_2) | instskip(NEXT) | instid1(VALU_DEP_1)
	s_mul_i32 s72, s70, s7
	s_mul_hi_u32 s99, s70, s12
	s_mul_i32 s73, s71, s12
	s_add_i32 s72, s99, s72
	s_mul_i32 s100, s70, s12
	s_add_i32 s72, s72, s73
	s_mul_hi_u32 s99, s12, s100
	s_mul_hi_u32 s101, s7, s100
	s_mul_i32 s73, s7, s100
	s_mul_hi_u32 s100, s12, s72
	s_mul_i32 s12, s12, s72
	s_mul_hi_u32 s102, s7, s72
	s_add_u32 s12, s99, s12
	s_addc_u32 s99, 0, s100
	s_add_u32 s12, s12, s73
	s_mul_i32 s72, s7, s72
	s_addc_u32 s12, s99, s101
	s_addc_u32 s73, s102, 0
	s_add_u32 s12, s12, s72
	s_addc_u32 s72, 0, s73
	v_add_co_u32 v4, s12, v4, s12
	s_delay_alu instid0(VALU_DEP_1) | instskip(SKIP_1) | instid1(VALU_DEP_1)
	s_cmp_lg_u32 s12, 0
	s_addc_u32 s7, s7, s72
	v_readfirstlane_b32 s12, v4
	s_mul_i32 s72, s70, s7
	s_delay_alu instid0(VALU_DEP_1)
	s_mul_hi_u32 s73, s70, s12
	s_mul_i32 s71, s71, s12
	s_add_i32 s72, s73, s72
	s_mul_i32 s70, s70, s12
	s_add_i32 s72, s72, s71
	s_mul_hi_u32 s73, s7, s70
	s_mul_i32 s99, s7, s70
	s_mul_hi_u32 s70, s12, s70
	s_mul_hi_u32 s100, s12, s72
	s_mul_i32 s12, s12, s72
	s_mul_hi_u32 s71, s7, s72
	s_add_u32 s12, s70, s12
	s_addc_u32 s70, 0, s100
	s_add_u32 s12, s12, s99
	s_mul_i32 s72, s7, s72
	s_addc_u32 s12, s70, s73
	s_addc_u32 s70, s71, 0
	s_add_u32 s12, s12, s72
	s_addc_u32 s70, 0, s70
	v_add_co_u32 v4, s12, v4, s12
	s_delay_alu instid0(VALU_DEP_1) | instskip(SKIP_1) | instid1(VALU_DEP_1)
	s_cmp_lg_u32 s12, 0
	s_addc_u32 s7, s7, s70
	v_readfirstlane_b32 s12, v4
	s_mul_i32 s71, s26, s7
	s_mul_hi_u32 s70, s26, s7
	s_mul_hi_u32 s72, s13, s7
	s_mul_i32 s7, s13, s7
	s_mul_hi_u32 s73, s26, s12
	s_mul_hi_u32 s99, s13, s12
	s_mul_i32 s12, s13, s12
	s_add_u32 s71, s73, s71
	s_addc_u32 s70, 0, s70
	s_add_u32 s12, s71, s12
	s_addc_u32 s12, s70, s99
	s_addc_u32 s70, s72, 0
	s_add_u32 s7, s12, s7
	s_addc_u32 s12, 0, s70
	s_mul_hi_u32 s70, s33, s7
	s_mul_i32 s7, s33, s7
	s_mul_i32 s12, s33, s12
	v_sub_co_u32 v4, s7, s26, s7
	s_add_i32 s70, s70, s12
	s_cmp_lg_u32 s7, 0
	s_delay_alu instid0(VALU_DEP_1) | instskip(SKIP_2) | instid1(VALU_DEP_1)
	v_sub_co_u32 v5, s7, v4, s33
	s_subb_u32 s12, s13, s70
	s_cmp_lg_u32 s7, 0
	v_cmp_le_u32_e32 vcc_lo, s33, v5
	v_sub_co_u32 v6, s7, v5, s33
	s_subb_u32 s70, s12, 0
	s_cmp_lg_u32 s7, 0
	v_cndmask_b32_e64 v7, 0, -1, vcc_lo
	s_subb_u32 s7, s70, 0
	s_cmp_eq_u32 s70, 0
	v_mov_b32_e32 v9, s7
	s_cselect_b32 vcc_lo, -1, 0
	s_cmp_eq_u32 s12, 0
	v_cndmask_b32_e32 v7, -1, v7, vcc_lo
	v_cmp_le_u32_e32 vcc_lo, s33, v4
	s_cselect_b32 s7, -1, 0
	v_cndmask_b32_e64 v8, 0, -1, vcc_lo
	s_delay_alu instid0(VALU_DEP_3) | instskip(NEXT) | instid1(VALU_DEP_2)
	v_cmp_ne_u32_e32 vcc_lo, 0, v7
	v_cndmask_b32_e64 v7, -1, v8, s7
	v_cndmask_b32_e32 v8, s70, v9, vcc_lo
	v_cndmask_b32_e32 v6, v5, v6, vcc_lo
	s_mov_b32 s7, 0
	s_delay_alu instid0(VALU_DEP_3) | instskip(NEXT) | instid1(VALU_DEP_3)
	v_cmp_ne_u32_e32 vcc_lo, 0, v7
	v_cndmask_b32_e32 v5, s12, v8, vcc_lo
	s_delay_alu instid0(VALU_DEP_3)
	v_cndmask_b32_e32 v4, v4, v6, vcc_lo
	s_branch .LBB204_421
.LBB204_417:                            ;   in Loop: Header=BB204_6 Depth=1
                                        ; implicit-def: $vgpr2_vgpr3
	s_branch .LBB204_371
.LBB204_418:                            ;   in Loop: Header=BB204_6 Depth=1
                                        ; implicit-def: $vgpr2_vgpr3
	s_branch .LBB204_387
.LBB204_419:                            ;   in Loop: Header=BB204_6 Depth=1
	s_mov_b32 s7, -1
	s_mov_b32 s13, 0
                                        ; implicit-def: $sgpr8
                                        ; implicit-def: $vgpr40
	s_branch .LBB204_433
.LBB204_420:                            ;   in Loop: Header=BB204_6 Depth=1
	s_mov_b32 s7, -1
                                        ; implicit-def: $vgpr4_vgpr5
.LBB204_421:                            ;   in Loop: Header=BB204_6 Depth=1
	s_delay_alu instid0(SALU_CYCLE_1)
	s_and_not1_b32 vcc_lo, exec_lo, s7
	s_cbranch_vccnz .LBB204_423
; %bb.422:                              ;   in Loop: Header=BB204_6 Depth=1
	v_cvt_f32_u32_e32 v4, s33
	s_sub_i32 s7, 0, s33
	s_delay_alu instid0(VALU_DEP_1) | instskip(SKIP_2) | instid1(VALU_DEP_1)
	v_rcp_iflag_f32_e32 v4, v4
	s_waitcnt_depctr 0xfff
	v_mul_f32_e32 v4, 0x4f7ffffe, v4
	v_cvt_u32_f32_e32 v4, v4
	s_delay_alu instid0(VALU_DEP_1) | instskip(NEXT) | instid1(VALU_DEP_1)
	v_mul_lo_u32 v5, s7, v4
	v_mul_hi_u32 v5, v4, v5
	s_delay_alu instid0(VALU_DEP_1) | instskip(NEXT) | instid1(VALU_DEP_1)
	v_add_nc_u32_e32 v4, v4, v5
	v_mul_hi_u32 v4, s26, v4
	s_delay_alu instid0(VALU_DEP_1) | instskip(NEXT) | instid1(VALU_DEP_1)
	v_mul_lo_u32 v4, v4, s33
	v_sub_nc_u32_e32 v4, s26, v4
	s_delay_alu instid0(VALU_DEP_1) | instskip(SKIP_1) | instid1(VALU_DEP_2)
	v_subrev_nc_u32_e32 v5, s33, v4
	v_cmp_le_u32_e32 vcc_lo, s33, v4
	v_cndmask_b32_e32 v4, v4, v5, vcc_lo
	s_delay_alu instid0(VALU_DEP_1) | instskip(SKIP_1) | instid1(VALU_DEP_2)
	v_subrev_nc_u32_e32 v5, s33, v4
	v_cmp_le_u32_e32 vcc_lo, s33, v4
	v_cndmask_b32_e32 v12, v4, v5, vcc_lo
	s_delay_alu instid0(VALU_DEP_1)
	v_dual_mov_b32 v4, v12 :: v_dual_mov_b32 v5, v13
.LBB204_423:                            ;   in Loop: Header=BB204_6 Depth=1
	s_delay_alu instid0(VALU_DEP_1) | instskip(NEXT) | instid1(VALU_DEP_2)
	v_sub_co_u32 v4, vcc_lo, s26, v4
	v_sub_co_ci_u32_e32 v5, vcc_lo, s13, v5, vcc_lo
	s_mov_b32 s13, 0
	s_mov_b32 s12, exec_lo
                                        ; implicit-def: $vgpr40
	s_delay_alu instid0(VALU_DEP_1)
	v_cmpx_gt_u64_e64 v[4:5], v[0:1]
	s_cbranch_execz .LBB204_432
; %bb.424:                              ;   in Loop: Header=BB204_6 Depth=1
	v_dual_mov_b32 v8, v31 :: v_dual_mov_b32 v7, v1
	v_mov_b32_e32 v6, v0
                                        ; implicit-def: $sgpr26
	s_set_inst_prefetch_distance 0x1
	s_branch .LBB204_426
	.p2align	6
.LBB204_425:                            ;   in Loop: Header=BB204_426 Depth=2
	s_or_b32 exec_lo, exec_lo, s7
	s_waitcnt lgkmcnt(0)
	s_barrier
	buffer_gl0_inv
	ds_load_b32 v9, v13 offset:3072
	v_add_co_u32 v6, vcc_lo, v6, s33
	v_add_co_ci_u32_e32 v7, vcc_lo, 0, v7, vcc_lo
	v_add_nc_u32_e32 v8, s84, v8
	s_waitcnt lgkmcnt(0)
	s_barrier
	s_delay_alu instid0(VALU_DEP_2) | instskip(SKIP_2) | instid1(VALU_DEP_1)
	v_cmp_ge_u64_e32 vcc_lo, v[6:7], v[4:5]
	buffer_gl0_inv
	v_cmp_neq_f16_e64 s7, 0, v9
	s_or_b32 s70, vcc_lo, s7
	s_delay_alu instid0(SALU_CYCLE_1) | instskip(NEXT) | instid1(SALU_CYCLE_1)
	s_and_b32 s70, exec_lo, s70
	s_or_b32 s13, s70, s13
	s_and_not1_b32 s26, s26, exec_lo
	s_and_b32 s7, s7, exec_lo
	s_delay_alu instid0(SALU_CYCLE_1)
	s_or_b32 s26, s26, s7
	s_and_not1_b32 exec_lo, exec_lo, s13
	s_cbranch_execz .LBB204_431
.LBB204_426:                            ;   Parent Loop BB204_6 Depth=1
                                        ; =>  This Inner Loop Header: Depth=2
	s_delay_alu instid0(VALU_DEP_1)
	v_cmp_gt_u64_e32 vcc_lo, s[8:9], v[6:7]
	v_mov_b32_e32 v9, 0
	s_and_saveexec_b32 s7, vcc_lo
	s_cbranch_execz .LBB204_428
; %bb.427:                              ;   in Loop: Header=BB204_426 Depth=2
	ds_load_u16 v9, v8
.LBB204_428:                            ;   in Loop: Header=BB204_426 Depth=2
	s_or_b32 exec_lo, exec_lo, s7
	s_and_saveexec_b32 s7, vcc_lo
	s_cbranch_execz .LBB204_425
; %bb.429:                              ;   in Loop: Header=BB204_426 Depth=2
	s_waitcnt lgkmcnt(0)
	v_cmp_lt_i16_e32 vcc_lo, -1, v9
	v_and_b32_e32 v12, 0xffff, v9
	v_cndmask_b32_e32 v23, 0xffff, v37, vcc_lo
	v_cmp_o_f16_e32 vcc_lo, v9, v9
	s_delay_alu instid0(VALU_DEP_2) | instskip(NEXT) | instid1(VALU_DEP_1)
	v_xor_b32_e32 v12, v23, v12
	v_cndmask_b32_e32 v12, 0xffff, v12, vcc_lo
	s_delay_alu instid0(VALU_DEP_1) | instskip(NEXT) | instid1(VALU_DEP_1)
	v_and_b32_e32 v12, v12, v38
	v_cmp_eq_u32_e32 vcc_lo, v12, v39
	s_and_b32 exec_lo, exec_lo, vcc_lo
	s_cbranch_execz .LBB204_425
; %bb.430:                              ;   in Loop: Header=BB204_426 Depth=2
	v_perm_b32 v9, v9, s87, 0x5040100
	ds_store_b32 v13, v9 offset:3072
	s_branch .LBB204_425
.LBB204_431:                            ;   in Loop: Header=BB204_6 Depth=1
	s_set_inst_prefetch_distance 0x2
	s_or_b32 exec_lo, exec_lo, s13
	v_lshrrev_b32_e32 v40, 16, v9
	s_and_b32 s13, s26, exec_lo
.LBB204_432:                            ;   in Loop: Header=BB204_6 Depth=1
	s_or_b32 exec_lo, exec_lo, s12
	s_mov_b32 s7, 0
	s_mov_b32 s8, -1
.LBB204_433:                            ;   in Loop: Header=BB204_6 Depth=1
	s_and_b32 vcc_lo, exec_lo, s7
	s_mov_b32 s9, s7
	s_cbranch_vccz .LBB204_449
; %bb.434:                              ;   in Loop: Header=BB204_6 Depth=1
	s_mov_b32 s26, s53
	s_delay_alu instid0(SALU_CYCLE_1)
	s_cmp_lg_u64 s[26:27], 0
	s_cbranch_scc0 .LBB204_436
; %bb.435:                              ;   in Loop: Header=BB204_6 Depth=1
	v_cvt_f32_u32_e32 v4, s33
	s_sub_u32 s9, 0, s33
	s_subb_u32 s12, 0, 0
	s_delay_alu instid0(VALU_DEP_1) | instskip(NEXT) | instid1(VALU_DEP_1)
	v_fmac_f32_e64 v4, 0, 0x4f800000
	v_rcp_f32_e32 v4, v4
	s_waitcnt_depctr 0xfff
	v_mul_f32_e32 v4, 0x5f7ffffc, v4
	s_delay_alu instid0(VALU_DEP_1) | instskip(NEXT) | instid1(VALU_DEP_1)
	v_mul_f32_e32 v5, 0x2f800000, v4
	v_trunc_f32_e32 v5, v5
	s_delay_alu instid0(VALU_DEP_1) | instskip(SKIP_1) | instid1(VALU_DEP_2)
	v_fmac_f32_e32 v4, 0xcf800000, v5
	v_cvt_u32_f32_e32 v5, v5
	v_cvt_u32_f32_e32 v4, v4
	s_delay_alu instid0(VALU_DEP_2) | instskip(NEXT) | instid1(VALU_DEP_2)
	v_readfirstlane_b32 s7, v5
	v_readfirstlane_b32 s8, v4
	s_delay_alu instid0(VALU_DEP_2) | instskip(NEXT) | instid1(VALU_DEP_1)
	s_mul_i32 s13, s9, s7
	s_mul_hi_u32 s70, s9, s8
	s_mul_i32 s26, s12, s8
	s_add_i32 s13, s70, s13
	s_mul_i32 s71, s9, s8
	s_add_i32 s13, s13, s26
	s_mul_hi_u32 s70, s8, s71
	s_mul_hi_u32 s72, s7, s71
	s_mul_i32 s26, s7, s71
	s_mul_hi_u32 s71, s8, s13
	s_mul_i32 s8, s8, s13
	s_mul_hi_u32 s73, s7, s13
	s_add_u32 s8, s70, s8
	s_addc_u32 s70, 0, s71
	s_add_u32 s8, s8, s26
	s_mul_i32 s13, s7, s13
	s_addc_u32 s8, s70, s72
	s_addc_u32 s26, s73, 0
	s_add_u32 s8, s8, s13
	s_addc_u32 s13, 0, s26
	v_add_co_u32 v4, s8, v4, s8
	s_delay_alu instid0(VALU_DEP_1) | instskip(SKIP_1) | instid1(VALU_DEP_1)
	s_cmp_lg_u32 s8, 0
	s_addc_u32 s7, s7, s13
	v_readfirstlane_b32 s8, v4
	s_mul_i32 s13, s9, s7
	s_delay_alu instid0(VALU_DEP_1)
	s_mul_hi_u32 s26, s9, s8
	s_mul_i32 s12, s12, s8
	s_add_i32 s13, s26, s13
	s_mul_i32 s9, s9, s8
	s_add_i32 s13, s13, s12
	s_mul_hi_u32 s26, s7, s9
	s_mul_i32 s70, s7, s9
	s_mul_hi_u32 s9, s8, s9
	s_mul_hi_u32 s71, s8, s13
	s_mul_i32 s8, s8, s13
	s_mul_hi_u32 s12, s7, s13
	s_add_u32 s8, s9, s8
	s_addc_u32 s9, 0, s71
	s_add_u32 s8, s8, s70
	s_mul_i32 s13, s7, s13
	s_addc_u32 s8, s9, s26
	s_addc_u32 s9, s12, 0
	s_add_u32 s8, s8, s13
	s_addc_u32 s9, 0, s9
	v_add_co_u32 v4, s8, v4, s8
	s_delay_alu instid0(VALU_DEP_1) | instskip(SKIP_1) | instid1(VALU_DEP_1)
	s_cmp_lg_u32 s8, 0
	s_addc_u32 s7, s7, s9
	v_readfirstlane_b32 s8, v4
	s_mul_i32 s12, s78, s7
	s_mul_hi_u32 s9, s78, s7
	s_mul_hi_u32 s13, s27, s7
	s_mul_i32 s7, s27, s7
	s_mul_hi_u32 s26, s78, s8
	s_mul_hi_u32 s70, s27, s8
	s_mul_i32 s8, s27, s8
	s_add_u32 s12, s26, s12
	s_addc_u32 s9, 0, s9
	s_add_u32 s8, s12, s8
	s_addc_u32 s8, s9, s70
	s_addc_u32 s9, s13, 0
	s_add_u32 s7, s8, s7
	s_addc_u32 s8, 0, s9
	s_mul_hi_u32 s9, s33, s7
	s_mul_i32 s7, s33, s7
	s_mul_i32 s8, s33, s8
	v_sub_co_u32 v4, s7, s78, s7
	s_add_i32 s9, s9, s8
	s_cmp_lg_u32 s7, 0
	s_delay_alu instid0(VALU_DEP_1) | instskip(SKIP_2) | instid1(VALU_DEP_1)
	v_sub_co_u32 v5, s7, v4, s33
	s_subb_u32 s8, s27, s9
	s_cmp_lg_u32 s7, 0
	v_cmp_le_u32_e32 vcc_lo, s33, v5
	v_sub_co_u32 v6, s7, v5, s33
	s_subb_u32 s9, s8, 0
	s_cmp_lg_u32 s7, 0
	v_cndmask_b32_e64 v7, 0, -1, vcc_lo
	s_subb_u32 s7, s9, 0
	s_cmp_eq_u32 s9, 0
	v_mov_b32_e32 v9, s7
	s_cselect_b32 vcc_lo, -1, 0
	s_cmp_eq_u32 s8, 0
	v_cndmask_b32_e32 v7, -1, v7, vcc_lo
	v_cmp_le_u32_e32 vcc_lo, s33, v4
	s_cselect_b32 s7, -1, 0
	v_cndmask_b32_e64 v8, 0, -1, vcc_lo
	s_delay_alu instid0(VALU_DEP_3) | instskip(NEXT) | instid1(VALU_DEP_2)
	v_cmp_ne_u32_e32 vcc_lo, 0, v7
	v_cndmask_b32_e64 v7, -1, v8, s7
	v_cndmask_b32_e32 v8, s9, v9, vcc_lo
	v_cndmask_b32_e32 v6, v5, v6, vcc_lo
	s_mov_b32 s7, 0
	s_delay_alu instid0(VALU_DEP_3) | instskip(NEXT) | instid1(VALU_DEP_3)
	v_cmp_ne_u32_e32 vcc_lo, 0, v7
	v_cndmask_b32_e32 v5, s8, v8, vcc_lo
	s_delay_alu instid0(VALU_DEP_3)
	v_cndmask_b32_e32 v4, v4, v6, vcc_lo
	s_branch .LBB204_437
.LBB204_436:                            ;   in Loop: Header=BB204_6 Depth=1
	s_mov_b32 s7, -1
                                        ; implicit-def: $vgpr4_vgpr5
.LBB204_437:                            ;   in Loop: Header=BB204_6 Depth=1
	s_delay_alu instid0(SALU_CYCLE_1)
	s_and_not1_b32 vcc_lo, exec_lo, s7
	s_cbranch_vccnz .LBB204_439
; %bb.438:                              ;   in Loop: Header=BB204_6 Depth=1
	v_cvt_f32_u32_e32 v4, s33
	s_sub_i32 s7, 0, s33
	s_delay_alu instid0(VALU_DEP_1) | instskip(SKIP_2) | instid1(VALU_DEP_1)
	v_rcp_iflag_f32_e32 v4, v4
	s_waitcnt_depctr 0xfff
	v_mul_f32_e32 v4, 0x4f7ffffe, v4
	v_cvt_u32_f32_e32 v4, v4
	s_delay_alu instid0(VALU_DEP_1) | instskip(NEXT) | instid1(VALU_DEP_1)
	v_mul_lo_u32 v5, s7, v4
	v_mul_hi_u32 v5, v4, v5
	s_delay_alu instid0(VALU_DEP_1) | instskip(NEXT) | instid1(VALU_DEP_1)
	v_add_nc_u32_e32 v4, v4, v5
	v_mul_hi_u32 v4, s78, v4
	s_delay_alu instid0(VALU_DEP_1) | instskip(NEXT) | instid1(VALU_DEP_1)
	v_mul_lo_u32 v4, v4, s33
	v_sub_nc_u32_e32 v4, s78, v4
	s_delay_alu instid0(VALU_DEP_1) | instskip(SKIP_1) | instid1(VALU_DEP_2)
	v_subrev_nc_u32_e32 v5, s33, v4
	v_cmp_le_u32_e32 vcc_lo, s33, v4
	v_cndmask_b32_e32 v4, v4, v5, vcc_lo
	s_delay_alu instid0(VALU_DEP_1) | instskip(SKIP_1) | instid1(VALU_DEP_2)
	v_subrev_nc_u32_e32 v5, s33, v4
	v_cmp_le_u32_e32 vcc_lo, s33, v4
	v_cndmask_b32_e32 v12, v4, v5, vcc_lo
	s_delay_alu instid0(VALU_DEP_1)
	v_dual_mov_b32 v4, v12 :: v_dual_mov_b32 v5, v13
.LBB204_439:                            ;   in Loop: Header=BB204_6 Depth=1
	s_delay_alu instid0(VALU_DEP_1) | instskip(NEXT) | instid1(VALU_DEP_2)
	v_sub_co_u32 v4, vcc_lo, s78, v4
	v_sub_co_ci_u32_e32 v5, vcc_lo, s27, v5, vcc_lo
	s_mov_b32 s13, 0
	s_mov_b32 s8, exec_lo
                                        ; implicit-def: $vgpr40
	s_delay_alu instid0(VALU_DEP_1)
	v_cmpx_gt_u64_e64 v[4:5], v[0:1]
	s_cbranch_execz .LBB204_448
; %bb.440:                              ;   in Loop: Header=BB204_6 Depth=1
	v_dual_mov_b32 v6, v10 :: v_dual_mov_b32 v7, v11
	v_dual_mov_b32 v9, v1 :: v_dual_mov_b32 v8, v0
	s_mov_b32 s9, 0
                                        ; implicit-def: $sgpr12
	s_branch .LBB204_442
.LBB204_441:                            ;   in Loop: Header=BB204_442 Depth=2
	s_or_b32 exec_lo, exec_lo, s7
	s_waitcnt vmcnt(0) lgkmcnt(0)
	s_barrier
	buffer_gl0_inv
	ds_load_b32 v12, v13 offset:3072
	v_add_co_u32 v8, vcc_lo, v8, s33
	v_add_co_ci_u32_e32 v9, vcc_lo, 0, v9, vcc_lo
	s_waitcnt lgkmcnt(0)
	s_barrier
	buffer_gl0_inv
	v_cmp_ge_u64_e32 vcc_lo, v[8:9], v[4:5]
	v_cmp_neq_f16_e64 s7, 0, v12
	s_delay_alu instid0(VALU_DEP_1)
	s_or_b32 s13, vcc_lo, s7
	v_add_co_u32 v6, vcc_lo, v6, s34
	s_and_b32 s13, exec_lo, s13
	v_add_co_ci_u32_e32 v7, vcc_lo, s35, v7, vcc_lo
	s_or_b32 s9, s13, s9
	s_and_not1_b32 s12, s12, exec_lo
	s_and_b32 s7, s7, exec_lo
	s_delay_alu instid0(SALU_CYCLE_1)
	s_or_b32 s12, s12, s7
	s_and_not1_b32 exec_lo, exec_lo, s9
	s_cbranch_execz .LBB204_447
.LBB204_442:                            ;   Parent Loop BB204_6 Depth=1
                                        ; =>  This Inner Loop Header: Depth=2
	s_delay_alu instid0(VALU_DEP_1)
	v_cmp_gt_u64_e32 vcc_lo, s[28:29], v[8:9]
	v_mov_b32_e32 v12, 0
	s_and_saveexec_b32 s7, vcc_lo
	s_cbranch_execz .LBB204_444
; %bb.443:                              ;   in Loop: Header=BB204_442 Depth=2
	global_load_u16 v12, v[6:7], off
.LBB204_444:                            ;   in Loop: Header=BB204_442 Depth=2
	s_or_b32 exec_lo, exec_lo, s7
	s_and_saveexec_b32 s7, vcc_lo
	s_cbranch_execz .LBB204_441
; %bb.445:                              ;   in Loop: Header=BB204_442 Depth=2
	s_waitcnt vmcnt(0)
	v_cmp_lt_i16_e32 vcc_lo, -1, v12
	v_dual_cndmask_b32 v24, 0xffff, v37 :: v_dual_and_b32 v23, 0xffff, v12
	v_cmp_o_f16_e32 vcc_lo, v12, v12
	s_delay_alu instid0(VALU_DEP_2) | instskip(NEXT) | instid1(VALU_DEP_1)
	v_xor_b32_e32 v23, v24, v23
	v_cndmask_b32_e32 v23, 0xffff, v23, vcc_lo
	s_delay_alu instid0(VALU_DEP_1) | instskip(NEXT) | instid1(VALU_DEP_1)
	v_and_b32_e32 v23, v23, v38
	v_cmp_eq_u32_e32 vcc_lo, v23, v39
	s_and_b32 exec_lo, exec_lo, vcc_lo
	s_cbranch_execz .LBB204_441
; %bb.446:                              ;   in Loop: Header=BB204_442 Depth=2
	v_perm_b32 v12, v12, s87, 0x5040100
	ds_store_b32 v13, v12 offset:3072
	s_branch .LBB204_441
.LBB204_447:                            ;   in Loop: Header=BB204_6 Depth=1
	s_or_b32 exec_lo, exec_lo, s9
	v_lshrrev_b32_e32 v40, 16, v12
	s_and_b32 s13, s12, exec_lo
.LBB204_448:                            ;   in Loop: Header=BB204_6 Depth=1
	s_or_b32 exec_lo, exec_lo, s8
	s_mov_b32 s8, 0
	s_mov_b32 s7, -1
	s_mov_b32 s9, 0
.LBB204_449:                            ;   in Loop: Header=BB204_6 Depth=1
	s_or_not1_b32 s13, s13, exec_lo
.LBB204_450:                            ;   in Loop: Header=BB204_6 Depth=1
	s_or_b32 exec_lo, exec_lo, s69
	s_mov_b32 s26, 0
                                        ; implicit-def: $vgpr7
                                        ; implicit-def: $vgpr4_vgpr5
	s_and_saveexec_b32 s12, s13
	s_cbranch_execz .LBB204_462
; %bb.451:                              ;   in Loop: Header=BB204_6 Depth=1
	v_dual_mov_b32 v4, 1 :: v_dual_mov_b32 v7, 1
	v_mov_b32_e32 v5, 0
	s_xor_b32 s26, s68, -1
	s_delay_alu instid0(SALU_CYCLE_1)
	s_and_saveexec_b32 s13, s26
	s_cbranch_execz .LBB204_461
; %bb.452:                              ;   in Loop: Header=BB204_6 Depth=1
	s_mov_b32 s26, exec_lo
                                        ; implicit-def: $sgpr68
	v_cmpx_ge_u64_e64 s[10:11], v[2:3]
	s_xor_b32 s26, exec_lo, s26
	s_cbranch_execz .LBB204_458
; %bb.453:                              ;   in Loop: Header=BB204_6 Depth=1
	ds_load_b64 v[4:5], v13 offset:5120
	s_waitcnt lgkmcnt(0)
	v_cmp_ne_u64_e32 vcc_lo, 0, v[4:5]
	s_cbranch_vccnz .LBB204_457
; %bb.454:                              ;   in Loop: Header=BB204_6 Depth=1
	s_and_saveexec_b32 s68, s5
	s_cbranch_execz .LBB204_456
; %bb.455:                              ;   in Loop: Header=BB204_6 Depth=1
	v_dual_mov_b32 v4, s10 :: v_dual_mov_b32 v5, s11
	ds_store_b64 v13, v[4:5] offset:5128
.LBB204_456:                            ;   in Loop: Header=BB204_6 Depth=1
	s_or_b32 exec_lo, exec_lo, s68
	s_waitcnt lgkmcnt(0)
	s_barrier
	buffer_gl0_inv
.LBB204_457:                            ;   in Loop: Header=BB204_6 Depth=1
	v_and_b32_e32 v39, s21, v39
	v_or_b32_e32 v38, s20, v38
	s_mov_b32 s68, 5
.LBB204_458:                            ;   in Loop: Header=BB204_6 Depth=1
	s_or_saveexec_b32 s20, s26
	v_mov_b32_e32 v7, s68
	s_xor_b32 exec_lo, exec_lo, s20
; %bb.459:                              ;   in Loop: Header=BB204_6 Depth=1
	v_sub_co_u32 v2, vcc_lo, v2, s10
	v_subrev_co_ci_u32_e32 v3, vcc_lo, s11, v3, vcc_lo
	v_mov_b32_e32 v7, 5
; %bb.460:                              ;   in Loop: Header=BB204_6 Depth=1
	s_or_b32 exec_lo, exec_lo, s20
	s_delay_alu instid0(VALU_DEP_2)
	v_dual_mov_b32 v5, v3 :: v_dual_mov_b32 v4, v2
.LBB204_461:                            ;   in Loop: Header=BB204_6 Depth=1
	s_or_b32 exec_lo, exec_lo, s13
	s_delay_alu instid0(SALU_CYCLE_1)
	s_mov_b32 s26, exec_lo
.LBB204_462:                            ;   in Loop: Header=BB204_6 Depth=1
	s_or_b32 exec_lo, exec_lo, s12
	s_delay_alu instid0(VALU_DEP_1)
	v_dual_mov_b32 v2, v4 :: v_dual_mov_b32 v3, v5
	s_or_not1_b32 s12, s26, exec_lo
.LBB204_463:                            ;   in Loop: Header=BB204_6 Depth=1
	s_or_b32 exec_lo, exec_lo, s22
	s_delay_alu instid0(SALU_CYCLE_1)
	s_and_not1_b32 s10, s14, exec_lo
	s_and_b32 s7, s7, exec_lo
	s_and_b32 s8, s8, exec_lo
	s_or_b32 s14, s10, s7
	s_and_not1_b32 s7, s15, exec_lo
	s_and_not1_b32 s10, s66, exec_lo
	s_and_b32 s9, s9, exec_lo
	v_dual_mov_b32 v5, v3 :: v_dual_mov_b32 v4, v2
	s_or_b32 s15, s7, s8
	s_or_b32 s66, s10, s9
	s_and_b32 s26, s12, exec_lo
.LBB204_464:                            ;   in Loop: Header=BB204_6 Depth=1
	s_or_b32 exec_lo, exec_lo, s67
	s_delay_alu instid0(SALU_CYCLE_1)
	s_and_b32 s14, s14, exec_lo
	s_and_b32 s9, s15, exec_lo
	;; [unrolled: 1-line block ×3, first 2 shown]
	s_or_not1_b32 s7, s26, exec_lo
.LBB204_465:                            ;   in Loop: Header=BB204_6 Depth=1
	s_or_b32 exec_lo, exec_lo, s65
	s_delay_alu instid0(SALU_CYCLE_1)
	s_and_not1_b32 s10, s16, exec_lo
	s_and_b32 s11, s14, exec_lo
	s_and_b32 s9, s9, exec_lo
	s_or_b32 s16, s10, s11
	s_and_not1_b32 s10, s17, exec_lo
	s_and_not1_b32 s11, s63, exec_lo
	s_and_b32 s8, s8, exec_lo
	v_dual_mov_b32 v2, v4 :: v_dual_mov_b32 v3, v5
	s_or_b32 s17, s10, s9
	s_or_b32 s63, s11, s8
	s_and_b32 s26, s7, exec_lo
.LBB204_466:                            ;   in Loop: Header=BB204_6 Depth=1
	s_or_b32 exec_lo, exec_lo, s64
	s_delay_alu instid0(SALU_CYCLE_1)
	s_and_b32 s16, s16, exec_lo
	s_and_b32 s9, s17, exec_lo
	;; [unrolled: 1-line block ×3, first 2 shown]
	s_or_not1_b32 s17, s26, exec_lo
.LBB204_467:                            ;   in Loop: Header=BB204_6 Depth=1
	s_or_b32 exec_lo, exec_lo, s62
	s_mov_b32 s7, s25
	s_mov_b32 s10, s24
	s_and_saveexec_b32 s11, s17
; %bb.468:                              ;   in Loop: Header=BB204_6 Depth=1
	v_cmp_eq_u32_e32 vcc_lo, 5, v7
	v_cmp_ne_u32_e64 s7, 5, v7
	s_and_not1_b32 s10, s24, exec_lo
	s_and_not1_b32 s12, s25, exec_lo
	;; [unrolled: 1-line block ×3, first 2 shown]
	s_and_b32 s13, vcc_lo, exec_lo
	s_and_b32 s7, s7, exec_lo
	s_and_not1_b32 s9, s9, exec_lo
	s_and_not1_b32 s8, s8, exec_lo
	s_or_b32 s10, s10, s7
	s_or_b32 s7, s12, s13
; %bb.469:                              ;   in Loop: Header=BB204_6 Depth=1
	s_or_b32 exec_lo, exec_lo, s11
	s_delay_alu instid0(SALU_CYCLE_1)
	s_and_not1_b32 s11, s18, exec_lo
	s_and_b32 s12, s16, exec_lo
	s_and_b32 s9, s9, exec_lo
	s_or_b32 s18, s11, s12
	s_and_not1_b32 s11, s19, exec_lo
	s_and_not1_b32 s12, s23, exec_lo
	s_and_b32 s8, s8, exec_lo
	v_dual_mov_b32 v25, v39 :: v_dual_mov_b32 v26, v38
	v_mov_b32_e32 v6, v40
	s_or_b32 s19, s11, s9
	s_or_b32 s23, s12, s8
	s_and_not1_b32 s8, s24, exec_lo
	s_and_b32 s9, s10, exec_lo
	s_and_not1_b32 s10, s25, exec_lo
	s_and_b32 s7, s7, exec_lo
	s_or_b32 s24, s8, s9
	s_or_b32 s25, s10, s7
.LBB204_470:                            ;   in Loop: Header=BB204_6 Depth=1
	s_or_b32 exec_lo, exec_lo, s52
	s_mov_b32 s62, s23
	s_mov_b32 s52, s23
	s_and_saveexec_b32 s7, s25
.LBB204_471:                            ;   in Loop: Header=BB204_6 Depth=1
	v_mov_b32_e32 v7, 0
	s_and_not1_b32 s23, s23, exec_lo
	s_and_not1_b32 s18, s18, exec_lo
	;; [unrolled: 1-line block ×5, first 2 shown]
	s_or_b32 s24, s24, exec_lo
.LBB204_472:                            ;   in Loop: Header=BB204_6 Depth=1
	s_or_b32 exec_lo, exec_lo, s7
	s_delay_alu instid0(SALU_CYCLE_1)
	s_and_not1_b32 s7, s98, exec_lo
	s_and_b32 s9, s23, exec_lo
	s_and_not1_b32 s10, s95, exec_lo
	s_or_b32 s98, s7, s9
	s_and_not1_b32 s7, s97, exec_lo
	s_and_b32 s9, s18, exec_lo
	s_and_b32 s11, s19, exec_lo
	s_or_b32 s97, s7, s9
	s_or_b32 s95, s10, s11
	s_and_not1_b32 s7, s96, exec_lo
	s_and_b32 s9, s62, exec_lo
	s_and_not1_b32 s10, s94, exec_lo
	s_and_b32 s11, s52, exec_lo
	s_mov_b32 s8, -1
	s_or_b32 s96, s7, s9
	s_or_b32 s94, s10, s11
                                        ; implicit-def: $vgpr38
                                        ; implicit-def: $vgpr39
                                        ; implicit-def: $vgpr23_vgpr24
                                        ; implicit-def: $vgpr40
	s_and_saveexec_b32 s7, s24
	s_delay_alu instid0(SALU_CYCLE_1)
	s_xor_b32 s7, exec_lo, s7
	s_cbranch_execz .LBB204_5
; %bb.473:                              ;   in Loop: Header=BB204_6 Depth=1
	s_mov_b32 s9, -1
	s_mov_b32 s10, exec_lo
	v_cmpx_eq_u32_e32 0, v7
	s_cbranch_execz .LBB204_4
; %bb.474:                              ;   in Loop: Header=BB204_6 Depth=1
	s_xor_b32 s89, s89, 1
	s_add_i32 s11, s85, -2
	s_cmp_eq_u32 s85, 0
	s_mov_b32 s85, s11
	s_cselect_b32 s8, -1, 0
	s_xor_b32 s9, exec_lo, -1
	s_or_not1_b32 s8, s8, exec_lo
	s_branch .LBB204_4
.LBB204_475:
	s_or_b32 exec_lo, exec_lo, s86
	s_xor_b32 s7, s93, -1
	s_xor_b32 s9, s91, -1
	;; [unrolled: 1-line block ×5, first 2 shown]
	s_mov_b32 s8, 0
	s_and_saveexec_b32 s12, s11
	s_delay_alu instid0(SALU_CYCLE_1)
	s_xor_b32 s12, exec_lo, s12
	s_cbranch_execz .LBB204_534
; %bb.476:
	s_and_saveexec_b32 s11, s10
	s_delay_alu instid0(SALU_CYCLE_1)
	s_xor_b32 s13, exec_lo, s11
	s_cbranch_execz .LBB204_532
; %bb.477:
	;; [unrolled: 5-line block ×4, first 2 shown]
	s_and_saveexec_b32 s7, s6
	s_delay_alu instid0(SALU_CYCLE_1)
	s_xor_b32 s6, exec_lo, s7
; %bb.480:
	v_and_b32_e32 v2, 0x8000, v25
	v_mov_b32_e32 v3, 0xffff
	s_delay_alu instid0(VALU_DEP_2) | instskip(NEXT) | instid1(VALU_DEP_2)
	v_cmp_eq_u32_e32 vcc_lo, 0, v2
	v_cndmask_b32_e32 v2, 0x8000, v3, vcc_lo
	s_delay_alu instid0(VALU_DEP_1)
	v_xor_b32_e32 v6, v2, v25
; %bb.481:
	s_or_b32 exec_lo, exec_lo, s6
	s_and_saveexec_b32 s6, s5
	s_cbranch_execz .LBB204_483
; %bb.482:
	v_mov_b32_e32 v2, 0
	s_delay_alu instid0(VALU_DEP_1)
	v_mov_b32_e32 v3, v2
	ds_store_b64 v2, v[2:3] offset:5136
.LBB204_483:
	s_or_b32 exec_lo, exec_lo, s6
	v_mov_b32_e32 v18, 0
	s_waitcnt lgkmcnt(0)
	s_barrier
	buffer_gl0_inv
	s_and_saveexec_b32 s5, s3
	s_cbranch_execz .LBB204_485
; %bb.484:
	global_load_u16 v18, v[10:11], off
.LBB204_485:
	s_or_b32 exec_lo, exec_lo, s5
	v_mov_b32_e32 v17, 0x8000
	v_cmp_lt_i16_e32 vcc_lo, -1, v6
	s_clause 0x1
	s_load_b64 s[6:7], s[0:1], 0x368
	s_load_b64 s[8:9], s[0:1], 0x510
	s_add_u32 s5, s28, 31
	s_mul_i32 s16, s51, s42
	s_mul_hi_u32 s17, s50, s42
	v_dual_cndmask_b32 v3, 0xffff, v17 :: v_dual_and_b32 v2, 0xffff, v6
	s_addc_u32 s11, s29, 0
	s_and_b32 s10, s5, 0xffffffe0
	s_add_i32 s1, s17, s16
	s_mul_i32 s5, s47, s42
	s_mul_hi_u32 s16, s46, s42
	s_mul_i32 s0, s50, s42
	s_add_i32 s19, s16, s5
	v_readlane_b32 s16, v45, 2
	v_readlane_b32 s17, v45, 3
	v_xor_b32_e32 v2, v3, v2
	v_cmp_o_f16_e32 vcc_lo, v6, v6
	s_lshl_b64 s[0:1], s[0:1], 1
	s_mul_i32 s18, s46, s42
	s_add_u32 s5, s16, s0
	s_addc_u32 s16, s17, s1
	s_lshl_b64 s[0:1], s[18:19], 3
	v_readlane_b32 s18, v45, 0
	v_readlane_b32 s19, v45, 1
	v_cndmask_b32_e32 v16, 0xffff, v2, vcc_lo
	v_cmp_gt_u64_e32 vcc_lo, s[10:11], v[0:1]
	s_mov_b32 s21, -1
	s_add_u32 s17, s18, s0
	s_addc_u32 s18, s19, s1
	s_mov_b32 s19, 0
	s_mov_b32 s1, 0
	s_and_saveexec_b32 s20, vcc_lo
	s_cbranch_execz .LBB204_503
; %bb.486:
	v_add_nc_u32_e32 v6, s33, v0
	s_add_u32 s0, s36, s40
	s_addc_u32 s1, s37, s41
	v_mov_b32_e32 v13, v1
	s_mov_b32 s21, 0
	v_mad_u64_u32 v[2:3], null, s38, v6, 0
                                        ; implicit-def: $sgpr22
                                        ; implicit-def: $vgpr8_vgpr9
	v_mov_b32_e32 v12, v0
	s_delay_alu instid0(VALU_DEP_2) | instskip(NEXT) | instid1(VALU_DEP_1)
	v_mad_u64_u32 v[4:5], null, s39, v6, v[3:4]
	v_mov_b32_e32 v3, v4
	s_delay_alu instid0(VALU_DEP_1) | instskip(SKIP_1) | instid1(VALU_DEP_2)
	v_lshlrev_b64 v[4:5], 1, v[2:3]
	v_mov_b32_e32 v3, 0
	v_add_co_u32 v4, s0, s0, v4
	s_delay_alu instid0(VALU_DEP_1)
	v_add_co_ci_u32_e64 v5, s0, s1, v5, s0
	s_branch .LBB204_488
.LBB204_487:                            ;   in Loop: Header=BB204_488 Depth=1
	s_or_b32 exec_lo, exec_lo, s23
	s_xor_b32 s0, s25, -1
	s_and_b32 s1, exec_lo, s1
	v_dual_mov_b32 v13, v7 :: v_dual_mov_b32 v12, v6
	s_or_b32 s21, s1, s21
	s_waitcnt vmcnt(0)
	v_mov_b32_e32 v18, v19
	s_and_not1_b32 s1, s22, exec_lo
	s_and_b32 s0, s0, exec_lo
	s_delay_alu instid0(SALU_CYCLE_1)
	s_or_b32 s22, s1, s0
	s_and_not1_b32 exec_lo, exec_lo, s21
	s_cbranch_execz .LBB204_502
.LBB204_488:                            ; =>This Inner Loop Header: Depth=1
	v_add_co_u32 v6, s0, v12, s33
	s_delay_alu instid0(VALU_DEP_1) | instskip(SKIP_2) | instid1(VALU_DEP_2)
	v_add_co_ci_u32_e64 v7, s0, 0, v13, s0
	v_mov_b32_e32 v19, 0
	s_mov_b32 s1, exec_lo
	v_cmpx_gt_u64_e64 s[28:29], v[6:7]
	s_cbranch_execz .LBB204_490
; %bb.489:                              ;   in Loop: Header=BB204_488 Depth=1
	global_load_u16 v19, v[4:5], off
.LBB204_490:                            ;   in Loop: Header=BB204_488 Depth=1
	s_or_b32 exec_lo, exec_lo, s1
	s_mov_b32 s23, 0
	s_mov_b32 s1, exec_lo
	v_cmpx_gt_u64_e64 s[28:29], v[12:13]
	s_cbranch_execz .LBB204_492
; %bb.491:                              ;   in Loop: Header=BB204_488 Depth=1
	s_waitcnt vmcnt(0)
	v_cmp_lt_i16_e64 s0, -1, v18
	v_and_b32_e32 v2, 0xffff, v18
	s_delay_alu instid0(VALU_DEP_2) | instskip(SKIP_1) | instid1(VALU_DEP_2)
	v_cndmask_b32_e64 v14, 0xffff, v17, s0
	v_cmp_o_f16_e64 s0, v18, v18
	v_xor_b32_e32 v2, v14, v2
	s_delay_alu instid0(VALU_DEP_1) | instskip(NEXT) | instid1(VALU_DEP_1)
	v_cndmask_b32_e64 v2, 0xffff, v2, s0
	v_cmp_gt_u32_e64 s0, v2, v16
	s_delay_alu instid0(VALU_DEP_1) | instskip(SKIP_1) | instid1(VALU_DEP_1)
	v_cndmask_b32_e64 v14, 0, 1, s0
	v_cmp_lt_u32_e64 s0, v2, v16
	v_cndmask_b32_e64 v2, 0, 1, s0
	s_delay_alu instid0(VALU_DEP_1) | instskip(NEXT) | instid1(VALU_DEP_1)
	v_cndmask_b32_e64 v2, v2, v14, s4
	v_and_b32_e32 v2, 1, v2
	s_delay_alu instid0(VALU_DEP_1) | instskip(NEXT) | instid1(VALU_DEP_1)
	v_cmp_eq_u32_e64 s0, 1, v2
	s_and_b32 s23, s0, exec_lo
.LBB204_492:                            ;   in Loop: Header=BB204_488 Depth=1
	s_or_b32 exec_lo, exec_lo, s1
	v_cndmask_b32_e64 v2, 0, 1, s23
	s_delay_alu instid0(VALU_DEP_1) | instskip(NEXT) | instid1(VALU_DEP_1)
	v_cmp_ne_u32_e64 s0, 0, v2
	s_cmp_lg_u32 s0, 0
	s_cselect_b32 s1, -1, 0
	s_delay_alu instid0(SALU_CYCLE_1) | instskip(NEXT) | instid1(SALU_CYCLE_1)
	s_and_b32 s1, s2, s1
	s_and_saveexec_b32 s24, s1
	s_cbranch_execz .LBB204_496
; %bb.493:                              ;   in Loop: Header=BB204_488 Depth=1
	s_mov_b32 s27, exec_lo
	s_bcnt1_i32_b32 s25, s0
	v_mbcnt_lo_u32_b32 v14, s27, 0
	s_mov_b32 s26, exec_lo
                                        ; implicit-def: $vgpr8_vgpr9
	s_delay_alu instid0(VALU_DEP_1)
	v_cmpx_eq_u32_e32 0, v14
	s_cbranch_execz .LBB204_495
; %bb.494:                              ;   in Loop: Header=BB204_488 Depth=1
	s_bcnt1_i32_b32 s1, s27
	s_delay_alu instid0(SALU_CYCLE_1) | instskip(NEXT) | instid1(SALU_CYCLE_1)
	s_mul_i32 s1, s25, s1
	v_mov_b32_e32 v2, s1
	s_waitcnt lgkmcnt(0)
	ds_add_rtn_u64 v[8:9], v3, v[2:3] offset:5136
.LBB204_495:                            ;   in Loop: Header=BB204_488 Depth=1
	s_or_b32 exec_lo, exec_lo, s26
	s_waitcnt lgkmcnt(0)
	v_readfirstlane_b32 s27, v9
	v_readfirstlane_b32 s26, v8
	s_delay_alu instid0(VALU_DEP_1)
	v_mad_u64_u32 v[8:9], null, s25, v14, s[26:27]
.LBB204_496:                            ;   in Loop: Header=BB204_488 Depth=1
	s_or_b32 exec_lo, exec_lo, s24
	s_waitcnt lgkmcnt(0)
	ds_bpermute_b32 v8, v3, v8
	ds_bpermute_b32 v9, v3, v9
	s_mov_b32 s1, -1
	s_mov_b32 s26, -1
                                        ; implicit-def: $sgpr25
	s_and_saveexec_b32 s24, s23
	s_cbranch_execz .LBB204_500
; %bb.497:                              ;   in Loop: Header=BB204_488 Depth=1
	v_and_b32_e32 v2, s0, v29
	s_mov_b32 s23, 0
	s_mov_b32 s25, exec_lo
	s_delay_alu instid0(VALU_DEP_1) | instskip(SKIP_1) | instid1(VALU_DEP_1)
	v_bcnt_u32_b32 v2, v2, 0
	s_waitcnt lgkmcnt(0)
	v_add_co_u32 v14, s0, v8, v2
	s_delay_alu instid0(VALU_DEP_1) | instskip(NEXT) | instid1(VALU_DEP_1)
	v_add_co_ci_u32_e64 v15, s0, 0, v9, s0
	v_cmpx_gt_u64_e64 s[30:31], v[14:15]
	s_cbranch_execz .LBB204_499
; %bb.498:                              ;   in Loop: Header=BB204_488 Depth=1
	v_mul_lo_u32 v2, v15, s6
	v_mul_lo_u32 v24, v14, s7
	v_mad_u64_u32 v[20:21], null, v14, s6, 0
	v_mul_lo_u32 v15, v15, s8
	v_mul_lo_u32 v25, v14, s9
	v_mad_u64_u32 v[22:23], null, v14, s8, 0
	s_mov_b32 s23, exec_lo
	s_delay_alu instid0(VALU_DEP_4) | instskip(NEXT) | instid1(VALU_DEP_2)
	v_add3_u32 v21, v21, v24, v2
	v_add3_u32 v23, v23, v25, v15
	s_delay_alu instid0(VALU_DEP_2) | instskip(NEXT) | instid1(VALU_DEP_2)
	v_lshlrev_b64 v[14:15], 1, v[20:21]
	v_lshlrev_b64 v[20:21], 3, v[22:23]
	s_delay_alu instid0(VALU_DEP_2) | instskip(NEXT) | instid1(VALU_DEP_1)
	v_add_co_u32 v14, s0, s5, v14
	v_add_co_ci_u32_e64 v15, s0, s16, v15, s0
	s_delay_alu instid0(VALU_DEP_3) | instskip(NEXT) | instid1(VALU_DEP_1)
	v_add_co_u32 v20, s0, s17, v20
	v_add_co_ci_u32_e64 v21, s0, s18, v21, s0
	s_waitcnt vmcnt(0)
	global_store_b16 v[14:15], v18, off
	global_store_b64 v[20:21], v[12:13], off
.LBB204_499:                            ;   in Loop: Header=BB204_488 Depth=1
	s_or_b32 exec_lo, exec_lo, s25
	s_mov_b32 s25, -1
	s_or_not1_b32 s26, s23, exec_lo
.LBB204_500:                            ;   in Loop: Header=BB204_488 Depth=1
	s_or_b32 exec_lo, exec_lo, s24
	s_and_saveexec_b32 s23, s26
	s_cbranch_execz .LBB204_487
; %bb.501:                              ;   in Loop: Header=BB204_488 Depth=1
	v_cmp_le_u64_e64 s0, s[10:11], v[6:7]
	v_add_co_u32 v4, s1, v4, s34
	s_delay_alu instid0(VALU_DEP_1) | instskip(SKIP_1) | instid1(VALU_DEP_3)
	v_add_co_ci_u32_e64 v5, s1, s35, v5, s1
	s_and_not1_b32 s25, s25, exec_lo
	s_or_not1_b32 s1, s0, exec_lo
	s_branch .LBB204_487
.LBB204_502:
	s_or_b32 exec_lo, exec_lo, s21
	s_delay_alu instid0(SALU_CYCLE_1)
	s_mov_b32 s1, exec_lo
	s_or_not1_b32 s21, s22, exec_lo
.LBB204_503:
	s_or_b32 exec_lo, exec_lo, s20
	s_and_saveexec_b32 s4, s21
	s_cbranch_execz .LBB204_526
; %bb.504:
	v_mov_b32_e32 v13, 0
	s_waitcnt vmcnt(0) lgkmcnt(0)
	s_waitcnt_vscnt null, 0x0
	s_barrier
	buffer_gl0_inv
	s_and_saveexec_b32 s0, s3
	s_cbranch_execz .LBB204_506
; %bb.505:
	global_load_u16 v13, v[10:11], off
.LBB204_506:
	s_or_b32 exec_lo, exec_lo, s0
	s_mov_b32 s0, 0
	s_and_saveexec_b32 s3, vcc_lo
	s_cbranch_execz .LBB204_525
; %bb.507:
	v_add_nc_u32_e32 v6, s33, v0
	s_add_u32 s0, s36, s40
	s_addc_u32 s19, s37, s41
	v_mov_b32_e32 v12, 0x8000
	s_mov_b32 s20, 0
	v_mad_u64_u32 v[2:3], null, s38, v6, 0
	s_delay_alu instid0(VALU_DEP_1) | instskip(SKIP_1) | instid1(VALU_DEP_2)
	v_mad_u64_u32 v[4:5], null, s39, v6, v[3:4]
	v_mov_b32_e32 v5, 0
                                        ; implicit-def: $vgpr6_vgpr7
	v_mov_b32_e32 v3, v4
	s_delay_alu instid0(VALU_DEP_1) | instskip(NEXT) | instid1(VALU_DEP_1)
	v_lshlrev_b64 v[2:3], 1, v[2:3]
	v_add_co_u32 v2, vcc_lo, s0, v2
	s_delay_alu instid0(VALU_DEP_2)
	v_add_co_ci_u32_e32 v3, vcc_lo, s19, v3, vcc_lo
                                        ; implicit-def: $sgpr19
	s_branch .LBB204_510
.LBB204_508:                            ;   in Loop: Header=BB204_510 Depth=1
	s_or_b32 exec_lo, exec_lo, s22
	v_dual_mov_b32 v13, v14 :: v_dual_mov_b32 v0, v8
	v_mov_b32_e32 v1, v9
	s_or_not1_b32 s24, s23, exec_lo
	s_or_not1_b32 s23, s0, exec_lo
.LBB204_509:                            ;   in Loop: Header=BB204_510 Depth=1
	s_or_b32 exec_lo, exec_lo, s21
	s_xor_b32 s0, s24, -1
	s_and_b32 s21, exec_lo, s23
	s_delay_alu instid0(SALU_CYCLE_1) | instskip(SKIP_2) | instid1(SALU_CYCLE_1)
	s_or_b32 s20, s21, s20
	s_and_not1_b32 s19, s19, exec_lo
	s_and_b32 s0, s0, exec_lo
	s_or_b32 s19, s19, s0
	s_and_not1_b32 exec_lo, exec_lo, s20
	s_cbranch_execz .LBB204_523
.LBB204_510:                            ; =>This Inner Loop Header: Depth=1
	v_add_co_u32 v8, vcc_lo, v0, s33
	v_add_co_ci_u32_e32 v9, vcc_lo, 0, v1, vcc_lo
	v_mov_b32_e32 v14, 0
	s_mov_b32 s0, exec_lo
	s_delay_alu instid0(VALU_DEP_2)
	v_cmpx_gt_u64_e64 s[28:29], v[8:9]
	s_cbranch_execz .LBB204_512
; %bb.511:                              ;   in Loop: Header=BB204_510 Depth=1
	global_load_u16 v14, v[2:3], off
.LBB204_512:                            ;   in Loop: Header=BB204_510 Depth=1
	s_or_b32 exec_lo, exec_lo, s0
	s_waitcnt vmcnt(0)
	v_cmp_lt_i16_e32 vcc_lo, -1, v13
	v_and_b32_e32 v4, 0xffff, v13
	v_cndmask_b32_e32 v10, 0xffff, v12, vcc_lo
	v_cmp_o_f16_e32 vcc_lo, v13, v13
	s_delay_alu instid0(VALU_DEP_2) | instskip(NEXT) | instid1(VALU_DEP_1)
	v_xor_b32_e32 v4, v10, v4
	v_cndmask_b32_e32 v4, 0xffff, v4, vcc_lo
	v_cmp_gt_u64_e32 vcc_lo, s[28:29], v[0:1]
	s_delay_alu instid0(VALU_DEP_2) | instskip(NEXT) | instid1(VALU_DEP_1)
	v_cmp_eq_u32_e64 s0, v4, v16
	s_and_b32 s22, vcc_lo, s0
	s_delay_alu instid0(SALU_CYCLE_1) | instskip(NEXT) | instid1(VALU_DEP_1)
	v_cndmask_b32_e64 v4, 0, 1, s22
	v_cmp_ne_u32_e32 vcc_lo, 0, v4
	s_cmp_lg_u32 vcc_lo, 0
	s_cselect_b32 s0, -1, 0
	s_delay_alu instid0(SALU_CYCLE_1) | instskip(NEXT) | instid1(SALU_CYCLE_1)
	s_and_b32 s0, s2, s0
	s_and_saveexec_b32 s21, s0
	s_cbranch_execz .LBB204_516
; %bb.513:                              ;   in Loop: Header=BB204_510 Depth=1
	s_mov_b32 s25, exec_lo
	s_bcnt1_i32_b32 s23, vcc_lo
	v_mbcnt_lo_u32_b32 v10, s25, 0
	s_mov_b32 s24, exec_lo
                                        ; implicit-def: $vgpr6_vgpr7
	s_delay_alu instid0(VALU_DEP_1)
	v_cmpx_eq_u32_e32 0, v10
	s_cbranch_execz .LBB204_515
; %bb.514:                              ;   in Loop: Header=BB204_510 Depth=1
	s_bcnt1_i32_b32 s0, s25
	s_delay_alu instid0(SALU_CYCLE_1) | instskip(NEXT) | instid1(SALU_CYCLE_1)
	s_mul_i32 s0, s23, s0
	v_mov_b32_e32 v4, s0
	ds_add_rtn_u64 v[6:7], v5, v[4:5] offset:5136
.LBB204_515:                            ;   in Loop: Header=BB204_510 Depth=1
	s_or_b32 exec_lo, exec_lo, s24
	s_waitcnt lgkmcnt(0)
	v_readfirstlane_b32 s25, v7
	v_readfirstlane_b32 s24, v6
	s_delay_alu instid0(VALU_DEP_1)
	v_mad_u64_u32 v[6:7], null, s23, v10, s[24:25]
.LBB204_516:                            ;   in Loop: Header=BB204_510 Depth=1
	s_or_b32 exec_lo, exec_lo, s21
	ds_bpermute_b32 v6, v5, v6
	ds_bpermute_b32 v7, v5, v7
	s_cmp_eq_u32 vcc_lo, 0
	s_mov_b32 s23, -1
	s_cselect_b32 s21, -1, 0
	s_mov_b32 s24, -1
	s_waitcnt lgkmcnt(0)
	v_cmp_gt_u64_e64 s0, s[30:31], v[6:7]
	s_delay_alu instid0(VALU_DEP_1) | instskip(NEXT) | instid1(SALU_CYCLE_1)
	s_or_b32 s0, s21, s0
	s_and_saveexec_b32 s21, s0
	s_cbranch_execz .LBB204_509
; %bb.517:                              ;   in Loop: Header=BB204_510 Depth=1
	v_and_b32_e32 v4, vcc_lo, v29
	v_sub_co_u32 v10, vcc_lo, s30, v6
	v_sub_co_ci_u32_e32 v11, vcc_lo, s31, v7, vcc_lo
	s_delay_alu instid0(VALU_DEP_3) | instskip(SKIP_1) | instid1(VALU_DEP_1)
	v_bcnt_u32_b32 v4, v4, 0
	s_mov_b32 s0, -1
	v_bcnt_u32_b32 v4, 0, v4
	s_delay_alu instid0(VALU_DEP_1) | instskip(SKIP_1) | instid1(SALU_CYCLE_1)
	v_cmp_gt_u64_e32 vcc_lo, v[10:11], v[4:5]
	s_and_b32 s25, s22, vcc_lo
	s_and_saveexec_b32 s22, s25
	s_cbranch_execz .LBB204_521
; %bb.518:                              ;   in Loop: Header=BB204_510 Depth=1
	v_add_co_u32 v10, vcc_lo, v6, v4
	v_add_co_ci_u32_e32 v11, vcc_lo, 0, v7, vcc_lo
	s_mov_b32 s24, 0
	s_mov_b32 s23, exec_lo
	s_delay_alu instid0(VALU_DEP_1)
	v_cmpx_gt_u64_e64 s[30:31], v[10:11]
	s_cbranch_execz .LBB204_520
; %bb.519:                              ;   in Loop: Header=BB204_510 Depth=1
	v_mul_lo_u32 v4, v11, s6
	v_mul_lo_u32 v15, v10, s7
	v_mad_u64_u32 v[17:18], null, v10, s6, 0
	v_mul_lo_u32 v11, v11, s8
	v_mul_lo_u32 v21, v10, s9
	v_mad_u64_u32 v[19:20], null, v10, s8, 0
	s_mov_b32 s24, exec_lo
	s_delay_alu instid0(VALU_DEP_4) | instskip(NEXT) | instid1(VALU_DEP_2)
	v_add3_u32 v18, v18, v15, v4
	v_add3_u32 v20, v20, v21, v11
	s_delay_alu instid0(VALU_DEP_2) | instskip(NEXT) | instid1(VALU_DEP_2)
	v_lshlrev_b64 v[10:11], 1, v[17:18]
	v_lshlrev_b64 v[17:18], 3, v[19:20]
	s_delay_alu instid0(VALU_DEP_2) | instskip(NEXT) | instid1(VALU_DEP_3)
	v_add_co_u32 v10, vcc_lo, s5, v10
	v_add_co_ci_u32_e32 v11, vcc_lo, s16, v11, vcc_lo
	s_delay_alu instid0(VALU_DEP_3) | instskip(NEXT) | instid1(VALU_DEP_4)
	v_add_co_u32 v17, vcc_lo, s17, v17
	v_add_co_ci_u32_e32 v18, vcc_lo, s18, v18, vcc_lo
	global_store_b16 v[10:11], v13, off
	global_store_b64 v[17:18], v[0:1], off
.LBB204_520:                            ;   in Loop: Header=BB204_510 Depth=1
	s_or_b32 exec_lo, exec_lo, s23
	s_delay_alu instid0(SALU_CYCLE_1)
	s_xor_b32 s23, exec_lo, -1
	s_or_not1_b32 s24, s24, exec_lo
.LBB204_521:                            ;   in Loop: Header=BB204_510 Depth=1
	s_or_b32 exec_lo, exec_lo, s22
	s_and_saveexec_b32 s22, s24
	s_cbranch_execz .LBB204_508
; %bb.522:                              ;   in Loop: Header=BB204_510 Depth=1
	v_cmp_le_u64_e32 vcc_lo, s[10:11], v[8:9]
	v_add_co_u32 v2, s0, v2, s34
	s_delay_alu instid0(VALU_DEP_1)
	v_add_co_ci_u32_e64 v3, s0, s35, v3, s0
	s_or_b32 s23, s23, exec_lo
	s_or_not1_b32 s0, vcc_lo, exec_lo
	s_branch .LBB204_508
.LBB204_523:
	s_or_b32 exec_lo, exec_lo, s20
	s_mov_b32 s0, 0
	s_and_saveexec_b32 s2, s19
	s_delay_alu instid0(SALU_CYCLE_1)
	s_xor_b32 s2, exec_lo, s2
	s_cbranch_execnz .LBB204_558
.LBB204_524:
	s_or_b32 exec_lo, exec_lo, s2
	s_delay_alu instid0(SALU_CYCLE_1)
	s_and_b32 s0, s0, exec_lo
.LBB204_525:
	s_or_b32 exec_lo, exec_lo, s3
	s_delay_alu instid0(SALU_CYCLE_1)
	s_and_b32 s19, s0, exec_lo
	s_and_not1_b32 s1, s1, exec_lo
.LBB204_526:
	s_or_b32 exec_lo, exec_lo, s4
	s_and_saveexec_b32 s0, s1
	s_delay_alu instid0(SALU_CYCLE_1)
	s_xor_b32 s0, exec_lo, s0
	s_cbranch_execnz .LBB204_552
.LBB204_527:
	s_or_b32 exec_lo, exec_lo, s0
	s_waitcnt lgkmcnt(0)
	s_and_b32 s8, s19, exec_lo
.LBB204_528:
	s_and_not1_saveexec_b32 s0, s15
	s_cbranch_execnz .LBB204_548
.LBB204_529:
	s_or_b32 exec_lo, exec_lo, s0
	s_delay_alu instid0(SALU_CYCLE_1)
	s_and_b32 s8, s8, exec_lo
.LBB204_530:
	s_and_not1_saveexec_b32 s0, s14
	s_cbranch_execnz .LBB204_544
.LBB204_531:
	s_or_b32 exec_lo, exec_lo, s0
	s_delay_alu instid0(SALU_CYCLE_1)
	s_and_b32 s8, s8, exec_lo
.LBB204_532:
	s_and_not1_saveexec_b32 s0, s13
	s_cbranch_execnz .LBB204_540
.LBB204_533:
	s_or_b32 exec_lo, exec_lo, s0
	s_delay_alu instid0(SALU_CYCLE_1)
	s_and_b32 s8, s8, exec_lo
.LBB204_534:
	s_and_not1_saveexec_b32 s0, s12
	s_cbranch_execnz .LBB204_538
; %bb.535:
	s_or_b32 exec_lo, exec_lo, s0
	s_and_saveexec_b32 s0, s8
.LBB204_536:
	; divergent unreachable
.LBB204_537:
	s_nop 0
	s_sendmsg sendmsg(MSG_DEALLOC_VGPRS)
	s_endpgm
.LBB204_538:
	s_cbranch_execnz .LBB204_542
; %bb.539:
	s_or_b32 s8, s8, exec_lo
	s_or_b32 exec_lo, exec_lo, s0
	s_and_saveexec_b32 s0, s8
	s_cbranch_execnz .LBB204_536
	s_branch .LBB204_537
.LBB204_540:
	s_cbranch_execnz .LBB204_546
; %bb.541:
	s_or_b32 s8, s8, exec_lo
	s_branch .LBB204_533
.LBB204_542:
	s_trap 2
	s_sendmsg_rtn_b32 s0, sendmsg(MSG_RTN_GET_DOORBELL)
	s_mov_b32 ttmp2, m0
	s_waitcnt lgkmcnt(0)
	s_and_b32 s0, s0, 0x3ff
	s_delay_alu instid0(SALU_CYCLE_1) | instskip(NEXT) | instid1(SALU_CYCLE_1)
	s_bitset1_b32 s0, 10
	s_mov_b32 m0, s0
	s_sendmsg sendmsg(MSG_INTERRUPT)
	s_mov_b32 m0, ttmp2
.LBB204_543:                            ; =>This Inner Loop Header: Depth=1
	s_sethalt 5
	s_branch .LBB204_543
.LBB204_544:
	s_cbranch_execnz .LBB204_550
; %bb.545:
	s_or_b32 s8, s8, exec_lo
	s_branch .LBB204_531
.LBB204_546:
	s_trap 2
	s_sendmsg_rtn_b32 s0, sendmsg(MSG_RTN_GET_DOORBELL)
	s_mov_b32 ttmp2, m0
	s_waitcnt lgkmcnt(0)
	s_and_b32 s0, s0, 0x3ff
	s_delay_alu instid0(SALU_CYCLE_1) | instskip(NEXT) | instid1(SALU_CYCLE_1)
	s_bitset1_b32 s0, 10
	s_mov_b32 m0, s0
	s_sendmsg sendmsg(MSG_INTERRUPT)
	s_mov_b32 m0, ttmp2
.LBB204_547:                            ; =>This Inner Loop Header: Depth=1
	s_sethalt 5
	s_branch .LBB204_547
.LBB204_548:
	s_cbranch_execnz .LBB204_554
; %bb.549:
	s_or_b32 s8, s8, exec_lo
	s_branch .LBB204_529
.LBB204_550:
	s_trap 2
	s_sendmsg_rtn_b32 s0, sendmsg(MSG_RTN_GET_DOORBELL)
	s_mov_b32 ttmp2, m0
	s_waitcnt lgkmcnt(0)
	s_and_b32 s0, s0, 0x3ff
	s_delay_alu instid0(SALU_CYCLE_1) | instskip(NEXT) | instid1(SALU_CYCLE_1)
	s_bitset1_b32 s0, 10
	s_mov_b32 m0, s0
	s_sendmsg sendmsg(MSG_INTERRUPT)
	s_mov_b32 m0, ttmp2
.LBB204_551:                            ; =>This Inner Loop Header: Depth=1
	s_sethalt 5
	s_branch .LBB204_551
.LBB204_552:
	s_cbranch_execnz .LBB204_556
; %bb.553:
	s_or_b32 s19, s19, exec_lo
	s_branch .LBB204_527
.LBB204_554:
	s_trap 2
	s_sendmsg_rtn_b32 s0, sendmsg(MSG_RTN_GET_DOORBELL)
	s_mov_b32 ttmp2, m0
	s_waitcnt lgkmcnt(0)
	s_and_b32 s0, s0, 0x3ff
	s_delay_alu instid0(SALU_CYCLE_1) | instskip(NEXT) | instid1(SALU_CYCLE_1)
	s_bitset1_b32 s0, 10
	s_mov_b32 m0, s0
	s_sendmsg sendmsg(MSG_INTERRUPT)
	s_mov_b32 m0, ttmp2
.LBB204_555:                            ; =>This Inner Loop Header: Depth=1
	s_sethalt 5
	s_branch .LBB204_555
.LBB204_556:
	s_trap 2
	s_sendmsg_rtn_b32 s0, sendmsg(MSG_RTN_GET_DOORBELL)
	s_mov_b32 ttmp2, m0
	s_waitcnt lgkmcnt(0)
	s_and_b32 s0, s0, 0x3ff
	s_delay_alu instid0(SALU_CYCLE_1) | instskip(NEXT) | instid1(SALU_CYCLE_1)
	s_bitset1_b32 s0, 10
	s_mov_b32 m0, s0
	s_sendmsg sendmsg(MSG_INTERRUPT)
	s_mov_b32 m0, ttmp2
.LBB204_557:                            ; =>This Inner Loop Header: Depth=1
	s_sethalt 5
	s_branch .LBB204_557
.LBB204_558:
	s_cbranch_execnz .LBB204_560
; %bb.559:
	s_mov_b32 s0, exec_lo
	s_branch .LBB204_524
.LBB204_560:
	s_trap 2
	s_sendmsg_rtn_b32 s0, sendmsg(MSG_RTN_GET_DOORBELL)
	s_mov_b32 ttmp2, m0
	s_waitcnt lgkmcnt(0)
	s_and_b32 s0, s0, 0x3ff
	s_delay_alu instid0(SALU_CYCLE_1) | instskip(NEXT) | instid1(SALU_CYCLE_1)
	s_bitset1_b32 s0, 10
	s_mov_b32 m0, s0
	s_sendmsg sendmsg(MSG_INTERRUPT)
	s_mov_b32 m0, ttmp2
.LBB204_561:                            ; =>This Inner Loop Header: Depth=1
	s_sethalt 5
	s_branch .LBB204_561
	.section	.rodata,"a",@progbits
	.p2align	6, 0x0
	.amdhsa_kernel _ZN2at6native6sbtopk10gatherTopKIN3c104HalfEmLi1ELb0EEEvNS_4cuda6detail10TensorInfoIKT_T0_EESA_SA_bSA_SA_NS7_IS8_SA_EESA_NS7_IlSA_EESA_PS8_
		.amdhsa_group_segment_fixed_size 5152
		.amdhsa_private_segment_fixed_size 0
		.amdhsa_kernarg_size 1568
		.amdhsa_user_sgpr_count 13
		.amdhsa_user_sgpr_dispatch_ptr 0
		.amdhsa_user_sgpr_queue_ptr 0
		.amdhsa_user_sgpr_kernarg_segment_ptr 1
		.amdhsa_user_sgpr_dispatch_id 0
		.amdhsa_user_sgpr_private_segment_size 0
		.amdhsa_wavefront_size32 1
		.amdhsa_uses_dynamic_stack 0
		.amdhsa_enable_private_segment 0
		.amdhsa_system_sgpr_workgroup_id_x 1
		.amdhsa_system_sgpr_workgroup_id_y 1
		.amdhsa_system_sgpr_workgroup_id_z 1
		.amdhsa_system_sgpr_workgroup_info 0
		.amdhsa_system_vgpr_workitem_id 0
		.amdhsa_next_free_vgpr 46
		.amdhsa_next_free_sgpr 105
		.amdhsa_reserve_vcc 1
		.amdhsa_float_round_mode_32 0
		.amdhsa_float_round_mode_16_64 0
		.amdhsa_float_denorm_mode_32 3
		.amdhsa_float_denorm_mode_16_64 3
		.amdhsa_dx10_clamp 1
		.amdhsa_ieee_mode 1
		.amdhsa_fp16_overflow 0
		.amdhsa_workgroup_processor_mode 1
		.amdhsa_memory_ordered 1
		.amdhsa_forward_progress 0
		.amdhsa_shared_vgpr_count 0
		.amdhsa_exception_fp_ieee_invalid_op 0
		.amdhsa_exception_fp_denorm_src 0
		.amdhsa_exception_fp_ieee_div_zero 0
		.amdhsa_exception_fp_ieee_overflow 0
		.amdhsa_exception_fp_ieee_underflow 0
		.amdhsa_exception_fp_ieee_inexact 0
		.amdhsa_exception_int_div_zero 0
	.end_amdhsa_kernel
	.section	.text._ZN2at6native6sbtopk10gatherTopKIN3c104HalfEmLi1ELb0EEEvNS_4cuda6detail10TensorInfoIKT_T0_EESA_SA_bSA_SA_NS7_IS8_SA_EESA_NS7_IlSA_EESA_PS8_,"axG",@progbits,_ZN2at6native6sbtopk10gatherTopKIN3c104HalfEmLi1ELb0EEEvNS_4cuda6detail10TensorInfoIKT_T0_EESA_SA_bSA_SA_NS7_IS8_SA_EESA_NS7_IlSA_EESA_PS8_,comdat
.Lfunc_end204:
	.size	_ZN2at6native6sbtopk10gatherTopKIN3c104HalfEmLi1ELb0EEEvNS_4cuda6detail10TensorInfoIKT_T0_EESA_SA_bSA_SA_NS7_IS8_SA_EESA_NS7_IlSA_EESA_PS8_, .Lfunc_end204-_ZN2at6native6sbtopk10gatherTopKIN3c104HalfEmLi1ELb0EEEvNS_4cuda6detail10TensorInfoIKT_T0_EESA_SA_bSA_SA_NS7_IS8_SA_EESA_NS7_IlSA_EESA_PS8_
                                        ; -- End function
	.section	.AMDGPU.csdata,"",@progbits
; Kernel info:
; codeLenInByte = 29372
; NumSgprs: 107
; NumVgprs: 46
; ScratchSize: 0
; MemoryBound: 0
; FloatMode: 240
; IeeeMode: 1
; LDSByteSize: 5152 bytes/workgroup (compile time only)
; SGPRBlocks: 13
; VGPRBlocks: 5
; NumSGPRsForWavesPerEU: 107
; NumVGPRsForWavesPerEU: 46
; Occupancy: 16
; WaveLimiterHint : 1
; COMPUTE_PGM_RSRC2:SCRATCH_EN: 0
; COMPUTE_PGM_RSRC2:USER_SGPR: 13
; COMPUTE_PGM_RSRC2:TRAP_HANDLER: 0
; COMPUTE_PGM_RSRC2:TGID_X_EN: 1
; COMPUTE_PGM_RSRC2:TGID_Y_EN: 1
; COMPUTE_PGM_RSRC2:TGID_Z_EN: 1
; COMPUTE_PGM_RSRC2:TIDIG_COMP_CNT: 0
	.section	.text._ZN2at6native6mbtopk23computeBlockDigitCountsIN3c104HalfEmjLi2EEEvNS_4cuda6detail10TensorInfoIKT_T0_EEjPjjSA_iijT1_PSD_Ps,"axG",@progbits,_ZN2at6native6mbtopk23computeBlockDigitCountsIN3c104HalfEmjLi2EEEvNS_4cuda6detail10TensorInfoIKT_T0_EEjPjjSA_iijT1_PSD_Ps,comdat
	.protected	_ZN2at6native6mbtopk23computeBlockDigitCountsIN3c104HalfEmjLi2EEEvNS_4cuda6detail10TensorInfoIKT_T0_EEjPjjSA_iijT1_PSD_Ps ; -- Begin function _ZN2at6native6mbtopk23computeBlockDigitCountsIN3c104HalfEmjLi2EEEvNS_4cuda6detail10TensorInfoIKT_T0_EEjPjjSA_iijT1_PSD_Ps
	.globl	_ZN2at6native6mbtopk23computeBlockDigitCountsIN3c104HalfEmjLi2EEEvNS_4cuda6detail10TensorInfoIKT_T0_EEjPjjSA_iijT1_PSD_Ps
	.p2align	8
	.type	_ZN2at6native6mbtopk23computeBlockDigitCountsIN3c104HalfEmjLi2EEEvNS_4cuda6detail10TensorInfoIKT_T0_EEjPjjSA_iijT1_PSD_Ps,@function
_ZN2at6native6mbtopk23computeBlockDigitCountsIN3c104HalfEmjLi2EEEvNS_4cuda6detail10TensorInfoIKT_T0_EEjPjjSA_iijT1_PSD_Ps: ; @_ZN2at6native6mbtopk23computeBlockDigitCountsIN3c104HalfEmjLi2EEEvNS_4cuda6detail10TensorInfoIKT_T0_EEjPjjSA_iijT1_PSD_Ps
; %bb.0:
	s_clause 0x2
	s_load_b128 s[8:11], s[0:1], 0x1c0
	s_load_b32 s5, s[0:1], 0x1b0
	s_load_b64 s[2:3], s[0:1], 0x1e0
	s_waitcnt lgkmcnt(0)
	v_cvt_f32_u32_e32 v1, s10
	s_sub_i32 s6, 0, s10
	s_mul_i32 s3, s3, s15
	s_delay_alu instid0(SALU_CYCLE_1) | instskip(NEXT) | instid1(VALU_DEP_1)
	s_add_i32 s3, s3, s14
	v_rcp_iflag_f32_e32 v1, v1
	s_mul_i32 s16, s3, s2
	s_delay_alu instid0(SALU_CYCLE_1) | instskip(SKIP_3) | instid1(VALU_DEP_1)
	s_add_i32 s16, s16, s13
	s_mov_b32 s13, 0
	s_waitcnt_depctr 0xfff
	v_mul_f32_e32 v1, 0x4f7ffffe, v1
	v_cvt_u32_f32_e32 v1, v1
	s_delay_alu instid0(VALU_DEP_1) | instskip(NEXT) | instid1(VALU_DEP_1)
	v_readfirstlane_b32 s4, v1
	s_mul_i32 s6, s6, s4
	s_delay_alu instid0(SALU_CYCLE_1) | instskip(NEXT) | instid1(SALU_CYCLE_1)
	s_mul_hi_u32 s2, s4, s6
	s_add_i32 s4, s4, s2
	s_delay_alu instid0(SALU_CYCLE_1) | instskip(NEXT) | instid1(SALU_CYCLE_1)
	s_mul_hi_u32 s2, s16, s4
	s_mul_i32 s3, s2, s10
	s_add_i32 s4, s2, 1
	s_sub_i32 s3, s16, s3
	s_delay_alu instid0(SALU_CYCLE_1)
	s_sub_i32 s6, s3, s10
	s_cmp_ge_u32 s3, s10
	s_cselect_b32 s2, s4, s2
	s_cselect_b32 s3, s6, s3
	s_add_i32 s4, s2, 1
	s_cmp_ge_u32 s3, s10
	s_cselect_b32 s12, s4, s2
	s_delay_alu instid0(SALU_CYCLE_1)
	s_cmp_ge_u32 s12, s5
	s_cbranch_scc1 .LBB205_25
; %bb.1:
	s_clause 0x1
	s_load_b64 s[2:3], s[0:1], 0x10
	s_load_b128 s[4:7], s[0:1], 0x1d0
	s_lshl_b64 s[14:15], s[12:13], 2
	s_waitcnt lgkmcnt(0)
	v_cmp_lt_u64_e64 s17, s[12:13], s[2:3]
	s_add_u32 s14, s4, s14
	s_addc_u32 s15, s5, s15
	s_mov_b64 s[4:5], 0
	s_delay_alu instid0(VALU_DEP_1)
	s_and_b32 vcc_lo, exec_lo, s17
	s_cbranch_vccnz .LBB205_3
; %bb.2:
	v_cvt_f32_u32_e32 v1, s2
	s_sub_i32 s5, 0, s2
	s_delay_alu instid0(VALU_DEP_1) | instskip(SKIP_2) | instid1(VALU_DEP_1)
	v_rcp_iflag_f32_e32 v1, v1
	s_waitcnt_depctr 0xfff
	v_mul_f32_e32 v1, 0x4f7ffffe, v1
	v_cvt_u32_f32_e32 v1, v1
	s_delay_alu instid0(VALU_DEP_1) | instskip(NEXT) | instid1(VALU_DEP_1)
	v_readfirstlane_b32 s4, v1
	s_mul_i32 s5, s5, s4
	s_delay_alu instid0(SALU_CYCLE_1) | instskip(NEXT) | instid1(SALU_CYCLE_1)
	s_mul_hi_u32 s5, s4, s5
	s_add_i32 s4, s4, s5
	s_delay_alu instid0(SALU_CYCLE_1) | instskip(NEXT) | instid1(SALU_CYCLE_1)
	s_mul_hi_u32 s4, s12, s4
	s_mul_i32 s5, s4, s2
	s_add_i32 s13, s4, 1
	s_sub_i32 s5, s12, s5
	s_delay_alu instid0(SALU_CYCLE_1)
	s_sub_i32 s17, s5, s2
	s_cmp_ge_u32 s5, s2
	s_cselect_b32 s4, s13, s4
	s_cselect_b32 s5, s17, s5
	s_add_i32 s13, s4, 1
	s_cmp_ge_u32 s5, s2
	s_cselect_b32 s4, s13, s4
.LBB205_3:
	v_cmp_gt_u32_e32 vcc_lo, 0x100, v0
	v_lshlrev_b32_e32 v1, 2, v0
	s_and_saveexec_b32 s5, vcc_lo
	s_cbranch_execz .LBB205_5
; %bb.4:
	v_mov_b32_e32 v2, 0
	ds_store_b32 v1, v2
.LBB205_5:
	s_or_b32 exec_lo, exec_lo, s5
	s_load_b32 s5, s[0:1], 0x1a0
	s_mul_i32 s13, s12, s10
	s_waitcnt lgkmcnt(0)
	s_sub_i32 s13, s16, s13
	s_barrier
	s_mul_i32 s17, s9, s13
	s_add_i32 s13, s13, 1
	s_lshl_b32 s17, s17, 8
	buffer_gl0_inv
	s_sub_i32 s18, s5, s17
	s_delay_alu instid0(SALU_CYCLE_1) | instskip(SKIP_4) | instid1(VALU_DEP_1)
	s_add_u32 s18, s18, 0xff
	s_addc_u32 s19, 0, 0
	s_cmp_lt_u32 s13, s10
	v_alignbit_b32 v2, s19, s18, 8
	s_mov_b32 s13, 0
	v_readfirstlane_b32 s18, v2
	s_delay_alu instid0(VALU_DEP_1) | instskip(NEXT) | instid1(SALU_CYCLE_1)
	s_cselect_b32 s10, s9, s18
	s_cmp_lt_i32 s10, 1
	s_cbranch_scc1 .LBB205_21
; %bb.6:
	s_clause 0x1
	s_load_b128 s[20:23], s[0:1], 0xd0
	s_load_b64 s[18:19], s[0:1], 0x0
	s_load_b32 s9, s[14:15], 0x0
	s_mul_i32 s14, s4, s3
	s_mul_hi_u32 s15, s4, s2
	s_mul_i32 s24, s4, s2
	s_load_b64 s[2:3], s[0:1], 0x1b8
	s_add_i32 s15, s15, s14
	s_sub_u32 s0, s12, s24
	s_subb_u32 s1, 0, s15
	v_add_nc_u32_e32 v2, s17, v0
	s_waitcnt lgkmcnt(0)
	s_mul_i32 s15, s4, s21
	s_mul_hi_u32 s21, s4, s20
	s_mul_i32 s12, s0, s23
	s_mul_hi_u32 s23, s0, s22
	s_mul_i32 s14, s4, s20
	s_add_i32 s15, s21, s15
	s_mul_i32 s1, s1, s22
	s_add_i32 s4, s23, s12
	s_lshl_b64 s[14:15], s[14:15], 1
	s_mul_i32 s0, s0, s22
	s_add_i32 s1, s4, s1
	s_add_u32 s4, s18, s14
	s_addc_u32 s12, s19, s15
	s_lshl_b64 s[0:1], s[0:1], 1
	s_delay_alu instid0(SALU_CYCLE_1)
	s_add_u32 s4, s4, s0
	s_addc_u32 s12, s12, s1
	s_and_b32 s1, s8, 0xff
	s_cmp_eq_u32 s10, 1
	s_cbranch_scc1 .LBB205_16
; %bb.7:
	v_dual_mov_b32 v3, 1 :: v_dual_mov_b32 v4, 0x8000
	v_mov_b32_e32 v5, v2
	s_and_b32 s8, s10, 0x7ffffffe
	s_branch .LBB205_9
.LBB205_8:                              ;   in Loop: Header=BB205_9 Depth=1
	s_or_b32 exec_lo, exec_lo, s14
	v_add_nc_u32_e32 v5, 0x200, v5
	s_add_i32 s13, s13, 2
	s_delay_alu instid0(SALU_CYCLE_1)
	s_cmp_eq_u32 s8, s13
	s_cbranch_scc1 .LBB205_15
.LBB205_9:                              ; =>This Inner Loop Header: Depth=1
	s_mov_b32 s14, exec_lo
	s_delay_alu instid0(VALU_DEP_1)
	v_cmpx_gt_u32_e64 s5, v5
	s_cbranch_execz .LBB205_12
; %bb.10:                               ;   in Loop: Header=BB205_9 Depth=1
	v_mad_u64_u32 v[6:7], null, v5, s2, 0
	s_delay_alu instid0(VALU_DEP_1) | instskip(NEXT) | instid1(VALU_DEP_1)
	v_mad_u64_u32 v[8:9], null, v5, s3, v[7:8]
	v_mov_b32_e32 v7, v8
	s_delay_alu instid0(VALU_DEP_1) | instskip(NEXT) | instid1(VALU_DEP_1)
	v_lshlrev_b64 v[6:7], 1, v[6:7]
	v_add_co_u32 v6, s0, s4, v6
	s_delay_alu instid0(VALU_DEP_1) | instskip(SKIP_4) | instid1(VALU_DEP_2)
	v_add_co_ci_u32_e64 v7, s0, s12, v7, s0
	global_load_u16 v6, v[6:7], off
	s_waitcnt vmcnt(0)
	v_cmp_lt_i16_e64 s0, -1, v6
	v_and_b32_e32 v7, 0xffff, v6
	v_cndmask_b32_e64 v8, 0xffff, v4, s0
	v_cmp_o_f16_e64 s0, v6, v6
	s_delay_alu instid0(VALU_DEP_2) | instskip(NEXT) | instid1(VALU_DEP_1)
	v_xor_b32_e32 v7, v8, v7
	v_cndmask_b32_e64 v6, 0xffff, v7, s0
	s_delay_alu instid0(VALU_DEP_1) | instskip(NEXT) | instid1(VALU_DEP_1)
	v_xor_b32_e32 v7, s9, v6
	v_and_b32_e32 v7, s11, v7
	s_delay_alu instid0(VALU_DEP_1) | instskip(NEXT) | instid1(VALU_DEP_1)
	v_cmp_eq_u32_e64 s0, 0, v7
	s_and_b32 exec_lo, exec_lo, s0
	s_cbranch_execz .LBB205_12
; %bb.11:                               ;   in Loop: Header=BB205_9 Depth=1
	v_bfe_u32 v6, v6, s1, 8
	s_delay_alu instid0(VALU_DEP_1)
	v_lshlrev_b32_e32 v6, 2, v6
	ds_add_u32 v6, v3
.LBB205_12:                             ;   in Loop: Header=BB205_9 Depth=1
	s_or_b32 exec_lo, exec_lo, s14
	v_add_nc_u32_e32 v6, 0x100, v5
	s_mov_b32 s14, exec_lo
	s_delay_alu instid0(VALU_DEP_1)
	v_cmpx_gt_u32_e64 s5, v6
	s_cbranch_execz .LBB205_8
; %bb.13:                               ;   in Loop: Header=BB205_9 Depth=1
	v_mad_u64_u32 v[7:8], null, v6, s2, 0
	s_delay_alu instid0(VALU_DEP_1) | instskip(NEXT) | instid1(VALU_DEP_1)
	v_mad_u64_u32 v[9:10], null, v6, s3, v[8:9]
	v_mov_b32_e32 v8, v9
	s_delay_alu instid0(VALU_DEP_1) | instskip(NEXT) | instid1(VALU_DEP_1)
	v_lshlrev_b64 v[6:7], 1, v[7:8]
	v_add_co_u32 v6, s0, s4, v6
	s_delay_alu instid0(VALU_DEP_1) | instskip(SKIP_4) | instid1(VALU_DEP_1)
	v_add_co_ci_u32_e64 v7, s0, s12, v7, s0
	global_load_u16 v6, v[6:7], off
	s_waitcnt vmcnt(0)
	v_and_b32_e32 v7, 0xffff, v6
	v_cmp_lt_i16_e64 s0, -1, v6
	v_cndmask_b32_e64 v8, 0xffff, v4, s0
	v_cmp_o_f16_e64 s0, v6, v6
	s_delay_alu instid0(VALU_DEP_2) | instskip(NEXT) | instid1(VALU_DEP_1)
	v_xor_b32_e32 v7, v8, v7
	v_cndmask_b32_e64 v6, 0xffff, v7, s0
	s_delay_alu instid0(VALU_DEP_1) | instskip(NEXT) | instid1(VALU_DEP_1)
	v_xor_b32_e32 v7, s9, v6
	v_and_b32_e32 v7, s11, v7
	s_delay_alu instid0(VALU_DEP_1) | instskip(NEXT) | instid1(VALU_DEP_1)
	v_cmp_eq_u32_e64 s0, 0, v7
	s_and_b32 exec_lo, exec_lo, s0
	s_cbranch_execz .LBB205_8
; %bb.14:                               ;   in Loop: Header=BB205_9 Depth=1
	v_bfe_u32 v6, v6, s1, 8
	s_delay_alu instid0(VALU_DEP_1)
	v_lshlrev_b32_e32 v6, 2, v6
	ds_add_u32 v6, v3
	s_branch .LBB205_8
.LBB205_15:
	s_lshl_b32 s13, s8, 8
.LBB205_16:
	s_bitcmp0_b32 s10, 0
	s_cbranch_scc1 .LBB205_21
; %bb.17:
	v_add_nc_u32_e32 v2, s13, v2
	s_delay_alu instid0(VALU_DEP_1) | instskip(NEXT) | instid1(VALU_DEP_1)
	v_cmp_gt_u32_e64 s0, s5, v2
	s_and_saveexec_b32 s5, s0
	s_cbranch_execz .LBB205_20
; %bb.18:
	v_mad_u64_u32 v[3:4], null, v2, s2, 0
	s_delay_alu instid0(VALU_DEP_1) | instskip(NEXT) | instid1(VALU_DEP_1)
	v_mad_u64_u32 v[5:6], null, v2, s3, v[4:5]
	v_mov_b32_e32 v4, v5
	s_delay_alu instid0(VALU_DEP_1) | instskip(NEXT) | instid1(VALU_DEP_1)
	v_lshlrev_b64 v[2:3], 1, v[3:4]
	v_add_co_u32 v2, s0, s4, v2
	s_delay_alu instid0(VALU_DEP_1)
	v_add_co_ci_u32_e64 v3, s0, s12, v3, s0
	global_load_u16 v2, v[2:3], off
	v_mov_b32_e32 v3, 0x8000
	s_waitcnt vmcnt(0)
	v_cmp_lt_i16_e64 s0, -1, v2
	v_and_b32_e32 v4, 0xffff, v2
	s_delay_alu instid0(VALU_DEP_2) | instskip(SKIP_1) | instid1(VALU_DEP_2)
	v_cndmask_b32_e64 v3, 0xffff, v3, s0
	v_cmp_o_f16_e64 s0, v2, v2
	v_xor_b32_e32 v3, v3, v4
	s_delay_alu instid0(VALU_DEP_1) | instskip(NEXT) | instid1(VALU_DEP_1)
	v_cndmask_b32_e64 v2, 0xffff, v3, s0
	v_xor_b32_e32 v3, s9, v2
	s_delay_alu instid0(VALU_DEP_1) | instskip(NEXT) | instid1(VALU_DEP_1)
	v_and_b32_e32 v3, s11, v3
	v_cmp_eq_u32_e64 s0, 0, v3
	s_delay_alu instid0(VALU_DEP_1)
	s_and_b32 exec_lo, exec_lo, s0
	s_cbranch_execz .LBB205_20
; %bb.19:
	v_bfe_u32 v2, v2, s1, 8
	s_delay_alu instid0(VALU_DEP_1)
	v_dual_mov_b32 v3, 1 :: v_dual_lshlrev_b32 v2, 2, v2
	ds_add_u32 v2, v3
.LBB205_20:
	s_or_b32 exec_lo, exec_lo, s5
.LBB205_21:
	v_mov_b32_e32 v2, 0
	s_waitcnt lgkmcnt(0)
	s_barrier
	buffer_gl0_inv
	s_and_saveexec_b32 s0, vcc_lo
	s_cbranch_execz .LBB205_23
; %bb.22:
	ds_load_b32 v2, v1
.LBB205_23:
	s_or_b32 exec_lo, exec_lo, s0
	s_and_saveexec_b32 s0, vcc_lo
	s_cbranch_execz .LBB205_25
; %bb.24:
	v_lshl_or_b32 v0, s16, 8, v0
	v_mov_b32_e32 v1, 0
	s_delay_alu instid0(VALU_DEP_1) | instskip(NEXT) | instid1(VALU_DEP_1)
	v_lshlrev_b64 v[0:1], 1, v[0:1]
	v_add_co_u32 v0, vcc_lo, s6, v0
	s_delay_alu instid0(VALU_DEP_2)
	v_add_co_ci_u32_e32 v1, vcc_lo, s7, v1, vcc_lo
	s_waitcnt lgkmcnt(0)
	global_store_b16 v[0:1], v2, off
.LBB205_25:
	s_nop 0
	s_sendmsg sendmsg(MSG_DEALLOC_VGPRS)
	s_endpgm
	.section	.rodata,"a",@progbits
	.p2align	6, 0x0
	.amdhsa_kernel _ZN2at6native6mbtopk23computeBlockDigitCountsIN3c104HalfEmjLi2EEEvNS_4cuda6detail10TensorInfoIKT_T0_EEjPjjSA_iijT1_PSD_Ps
		.amdhsa_group_segment_fixed_size 1024
		.amdhsa_private_segment_fixed_size 0
		.amdhsa_kernarg_size 736
		.amdhsa_user_sgpr_count 13
		.amdhsa_user_sgpr_dispatch_ptr 0
		.amdhsa_user_sgpr_queue_ptr 0
		.amdhsa_user_sgpr_kernarg_segment_ptr 1
		.amdhsa_user_sgpr_dispatch_id 0
		.amdhsa_user_sgpr_private_segment_size 0
		.amdhsa_wavefront_size32 1
		.amdhsa_uses_dynamic_stack 0
		.amdhsa_enable_private_segment 0
		.amdhsa_system_sgpr_workgroup_id_x 1
		.amdhsa_system_sgpr_workgroup_id_y 1
		.amdhsa_system_sgpr_workgroup_id_z 1
		.amdhsa_system_sgpr_workgroup_info 0
		.amdhsa_system_vgpr_workitem_id 0
		.amdhsa_next_free_vgpr 11
		.amdhsa_next_free_sgpr 25
		.amdhsa_reserve_vcc 1
		.amdhsa_float_round_mode_32 0
		.amdhsa_float_round_mode_16_64 0
		.amdhsa_float_denorm_mode_32 3
		.amdhsa_float_denorm_mode_16_64 3
		.amdhsa_dx10_clamp 1
		.amdhsa_ieee_mode 1
		.amdhsa_fp16_overflow 0
		.amdhsa_workgroup_processor_mode 1
		.amdhsa_memory_ordered 1
		.amdhsa_forward_progress 0
		.amdhsa_shared_vgpr_count 0
		.amdhsa_exception_fp_ieee_invalid_op 0
		.amdhsa_exception_fp_denorm_src 0
		.amdhsa_exception_fp_ieee_div_zero 0
		.amdhsa_exception_fp_ieee_overflow 0
		.amdhsa_exception_fp_ieee_underflow 0
		.amdhsa_exception_fp_ieee_inexact 0
		.amdhsa_exception_int_div_zero 0
	.end_amdhsa_kernel
	.section	.text._ZN2at6native6mbtopk23computeBlockDigitCountsIN3c104HalfEmjLi2EEEvNS_4cuda6detail10TensorInfoIKT_T0_EEjPjjSA_iijT1_PSD_Ps,"axG",@progbits,_ZN2at6native6mbtopk23computeBlockDigitCountsIN3c104HalfEmjLi2EEEvNS_4cuda6detail10TensorInfoIKT_T0_EEjPjjSA_iijT1_PSD_Ps,comdat
.Lfunc_end205:
	.size	_ZN2at6native6mbtopk23computeBlockDigitCountsIN3c104HalfEmjLi2EEEvNS_4cuda6detail10TensorInfoIKT_T0_EEjPjjSA_iijT1_PSD_Ps, .Lfunc_end205-_ZN2at6native6mbtopk23computeBlockDigitCountsIN3c104HalfEmjLi2EEEvNS_4cuda6detail10TensorInfoIKT_T0_EEjPjjSA_iijT1_PSD_Ps
                                        ; -- End function
	.section	.AMDGPU.csdata,"",@progbits
; Kernel info:
; codeLenInByte = 1452
; NumSgprs: 27
; NumVgprs: 11
; ScratchSize: 0
; MemoryBound: 0
; FloatMode: 240
; IeeeMode: 1
; LDSByteSize: 1024 bytes/workgroup (compile time only)
; SGPRBlocks: 3
; VGPRBlocks: 1
; NumSGPRsForWavesPerEU: 27
; NumVGPRsForWavesPerEU: 11
; Occupancy: 16
; WaveLimiterHint : 1
; COMPUTE_PGM_RSRC2:SCRATCH_EN: 0
; COMPUTE_PGM_RSRC2:USER_SGPR: 13
; COMPUTE_PGM_RSRC2:TRAP_HANDLER: 0
; COMPUTE_PGM_RSRC2:TGID_X_EN: 1
; COMPUTE_PGM_RSRC2:TGID_Y_EN: 1
; COMPUTE_PGM_RSRC2:TGID_Z_EN: 1
; COMPUTE_PGM_RSRC2:TIDIG_COMP_CNT: 0
	.section	.text._ZN2at6native6mbtopk10gatherTopKIN3c104HalfEmLi2EEEvNS_4cuda6detail10TensorInfoIKT_T0_EESA_SA_bjSA_NS7_IS8_SA_EESA_NS7_IlSA_EESA_jjPS8_PjSF_j,"axG",@progbits,_ZN2at6native6mbtopk10gatherTopKIN3c104HalfEmLi2EEEvNS_4cuda6detail10TensorInfoIKT_T0_EESA_SA_bjSA_NS7_IS8_SA_EESA_NS7_IlSA_EESA_jjPS8_PjSF_j,comdat
	.protected	_ZN2at6native6mbtopk10gatherTopKIN3c104HalfEmLi2EEEvNS_4cuda6detail10TensorInfoIKT_T0_EESA_SA_bjSA_NS7_IS8_SA_EESA_NS7_IlSA_EESA_jjPS8_PjSF_j ; -- Begin function _ZN2at6native6mbtopk10gatherTopKIN3c104HalfEmLi2EEEvNS_4cuda6detail10TensorInfoIKT_T0_EESA_SA_bjSA_NS7_IS8_SA_EESA_NS7_IlSA_EESA_jjPS8_PjSF_j
	.globl	_ZN2at6native6mbtopk10gatherTopKIN3c104HalfEmLi2EEEvNS_4cuda6detail10TensorInfoIKT_T0_EESA_SA_bjSA_NS7_IS8_SA_EESA_NS7_IlSA_EESA_jjPS8_PjSF_j
	.p2align	8
	.type	_ZN2at6native6mbtopk10gatherTopKIN3c104HalfEmLi2EEEvNS_4cuda6detail10TensorInfoIKT_T0_EESA_SA_bjSA_NS7_IS8_SA_EESA_NS7_IlSA_EESA_jjPS8_PjSF_j,@function
_ZN2at6native6mbtopk10gatherTopKIN3c104HalfEmLi2EEEvNS_4cuda6detail10TensorInfoIKT_T0_EESA_SA_bjSA_NS7_IS8_SA_EESA_NS7_IlSA_EESA_jjPS8_PjSF_j: ; @_ZN2at6native6mbtopk10gatherTopKIN3c104HalfEmLi2EEEvNS_4cuda6detail10TensorInfoIKT_T0_EESA_SA_bjSA_NS7_IS8_SA_EESA_NS7_IlSA_EESA_jjPS8_PjSF_j
; %bb.0:
	s_clause 0x1
	s_load_b64 s[2:3], s[0:1], 0x538
	s_load_b32 s4, s[0:1], 0x530
	s_waitcnt lgkmcnt(0)
	s_mul_i32 s3, s3, s15
	s_delay_alu instid0(SALU_CYCLE_1) | instskip(NEXT) | instid1(SALU_CYCLE_1)
	s_add_i32 s3, s3, s14
	s_mul_i32 s2, s3, s2
	s_delay_alu instid0(SALU_CYCLE_1) | instskip(NEXT) | instid1(SALU_CYCLE_1)
	s_add_i32 s2, s2, s13
	s_cmp_ge_u32 s2, s4
	s_cbranch_scc1 .LBB206_48
; %bb.1:
	s_clause 0x1
	s_load_b64 s[28:29], s[0:1], 0x510
	s_load_b64 s[36:37], s[0:1], 0x1d0
	s_mov_b32 s31, 0
	s_waitcnt lgkmcnt(0)
	v_cvt_f32_u32_e32 v1, s29
	s_sub_i32 s4, 0, s29
	s_lshl_b32 s33, s28, 8
	s_delay_alu instid0(VALU_DEP_1) | instskip(SKIP_2) | instid1(VALU_DEP_1)
	v_rcp_iflag_f32_e32 v1, v1
	s_waitcnt_depctr 0xfff
	v_mul_f32_e32 v1, 0x4f7ffffe, v1
	v_cvt_u32_f32_e32 v1, v1
	s_delay_alu instid0(VALU_DEP_1) | instskip(NEXT) | instid1(VALU_DEP_1)
	v_readfirstlane_b32 s3, v1
	s_mul_i32 s4, s4, s3
	s_delay_alu instid0(SALU_CYCLE_1) | instskip(NEXT) | instid1(SALU_CYCLE_1)
	s_mul_hi_u32 s4, s3, s4
	s_add_i32 s3, s3, s4
	s_clause 0x1
	s_load_b128 s[4:7], s[0:1], 0x1a0
	s_load_b64 s[34:35], s[0:1], 0x10
	s_mul_hi_u32 s3, s2, s3
	s_delay_alu instid0(SALU_CYCLE_1) | instskip(SKIP_2) | instid1(SALU_CYCLE_1)
	s_mul_i32 s8, s3, s29
	s_add_i32 s9, s3, 1
	s_sub_i32 s8, s2, s8
	s_sub_i32 s10, s8, s29
	s_cmp_ge_u32 s8, s29
	s_cselect_b32 s3, s9, s3
	s_cselect_b32 s8, s10, s8
	s_add_i32 s9, s3, 1
	s_cmp_ge_u32 s8, s29
	s_cselect_b32 s30, s9, s3
	s_delay_alu instid0(SALU_CYCLE_1) | instskip(NEXT) | instid1(SALU_CYCLE_1)
	s_mul_i32 s16, s30, s29
	s_sub_i32 s48, s2, s16
	s_delay_alu instid0(SALU_CYCLE_1) | instskip(NEXT) | instid1(SALU_CYCLE_1)
	s_add_i32 s2, s48, 1
	s_cmp_lt_u32 s2, s29
	s_cbranch_scc1 .LBB206_3
; %bb.2:
	s_mul_i32 s2, s48, s33
	s_waitcnt lgkmcnt(0)
	s_sub_u32 s2, s4, s2
	s_subb_u32 s3, s5, 0
	s_add_u32 s2, s2, 0xff
	s_addc_u32 s3, s3, 0
	s_delay_alu instid0(SALU_CYCLE_1) | instskip(NEXT) | instid1(SALU_CYCLE_1)
	s_ashr_i32 s8, s3, 31
	s_lshr_b32 s8, s8, 24
	s_delay_alu instid0(SALU_CYCLE_1) | instskip(SKIP_1) | instid1(SALU_CYCLE_1)
	s_add_u32 s2, s2, s8
	s_addc_u32 s3, s3, 0
	v_alignbit_b32 v1, s3, s2, 8
	s_delay_alu instid0(VALU_DEP_1)
	v_readfirstlane_b32 s28, v1
.LBB206_3:
	s_load_b64 s[38:39], s[0:1], 0x378
	s_waitcnt lgkmcnt(0)
	v_cmp_lt_u64_e64 s2, s[30:31], s[34:35]
	s_mov_b64 s[40:41], 0
	s_mov_b64 s[42:43], 0
	s_delay_alu instid0(VALU_DEP_1)
	s_and_b32 vcc_lo, exec_lo, s2
	s_cbranch_vccz .LBB206_20
; %bb.4:
	v_cmp_lt_u64_e64 s2, s[30:31], s[36:37]
	s_delay_alu instid0(VALU_DEP_1)
	s_and_b32 vcc_lo, exec_lo, s2
	s_cbranch_vccz .LBB206_21
.LBB206_5:
	v_cmp_lt_u64_e64 s2, s[30:31], s[38:39]
	s_mov_b64 s[44:45], 0
	s_delay_alu instid0(VALU_DEP_1)
	s_and_b32 vcc_lo, exec_lo, s2
	s_cbranch_vccnz .LBB206_7
.LBB206_6:
	v_cvt_f32_u32_e32 v1, s38
	s_sub_i32 s3, 0, s38
	s_waitcnt_depctr 0xfff
	v_rcp_iflag_f32_e32 v1, v1
	s_waitcnt_depctr 0xfff
	v_mul_f32_e32 v1, 0x4f7ffffe, v1
	s_delay_alu instid0(VALU_DEP_1) | instskip(NEXT) | instid1(VALU_DEP_1)
	v_cvt_u32_f32_e32 v1, v1
	v_readfirstlane_b32 s2, v1
	s_delay_alu instid0(VALU_DEP_1) | instskip(NEXT) | instid1(SALU_CYCLE_1)
	s_mul_i32 s3, s3, s2
	s_mul_hi_u32 s3, s2, s3
	s_delay_alu instid0(SALU_CYCLE_1) | instskip(NEXT) | instid1(SALU_CYCLE_1)
	s_add_i32 s2, s2, s3
	s_mul_hi_u32 s2, s30, s2
	s_delay_alu instid0(SALU_CYCLE_1) | instskip(SKIP_2) | instid1(SALU_CYCLE_1)
	s_mul_i32 s3, s2, s38
	s_add_i32 s8, s2, 1
	s_sub_i32 s3, s30, s3
	s_sub_i32 s9, s3, s38
	s_cmp_ge_u32 s3, s38
	s_cselect_b32 s2, s8, s2
	s_cselect_b32 s3, s9, s3
	s_add_i32 s8, s2, 1
	s_cmp_ge_u32 s3, s38
	s_cselect_b32 s44, s8, s2
.LBB206_7:
	s_clause 0x1
	s_load_b128 s[8:11], s[0:1], 0x518
	s_load_b64 s[46:47], s[0:1], 0x0
	s_lshl_b64 s[2:3], s[30:31], 1
	v_mov_b32_e32 v1, 0
	s_mov_b32 s17, 0
	s_waitcnt lgkmcnt(0)
	s_add_u32 s2, s8, s2
	s_addc_u32 s3, s9, s3
	global_load_u16 v1, v1, s[2:3]
	v_cmp_ne_u32_e64 s2, 0, v0
	v_cmp_eq_u32_e64 s3, 0, v0
	s_waitcnt vmcnt(0)
	v_readfirstlane_b32 s31, v1
	s_delay_alu instid0(VALU_DEP_2)
	s_and_saveexec_b32 s22, s3
	s_cbranch_execz .LBB206_25
; %bb.8:
	s_load_b64 s[8:9], s[0:1], 0x528
	s_lshl_b64 s[18:19], s[16:17], 2
	s_mov_b32 s16, 0
	s_add_u32 s12, s10, s18
	s_addc_u32 s13, s11, s19
	s_mov_b32 s23, 0
	s_waitcnt lgkmcnt(0)
	s_add_u32 s14, s8, s18
	s_addc_u32 s15, s9, s19
	s_cmp_lt_u32 s29, 4
	s_cbranch_scc1 .LBB206_22
; %bb.9:
	s_mov_b32 s24, 0
.LBB206_10:                             ; =>This Inner Loop Header: Depth=1
	s_add_u32 s12, s10, s18
	s_addc_u32 s13, s11, s19
	s_add_u32 s20, s8, s18
	s_load_b128 s[12:15], s[12:13], 0x0
	s_addc_u32 s21, s9, s19
	s_cmp_ge_u32 s24, s48
	s_cbranch_scc0 .LBB206_17
; %bb.11:                               ;   in Loop: Header=BB206_10 Depth=1
	s_add_i32 s25, s24, 1
	s_delay_alu instid0(SALU_CYCLE_1)
	s_cmp_ge_u32 s25, s48
	s_cbranch_scc0 .LBB206_18
.LBB206_12:                             ;   in Loop: Header=BB206_10 Depth=1
	s_add_i32 s25, s25, 1
	s_delay_alu instid0(SALU_CYCLE_1)
	s_cmp_ge_u32 s25, s48
	s_cbranch_scc0 .LBB206_19
.LBB206_13:                             ;   in Loop: Header=BB206_10 Depth=1
	s_add_i32 s25, s25, 1
	s_delay_alu instid0(SALU_CYCLE_1)
	s_cmp_ge_u32 s25, s48
	s_cbranch_scc1 .LBB206_15
.LBB206_14:                             ;   in Loop: Header=BB206_10 Depth=1
	s_load_b32 s20, s[20:21], 0xc
	s_waitcnt lgkmcnt(0)
	s_add_i32 s17, s17, s15
	s_add_i32 s16, s20, s16
.LBB206_15:                             ;   in Loop: Header=BB206_10 Depth=1
	s_waitcnt lgkmcnt(0)
	s_add_i32 s12, s12, s23
	s_delay_alu instid0(SALU_CYCLE_1) | instskip(NEXT) | instid1(SALU_CYCLE_1)
	s_add_i32 s12, s12, s13
	s_add_i32 s12, s12, s14
	s_delay_alu instid0(SALU_CYCLE_1)
	s_add_i32 s23, s12, s15
	s_add_u32 s10, s10, 16
	s_addc_u32 s11, s11, 0
	s_add_u32 s8, s8, 16
	s_addc_u32 s9, s9, 0
	s_add_i32 s21, s25, 4
	s_add_u32 s14, s8, s18
	s_addc_u32 s15, s9, s19
	s_add_u32 s12, s10, s18
	s_addc_u32 s13, s11, s19
	s_add_i32 s20, s25, 1
	s_cmp_ge_u32 s21, s29
	s_cbranch_scc1 .LBB206_23
; %bb.16:                               ;   in Loop: Header=BB206_10 Depth=1
	s_mov_b32 s24, s20
	s_branch .LBB206_10
.LBB206_17:                             ;   in Loop: Header=BB206_10 Depth=1
	s_load_b32 s25, s[20:21], 0x0
	s_waitcnt lgkmcnt(0)
	s_add_i32 s17, s12, s17
	s_add_i32 s16, s25, s16
	;; [unrolled: 1-line block ×3, first 2 shown]
	s_delay_alu instid0(SALU_CYCLE_1)
	s_cmp_ge_u32 s25, s48
	s_cbranch_scc1 .LBB206_12
.LBB206_18:                             ;   in Loop: Header=BB206_10 Depth=1
	s_load_b32 s26, s[20:21], 0x4
	s_waitcnt lgkmcnt(0)
	s_add_i32 s17, s17, s13
	s_add_i32 s16, s26, s16
	;; [unrolled: 1-line block ×3, first 2 shown]
	s_delay_alu instid0(SALU_CYCLE_1)
	s_cmp_ge_u32 s25, s48
	s_cbranch_scc1 .LBB206_13
.LBB206_19:                             ;   in Loop: Header=BB206_10 Depth=1
	s_load_b32 s26, s[20:21], 0x8
	s_waitcnt lgkmcnt(0)
	s_add_i32 s17, s17, s14
	s_add_i32 s16, s26, s16
	;; [unrolled: 1-line block ×3, first 2 shown]
	s_delay_alu instid0(SALU_CYCLE_1)
	s_cmp_ge_u32 s25, s48
	s_cbranch_scc0 .LBB206_14
	s_branch .LBB206_15
.LBB206_20:
	v_cvt_f32_u32_e32 v1, s34
	s_sub_i32 s3, 0, s34
	s_delay_alu instid0(VALU_DEP_1) | instskip(SKIP_2) | instid1(VALU_DEP_1)
	v_rcp_iflag_f32_e32 v1, v1
	s_waitcnt_depctr 0xfff
	v_mul_f32_e32 v1, 0x4f7ffffe, v1
	v_cvt_u32_f32_e32 v1, v1
	s_delay_alu instid0(VALU_DEP_1) | instskip(NEXT) | instid1(VALU_DEP_1)
	v_readfirstlane_b32 s2, v1
	s_mul_i32 s3, s3, s2
	s_delay_alu instid0(SALU_CYCLE_1) | instskip(NEXT) | instid1(SALU_CYCLE_1)
	s_mul_hi_u32 s3, s2, s3
	s_add_i32 s2, s2, s3
	s_delay_alu instid0(SALU_CYCLE_1) | instskip(NEXT) | instid1(SALU_CYCLE_1)
	s_mul_hi_u32 s2, s30, s2
	s_mul_i32 s3, s2, s34
	s_add_i32 s8, s2, 1
	s_sub_i32 s3, s30, s3
	s_delay_alu instid0(SALU_CYCLE_1)
	s_sub_i32 s9, s3, s34
	s_cmp_ge_u32 s3, s34
	s_cselect_b32 s2, s8, s2
	s_cselect_b32 s3, s9, s3
	s_add_i32 s8, s2, 1
	s_cmp_ge_u32 s3, s34
	s_cselect_b32 s42, s8, s2
	v_cmp_lt_u64_e64 s2, s[30:31], s[36:37]
	s_delay_alu instid0(VALU_DEP_1)
	s_and_b32 vcc_lo, exec_lo, s2
	s_cbranch_vccnz .LBB206_5
.LBB206_21:
	v_cvt_f32_u32_e32 v1, s36
	s_sub_i32 s3, 0, s36
	s_delay_alu instid0(VALU_DEP_1) | instskip(SKIP_2) | instid1(VALU_DEP_1)
	v_rcp_iflag_f32_e32 v1, v1
	s_waitcnt_depctr 0xfff
	v_mul_f32_e32 v1, 0x4f7ffffe, v1
	v_cvt_u32_f32_e32 v1, v1
	s_delay_alu instid0(VALU_DEP_1) | instskip(NEXT) | instid1(VALU_DEP_1)
	v_readfirstlane_b32 s2, v1
	s_mul_i32 s3, s3, s2
	s_delay_alu instid0(SALU_CYCLE_1) | instskip(NEXT) | instid1(SALU_CYCLE_1)
	s_mul_hi_u32 s3, s2, s3
	s_add_i32 s2, s2, s3
	s_delay_alu instid0(SALU_CYCLE_1) | instskip(NEXT) | instid1(SALU_CYCLE_1)
	s_mul_hi_u32 s2, s30, s2
	s_mul_i32 s3, s2, s36
	s_add_i32 s8, s2, 1
	s_sub_i32 s3, s30, s3
	s_delay_alu instid0(SALU_CYCLE_1)
	s_sub_i32 s9, s3, s36
	s_cmp_ge_u32 s3, s36
	s_cselect_b32 s2, s8, s2
	s_cselect_b32 s3, s9, s3
	s_add_i32 s8, s2, 1
	s_cmp_ge_u32 s3, s36
	s_cselect_b32 s40, s8, s2
	v_cmp_lt_u64_e64 s2, s[30:31], s[38:39]
	s_mov_b64 s[44:45], 0
	s_delay_alu instid0(VALU_DEP_1)
	s_and_b32 vcc_lo, exec_lo, s2
	s_cbranch_vccz .LBB206_6
	s_branch .LBB206_7
.LBB206_22:
	s_mov_b32 s8, 0
	s_delay_alu instid0(SALU_CYCLE_1)
	s_cmp_ge_u32 s8, s29
	s_cbranch_scc0 .LBB206_46
	s_branch .LBB206_24
.LBB206_23:
	s_add_i32 s8, s24, 4
	s_delay_alu instid0(SALU_CYCLE_1)
	s_cmp_ge_u32 s8, s29
	s_cbranch_scc0 .LBB206_46
.LBB206_24:
	v_dual_mov_b32 v1, s16 :: v_dual_mov_b32 v2, s23
	v_dual_mov_b32 v3, s17 :: v_dual_mov_b32 v4, 0
	ds_store_b96 v4, v[1:3] offset:1056
.LBB206_25:
	s_or_b32 exec_lo, exec_lo, s22
	s_clause 0x4
	s_load_b128 s[8:11], s[0:1], 0x1b8
	s_load_b128 s[24:27], s[0:1], 0xd0
	;; [unrolled: 1-line block ×5, first 2 shown]
	s_cmp_eq_u32 s28, 0
	s_waitcnt lgkmcnt(0)
	s_barrier
	buffer_gl0_inv
	s_cbranch_scc1 .LBB206_48
; %bb.26:
	s_mul_i32 s29, s40, s37
	s_mul_hi_u32 s37, s40, s36
	s_mul_i32 s36, s40, s36
	s_add_i32 s37, s37, s29
	s_sub_u32 s29, s30, s36
	s_subb_u32 s37, 0, s37
	s_mul_i32 s23, s29, s23
	s_mul_hi_u32 s36, s29, s22
	s_mul_i32 s37, s37, s22
	s_add_i32 s23, s36, s23
	s_mul_i32 s36, s40, s21
	s_mul_hi_u32 s41, s40, s20
	s_add_i32 s21, s23, s37
	s_mul_i32 s23, s42, s35
	s_mul_hi_u32 s35, s42, s34
	s_mul_i32 s34, s42, s34
	s_add_i32 s37, s41, s36
	s_add_i32 s35, s35, s23
	s_sub_u32 s23, s30, s34
	s_subb_u32 s35, 0, s35
	s_mul_i32 s27, s23, s27
	s_mul_hi_u32 s34, s23, s26
	s_mul_i32 s35, s35, s26
	s_add_i32 s27, s34, s27
	s_mul_i32 s25, s42, s25
	s_mul_hi_u32 s34, s42, s24
	s_add_i32 s27, s27, s35
	s_add_i32 s25, s34, s25
	s_mul_i32 s34, s44, s39
	s_mul_hi_u32 s35, s44, s38
	s_mul_i32 s36, s44, s38
	s_add_i32 s35, s35, s34
	s_sub_u32 s30, s30, s36
	s_mul_i32 s26, s23, s26
	s_mul_i32 s19, s30, s19
	s_mul_hi_u32 s23, s30, s18
	s_subb_u32 s34, 0, s35
	s_add_i32 s19, s23, s19
	s_mul_i32 s34, s34, s18
	s_mul_i32 s24, s42, s24
	s_add_i32 s23, s19, s34
	s_mul_i32 s17, s44, s17
	s_mul_hi_u32 s19, s44, s16
	s_lshl_b64 s[24:25], s[24:25], 1
	s_add_i32 s35, s19, s17
	s_add_u32 s17, s46, s24
	v_dual_mov_b32 v5, 0 :: v_dual_add_nc_u32 v10, -1, v0
	s_addc_u32 s19, s47, s25
	s_lshl_b64 s[24:25], s[26:27], 1
	s_mul_i32 s36, s40, s20
	s_add_u32 s17, s17, s24
	s_addc_u32 s19, s19, s25
	s_lshl_b64 s[24:25], s[36:37], 1
	s_mul_i32 s20, s29, s22
	ds_load_b96 v[1:3], v5 offset:1056
	s_add_u32 s22, s10, s24
	s_addc_u32 s24, s11, s25
	s_lshl_b64 s[10:11], s[20:21], 1
	s_mul_i32 s34, s44, s16
	s_add_u32 s16, s22, s10
	s_addc_u32 s20, s24, s11
	s_lshl_b64 s[10:11], s[34:35], 3
	s_mul_i32 s22, s30, s18
	s_add_u32 s14, s14, s10
	s_addc_u32 s15, s15, s11
	s_lshl_b64 s[10:11], s[22:23], 3
	v_cmp_o_f16_e64 s18, s31, s31
	s_add_u32 s14, s14, s10
	s_sext_i32_i16 s10, s31
	s_addc_u32 s15, s15, s11
	s_and_b32 s11, 0xffff, s31
	s_cmp_gt_i32 s10, -1
	s_mov_b32 s10, 0x8000
	s_load_b32 s21, s[0:1], 0x1b0
	s_cselect_b32 s10, s10, 0xffff
	s_waitcnt lgkmcnt(0)
	v_dual_mov_b32 v14, 0x8000 :: v_dual_add_nc_u32 v1, v1, v2
	s_xor_b32 s10, s10, s11
	s_and_b32 s11, s18, exec_lo
	s_cselect_b32 s18, s10, 0xffff
	s_load_b64 s[10:11], s[0:1], 0x508
	v_lshrrev_b32_e32 v4, 5, v0
	v_mad_u64_u32 v[6:7], null, s48, s33, v[0:1]
	v_lshlrev_b32_e32 v2, 3, v0
	v_lshrrev_b32_e32 v11, 5, v10
	s_delay_alu instid0(VALU_DEP_4) | instskip(SKIP_4) | instid1(VALU_DEP_4)
	v_add_lshl_u32 v8, v4, v0, 2
	v_lshrrev_b32_e32 v4, 2, v0
	v_mbcnt_lo_u32_b32 v9, -1, 0
	v_cmp_gt_u32_e64 s0, 32, v0
	v_add_lshl_u32 v10, v11, v10, 2
                                        ; implicit-def: $vgpr15
	v_add_lshl_u32 v0, v4, v2, 2
	s_delay_alu instid0(VALU_DEP_4)
	v_dual_mov_b32 v4, v6 :: v_dual_and_b32 v11, 15, v9
	v_bfe_i32 v12, v9, 4, 1
	v_add_nc_u32_e32 v13, -1, v9
	s_bitcmp1_b32 s21, 0
	s_cselect_b32 s1, -1, 0
	s_branch .LBB206_29
.LBB206_27:                             ;   in Loop: Header=BB206_29 Depth=1
	s_or_b32 exec_lo, exec_lo, s21
	v_add_nc_u32_e32 v1, v2, v1
.LBB206_28:                             ;   in Loop: Header=BB206_29 Depth=1
	v_add_nc_u32_e32 v3, v16, v3
	v_add_nc_u32_e32 v4, 0x100, v4
	s_add_i32 s28, s28, -1
	s_delay_alu instid0(SALU_CYCLE_1)
	s_cmp_lg_u32 s28, 0
	s_cbranch_scc0 .LBB206_48
.LBB206_29:                             ; =>This Inner Loop Header: Depth=1
	v_mov_b32_e32 v2, v5
	v_mov_b32_e32 v6, v5
	s_mov_b32 s21, exec_lo
	v_cmpx_gt_u64_e64 s[4:5], v[4:5]
	s_cbranch_execz .LBB206_31
; %bb.30:                               ;   in Loop: Header=BB206_29 Depth=1
	v_mad_u64_u32 v[6:7], null, v4, s8, 0
	s_delay_alu instid0(VALU_DEP_1) | instskip(NEXT) | instid1(VALU_DEP_1)
	v_mov_b32_e32 v2, v7
	v_mad_u64_u32 v[15:16], null, v4, s9, v[2:3]
	s_delay_alu instid0(VALU_DEP_1) | instskip(NEXT) | instid1(VALU_DEP_1)
	v_mov_b32_e32 v7, v15
	v_lshlrev_b64 v[6:7], 1, v[6:7]
	s_delay_alu instid0(VALU_DEP_1) | instskip(NEXT) | instid1(VALU_DEP_2)
	v_add_co_u32 v6, vcc_lo, s17, v6
	v_add_co_ci_u32_e32 v7, vcc_lo, s19, v7, vcc_lo
	global_load_u16 v15, v[6:7], off
	s_waitcnt vmcnt(0)
	v_and_b32_e32 v2, 0xffff, v15
	v_cmp_lt_i16_e32 vcc_lo, -1, v15
	v_cndmask_b32_e32 v6, 0xffff, v14, vcc_lo
	v_cmp_o_f16_e32 vcc_lo, v15, v15
	s_delay_alu instid0(VALU_DEP_2) | instskip(NEXT) | instid1(VALU_DEP_1)
	v_xor_b32_e32 v2, v6, v2
	v_cndmask_b32_e32 v6, 0xffff, v2, vcc_lo
	s_delay_alu instid0(VALU_DEP_1) | instskip(SKIP_4) | instid1(VALU_DEP_2)
	v_cmp_lt_u32_e32 vcc_lo, s18, v6
	v_cndmask_b32_e64 v2, 0, 1, vcc_lo
	v_cmp_gt_u32_e32 vcc_lo, s18, v6
	v_cndmask_b32_e64 v7, 0, 1, vcc_lo
	v_cmp_eq_u32_e32 vcc_lo, s18, v6
	v_cndmask_b32_e64 v2, v7, v2, s1
	v_cndmask_b32_e64 v6, 0, 1, vcc_lo
	s_delay_alu instid0(VALU_DEP_2)
	v_and_b32_e32 v2, 1, v2
.LBB206_31:                             ;   in Loop: Header=BB206_29 Depth=1
	s_or_b32 exec_lo, exec_lo, s21
	ds_store_b32 v8, v2
	s_waitcnt lgkmcnt(0)
	s_waitcnt_vscnt null, 0x0
	s_barrier
	buffer_gl0_inv
	s_and_saveexec_b32 s21, s0
	s_cbranch_execz .LBB206_33
; %bb.32:                               ;   in Loop: Header=BB206_29 Depth=1
	ds_load_2addr_b32 v[16:17], v0 offset1:1
	ds_load_2addr_b32 v[18:19], v0 offset0:2 offset1:3
	ds_load_2addr_b32 v[20:21], v0 offset0:4 offset1:5
	;; [unrolled: 1-line block ×3, first 2 shown]
	v_cmp_ne_u32_e32 vcc_lo, 0, v11
	; wave barrier
	s_waitcnt lgkmcnt(3)
	v_add_nc_u32_e32 v7, v17, v16
	s_waitcnt lgkmcnt(2)
	s_delay_alu instid0(VALU_DEP_1) | instskip(SKIP_1) | instid1(VALU_DEP_1)
	v_add3_u32 v7, v7, v18, v19
	s_waitcnt lgkmcnt(1)
	v_add3_u32 v7, v7, v20, v21
	s_waitcnt lgkmcnt(0)
	s_delay_alu instid0(VALU_DEP_1) | instskip(NEXT) | instid1(VALU_DEP_1)
	v_add3_u32 v7, v7, v22, v23
	v_mov_b32_dpp v17, v7 row_shr:1 row_mask:0xf bank_mask:0xf
	s_delay_alu instid0(VALU_DEP_1) | instskip(SKIP_1) | instid1(VALU_DEP_2)
	v_cndmask_b32_e32 v17, 0, v17, vcc_lo
	v_cmp_lt_u32_e32 vcc_lo, 1, v11
	v_add_nc_u32_e32 v7, v17, v7
	s_delay_alu instid0(VALU_DEP_1) | instskip(NEXT) | instid1(VALU_DEP_1)
	v_mov_b32_dpp v17, v7 row_shr:2 row_mask:0xf bank_mask:0xf
	v_cndmask_b32_e32 v17, 0, v17, vcc_lo
	v_cmp_lt_u32_e32 vcc_lo, 3, v11
	s_delay_alu instid0(VALU_DEP_2) | instskip(NEXT) | instid1(VALU_DEP_1)
	v_add_nc_u32_e32 v7, v7, v17
	v_mov_b32_dpp v17, v7 row_shr:4 row_mask:0xf bank_mask:0xf
	s_delay_alu instid0(VALU_DEP_1) | instskip(SKIP_1) | instid1(VALU_DEP_2)
	v_cndmask_b32_e32 v17, 0, v17, vcc_lo
	v_cmp_lt_u32_e32 vcc_lo, 7, v11
	v_add_nc_u32_e32 v7, v7, v17
	s_delay_alu instid0(VALU_DEP_1) | instskip(NEXT) | instid1(VALU_DEP_1)
	v_mov_b32_dpp v17, v7 row_shr:8 row_mask:0xf bank_mask:0xf
	v_cndmask_b32_e32 v17, 0, v17, vcc_lo
	v_cmp_gt_i32_e32 vcc_lo, 0, v13
	s_delay_alu instid0(VALU_DEP_2)
	v_add_nc_u32_e32 v7, v7, v17
	v_cndmask_b32_e32 v18, v13, v9, vcc_lo
	ds_swizzle_b32 v17, v7 offset:swizzle(BROADCAST,32,15)
	v_lshlrev_b32_e32 v18, 2, v18
	s_waitcnt lgkmcnt(0)
	v_and_b32_e32 v17, v12, v17
	s_delay_alu instid0(VALU_DEP_1) | instskip(SKIP_3) | instid1(VALU_DEP_1)
	v_add_nc_u32_e32 v7, v7, v17
	ds_bpermute_b32 v7, v18, v7
	s_waitcnt lgkmcnt(0)
	v_add_nc_u32_e32 v7, v7, v16
	v_cndmask_b32_e64 v7, v7, v2, s3
	ds_store_b32 v0, v7
	; wave barrier
	ds_load_2addr_b32 v[16:17], v0 offset0:1 offset1:2
	ds_load_2addr_b32 v[18:19], v0 offset0:3 offset1:4
	;; [unrolled: 1-line block ×3, first 2 shown]
	ds_load_b32 v22, v0 offset:28
	s_waitcnt lgkmcnt(3)
	v_add_nc_u32_e32 v7, v16, v7
	s_delay_alu instid0(VALU_DEP_1) | instskip(SKIP_1) | instid1(VALU_DEP_1)
	v_add_nc_u32_e32 v16, v17, v7
	s_waitcnt lgkmcnt(2)
	v_add_nc_u32_e32 v17, v18, v16
	s_delay_alu instid0(VALU_DEP_1) | instskip(SKIP_1) | instid1(VALU_DEP_1)
	v_add_nc_u32_e32 v18, v19, v17
	;; [unrolled: 4-line block ×3, first 2 shown]
	s_waitcnt lgkmcnt(0)
	v_add_nc_u32_e32 v21, v22, v20
	ds_store_2addr_b32 v0, v7, v16 offset0:1 offset1:2
	ds_store_2addr_b32 v0, v17, v18 offset0:3 offset1:4
	ds_store_2addr_b32 v0, v19, v20 offset0:5 offset1:6
	ds_store_b32 v0, v21 offset:28
.LBB206_33:                             ;   in Loop: Header=BB206_29 Depth=1
	s_or_b32 exec_lo, exec_lo, s21
	v_mov_b32_e32 v7, 0
	s_waitcnt lgkmcnt(0)
	s_barrier
	buffer_gl0_inv
	s_and_saveexec_b32 s21, s2
	s_cbranch_execz .LBB206_35
; %bb.34:                               ;   in Loop: Header=BB206_29 Depth=1
	ds_load_b32 v7, v10
.LBB206_35:                             ;   in Loop: Header=BB206_29 Depth=1
	s_or_b32 exec_lo, exec_lo, s21
	ds_load_b32 v16, v5 offset:1048
	s_mov_b32 s21, exec_lo
	s_waitcnt lgkmcnt(0)
	s_barrier
	buffer_gl0_inv
	v_cmpx_ne_u32_e32 0, v2
	s_cbranch_execz .LBB206_37
; %bb.36:                               ;   in Loop: Header=BB206_29 Depth=1
	v_add_nc_u32_e32 v23, v7, v3
	s_delay_alu instid0(VALU_DEP_1) | instskip(NEXT) | instid1(VALU_DEP_1)
	v_mad_u64_u32 v[17:18], null, v23, s12, 0
	v_mov_b32_e32 v2, v18
	v_mad_u64_u32 v[19:20], null, v23, s10, 0
	s_delay_alu instid0(VALU_DEP_1) | instskip(NEXT) | instid1(VALU_DEP_3)
	v_mov_b32_e32 v7, v20
	v_mad_u64_u32 v[20:21], null, v23, s13, v[2:3]
	s_delay_alu instid0(VALU_DEP_2) | instskip(NEXT) | instid1(VALU_DEP_2)
	v_mad_u64_u32 v[21:22], null, v23, s11, v[7:8]
	v_mov_b32_e32 v18, v20
	s_delay_alu instid0(VALU_DEP_2) | instskip(NEXT) | instid1(VALU_DEP_2)
	v_mov_b32_e32 v20, v21
	v_lshlrev_b64 v[17:18], 1, v[17:18]
	s_delay_alu instid0(VALU_DEP_2) | instskip(NEXT) | instid1(VALU_DEP_2)
	v_lshlrev_b64 v[19:20], 3, v[19:20]
	v_add_co_u32 v17, vcc_lo, s16, v17
	s_delay_alu instid0(VALU_DEP_3) | instskip(NEXT) | instid1(VALU_DEP_3)
	v_add_co_ci_u32_e32 v18, vcc_lo, s20, v18, vcc_lo
	v_add_co_u32 v19, vcc_lo, s14, v19
	s_delay_alu instid0(VALU_DEP_4)
	v_add_co_ci_u32_e32 v20, vcc_lo, s15, v20, vcc_lo
	global_store_b16 v[17:18], v15, off
	global_store_b64 v[19:20], v[4:5], off
.LBB206_37:                             ;   in Loop: Header=BB206_29 Depth=1
	s_or_b32 exec_lo, exec_lo, s21
	v_mov_b32_e32 v2, v5
	s_delay_alu instid0(VALU_DEP_1)
	v_cmp_le_u64_e32 vcc_lo, s[6:7], v[1:2]
	s_cbranch_vccnz .LBB206_28
; %bb.38:                               ;   in Loop: Header=BB206_29 Depth=1
	ds_store_b32 v8, v6
	s_waitcnt lgkmcnt(0)
	s_waitcnt_vscnt null, 0x0
	s_barrier
	buffer_gl0_inv
	s_and_saveexec_b32 s21, s0
	s_cbranch_execz .LBB206_40
; %bb.39:                               ;   in Loop: Header=BB206_29 Depth=1
	ds_load_2addr_b32 v[17:18], v0 offset1:1
	ds_load_2addr_b32 v[19:20], v0 offset0:2 offset1:3
	ds_load_2addr_b32 v[21:22], v0 offset0:4 offset1:5
	;; [unrolled: 1-line block ×3, first 2 shown]
	v_cmp_ne_u32_e32 vcc_lo, 0, v11
	; wave barrier
	s_waitcnt lgkmcnt(3)
	v_add_nc_u32_e32 v2, v18, v17
	s_waitcnt lgkmcnt(2)
	s_delay_alu instid0(VALU_DEP_1) | instskip(SKIP_1) | instid1(VALU_DEP_1)
	v_add3_u32 v2, v2, v19, v20
	s_waitcnt lgkmcnt(1)
	v_add3_u32 v2, v2, v21, v22
	s_waitcnt lgkmcnt(0)
	s_delay_alu instid0(VALU_DEP_1) | instskip(NEXT) | instid1(VALU_DEP_1)
	v_add3_u32 v2, v2, v23, v24
	v_mov_b32_dpp v7, v2 row_shr:1 row_mask:0xf bank_mask:0xf
	s_delay_alu instid0(VALU_DEP_1) | instskip(SKIP_1) | instid1(VALU_DEP_2)
	v_cndmask_b32_e32 v7, 0, v7, vcc_lo
	v_cmp_lt_u32_e32 vcc_lo, 1, v11
	v_add_nc_u32_e32 v2, v7, v2
	s_delay_alu instid0(VALU_DEP_1) | instskip(NEXT) | instid1(VALU_DEP_1)
	v_mov_b32_dpp v7, v2 row_shr:2 row_mask:0xf bank_mask:0xf
	v_cndmask_b32_e32 v7, 0, v7, vcc_lo
	v_cmp_lt_u32_e32 vcc_lo, 3, v11
	s_delay_alu instid0(VALU_DEP_2) | instskip(NEXT) | instid1(VALU_DEP_1)
	v_add_nc_u32_e32 v2, v2, v7
	v_mov_b32_dpp v7, v2 row_shr:4 row_mask:0xf bank_mask:0xf
	s_delay_alu instid0(VALU_DEP_1) | instskip(SKIP_1) | instid1(VALU_DEP_2)
	v_cndmask_b32_e32 v7, 0, v7, vcc_lo
	v_cmp_lt_u32_e32 vcc_lo, 7, v11
	v_add_nc_u32_e32 v2, v2, v7
	s_delay_alu instid0(VALU_DEP_1) | instskip(NEXT) | instid1(VALU_DEP_1)
	v_mov_b32_dpp v7, v2 row_shr:8 row_mask:0xf bank_mask:0xf
	v_cndmask_b32_e32 v7, 0, v7, vcc_lo
	v_cmp_gt_i32_e32 vcc_lo, 0, v13
	v_cndmask_b32_e32 v18, v13, v9, vcc_lo
	s_delay_alu instid0(VALU_DEP_1) | instskip(NEXT) | instid1(VALU_DEP_4)
	v_lshlrev_b32_e32 v18, 2, v18
	v_add_nc_u32_e32 v2, v2, v7
	ds_swizzle_b32 v7, v2 offset:swizzle(BROADCAST,32,15)
	s_waitcnt lgkmcnt(0)
	v_and_b32_e32 v7, v12, v7
	s_delay_alu instid0(VALU_DEP_1) | instskip(SKIP_3) | instid1(VALU_DEP_1)
	v_add_nc_u32_e32 v2, v2, v7
	ds_bpermute_b32 v2, v18, v2
	s_waitcnt lgkmcnt(0)
	v_add_nc_u32_e32 v2, v2, v17
	v_cndmask_b32_e64 v2, v2, v6, s3
	ds_store_b32 v0, v2
	; wave barrier
	ds_load_2addr_b32 v[17:18], v0 offset0:1 offset1:2
	ds_load_2addr_b32 v[19:20], v0 offset0:3 offset1:4
	;; [unrolled: 1-line block ×3, first 2 shown]
	ds_load_b32 v7, v0 offset:28
	s_waitcnt lgkmcnt(3)
	v_add_nc_u32_e32 v2, v17, v2
	s_delay_alu instid0(VALU_DEP_1) | instskip(SKIP_1) | instid1(VALU_DEP_1)
	v_add_nc_u32_e32 v17, v18, v2
	s_waitcnt lgkmcnt(2)
	v_add_nc_u32_e32 v18, v19, v17
	s_delay_alu instid0(VALU_DEP_1) | instskip(SKIP_1) | instid1(VALU_DEP_1)
	v_add_nc_u32_e32 v19, v20, v18
	;; [unrolled: 4-line block ×3, first 2 shown]
	s_waitcnt lgkmcnt(0)
	v_add_nc_u32_e32 v7, v7, v21
	ds_store_2addr_b32 v0, v2, v17 offset0:1 offset1:2
	ds_store_2addr_b32 v0, v18, v19 offset0:3 offset1:4
	;; [unrolled: 1-line block ×3, first 2 shown]
	ds_store_b32 v0, v7 offset:28
.LBB206_40:                             ;   in Loop: Header=BB206_29 Depth=1
	s_or_b32 exec_lo, exec_lo, s21
	v_mov_b32_e32 v7, 0
	s_waitcnt lgkmcnt(0)
	s_barrier
	buffer_gl0_inv
	s_and_saveexec_b32 s21, s2
	s_cbranch_execz .LBB206_42
; %bb.41:                               ;   in Loop: Header=BB206_29 Depth=1
	ds_load_b32 v7, v10
.LBB206_42:                             ;   in Loop: Header=BB206_29 Depth=1
	s_or_b32 exec_lo, exec_lo, s21
	ds_load_b32 v2, v5 offset:1048
	s_mov_b32 s21, exec_lo
	s_waitcnt lgkmcnt(0)
	s_barrier
	buffer_gl0_inv
	v_cmpx_ne_u32_e32 0, v6
	s_cbranch_execz .LBB206_27
; %bb.43:                               ;   in Loop: Header=BB206_29 Depth=1
	v_dual_mov_b32 v7, v5 :: v_dual_add_nc_u32 v6, v7, v1
	s_delay_alu instid0(VALU_DEP_1)
	v_cmp_gt_u64_e32 vcc_lo, s[6:7], v[6:7]
	s_and_b32 exec_lo, exec_lo, vcc_lo
	s_cbranch_execz .LBB206_27
; %bb.44:                               ;   in Loop: Header=BB206_29 Depth=1
	v_mad_u64_u32 v[17:18], null, v6, s12, 0
	v_mad_u64_u32 v[19:20], null, v6, s10, 0
	s_delay_alu instid0(VALU_DEP_1) | instskip(NEXT) | instid1(VALU_DEP_1)
	v_dual_mov_b32 v7, v18 :: v_dual_mov_b32 v18, v20
	v_mad_u64_u32 v[20:21], null, v6, s13, v[7:8]
	s_delay_alu instid0(VALU_DEP_2) | instskip(NEXT) | instid1(VALU_DEP_2)
	v_mad_u64_u32 v[21:22], null, v6, s11, v[18:19]
	v_mov_b32_e32 v18, v20
	s_delay_alu instid0(VALU_DEP_2) | instskip(NEXT) | instid1(VALU_DEP_2)
	v_mov_b32_e32 v20, v21
	v_lshlrev_b64 v[6:7], 1, v[17:18]
	s_delay_alu instid0(VALU_DEP_2) | instskip(NEXT) | instid1(VALU_DEP_2)
	v_lshlrev_b64 v[17:18], 3, v[19:20]
	v_add_co_u32 v6, vcc_lo, s16, v6
	s_delay_alu instid0(VALU_DEP_3) | instskip(NEXT) | instid1(VALU_DEP_3)
	v_add_co_ci_u32_e32 v7, vcc_lo, s20, v7, vcc_lo
	v_add_co_u32 v17, vcc_lo, s14, v17
	s_delay_alu instid0(VALU_DEP_4)
	v_add_co_ci_u32_e32 v18, vcc_lo, s15, v18, vcc_lo
	global_store_b16 v[6:7], v15, off
	global_store_b64 v[17:18], v[4:5], off
	s_branch .LBB206_27
	.p2align	6
.LBB206_45:                             ;   in Loop: Header=BB206_46 Depth=1
	s_add_u32 s12, s12, 4
	s_addc_u32 s13, s13, 0
	s_waitcnt lgkmcnt(0)
	s_add_i32 s23, s9, s23
	s_add_u32 s14, s14, 4
	s_addc_u32 s15, s15, 0
	s_add_i32 s8, s8, 1
	s_delay_alu instid0(SALU_CYCLE_1)
	s_cmp_lt_u32 s8, s29
	s_cbranch_scc0 .LBB206_24
.LBB206_46:                             ; =>This Inner Loop Header: Depth=1
	s_load_b32 s9, s[12:13], 0x0
	s_cmp_ge_u32 s8, s48
	s_cbranch_scc1 .LBB206_45
; %bb.47:                               ;   in Loop: Header=BB206_46 Depth=1
	s_load_b32 s10, s[14:15], 0x0
	s_waitcnt lgkmcnt(0)
	s_add_i32 s17, s9, s17
	s_add_i32 s16, s10, s16
	s_branch .LBB206_45
.LBB206_48:
	s_nop 0
	s_sendmsg sendmsg(MSG_DEALLOC_VGPRS)
	s_endpgm
	.section	.rodata,"a",@progbits
	.p2align	6, 0x0
	.amdhsa_kernel _ZN2at6native6mbtopk10gatherTopKIN3c104HalfEmLi2EEEvNS_4cuda6detail10TensorInfoIKT_T0_EESA_SA_bjSA_NS7_IS8_SA_EESA_NS7_IlSA_EESA_jjPS8_PjSF_j
		.amdhsa_group_segment_fixed_size 1068
		.amdhsa_private_segment_fixed_size 0
		.amdhsa_kernarg_size 1592
		.amdhsa_user_sgpr_count 13
		.amdhsa_user_sgpr_dispatch_ptr 0
		.amdhsa_user_sgpr_queue_ptr 0
		.amdhsa_user_sgpr_kernarg_segment_ptr 1
		.amdhsa_user_sgpr_dispatch_id 0
		.amdhsa_user_sgpr_private_segment_size 0
		.amdhsa_wavefront_size32 1
		.amdhsa_uses_dynamic_stack 0
		.amdhsa_enable_private_segment 0
		.amdhsa_system_sgpr_workgroup_id_x 1
		.amdhsa_system_sgpr_workgroup_id_y 1
		.amdhsa_system_sgpr_workgroup_id_z 1
		.amdhsa_system_sgpr_workgroup_info 0
		.amdhsa_system_vgpr_workitem_id 0
		.amdhsa_next_free_vgpr 25
		.amdhsa_next_free_sgpr 49
		.amdhsa_reserve_vcc 1
		.amdhsa_float_round_mode_32 0
		.amdhsa_float_round_mode_16_64 0
		.amdhsa_float_denorm_mode_32 3
		.amdhsa_float_denorm_mode_16_64 3
		.amdhsa_dx10_clamp 1
		.amdhsa_ieee_mode 1
		.amdhsa_fp16_overflow 0
		.amdhsa_workgroup_processor_mode 1
		.amdhsa_memory_ordered 1
		.amdhsa_forward_progress 0
		.amdhsa_shared_vgpr_count 0
		.amdhsa_exception_fp_ieee_invalid_op 0
		.amdhsa_exception_fp_denorm_src 0
		.amdhsa_exception_fp_ieee_div_zero 0
		.amdhsa_exception_fp_ieee_overflow 0
		.amdhsa_exception_fp_ieee_underflow 0
		.amdhsa_exception_fp_ieee_inexact 0
		.amdhsa_exception_int_div_zero 0
	.end_amdhsa_kernel
	.section	.text._ZN2at6native6mbtopk10gatherTopKIN3c104HalfEmLi2EEEvNS_4cuda6detail10TensorInfoIKT_T0_EESA_SA_bjSA_NS7_IS8_SA_EESA_NS7_IlSA_EESA_jjPS8_PjSF_j,"axG",@progbits,_ZN2at6native6mbtopk10gatherTopKIN3c104HalfEmLi2EEEvNS_4cuda6detail10TensorInfoIKT_T0_EESA_SA_bjSA_NS7_IS8_SA_EESA_NS7_IlSA_EESA_jjPS8_PjSF_j,comdat
.Lfunc_end206:
	.size	_ZN2at6native6mbtopk10gatherTopKIN3c104HalfEmLi2EEEvNS_4cuda6detail10TensorInfoIKT_T0_EESA_SA_bjSA_NS7_IS8_SA_EESA_NS7_IlSA_EESA_jjPS8_PjSF_j, .Lfunc_end206-_ZN2at6native6mbtopk10gatherTopKIN3c104HalfEmLi2EEEvNS_4cuda6detail10TensorInfoIKT_T0_EESA_SA_bjSA_NS7_IS8_SA_EESA_NS7_IlSA_EESA_jjPS8_PjSF_j
                                        ; -- End function
	.section	.AMDGPU.csdata,"",@progbits
; Kernel info:
; codeLenInByte = 3420
; NumSgprs: 51
; NumVgprs: 25
; ScratchSize: 0
; MemoryBound: 0
; FloatMode: 240
; IeeeMode: 1
; LDSByteSize: 1068 bytes/workgroup (compile time only)
; SGPRBlocks: 6
; VGPRBlocks: 3
; NumSGPRsForWavesPerEU: 51
; NumVGPRsForWavesPerEU: 25
; Occupancy: 16
; WaveLimiterHint : 1
; COMPUTE_PGM_RSRC2:SCRATCH_EN: 0
; COMPUTE_PGM_RSRC2:USER_SGPR: 13
; COMPUTE_PGM_RSRC2:TRAP_HANDLER: 0
; COMPUTE_PGM_RSRC2:TGID_X_EN: 1
; COMPUTE_PGM_RSRC2:TGID_Y_EN: 1
; COMPUTE_PGM_RSRC2:TGID_Z_EN: 1
; COMPUTE_PGM_RSRC2:TIDIG_COMP_CNT: 0
	.section	.text._ZN2at6native6sbtopk10gatherTopKIN3c104HalfEmLi2ELb0EEEvNS_4cuda6detail10TensorInfoIKT_T0_EESA_SA_bSA_SA_NS7_IS8_SA_EESA_NS7_IlSA_EESA_PS8_,"axG",@progbits,_ZN2at6native6sbtopk10gatherTopKIN3c104HalfEmLi2ELb0EEEvNS_4cuda6detail10TensorInfoIKT_T0_EESA_SA_bSA_SA_NS7_IS8_SA_EESA_NS7_IlSA_EESA_PS8_,comdat
	.protected	_ZN2at6native6sbtopk10gatherTopKIN3c104HalfEmLi2ELb0EEEvNS_4cuda6detail10TensorInfoIKT_T0_EESA_SA_bSA_SA_NS7_IS8_SA_EESA_NS7_IlSA_EESA_PS8_ ; -- Begin function _ZN2at6native6sbtopk10gatherTopKIN3c104HalfEmLi2ELb0EEEvNS_4cuda6detail10TensorInfoIKT_T0_EESA_SA_bSA_SA_NS7_IS8_SA_EESA_NS7_IlSA_EESA_PS8_
	.globl	_ZN2at6native6sbtopk10gatherTopKIN3c104HalfEmLi2ELb0EEEvNS_4cuda6detail10TensorInfoIKT_T0_EESA_SA_bSA_SA_NS7_IS8_SA_EESA_NS7_IlSA_EESA_PS8_
	.p2align	8
	.type	_ZN2at6native6sbtopk10gatherTopKIN3c104HalfEmLi2ELb0EEEvNS_4cuda6detail10TensorInfoIKT_T0_EESA_SA_bSA_SA_NS7_IS8_SA_EESA_NS7_IlSA_EESA_PS8_,@function
_ZN2at6native6sbtopk10gatherTopKIN3c104HalfEmLi2ELb0EEEvNS_4cuda6detail10TensorInfoIKT_T0_EESA_SA_bSA_SA_NS7_IS8_SA_EESA_NS7_IlSA_EESA_PS8_: ; @_ZN2at6native6sbtopk10gatherTopKIN3c104HalfEmLi2ELb0EEEvNS_4cuda6detail10TensorInfoIKT_T0_EESA_SA_bSA_SA_NS7_IS8_SA_EESA_NS7_IlSA_EESA_PS8_
; %bb.0:
	s_clause 0x1
	s_load_b64 s[18:19], s[0:1], 0x520
	s_load_b128 s[28:31], s[0:1], 0x1b8
	s_add_u32 s16, s0, 0x520
	s_addc_u32 s17, s1, 0
	s_mov_b32 s35, 0
	s_waitcnt lgkmcnt(0)
	s_mul_i32 s2, s19, s15
	s_delay_alu instid0(SALU_CYCLE_1) | instskip(NEXT) | instid1(SALU_CYCLE_1)
	s_add_i32 s2, s2, s14
	s_mul_i32 s2, s2, s18
	s_delay_alu instid0(SALU_CYCLE_1) | instskip(NEXT) | instid1(SALU_CYCLE_1)
	s_add_i32 s34, s2, s13
	v_cmp_ge_u64_e64 s2, s[34:35], s[28:29]
	s_delay_alu instid0(VALU_DEP_1)
	s_and_b32 vcc_lo, exec_lo, s2
	s_cbranch_vccnz .LBB207_543
; %bb.1:
	s_clause 0x2
	s_load_b64 s[6:7], s[0:1], 0x10
	s_load_b64 s[28:29], s[0:1], 0x380
	;; [unrolled: 1-line block ×3, first 2 shown]
	s_mov_b64 s[48:49], 0
	s_waitcnt lgkmcnt(0)
	v_cmp_lt_u64_e64 s2, s[34:35], s[6:7]
	s_delay_alu instid0(VALU_DEP_1)
	s_and_b32 vcc_lo, exec_lo, s2
	s_mov_b64 s[2:3], 0
	s_cbranch_vccnz .LBB207_3
; %bb.2:
	v_cvt_f32_u32_e32 v1, s6
	s_sub_i32 s3, 0, s6
	s_delay_alu instid0(VALU_DEP_1) | instskip(SKIP_2) | instid1(VALU_DEP_1)
	v_rcp_iflag_f32_e32 v1, v1
	s_waitcnt_depctr 0xfff
	v_mul_f32_e32 v1, 0x4f7ffffe, v1
	v_cvt_u32_f32_e32 v1, v1
	s_delay_alu instid0(VALU_DEP_1) | instskip(NEXT) | instid1(VALU_DEP_1)
	v_readfirstlane_b32 s2, v1
	s_mul_i32 s3, s3, s2
	s_delay_alu instid0(SALU_CYCLE_1) | instskip(NEXT) | instid1(SALU_CYCLE_1)
	s_mul_hi_u32 s3, s2, s3
	s_add_i32 s2, s2, s3
	s_delay_alu instid0(SALU_CYCLE_1) | instskip(NEXT) | instid1(SALU_CYCLE_1)
	s_mul_hi_u32 s2, s34, s2
	s_mul_i32 s3, s2, s6
	s_add_i32 s4, s2, 1
	s_sub_i32 s3, s34, s3
	s_delay_alu instid0(SALU_CYCLE_1)
	s_sub_i32 s5, s3, s6
	s_cmp_ge_u32 s3, s6
	s_cselect_b32 s2, s4, s2
	s_cselect_b32 s3, s5, s3
	s_add_i32 s4, s2, 1
	s_cmp_ge_u32 s3, s6
	s_cselect_b32 s2, s4, s2
.LBB207_3:
	v_cmp_lt_u64_e64 s3, s[34:35], s[50:51]
	s_delay_alu instid0(VALU_DEP_1)
	s_and_b32 vcc_lo, exec_lo, s3
	s_cbranch_vccnz .LBB207_5
; %bb.4:
	v_cvt_f32_u32_e32 v1, s50
	s_sub_i32 s4, 0, s50
	s_delay_alu instid0(VALU_DEP_1) | instskip(SKIP_2) | instid1(VALU_DEP_1)
	v_rcp_iflag_f32_e32 v1, v1
	s_waitcnt_depctr 0xfff
	v_mul_f32_e32 v1, 0x4f7ffffe, v1
	v_cvt_u32_f32_e32 v1, v1
	s_delay_alu instid0(VALU_DEP_1) | instskip(NEXT) | instid1(VALU_DEP_1)
	v_readfirstlane_b32 s3, v1
	s_mul_i32 s4, s4, s3
	s_delay_alu instid0(SALU_CYCLE_1) | instskip(NEXT) | instid1(SALU_CYCLE_1)
	s_mul_hi_u32 s4, s3, s4
	s_add_i32 s3, s3, s4
	s_delay_alu instid0(SALU_CYCLE_1) | instskip(NEXT) | instid1(SALU_CYCLE_1)
	s_mul_hi_u32 s3, s34, s3
	s_mul_i32 s4, s3, s50
	s_add_i32 s5, s3, 1
	s_sub_i32 s4, s34, s4
	s_delay_alu instid0(SALU_CYCLE_1)
	s_sub_i32 s8, s4, s50
	s_cmp_ge_u32 s4, s50
	s_cselect_b32 s3, s5, s3
	s_cselect_b32 s4, s8, s4
	s_add_i32 s5, s3, 1
	s_cmp_ge_u32 s4, s50
	s_cselect_b32 s48, s5, s3
.LBB207_5:
	s_load_b64 s[14:15], s[0:1], 0x0
	v_cmp_lt_u64_e64 s3, s[34:35], s[28:29]
	s_mov_b64 s[52:53], 0
	s_delay_alu instid0(VALU_DEP_1)
	s_and_b32 vcc_lo, exec_lo, s3
	s_cbranch_vccnz .LBB207_7
; %bb.6:
	v_cvt_f32_u32_e32 v1, s28
	s_sub_i32 s4, 0, s28
	s_delay_alu instid0(VALU_DEP_1) | instskip(SKIP_2) | instid1(VALU_DEP_1)
	v_rcp_iflag_f32_e32 v1, v1
	s_waitcnt_depctr 0xfff
	v_mul_f32_e32 v1, 0x4f7ffffe, v1
	v_cvt_u32_f32_e32 v1, v1
	s_delay_alu instid0(VALU_DEP_1) | instskip(NEXT) | instid1(VALU_DEP_1)
	v_readfirstlane_b32 s3, v1
	s_mul_i32 s4, s4, s3
	s_delay_alu instid0(SALU_CYCLE_1) | instskip(NEXT) | instid1(SALU_CYCLE_1)
	s_mul_hi_u32 s4, s3, s4
	s_add_i32 s3, s3, s4
	s_delay_alu instid0(SALU_CYCLE_1) | instskip(NEXT) | instid1(SALU_CYCLE_1)
	s_mul_hi_u32 s3, s34, s3
	s_mul_i32 s4, s3, s28
	s_add_i32 s5, s3, 1
	s_sub_i32 s4, s34, s4
	s_delay_alu instid0(SALU_CYCLE_1)
	s_sub_i32 s8, s4, s28
	s_cmp_ge_u32 s4, s28
	s_cselect_b32 s3, s5, s3
	s_cselect_b32 s4, s8, s4
	s_add_i32 s5, s3, 1
	s_cmp_ge_u32 s4, s28
	s_cselect_b32 s52, s5, s3
.LBB207_7:
	s_clause 0x3
	s_load_b64 s[40:41], s[0:1], 0x370
	s_load_b64 s[42:43], s[0:1], 0x1c8
	s_load_b128 s[8:11], s[0:1], 0xd0
	s_load_b128 s[36:39], s[0:1], 0x1a0
	v_cmp_eq_u32_e64 s5, 0, v0
	s_mov_b32 s59, 0
	s_delay_alu instid0(VALU_DEP_1)
	s_and_saveexec_b32 s3, s5
	s_cbranch_execz .LBB207_9
; %bb.8:
	s_waitcnt lgkmcnt(0)
	v_dual_mov_b32 v1, 0 :: v_dual_mov_b32 v4, s37
	s_delay_alu instid0(VALU_DEP_1)
	v_dual_mov_b32 v3, s36 :: v_dual_mov_b32 v2, v1
	ds_store_b32 v1, v1 offset:5144
	ds_store_b128 v1, v[1:4] offset:5120
.LBB207_9:
	s_or_b32 exec_lo, exec_lo, s3
	s_mul_i32 s3, s2, s7
	s_mul_hi_u32 s4, s2, s6
	s_mul_i32 s6, s2, s6
	s_add_i32 s4, s4, s3
	s_sub_u32 s6, s34, s6
	s_subb_u32 s4, 0, s4
	s_waitcnt lgkmcnt(0)
	s_mul_i32 s3, s6, s11
	s_mul_hi_u32 s7, s6, s10
	s_mul_i32 s4, s4, s10
	s_add_i32 s7, s7, s3
	s_mul_i32 s3, s2, s9
	s_mul_hi_u32 s9, s2, s8
	s_mul_i32 s2, s2, s8
	s_add_i32 s3, s9, s3
	s_clause 0x1
	s_load_b32 s11, s[0:1], 0x1b0
	s_load_b128 s[44:47], s[0:1], 0x440
	s_lshl_b64 s[2:3], s[2:3], 1
	s_add_i32 s7, s7, s4
	s_mul_i32 s6, s6, s10
	s_add_u32 s4, s14, s2
	v_mad_u64_u32 v[1:2], null, v0, s30, 0
	s_addc_u32 s8, s15, s3
	s_lshl_b64 s[2:3], s[6:7], 1
	s_waitcnt lgkmcnt(0)
	s_barrier
	buffer_gl0_inv
	s_load_b32 s7, s[16:17], 0xc
	v_mad_u64_u32 v[3:4], null, v0, s31, v[2:3]
	v_mbcnt_lo_u32_b32 v23, -1, 0
	s_add_u32 s33, s4, s2
	s_addc_u32 s35, s8, s3
	v_cmp_gt_u32_e32 vcc_lo, 32, v0
	s_bitcmp1_b32 s11, 0
	v_cmp_gt_i32_e64 s4, 4, v23
	s_delay_alu instid0(VALU_DEP_4) | instskip(SKIP_3) | instid1(VALU_DEP_2)
	v_dual_mov_b32 v2, v3 :: v_dual_mov_b32 v13, 0
	s_cselect_b32 s3, -1, 0
	v_lshrrev_b32_e32 v4, 3, v0
	s_xor_b32 s53, s3, -1
	v_lshlrev_b64 v[2:3], 1, v[1:2]
	s_and_b32 s72, vcc_lo, s4
	v_dual_mov_b32 v1, v13 :: v_dual_lshlrev_b32 v14, 2, v0
	v_dual_mov_b32 v16, s38 :: v_dual_lshlrev_b32 v25, 1, v0
	s_waitcnt lgkmcnt(0)
	s_and_b32 s49, s7, 0xffff
	s_bfe_u32 s8, s7, 0xb0005
	s_add_u32 s74, s49, -1
	s_addc_u32 s75, 0, -1
	s_add_u32 s76, s74, s36
	s_addc_u32 s27, s75, s37
	s_cmp_lt_u32 s13, s18
	v_add_co_u32 v10, vcc_lo, s33, v2
	s_cselect_b32 s9, 12, 18
	v_add_co_ci_u32_e32 v11, vcc_lo, s35, v3, vcc_lo
	v_lshlrev_b64 v[2:3], v23, -1
	s_add_u32 s60, s16, s9
	s_addc_u32 s61, s17, 0
	s_add_i32 s9, s8, -1
	s_bfe_u32 s77, s49, 0x30005
	s_cmp_gt_u32 s9, 6
	v_cmp_lt_u64_e64 s73, 0x600, s[36:37]
	v_cmp_gt_u64_e64 s4, s[36:37], v[0:1]
	v_cmp_eq_u32_e64 s2, 0, v23
	v_dual_mov_b32 v15, v13 :: v_dual_and_b32 v24, 0x7c, v4
	v_cmp_gt_u32_e64 s6, 2, v0
	v_dual_mov_b32 v17, s39 :: v_dual_add_nc_u32 v26, 0xc00, v25
	v_not_b32_e32 v22, v2
	s_cselect_b32 s78, -1, 0
	s_and_b32 s79, s8, 0x7f8
	v_cmp_gt_u16_e64 s80, s7, 31
	v_dual_mov_b32 v32, 0 :: v_dual_lshlrev_b32 v27, 3, v0
	v_lshl_or_b32 v28, v23, 3, 0xc00
	v_dual_mov_b32 v29, 0x8000 :: v_dual_mov_b32 v30, 0
	v_mov_b32_e32 v31, 0
	s_cmp_lg_u32 s77, 0
	s_mov_b32 s83, 14
	s_cselect_b32 s81, -1, 0
	s_lshl_b32 s82, s49, 1
	s_movk_i32 s85, 0x3c00
	s_mov_b32 s84, 0
	s_mov_b32 s87, 0
                                        ; implicit-def: $sgpr86
                                        ; implicit-def: $sgpr90
                                        ; implicit-def: $sgpr89
                                        ; implicit-def: $sgpr91
                                        ; implicit-def: $sgpr88
                                        ; implicit-def: $sgpr92
                                        ; implicit-def: $sgpr94
                                        ; implicit-def: $sgpr93
                                        ; implicit-def: $sgpr95
                                        ; implicit-def: $sgpr96
	s_branch .LBB207_12
.LBB207_10:                             ;   in Loop: Header=BB207_12 Depth=1
	s_or_b32 exec_lo, exec_lo, s10
	v_dual_mov_b32 v30, v9 :: v_dual_mov_b32 v31, v8
	v_dual_mov_b32 v17, v3 :: v_dual_mov_b32 v16, v2
	v_mov_b32_e32 v32, v6
	s_and_not1_b32 s10, s96, exec_lo
	s_and_b32 s9, s9, exec_lo
	s_and_not1_b32 s95, s95, exec_lo
	s_or_b32 s96, s10, s9
	s_and_not1_b32 s93, s93, exec_lo
	s_and_not1_b32 s94, s94, exec_lo
	;; [unrolled: 1-line block ×3, first 2 shown]
	s_or_not1_b32 s8, s8, exec_lo
.LBB207_11:                             ;   in Loop: Header=BB207_12 Depth=1
	s_or_b32 exec_lo, exec_lo, s7
	s_delay_alu instid0(SALU_CYCLE_1) | instskip(NEXT) | instid1(SALU_CYCLE_1)
	s_and_b32 s7, exec_lo, s8
	s_or_b32 s84, s7, s84
	s_and_not1_b32 s7, s88, exec_lo
	s_and_b32 s8, s96, exec_lo
	s_and_not1_b32 s9, s91, exec_lo
	s_or_b32 s88, s7, s8
	s_and_b32 s7, s95, exec_lo
	s_and_not1_b32 s8, s89, exec_lo
	s_and_b32 s10, s93, exec_lo
	s_or_b32 s91, s9, s7
	s_or_b32 s89, s8, s10
	s_and_not1_b32 s7, s90, exec_lo
	s_and_b32 s8, s94, exec_lo
	s_and_not1_b32 s9, s86, exec_lo
	s_and_b32 s10, s92, exec_lo
	s_or_b32 s90, s7, s8
	s_or_b32 s86, s9, s10
	s_and_not1_b32 exec_lo, exec_lo, s84
	s_cbranch_execz .LBB207_481
.LBB207_12:                             ; =>This Loop Header: Depth=1
                                        ;     Child Loop BB207_17 Depth 2
                                        ;     Child Loop BB207_35 Depth 2
	;; [unrolled: 1-line block ×24, first 2 shown]
	ds_load_b128 v[2:5], v13 offset:5120
	s_waitcnt lgkmcnt(0)
	v_readfirstlane_b32 s63, v3
	v_readfirstlane_b32 s62, v2
	s_delay_alu instid0(VALU_DEP_1)
	s_cmp_lg_u64 s[62:63], 0
	s_cbranch_scc1 .LBB207_42
; %bb.13:                               ;   in Loop: Header=BB207_12 Depth=1
	s_and_b32 vcc_lo, exec_lo, s73
	s_cbranch_vccz .LBB207_25
; %bb.14:                               ;   in Loop: Header=BB207_12 Depth=1
	v_cmp_gt_u64_e32 vcc_lo, 0x601, v[4:5]
	s_mov_b32 s9, 0
	s_mov_b32 s7, 0
	s_cbranch_vccz .LBB207_26
; %bb.15:                               ;   in Loop: Header=BB207_12 Depth=1
	global_load_u16 v2, v13, s[60:61]
	global_load_u16 v5, v[10:11], off
	s_mov_b32 s10, 0
	s_waitcnt vmcnt(1)
	v_dual_mov_b32 v3, v1 :: v_dual_and_b32 v4, 0xffff, v2
	v_mov_b32_e32 v2, v0
	s_branch .LBB207_17
.LBB207_16:                             ;   in Loop: Header=BB207_17 Depth=2
	s_or_b32 exec_lo, exec_lo, s8
	v_mov_b32_e32 v5, v6
	s_and_not1_b32 exec_lo, exec_lo, s10
	s_cbranch_execz .LBB207_27
.LBB207_17:                             ;   Parent Loop BB207_12 Depth=1
                                        ; =>  This Inner Loop Header: Depth=2
	s_delay_alu instid0(VALU_DEP_1) | instskip(NEXT) | instid1(VALU_DEP_3)
	v_add_co_u32 v2, vcc_lo, v2, v4
	v_add_co_ci_u32_e32 v3, vcc_lo, 0, v3, vcc_lo
	s_waitcnt lgkmcnt(0)
	v_dual_mov_b32 v7, 0 :: v_dual_mov_b32 v6, 0
	s_mov_b32 s8, exec_lo
	s_delay_alu instid0(VALU_DEP_2)
	v_cmp_le_u64_e32 vcc_lo, s[36:37], v[2:3]
	v_cmpx_gt_u64_e64 s[36:37], v[2:3]
	s_cbranch_execz .LBB207_19
; %bb.18:                               ;   in Loop: Header=BB207_17 Depth=2
	v_mul_lo_u32 v6, v3, s30
	v_mul_lo_u32 v12, v2, s31
	v_mad_u64_u32 v[8:9], null, v2, s30, 0
	s_delay_alu instid0(VALU_DEP_1) | instskip(NEXT) | instid1(VALU_DEP_1)
	v_add3_u32 v9, v9, v12, v6
	v_lshlrev_b64 v[8:9], 1, v[8:9]
	s_delay_alu instid0(VALU_DEP_1) | instskip(NEXT) | instid1(VALU_DEP_1)
	v_add_co_u32 v8, s7, s33, v8
	v_add_co_ci_u32_e64 v9, s7, s35, v9, s7
	global_load_u16 v6, v[8:9], off
.LBB207_19:                             ;   in Loop: Header=BB207_17 Depth=2
	s_or_b32 exec_lo, exec_lo, s8
	s_waitcnt vmcnt(0)
	v_cmp_lt_i16_e64 s7, -1, v5
	v_and_b32_e32 v8, 0xffff, v5
	s_delay_alu instid0(VALU_DEP_2) | instskip(SKIP_1) | instid1(VALU_DEP_2)
	v_cndmask_b32_e64 v9, 0xffff, v29, s7
	v_cmp_o_f16_e64 s7, v5, v5
	v_xor_b32_e32 v8, v9, v8
	s_delay_alu instid0(VALU_DEP_1) | instskip(NEXT) | instid1(VALU_DEP_1)
	v_cndmask_b32_e64 v8, 0xffff, v8, s7
	v_and_b32_e32 v8, v8, v30
	s_delay_alu instid0(VALU_DEP_1) | instskip(NEXT) | instid1(VALU_DEP_1)
	v_cmp_eq_u32_e64 s7, v8, v31
	s_cmp_lg_u32 s7, 0
	s_cselect_b32 s8, -1, 0
	s_delay_alu instid0(SALU_CYCLE_1) | instskip(NEXT) | instid1(SALU_CYCLE_1)
	s_and_b32 s8, s2, s8
	s_and_saveexec_b32 s11, s8
	s_cbranch_execz .LBB207_23
; %bb.20:                               ;   in Loop: Header=BB207_17 Depth=2
	s_mov_b32 s14, exec_lo
	s_bcnt1_i32_b32 s12, s7
	v_mbcnt_lo_u32_b32 v7, s14, 0
	s_mov_b32 s13, exec_lo
                                        ; implicit-def: $vgpr8
	s_delay_alu instid0(VALU_DEP_1)
	v_cmpx_eq_u32_e32 0, v7
	s_cbranch_execz .LBB207_22
; %bb.21:                               ;   in Loop: Header=BB207_17 Depth=2
	s_bcnt1_i32_b32 s8, s14
	s_delay_alu instid0(SALU_CYCLE_1) | instskip(NEXT) | instid1(SALU_CYCLE_1)
	s_mul_i32 s8, s12, s8
	v_mov_b32_e32 v8, s8
	ds_add_rtn_u32 v8, v13, v8 offset:5144
.LBB207_22:                             ;   in Loop: Header=BB207_17 Depth=2
	s_or_b32 exec_lo, exec_lo, s13
	s_waitcnt lgkmcnt(0)
	v_readfirstlane_b32 s8, v8
	s_delay_alu instid0(VALU_DEP_1)
	v_mad_u32_u24 v7, s12, v7, s8
.LBB207_23:                             ;   in Loop: Header=BB207_17 Depth=2
	s_or_b32 exec_lo, exec_lo, s11
	ds_bpermute_b32 v7, v13, v7
	s_and_b32 s8, exec_lo, vcc_lo
	s_delay_alu instid0(SALU_CYCLE_1)
	s_or_b32 s10, s8, s10
	s_and_saveexec_b32 s8, s7
	s_cbranch_execz .LBB207_16
; %bb.24:                               ;   in Loop: Header=BB207_17 Depth=2
	v_and_b32_e32 v8, s7, v22
	s_delay_alu instid0(VALU_DEP_1) | instskip(NEXT) | instid1(VALU_DEP_1)
	v_bcnt_u32_b32 v8, v8, 0
	v_lshlrev_b32_e32 v8, 1, v8
	s_waitcnt lgkmcnt(0)
	s_delay_alu instid0(VALU_DEP_1)
	v_lshl_add_u32 v7, v7, 1, v8
	ds_store_b16 v7, v5
	s_branch .LBB207_16
.LBB207_25:                             ;   in Loop: Header=BB207_12 Depth=1
	s_mov_b32 s7, 0
                                        ; implicit-def: $sgpr62_sgpr63
	s_cbranch_execnz .LBB207_30
	s_branch .LBB207_40
.LBB207_26:                             ;   in Loop: Header=BB207_12 Depth=1
	s_mov_b64 s[62:63], 0
	s_and_b32 vcc_lo, exec_lo, s9
	s_cbranch_vccnz .LBB207_30
	s_branch .LBB207_40
.LBB207_27:                             ;   in Loop: Header=BB207_12 Depth=1
	s_or_b32 exec_lo, exec_lo, s10
	s_waitcnt lgkmcnt(0)
	s_barrier
	buffer_gl0_inv
	s_and_saveexec_b32 s7, s5
	s_cbranch_execz .LBB207_29
; %bb.28:                               ;   in Loop: Header=BB207_12 Depth=1
	ds_load_b32 v2, v13 offset:5144
	s_waitcnt lgkmcnt(0)
	v_ashrrev_i32_e32 v3, 31, v2
	ds_store_b64 v13, v[2:3] offset:5120
.LBB207_29:                             ;   in Loop: Header=BB207_12 Depth=1
	s_or_b32 exec_lo, exec_lo, s7
	s_waitcnt lgkmcnt(0)
	s_mov_b32 s7, -1
	s_barrier
	s_mov_b64 s[62:63], 0
	s_and_b32 vcc_lo, exec_lo, s9
	s_cbranch_vccz .LBB207_40
.LBB207_30:                             ;   in Loop: Header=BB207_12 Depth=1
	v_mov_b32_e32 v4, 0
	s_and_saveexec_b32 s7, s4
	s_cbranch_execz .LBB207_32
; %bb.31:                               ;   in Loop: Header=BB207_12 Depth=1
	global_load_u16 v4, v[10:11], off
.LBB207_32:                             ;   in Loop: Header=BB207_12 Depth=1
	s_or_b32 exec_lo, exec_lo, s7
	s_and_saveexec_b32 s8, s4
	s_cbranch_execz .LBB207_37
; %bb.33:                               ;   in Loop: Header=BB207_12 Depth=1
	global_load_u16 v2, v13, s[60:61]
	s_mov_b32 s9, 0
	s_waitcnt vmcnt(0)
	v_dual_mov_b32 v6, v25 :: v_dual_and_b32 v5, 0xffff, v2
	v_dual_mov_b32 v3, v1 :: v_dual_mov_b32 v2, v0
	s_delay_alu instid0(VALU_DEP_2)
	v_lshlrev_b32_e32 v7, 1, v5
	s_set_inst_prefetch_distance 0x1
	s_branch .LBB207_35
	.p2align	6
.LBB207_34:                             ;   in Loop: Header=BB207_35 Depth=2
	s_or_b32 exec_lo, exec_lo, s10
	ds_store_b16 v6, v4
	v_add_nc_u32_e32 v6, v6, v7
	s_waitcnt vmcnt(0)
	v_mov_b32_e32 v4, v8
	s_and_b32 s7, exec_lo, vcc_lo
	s_delay_alu instid0(SALU_CYCLE_1) | instskip(NEXT) | instid1(SALU_CYCLE_1)
	s_or_b32 s9, s7, s9
	s_and_not1_b32 exec_lo, exec_lo, s9
	s_cbranch_execz .LBB207_37
.LBB207_35:                             ;   Parent Loop BB207_12 Depth=1
                                        ; =>  This Inner Loop Header: Depth=2
	s_delay_alu instid0(VALU_DEP_2) | instskip(SKIP_3) | instid1(VALU_DEP_2)
	v_add_co_u32 v2, vcc_lo, v2, v5
	v_add_co_ci_u32_e32 v3, vcc_lo, 0, v3, vcc_lo
	v_mov_b32_e32 v8, 0
	s_mov_b32 s10, exec_lo
	v_cmp_le_u64_e32 vcc_lo, s[36:37], v[2:3]
	v_cmpx_gt_u64_e64 s[36:37], v[2:3]
	s_cbranch_execz .LBB207_34
; %bb.36:                               ;   in Loop: Header=BB207_35 Depth=2
	v_mul_lo_u32 v12, v3, s30
	v_mul_lo_u32 v18, v2, s31
	v_mad_u64_u32 v[8:9], null, v2, s30, 0
	s_delay_alu instid0(VALU_DEP_1) | instskip(NEXT) | instid1(VALU_DEP_1)
	v_add3_u32 v9, v9, v18, v12
	v_lshlrev_b64 v[8:9], 1, v[8:9]
	s_delay_alu instid0(VALU_DEP_1) | instskip(NEXT) | instid1(VALU_DEP_1)
	v_add_co_u32 v8, s7, s33, v8
	v_add_co_ci_u32_e64 v9, s7, s35, v9, s7
	global_load_u16 v8, v[8:9], off
	s_branch .LBB207_34
.LBB207_37:                             ;   in Loop: Header=BB207_12 Depth=1
	s_set_inst_prefetch_distance 0x2
	s_or_b32 exec_lo, exec_lo, s8
	s_waitcnt vmcnt(0) lgkmcnt(0)
	s_barrier
	buffer_gl0_inv
	s_and_saveexec_b32 s7, s5
	s_cbranch_execz .LBB207_39
; %bb.38:                               ;   in Loop: Header=BB207_12 Depth=1
	v_dual_mov_b32 v2, s36 :: v_dual_mov_b32 v3, s37
	ds_store_b64 v13, v[2:3] offset:5120
.LBB207_39:                             ;   in Loop: Header=BB207_12 Depth=1
	s_or_b32 exec_lo, exec_lo, s7
	s_mov_b32 s7, -1
	s_waitcnt lgkmcnt(0)
	s_barrier
                                        ; implicit-def: $sgpr62_sgpr63
.LBB207_40:                             ;   in Loop: Header=BB207_12 Depth=1
	s_and_b32 vcc_lo, exec_lo, s7
	s_cbranch_vccz .LBB207_42
; %bb.41:                               ;   in Loop: Header=BB207_12 Depth=1
	buffer_gl0_inv
	ds_load_b64 v[2:3], v13 offset:5120
	s_waitcnt lgkmcnt(0)
	v_readfirstlane_b32 s62, v2
.LBB207_42:                             ;   in Loop: Header=BB207_12 Depth=1
	s_delay_alu instid0(VALU_DEP_1)
	s_cmp_lt_i32 s62, 1
	s_cbranch_scc0 .LBB207_57
; %bb.43:                               ;   in Loop: Header=BB207_12 Depth=1
	global_load_u16 v33, v13, s[60:61]
	s_mov_b32 s8, s59
	s_mov_b32 s9, s37
	s_waitcnt vmcnt(0)
	v_readfirstlane_b32 s7, v33
	s_delay_alu instid0(VALU_DEP_1) | instskip(NEXT) | instid1(SALU_CYCLE_1)
	s_and_b32 s7, 0xffff, s7
	s_lshl_b32 s25, s7, 2
	s_cmp_lg_u64 s[8:9], 0
	s_cbranch_scc0 .LBB207_77
; %bb.44:                               ;   in Loop: Header=BB207_12 Depth=1
	v_cvt_f32_u32_e32 v2, s25
	s_sub_u32 s9, 0, s25
	s_subb_u32 s10, 0, 0
	s_delay_alu instid0(VALU_DEP_1) | instskip(NEXT) | instid1(VALU_DEP_1)
	v_fmac_f32_e64 v2, 0, 0x4f800000
	v_rcp_f32_e32 v2, v2
	s_waitcnt_depctr 0xfff
	v_mul_f32_e32 v2, 0x5f7ffffc, v2
	s_delay_alu instid0(VALU_DEP_1) | instskip(NEXT) | instid1(VALU_DEP_1)
	v_mul_f32_e32 v3, 0x2f800000, v2
	v_trunc_f32_e32 v3, v3
	s_delay_alu instid0(VALU_DEP_1) | instskip(SKIP_1) | instid1(VALU_DEP_2)
	v_fmac_f32_e32 v2, 0xcf800000, v3
	v_cvt_u32_f32_e32 v3, v3
	v_cvt_u32_f32_e32 v2, v2
	s_delay_alu instid0(VALU_DEP_2) | instskip(NEXT) | instid1(VALU_DEP_2)
	v_readfirstlane_b32 s7, v3
	v_readfirstlane_b32 s8, v2
	s_delay_alu instid0(VALU_DEP_2) | instskip(NEXT) | instid1(VALU_DEP_1)
	s_mul_i32 s11, s9, s7
	s_mul_hi_u32 s13, s9, s8
	s_mul_i32 s12, s10, s8
	s_add_i32 s11, s13, s11
	s_mul_i32 s14, s9, s8
	s_add_i32 s11, s11, s12
	s_mul_hi_u32 s13, s8, s14
	s_mul_hi_u32 s15, s7, s14
	s_mul_i32 s12, s7, s14
	s_mul_hi_u32 s14, s8, s11
	s_mul_i32 s8, s8, s11
	s_mul_hi_u32 s16, s7, s11
	s_add_u32 s8, s13, s8
	s_addc_u32 s13, 0, s14
	s_add_u32 s8, s8, s12
	s_mul_i32 s11, s7, s11
	s_addc_u32 s8, s13, s15
	s_addc_u32 s12, s16, 0
	s_add_u32 s8, s8, s11
	s_addc_u32 s11, 0, s12
	v_add_co_u32 v2, s8, v2, s8
	s_delay_alu instid0(VALU_DEP_1) | instskip(SKIP_1) | instid1(VALU_DEP_1)
	s_cmp_lg_u32 s8, 0
	s_addc_u32 s7, s7, s11
	v_readfirstlane_b32 s8, v2
	s_mul_i32 s11, s9, s7
	s_delay_alu instid0(VALU_DEP_1)
	s_mul_hi_u32 s12, s9, s8
	s_mul_i32 s10, s10, s8
	s_add_i32 s11, s12, s11
	s_mul_i32 s9, s9, s8
	s_add_i32 s11, s11, s10
	s_mul_hi_u32 s12, s7, s9
	s_mul_i32 s13, s7, s9
	s_mul_hi_u32 s9, s8, s9
	s_mul_hi_u32 s14, s8, s11
	s_mul_i32 s8, s8, s11
	s_mul_hi_u32 s10, s7, s11
	s_add_u32 s8, s9, s8
	s_addc_u32 s9, 0, s14
	s_add_u32 s8, s8, s13
	s_mul_i32 s11, s7, s11
	s_addc_u32 s8, s9, s12
	s_addc_u32 s9, s10, 0
	s_add_u32 s8, s8, s11
	s_addc_u32 s9, 0, s9
	v_add_co_u32 v2, s8, v2, s8
	s_delay_alu instid0(VALU_DEP_1) | instskip(SKIP_1) | instid1(VALU_DEP_1)
	s_cmp_lg_u32 s8, 0
	s_addc_u32 s7, s7, s9
	v_readfirstlane_b32 s8, v2
	s_mul_i32 s10, s36, s7
	s_mul_hi_u32 s9, s36, s7
	s_mul_hi_u32 s11, s37, s7
	s_mul_i32 s7, s37, s7
	s_mul_hi_u32 s12, s36, s8
	s_mul_hi_u32 s13, s37, s8
	s_mul_i32 s8, s37, s8
	s_add_u32 s10, s12, s10
	s_addc_u32 s9, 0, s9
	s_add_u32 s8, s10, s8
	s_addc_u32 s8, s9, s13
	s_addc_u32 s9, s11, 0
	s_add_u32 s7, s8, s7
	s_addc_u32 s8, 0, s9
	s_mul_hi_u32 s9, s25, s7
	s_mul_i32 s7, s25, s7
	s_mul_i32 s8, s25, s8
	v_sub_co_u32 v2, s7, s36, s7
	s_add_i32 s9, s9, s8
	s_cmp_lg_u32 s7, 0
	s_delay_alu instid0(VALU_DEP_1) | instskip(SKIP_2) | instid1(VALU_DEP_1)
	v_sub_co_u32 v3, s7, v2, s25
	s_subb_u32 s8, s37, s9
	s_cmp_lg_u32 s7, 0
	v_cmp_le_u32_e32 vcc_lo, s25, v3
	v_sub_co_u32 v4, s7, v3, s25
	s_subb_u32 s9, s8, 0
	s_cmp_lg_u32 s7, 0
	v_cndmask_b32_e64 v5, 0, -1, vcc_lo
	s_subb_u32 s7, s9, 0
	s_cmp_eq_u32 s9, 0
	v_mov_b32_e32 v7, s7
	s_cselect_b32 vcc_lo, -1, 0
	s_cmp_eq_u32 s8, 0
	v_cndmask_b32_e32 v5, -1, v5, vcc_lo
	v_cmp_le_u32_e32 vcc_lo, s25, v2
	s_cselect_b32 s7, -1, 0
	v_cndmask_b32_e64 v6, 0, -1, vcc_lo
	s_delay_alu instid0(VALU_DEP_3) | instskip(NEXT) | instid1(VALU_DEP_2)
	v_cmp_ne_u32_e32 vcc_lo, 0, v5
	v_cndmask_b32_e64 v5, -1, v6, s7
	v_cndmask_b32_e32 v6, s9, v7, vcc_lo
	v_cndmask_b32_e32 v4, v3, v4, vcc_lo
	s_delay_alu instid0(VALU_DEP_3) | instskip(NEXT) | instid1(VALU_DEP_3)
	v_cmp_ne_u32_e32 vcc_lo, 0, v5
	v_cndmask_b32_e32 v3, s8, v6, vcc_lo
	s_delay_alu instid0(VALU_DEP_3)
	v_cndmask_b32_e32 v2, v2, v4, vcc_lo
	s_cbranch_execnz .LBB207_46
.LBB207_45:                             ;   in Loop: Header=BB207_12 Depth=1
	v_cvt_f32_u32_e32 v2, s25
	s_sub_i32 s7, 0, s25
	s_delay_alu instid0(VALU_DEP_1) | instskip(SKIP_2) | instid1(VALU_DEP_1)
	v_rcp_iflag_f32_e32 v2, v2
	s_waitcnt_depctr 0xfff
	v_mul_f32_e32 v2, 0x4f7ffffe, v2
	v_cvt_u32_f32_e32 v2, v2
	s_delay_alu instid0(VALU_DEP_1) | instskip(NEXT) | instid1(VALU_DEP_1)
	v_mul_lo_u32 v3, s7, v2
	v_mul_hi_u32 v3, v2, v3
	s_delay_alu instid0(VALU_DEP_1) | instskip(NEXT) | instid1(VALU_DEP_1)
	v_add_nc_u32_e32 v2, v2, v3
	v_mul_hi_u32 v2, s36, v2
	s_delay_alu instid0(VALU_DEP_1) | instskip(NEXT) | instid1(VALU_DEP_1)
	v_mul_lo_u32 v2, v2, s25
	v_sub_nc_u32_e32 v2, s36, v2
	s_delay_alu instid0(VALU_DEP_1) | instskip(SKIP_1) | instid1(VALU_DEP_2)
	v_subrev_nc_u32_e32 v3, s25, v2
	v_cmp_le_u32_e32 vcc_lo, s25, v2
	v_cndmask_b32_e32 v2, v2, v3, vcc_lo
	s_delay_alu instid0(VALU_DEP_1) | instskip(SKIP_1) | instid1(VALU_DEP_2)
	v_subrev_nc_u32_e32 v3, s25, v2
	v_cmp_le_u32_e32 vcc_lo, s25, v2
	v_cndmask_b32_e32 v12, v2, v3, vcc_lo
	s_delay_alu instid0(VALU_DEP_1)
	v_dual_mov_b32 v2, v12 :: v_dual_mov_b32 v3, v13
.LBB207_46:                             ;   in Loop: Header=BB207_12 Depth=1
	s_delay_alu instid0(VALU_DEP_1) | instskip(NEXT) | instid1(VALU_DEP_2)
	v_sub_co_u32 v18, vcc_lo, s36, v2
	v_sub_co_ci_u32_e32 v19, vcc_lo, s37, v3, vcc_lo
	v_mov_b32_e32 v2, 0
	v_mov_b32_e32 v3, 0
	s_mov_b64 s[64:65], 0
	s_mov_b32 s26, exec_lo
	s_delay_alu instid0(VALU_DEP_1)
	v_dual_mov_b32 v5, v3 :: v_dual_mov_b32 v4, v2
	v_dual_mov_b32 v7, v3 :: v_dual_mov_b32 v6, v2
	;; [unrolled: 1-line block ×3, first 2 shown]
	v_cmpx_gt_u64_e64 v[18:19], v[14:15]
	s_cbranch_execz .LBB207_50
; %bb.47:                               ;   in Loop: Header=BB207_12 Depth=1
	v_dual_mov_b32 v21, v15 :: v_dual_mov_b32 v20, v14
	s_and_b32 s63, s83, 0xfe
	s_mov_b32 s58, 0
	s_mov_b64 s[66:67], 0
	s_mov_b64 s[68:69], 0
	;; [unrolled: 1-line block ×3, first 2 shown]
.LBB207_48:                             ;   Parent Loop BB207_12 Depth=1
                                        ; =>  This Inner Loop Header: Depth=2
	v_mul_lo_u32 v4, v21, s30
	v_mul_lo_u32 v5, v20, s31
	v_mad_u64_u32 v[2:3], null, v20, s30, 0
	s_lshl_b64 s[8:9], s[30:31], 1
	s_delay_alu instid0(VALU_DEP_1) | instskip(NEXT) | instid1(VALU_DEP_1)
	v_add3_u32 v3, v3, v5, v4
	v_lshlrev_b64 v[2:3], 1, v[2:3]
	s_delay_alu instid0(VALU_DEP_1) | instskip(NEXT) | instid1(VALU_DEP_2)
	v_add_co_u32 v2, vcc_lo, s33, v2
	v_add_co_ci_u32_e32 v3, vcc_lo, s35, v3, vcc_lo
	s_delay_alu instid0(VALU_DEP_2) | instskip(NEXT) | instid1(VALU_DEP_2)
	v_add_co_u32 v4, vcc_lo, v2, s8
	v_add_co_ci_u32_e32 v5, vcc_lo, s9, v3, vcc_lo
	s_clause 0x1
	global_load_u16 v6, v[2:3], off
	global_load_u16 v7, v[4:5], off
	v_add_co_u32 v2, vcc_lo, v4, s8
	v_add_co_ci_u32_e32 v3, vcc_lo, s9, v5, vcc_lo
	global_load_u16 v4, v[2:3], off
	v_add_co_u32 v2, vcc_lo, v2, s8
	v_add_co_ci_u32_e32 v3, vcc_lo, s9, v3, vcc_lo
	v_add_co_u32 v20, vcc_lo, v20, s25
	v_add_co_ci_u32_e32 v21, vcc_lo, 0, v21, vcc_lo
	global_load_u16 v2, v[2:3], off
	v_cmp_ge_u64_e32 vcc_lo, v[20:21], v[18:19]
	s_waitcnt vmcnt(3)
	v_cmp_lt_i16_e64 s7, -1, v6
	v_and_b32_e32 v3, 0xffff, v6
	s_waitcnt vmcnt(2)
	v_and_b32_e32 v8, 0xffff, v7
	s_delay_alu instid0(VALU_DEP_3) | instskip(SKIP_3) | instid1(VALU_DEP_3)
	v_cndmask_b32_e64 v5, 0xffff, v29, s7
	v_cmp_lt_i16_e64 s7, -1, v7
	s_waitcnt vmcnt(1)
	v_cmp_lt_i16_e64 s8, -1, v4
	v_xor_b32_e32 v3, v5, v3
	s_delay_alu instid0(VALU_DEP_3) | instskip(SKIP_2) | instid1(VALU_DEP_3)
	v_cndmask_b32_e64 v9, 0xffff, v29, s7
	v_cmp_o_f16_e64 s7, v6, v6
	v_and_b32_e32 v6, 0xffff, v4
	v_xor_b32_e32 v5, v9, v8
	s_delay_alu instid0(VALU_DEP_3)
	v_cndmask_b32_e64 v3, 0xffff, v3, s7
	v_cmp_o_f16_e64 s7, v7, v7
	v_cndmask_b32_e64 v8, 0xffff, v29, s8
	s_waitcnt vmcnt(0)
	v_and_b32_e32 v7, 0xffff, v2
	v_cmp_o_f16_e64 s12, v2, v2
	v_and_b32_e32 v9, v3, v30
	v_cndmask_b32_e64 v5, 0xffff, v5, s7
	v_cmp_lt_i16_e64 s7, -1, v2
	v_xor_b32_e32 v6, v8, v6
	v_bfe_u32 v3, v3, s63, 2
	s_delay_alu instid0(VALU_DEP_3) | instskip(SKIP_1) | instid1(VALU_DEP_3)
	v_cndmask_b32_e64 v8, 0xffff, v29, s7
	v_cmp_o_f16_e64 s7, v4, v4
	v_cmp_eq_u32_e64 s8, 0, v3
	v_cmp_eq_u32_e64 s9, 1, v3
	;; [unrolled: 1-line block ×4, first 2 shown]
	v_cndmask_b32_e64 v4, 0xffff, v6, s7
	v_xor_b32_e32 v6, v8, v7
	v_cmp_eq_u32_e64 s7, v9, v31
	v_and_b32_e32 v7, v5, v30
	v_bfe_u32 v5, v5, s63, 2
	v_and_b32_e32 v3, v4, v30
	v_cndmask_b32_e64 v2, 0xffff, v6, s12
	v_bfe_u32 v4, v4, s63, 2
	v_cmp_eq_u32_e64 s12, v7, v31
	v_cmp_eq_u32_e64 s13, 0, v5
	s_and_b32 s8, s7, s8
	v_cmp_eq_u32_e64 s16, v3, v31
	v_cndmask_b32_e64 v6, 0, 1, s8
	v_and_b32_e32 v3, v2, v30
	v_bfe_u32 v2, v2, s63, 2
	v_cmp_eq_u32_e64 s17, 0, v4
	s_and_b32 s13, s12, s13
	v_cmp_eq_u32_e64 s8, 1, v5
	v_cmp_eq_u32_e64 s14, 2, v5
	;; [unrolled: 1-line block ×3, first 2 shown]
	v_cmp_ne_u32_e64 s18, 0, v6
	v_cndmask_b32_e64 v5, 0, 1, s13
	v_cmp_eq_u32_e64 s21, v3, v31
	v_cmp_eq_u32_e64 s22, 0, v2
	s_and_b32 s17, s16, s17
	s_bcnt1_i32_b32 s97, s18
	v_cmp_ne_u32_e64 s18, 0, v5
	v_cndmask_b32_e64 v3, 0, 1, s17
	s_and_b32 s22, s21, s22
	v_cmp_eq_u32_e64 s17, 1, v2
	v_cmp_eq_u32_e64 s23, 2, v2
	v_cmp_eq_u32_e64 s24, 3, v2
	v_cndmask_b32_e64 v2, 0, 1, s22
	s_bcnt1_i32_b32 s22, s18
	v_cmp_ne_u32_e64 s18, 0, v3
	s_add_i32 s97, s22, s97
	v_cmp_eq_u32_e64 s13, 1, v4
	v_cmp_ne_u32_e64 s22, 0, v2
	v_cmp_eq_u32_e64 s19, 2, v4
	s_bcnt1_i32_b32 s18, s18
	v_cmp_eq_u32_e64 s20, 3, v4
	s_add_i32 s18, s97, s18
	s_bcnt1_i32_b32 s22, s22
	s_delay_alu instid0(SALU_CYCLE_1) | instskip(NEXT) | instid1(SALU_CYCLE_1)
	s_add_i32 s18, s18, s22
	s_add_u32 s70, s70, s18
	s_addc_u32 s71, s71, 0
	s_and_b32 s9, s7, s9
	s_and_b32 s8, s12, s8
	v_cndmask_b32_e64 v2, 0, 1, s9
	v_cndmask_b32_e64 v3, 0, 1, s8
	s_and_b32 s8, s16, s13
	s_delay_alu instid0(SALU_CYCLE_1) | instskip(SKIP_1) | instid1(VALU_DEP_2)
	v_cndmask_b32_e64 v4, 0, 1, s8
	s_and_b32 s8, s21, s17
	v_cmp_ne_u32_e64 s9, 0, v3
	v_cndmask_b32_e64 v5, 0, 1, s8
	v_cmp_ne_u32_e64 s8, 0, v2
	v_cmp_ne_u32_e64 s13, 0, v4
	s_delay_alu instid0(VALU_DEP_4) | instskip(NEXT) | instid1(VALU_DEP_3)
	s_bcnt1_i32_b32 s9, s9
	v_cmp_ne_u32_e64 s17, 0, v5
	s_delay_alu instid0(VALU_DEP_3) | instskip(NEXT) | instid1(VALU_DEP_2)
	s_bcnt1_i32_b32 s8, s8
	s_bcnt1_i32_b32 s13, s13
	s_add_i32 s8, s9, s8
	s_delay_alu instid0(VALU_DEP_1) | instskip(SKIP_1) | instid1(SALU_CYCLE_1)
	s_bcnt1_i32_b32 s17, s17
	s_add_i32 s8, s8, s13
	s_add_i32 s8, s8, s17
	s_delay_alu instid0(SALU_CYCLE_1) | instskip(SKIP_2) | instid1(SALU_CYCLE_1)
	s_add_u32 s68, s68, s8
	s_addc_u32 s69, s69, 0
	s_and_b32 s8, s7, s10
	v_cndmask_b32_e64 v2, 0, 1, s8
	s_and_b32 s8, s12, s14
	s_delay_alu instid0(SALU_CYCLE_1) | instskip(SKIP_1) | instid1(SALU_CYCLE_1)
	v_cndmask_b32_e64 v3, 0, 1, s8
	s_and_b32 s8, s16, s19
	v_cndmask_b32_e64 v4, 0, 1, s8
	s_and_b32 s8, s21, s23
	s_delay_alu instid0(VALU_DEP_2) | instskip(SKIP_3) | instid1(VALU_DEP_4)
	v_cmp_ne_u32_e64 s9, 0, v3
	v_cndmask_b32_e64 v5, 0, 1, s8
	v_cmp_ne_u32_e64 s8, 0, v2
	v_cmp_ne_u32_e64 s10, 0, v4
	s_bcnt1_i32_b32 s9, s9
	s_delay_alu instid0(VALU_DEP_3) | instskip(NEXT) | instid1(VALU_DEP_3)
	v_cmp_ne_u32_e64 s13, 0, v5
	s_bcnt1_i32_b32 s8, s8
	s_delay_alu instid0(VALU_DEP_2) | instskip(SKIP_1) | instid1(VALU_DEP_1)
	s_bcnt1_i32_b32 s10, s10
	s_add_i32 s8, s9, s8
	s_bcnt1_i32_b32 s13, s13
	s_add_i32 s8, s8, s10
	s_delay_alu instid0(SALU_CYCLE_1) | instskip(NEXT) | instid1(SALU_CYCLE_1)
	s_add_i32 s8, s8, s13
	s_add_u32 s66, s66, s8
	s_addc_u32 s67, s67, 0
	s_and_b32 s7, s7, s11
	v_mov_b32_e32 v6, s66
	v_cndmask_b32_e64 v2, 0, 1, s7
	s_and_b32 s7, s12, s15
	v_mov_b32_e32 v7, s67
	v_cndmask_b32_e64 v3, 0, 1, s7
	s_and_b32 s7, s16, s20
	s_delay_alu instid0(SALU_CYCLE_1) | instskip(SKIP_1) | instid1(VALU_DEP_2)
	v_cndmask_b32_e64 v4, 0, 1, s7
	s_and_b32 s7, s21, s24
	v_cmp_ne_u32_e64 s8, 0, v3
	v_cndmask_b32_e64 v5, 0, 1, s7
	v_cmp_ne_u32_e64 s7, 0, v2
	v_cmp_ne_u32_e64 s9, 0, v4
	v_mov_b32_e32 v2, s70
	s_bcnt1_i32_b32 s8, s8
	v_cmp_ne_u32_e64 s10, 0, v5
	s_bcnt1_i32_b32 s7, s7
	s_bcnt1_i32_b32 s9, s9
	s_add_i32 s7, s8, s7
	v_mov_b32_e32 v4, s68
	s_bcnt1_i32_b32 s8, s10
	s_add_i32 s7, s7, s9
	v_mov_b32_e32 v3, s71
	s_add_i32 s7, s7, s8
	v_mov_b32_e32 v5, s69
	s_add_u32 s64, s64, s7
	s_addc_u32 s65, s65, 0
	s_delay_alu instid0(SALU_CYCLE_1) | instskip(SKIP_1) | instid1(SALU_CYCLE_1)
	v_dual_mov_b32 v8, s64 :: v_dual_mov_b32 v9, s65
	s_or_b32 s58, vcc_lo, s58
	s_and_not1_b32 exec_lo, exec_lo, s58
	s_cbranch_execnz .LBB207_48
; %bb.49:                               ;   in Loop: Header=BB207_12 Depth=1
	s_or_b32 exec_lo, exec_lo, s58
.LBB207_50:                             ;   in Loop: Header=BB207_12 Depth=1
	s_delay_alu instid0(SALU_CYCLE_1) | instskip(SKIP_3) | instid1(VALU_DEP_2)
	s_or_b32 exec_lo, exec_lo, s26
	v_add_co_u32 v18, vcc_lo, v18, v0
	v_add_co_ci_u32_e32 v19, vcc_lo, 0, v19, vcc_lo
	v_dual_mov_b32 v21, 0 :: v_dual_and_b32 v12, 0xffff, v33
	v_cmp_gt_u64_e32 vcc_lo, s[36:37], v[18:19]
	s_and_saveexec_b32 s8, vcc_lo
	s_cbranch_execz .LBB207_52
; %bb.51:                               ;   in Loop: Header=BB207_12 Depth=1
	v_mul_lo_u32 v33, v19, s30
	v_mul_lo_u32 v34, v18, s31
	v_mad_u64_u32 v[20:21], null, v18, s30, 0
	s_delay_alu instid0(VALU_DEP_1) | instskip(NEXT) | instid1(VALU_DEP_1)
	v_add3_u32 v21, v21, v34, v33
	v_lshlrev_b64 v[20:21], 1, v[20:21]
	s_delay_alu instid0(VALU_DEP_1) | instskip(NEXT) | instid1(VALU_DEP_1)
	v_add_co_u32 v20, s7, s33, v20
	v_add_co_ci_u32_e64 v21, s7, s35, v21, s7
	global_load_u16 v21, v[20:21], off
.LBB207_52:                             ;   in Loop: Header=BB207_12 Depth=1
	s_or_b32 exec_lo, exec_lo, s8
	s_and_saveexec_b32 s11, vcc_lo
	s_cbranch_execz .LBB207_59
; %bb.53:                               ;   in Loop: Header=BB207_12 Depth=1
	s_and_b32 s13, s83, 0xfe
	s_mov_b32 s12, 0
	s_branch .LBB207_55
.LBB207_54:                             ;   in Loop: Header=BB207_55 Depth=2
	s_or_b32 exec_lo, exec_lo, s8
	s_waitcnt vmcnt(0)
	v_cmp_lt_i16_e64 s7, -1, v21
	v_and_b32_e32 v33, 0xffff, v21
	s_and_b32 s8, exec_lo, vcc_lo
	s_delay_alu instid0(SALU_CYCLE_1) | instskip(NEXT) | instid1(VALU_DEP_2)
	s_or_b32 s12, s8, s12
	v_cndmask_b32_e64 v34, 0xffff, v29, s7
	v_cmp_o_f16_e64 s7, v21, v21
	s_delay_alu instid0(VALU_DEP_2) | instskip(NEXT) | instid1(VALU_DEP_1)
	v_xor_b32_e32 v33, v34, v33
	v_cndmask_b32_e64 v21, 0xffff, v33, s7
	s_delay_alu instid0(VALU_DEP_1) | instskip(SKIP_1) | instid1(VALU_DEP_2)
	v_and_b32_e32 v33, v21, v30
	v_bfe_u32 v21, v21, s13, 2
	v_cmp_eq_u32_e32 vcc_lo, v33, v31
	s_delay_alu instid0(VALU_DEP_2) | instskip(SKIP_3) | instid1(VALU_DEP_4)
	v_cmp_eq_u32_e64 s7, 0, v21
	v_cmp_eq_u32_e64 s8, 1, v21
	;; [unrolled: 1-line block ×4, first 2 shown]
	s_and_b32 s7, vcc_lo, s7
	s_delay_alu instid0(SALU_CYCLE_1) | instskip(SKIP_1) | instid1(SALU_CYCLE_1)
	v_cndmask_b32_e64 v21, 0, 1, s7
	s_and_b32 s7, vcc_lo, s8
	v_cndmask_b32_e64 v33, 0, 1, s7
	s_and_b32 s7, vcc_lo, s9
	s_delay_alu instid0(SALU_CYCLE_1)
	v_cndmask_b32_e64 v34, 0, 1, s7
	s_and_b32 s7, vcc_lo, s10
	v_cmp_ne_u32_e32 vcc_lo, 0, v21
	v_cndmask_b32_e64 v35, 0, 1, s7
	v_cmp_ne_u32_e64 s7, 0, v33
	v_cmp_ne_u32_e64 s8, 0, v34
	v_mov_b32_e32 v21, v20
	s_bcnt1_i32_b32 s10, vcc_lo
	v_cmp_ne_u32_e64 s9, 0, v35
	v_add_co_u32 v2, vcc_lo, v2, s10
	s_bcnt1_i32_b32 s7, s7
	v_add_co_ci_u32_e32 v3, vcc_lo, 0, v3, vcc_lo
	v_add_co_u32 v4, vcc_lo, v4, s7
	s_bcnt1_i32_b32 s8, s8
	v_add_co_ci_u32_e32 v5, vcc_lo, 0, v5, vcc_lo
	;; [unrolled: 3-line block ×3, first 2 shown]
	v_add_co_u32 v8, vcc_lo, v8, s7
	v_add_co_ci_u32_e32 v9, vcc_lo, 0, v9, vcc_lo
	s_and_not1_b32 exec_lo, exec_lo, s12
	s_cbranch_execz .LBB207_58
.LBB207_55:                             ;   Parent Loop BB207_12 Depth=1
                                        ; =>  This Inner Loop Header: Depth=2
	v_add_co_u32 v18, vcc_lo, v18, v12
	v_add_co_ci_u32_e32 v19, vcc_lo, 0, v19, vcc_lo
	v_mov_b32_e32 v20, 0
	s_mov_b32 s8, exec_lo
	s_delay_alu instid0(VALU_DEP_2)
	v_cmp_le_u64_e32 vcc_lo, s[36:37], v[18:19]
	v_cmpx_gt_u64_e64 s[36:37], v[18:19]
	s_cbranch_execz .LBB207_54
; %bb.56:                               ;   in Loop: Header=BB207_55 Depth=2
	v_mul_lo_u32 v20, v19, s30
	v_mul_lo_u32 v35, v18, s31
	v_mad_u64_u32 v[33:34], null, v18, s30, 0
	s_delay_alu instid0(VALU_DEP_1) | instskip(NEXT) | instid1(VALU_DEP_1)
	v_add3_u32 v34, v34, v35, v20
	v_lshlrev_b64 v[33:34], 1, v[33:34]
	s_delay_alu instid0(VALU_DEP_1) | instskip(NEXT) | instid1(VALU_DEP_1)
	v_add_co_u32 v33, s7, s33, v33
	v_add_co_ci_u32_e64 v34, s7, s35, v34, s7
	global_load_u16 v20, v[33:34], off
	s_branch .LBB207_54
.LBB207_57:                             ;   in Loop: Header=BB207_12 Depth=1
                                        ; implicit-def: $vgpr8_vgpr9
                                        ; implicit-def: $vgpr4_vgpr5
	s_cbranch_execnz .LBB207_60
	s_branch .LBB207_69
.LBB207_58:                             ;   in Loop: Header=BB207_12 Depth=1
	s_or_b32 exec_lo, exec_lo, s12
.LBB207_59:                             ;   in Loop: Header=BB207_12 Depth=1
	s_delay_alu instid0(SALU_CYCLE_1)
	s_or_b32 exec_lo, exec_lo, s11
	s_branch .LBB207_69
.LBB207_60:                             ;   in Loop: Header=BB207_12 Depth=1
	global_load_u16 v8, v13, s[60:61]
	s_mov_b64 s[64:65], 0
	s_mov_b32 s97, exec_lo
	s_waitcnt vmcnt(0)
	v_readfirstlane_b32 s7, v8
	v_and_b32_e32 v20, 0xffff, v8
	s_delay_alu instid0(VALU_DEP_2) | instskip(NEXT) | instid1(SALU_CYCLE_1)
	s_and_b32 s7, 0xffff, s7
	s_lshl_b32 s63, s7, 2
	s_delay_alu instid0(SALU_CYCLE_1) | instskip(SKIP_1) | instid1(VALU_DEP_1)
	v_cvt_f32_u32_e32 v2, s63
	s_sub_i32 s8, 0, s63
	v_rcp_iflag_f32_e32 v2, v2
	s_waitcnt_depctr 0xfff
	v_mul_f32_e32 v2, 0x4f7ffffe, v2
	s_delay_alu instid0(VALU_DEP_1) | instskip(NEXT) | instid1(VALU_DEP_1)
	v_cvt_u32_f32_e32 v2, v2
	v_readfirstlane_b32 s7, v2
	v_mov_b32_e32 v2, 0
	v_mov_b32_e32 v3, 0
	s_delay_alu instid0(VALU_DEP_3) | instskip(NEXT) | instid1(VALU_DEP_1)
	s_mul_i32 s8, s8, s7
	v_dual_mov_b32 v5, v3 :: v_dual_mov_b32 v4, v2
	s_mul_hi_u32 s8, s7, s8
	v_dual_mov_b32 v7, v3 :: v_dual_mov_b32 v6, v2
	s_add_i32 s7, s7, s8
	v_dual_mov_b32 v9, v3 :: v_dual_mov_b32 v8, v2
	s_mul_hi_u32 s7, s62, s7
	s_delay_alu instid0(SALU_CYCLE_1) | instskip(NEXT) | instid1(SALU_CYCLE_1)
	s_mul_i32 s7, s7, s63
	s_sub_i32 s7, s62, s7
	s_delay_alu instid0(SALU_CYCLE_1) | instskip(SKIP_2) | instid1(SALU_CYCLE_1)
	s_sub_i32 s8, s7, s63
	s_cmp_ge_u32 s7, s63
	s_cselect_b32 s7, s8, s7
	s_sub_i32 s8, s7, s63
	s_cmp_ge_u32 s7, s63
	s_cselect_b32 s7, s8, s7
	s_delay_alu instid0(SALU_CYCLE_1) | instskip(NEXT) | instid1(SALU_CYCLE_1)
	s_sub_i32 s58, s62, s7
	v_cmpx_gt_u32_e64 s58, v14
	s_cbranch_execz .LBB207_64
; %bb.61:                               ;   in Loop: Header=BB207_12 Depth=1
	v_dual_mov_b32 v21, v27 :: v_dual_lshlrev_b32 v12, 3, v20
	v_dual_mov_b32 v19, v15 :: v_dual_mov_b32 v18, v14
	s_and_b32 s98, s83, 0xfe
	s_mov_b32 s99, 0
	s_mov_b64 s[66:67], 0
	s_mov_b64 s[68:69], 0
	;; [unrolled: 1-line block ×3, first 2 shown]
.LBB207_62:                             ;   Parent Loop BB207_12 Depth=1
                                        ; =>  This Inner Loop Header: Depth=2
	ds_load_b64 v[2:3], v21
	v_add_co_u32 v18, vcc_lo, v18, s63
	v_add_co_ci_u32_e32 v19, vcc_lo, 0, v19, vcc_lo
	s_delay_alu instid0(VALU_DEP_1)
	v_cmp_le_u64_e32 vcc_lo, s[58:59], v[18:19]
	s_waitcnt lgkmcnt(0)
	v_cmp_lt_i16_e64 s7, -1, v2
	v_lshrrev_b32_e32 v4, 16, v2
	v_lshrrev_b32_e32 v9, 16, v3
	v_and_b32_e32 v5, 0xffff, v2
	v_and_b32_e32 v7, 0xffff, v3
	v_cndmask_b32_e64 v6, 0xffff, v29, s7
	v_cmp_lt_i16_e64 s7, -1, v3
	v_cmp_lt_i16_e64 s8, -1, v9
	s_delay_alu instid0(VALU_DEP_3) | instskip(NEXT) | instid1(VALU_DEP_3)
	v_xor_b32_e32 v5, v6, v5
	v_cndmask_b32_e64 v8, 0xffff, v29, s7
	v_cmp_lt_i16_e64 s7, -1, v4
	s_delay_alu instid0(VALU_DEP_2) | instskip(NEXT) | instid1(VALU_DEP_2)
	v_xor_b32_e32 v7, v8, v7
	v_cndmask_b32_e64 v6, 0xffff, v29, s7
	v_cmp_o_f16_e64 s7, v3, v3
	v_cndmask_b32_e64 v3, 0xffff, v29, s8
	v_cmp_o_f16_e64 s8, v2, v2
	s_delay_alu instid0(VALU_DEP_2) | instskip(NEXT) | instid1(VALU_DEP_2)
	v_xor_b32_e32 v3, v3, v9
	v_cndmask_b32_e64 v2, 0xffff, v5, s8
	v_xor_b32_e32 v5, v6, v4
	v_cmp_o_f16_e64 s8, v4, v4
	v_cndmask_b32_e64 v6, 0xffff, v7, s7
	v_cmp_o_f16_e64 s7, v9, v9
	s_delay_alu instid0(VALU_DEP_3) | instskip(SKIP_1) | instid1(VALU_DEP_3)
	v_cndmask_b32_e64 v4, 0xffff, v5, s8
	v_and_b32_e32 v5, v2, v30
	v_cndmask_b32_e64 v3, 0xffff, v3, s7
	v_and_b32_e32 v7, v6, v30
	v_bfe_u32 v2, v2, s98, 2
	v_bfe_u32 v6, v6, s98, 2
	v_cmp_eq_u32_e64 s7, v5, v31
	v_and_b32_e32 v5, v4, v30
	v_bfe_u32 v4, v4, s98, 2
	v_cmp_eq_u32_e64 s8, v7, v31
	v_and_b32_e32 v7, v3, v30
	v_bfe_u32 v3, v3, s98, 2
	v_cmp_eq_u32_e64 s9, 0, v2
	v_cmp_eq_u32_e64 s17, v5, v31
	;; [unrolled: 1-line block ×6, first 2 shown]
	s_and_b32 s9, s7, s9
	s_and_b32 s19, s17, s19
	v_cmp_eq_u32_e64 s11, 1, v2
	v_cmp_eq_u32_e64 s13, 2, v2
	;; [unrolled: 1-line block ×3, first 2 shown]
	v_cndmask_b32_e64 v2, 0, 1, s9
	s_and_b32 s9, s8, s10
	v_cmp_eq_u32_e64 s10, 1, v3
	v_cmp_eq_u32_e64 s22, 2, v3
	;; [unrolled: 1-line block ×3, first 2 shown]
	v_cndmask_b32_e64 v3, 0, 1, s19
	v_cndmask_b32_e64 v5, 0, 1, s9
	s_and_b32 s19, s18, s20
	v_cmp_eq_u32_e64 s9, 1, v4
	v_cmp_eq_u32_e64 s21, 2, v4
	;; [unrolled: 1-line block ×3, first 2 shown]
	v_cndmask_b32_e64 v4, 0, 1, s19
	v_cmp_ne_u32_e64 s19, 0, v2
	v_cmp_ne_u32_e64 s25, 0, v3
	;; [unrolled: 1-line block ×3, first 2 shown]
	v_cmp_eq_u32_e64 s12, 1, v6
	v_cmp_ne_u32_e64 s26, 0, v4
	s_bcnt1_i32_b32 s19, s19
	s_bcnt1_i32_b32 s25, s25
	;; [unrolled: 1-line block ×3, first 2 shown]
	s_add_i32 s19, s25, s19
	s_bcnt1_i32_b32 s26, s26
	s_add_i32 s19, s19, s20
	v_cmp_eq_u32_e64 s14, 2, v6
	s_add_i32 s19, s19, s26
	v_cmp_eq_u32_e64 s16, 3, v6
	s_add_u32 s70, s70, s19
	s_addc_u32 s71, s71, 0
	s_and_b32 s11, s7, s11
	s_and_b32 s9, s17, s9
	v_cndmask_b32_e64 v2, 0, 1, s11
	v_cndmask_b32_e64 v3, 0, 1, s9
	s_and_b32 s9, s8, s12
	v_add_nc_u32_e32 v21, v21, v12
	v_cndmask_b32_e64 v4, 0, 1, s9
	s_and_b32 s9, s18, s10
	v_cmp_ne_u32_e64 s10, 0, v3
	v_cndmask_b32_e64 v5, 0, 1, s9
	v_cmp_ne_u32_e64 s9, 0, v2
	v_cmp_ne_u32_e64 s11, 0, v4
	s_delay_alu instid0(VALU_DEP_4) | instskip(NEXT) | instid1(VALU_DEP_3)
	s_bcnt1_i32_b32 s10, s10
	v_cmp_ne_u32_e64 s12, 0, v5
	s_delay_alu instid0(VALU_DEP_3) | instskip(NEXT) | instid1(VALU_DEP_2)
	s_bcnt1_i32_b32 s9, s9
	s_bcnt1_i32_b32 s11, s11
	s_add_i32 s9, s10, s9
	s_delay_alu instid0(VALU_DEP_1) | instskip(SKIP_1) | instid1(SALU_CYCLE_1)
	s_bcnt1_i32_b32 s12, s12
	s_add_i32 s9, s9, s11
	s_add_i32 s9, s9, s12
	s_delay_alu instid0(SALU_CYCLE_1) | instskip(SKIP_2) | instid1(SALU_CYCLE_1)
	s_add_u32 s68, s68, s9
	s_addc_u32 s69, s69, 0
	s_and_b32 s9, s7, s13
	v_cndmask_b32_e64 v2, 0, 1, s9
	s_and_b32 s9, s17, s21
	s_delay_alu instid0(SALU_CYCLE_1) | instskip(SKIP_1) | instid1(SALU_CYCLE_1)
	v_cndmask_b32_e64 v3, 0, 1, s9
	s_and_b32 s9, s8, s14
	v_cndmask_b32_e64 v4, 0, 1, s9
	s_and_b32 s9, s18, s22
	s_delay_alu instid0(VALU_DEP_2) | instskip(SKIP_3) | instid1(VALU_DEP_4)
	v_cmp_ne_u32_e64 s10, 0, v3
	v_cndmask_b32_e64 v5, 0, 1, s9
	v_cmp_ne_u32_e64 s9, 0, v2
	v_cmp_ne_u32_e64 s11, 0, v4
	s_bcnt1_i32_b32 s10, s10
	s_delay_alu instid0(VALU_DEP_3) | instskip(NEXT) | instid1(VALU_DEP_3)
	v_cmp_ne_u32_e64 s12, 0, v5
	s_bcnt1_i32_b32 s9, s9
	s_delay_alu instid0(VALU_DEP_2) | instskip(SKIP_1) | instid1(VALU_DEP_1)
	s_bcnt1_i32_b32 s11, s11
	s_add_i32 s9, s10, s9
	s_bcnt1_i32_b32 s12, s12
	s_add_i32 s9, s9, s11
	s_delay_alu instid0(SALU_CYCLE_1) | instskip(NEXT) | instid1(SALU_CYCLE_1)
	s_add_i32 s9, s9, s12
	s_add_u32 s66, s66, s9
	s_addc_u32 s67, s67, 0
	s_and_b32 s7, s7, s15
	v_mov_b32_e32 v6, s66
	v_cndmask_b32_e64 v2, 0, 1, s7
	s_and_b32 s7, s17, s23
	v_mov_b32_e32 v7, s67
	v_cndmask_b32_e64 v3, 0, 1, s7
	s_and_b32 s7, s8, s16
	s_delay_alu instid0(SALU_CYCLE_1) | instskip(SKIP_1) | instid1(VALU_DEP_2)
	v_cndmask_b32_e64 v4, 0, 1, s7
	s_and_b32 s7, s18, s24
	v_cmp_ne_u32_e64 s8, 0, v3
	v_cndmask_b32_e64 v5, 0, 1, s7
	v_cmp_ne_u32_e64 s7, 0, v2
	v_mov_b32_e32 v2, s70
	v_cmp_ne_u32_e64 s9, 0, v4
	s_bcnt1_i32_b32 s8, s8
	v_cmp_ne_u32_e64 s10, 0, v5
	s_bcnt1_i32_b32 s7, s7
	v_mov_b32_e32 v4, s68
	s_bcnt1_i32_b32 s9, s9
	s_add_i32 s7, s8, s7
	s_bcnt1_i32_b32 s8, s10
	s_add_i32 s7, s7, s9
	v_mov_b32_e32 v3, s71
	s_add_i32 s7, s7, s8
	v_mov_b32_e32 v5, s69
	s_add_u32 s64, s64, s7
	s_addc_u32 s65, s65, 0
	s_delay_alu instid0(SALU_CYCLE_1) | instskip(SKIP_1) | instid1(SALU_CYCLE_1)
	v_dual_mov_b32 v8, s64 :: v_dual_mov_b32 v9, s65
	s_or_b32 s99, vcc_lo, s99
	s_and_not1_b32 exec_lo, exec_lo, s99
	s_cbranch_execnz .LBB207_62
; %bb.63:                               ;   in Loop: Header=BB207_12 Depth=1
	s_or_b32 exec_lo, exec_lo, s99
.LBB207_64:                             ;   in Loop: Header=BB207_12 Depth=1
	s_delay_alu instid0(SALU_CYCLE_1) | instskip(SKIP_2) | instid1(VALU_DEP_1)
	s_or_b32 exec_lo, exec_lo, s97
	v_add_nc_u32_e32 v12, s58, v0
	s_mov_b32 s14, exec_lo
	v_cmpx_gt_u32_e64 s62, v12
	s_cbranch_execz .LBB207_68
; %bb.65:                               ;   in Loop: Header=BB207_12 Depth=1
	v_mov_b32_e32 v19, v13
	v_dual_mov_b32 v18, v12 :: v_dual_lshlrev_b32 v21, 1, v12
	v_lshlrev_b32_e32 v33, 1, v20
	s_mov_b32 s13, 0
	s_and_b32 s12, s62, 0x7fffffff
	s_and_b32 s16, s83, 0xfe
	s_mov_b32 s15, s13
.LBB207_66:                             ;   Parent Loop BB207_12 Depth=1
                                        ; =>  This Inner Loop Header: Depth=2
	ds_load_u16 v12, v21
	v_add_co_u32 v18, vcc_lo, v18, v20
	v_add_co_ci_u32_e32 v19, vcc_lo, 0, v19, vcc_lo
	v_add_nc_u32_e32 v21, v21, v33
	s_delay_alu instid0(VALU_DEP_2) | instskip(SKIP_3) | instid1(VALU_DEP_2)
	v_cmp_le_u64_e32 vcc_lo, s[12:13], v[18:19]
	s_waitcnt lgkmcnt(0)
	v_cmp_lt_i16_e64 s7, -1, v12
	v_and_b32_e32 v34, 0xffff, v12
	v_cndmask_b32_e64 v35, 0xffff, v29, s7
	v_cmp_o_f16_e64 s7, v12, v12
	s_delay_alu instid0(VALU_DEP_2) | instskip(NEXT) | instid1(VALU_DEP_1)
	v_xor_b32_e32 v34, v35, v34
	v_cndmask_b32_e64 v12, 0xffff, v34, s7
	s_delay_alu instid0(VALU_DEP_1) | instskip(SKIP_1) | instid1(VALU_DEP_2)
	v_and_b32_e32 v34, v12, v30
	v_bfe_u32 v12, v12, s16, 2
	v_cmp_eq_u32_e64 s7, v34, v31
	s_delay_alu instid0(VALU_DEP_2) | instskip(SKIP_3) | instid1(VALU_DEP_4)
	v_cmp_eq_u32_e64 s8, 0, v12
	v_cmp_eq_u32_e64 s9, 1, v12
	;; [unrolled: 1-line block ×4, first 2 shown]
	s_and_b32 s8, s7, s8
	s_delay_alu instid0(SALU_CYCLE_1) | instskip(SKIP_1) | instid1(SALU_CYCLE_1)
	v_cndmask_b32_e64 v12, 0, 1, s8
	s_and_b32 s8, s7, s9
	v_cndmask_b32_e64 v34, 0, 1, s8
	s_and_b32 s8, s7, s10
	s_and_b32 s7, s7, s11
	v_cndmask_b32_e64 v35, 0, 1, s8
	v_cndmask_b32_e64 v36, 0, 1, s7
	v_cmp_ne_u32_e64 s7, 0, v12
	v_cmp_ne_u32_e64 s8, 0, v34
	s_delay_alu instid0(VALU_DEP_4) | instskip(NEXT) | instid1(VALU_DEP_4)
	v_cmp_ne_u32_e64 s9, 0, v35
	v_cmp_ne_u32_e64 s10, 0, v36
	s_delay_alu instid0(VALU_DEP_4) | instskip(NEXT) | instid1(VALU_DEP_3)
	s_bcnt1_i32_b32 s7, s7
	s_bcnt1_i32_b32 s8, s8
	v_add_co_u32 v2, s7, v2, s7
	s_delay_alu instid0(VALU_DEP_1)
	v_add_co_ci_u32_e64 v3, s7, 0, v3, s7
	v_add_co_u32 v4, s7, v4, s8
	s_bcnt1_i32_b32 s9, s9
	v_add_co_ci_u32_e64 v5, s7, 0, v5, s7
	v_add_co_u32 v6, s7, v6, s9
	s_bcnt1_i32_b32 s10, s10
	v_add_co_ci_u32_e64 v7, s7, 0, v7, s7
	v_add_co_u32 v8, s7, v8, s10
	s_delay_alu instid0(VALU_DEP_1) | instskip(SKIP_1) | instid1(SALU_CYCLE_1)
	v_add_co_ci_u32_e64 v9, s7, 0, v9, s7
	s_or_b32 s15, vcc_lo, s15
	s_and_not1_b32 exec_lo, exec_lo, s15
	s_cbranch_execnz .LBB207_66
; %bb.67:                               ;   in Loop: Header=BB207_12 Depth=1
	s_or_b32 exec_lo, exec_lo, s15
.LBB207_68:                             ;   in Loop: Header=BB207_12 Depth=1
	s_delay_alu instid0(SALU_CYCLE_1)
	s_or_b32 exec_lo, exec_lo, s14
.LBB207_69:                             ;   in Loop: Header=BB207_12 Depth=1
	s_lshl_b32 s7, s87, 7
	s_and_saveexec_b32 s8, s2
	s_cbranch_execz .LBB207_71
; %bb.70:                               ;   in Loop: Header=BB207_12 Depth=1
	v_or_b32_e32 v12, s7, v24
	s_delay_alu instid0(VALU_DEP_1)
	v_lshlrev_b32_e32 v12, 3, v12
	ds_store_b128 v12, v[2:5] offset:3072
	ds_store_b128 v12, v[6:9] offset:3088
.LBB207_71:                             ;   in Loop: Header=BB207_12 Depth=1
	s_or_b32 exec_lo, exec_lo, s8
	s_waitcnt vmcnt(0) lgkmcnt(0)
	s_barrier
	buffer_gl0_inv
	s_and_saveexec_b32 s8, s72
	s_cbranch_execz .LBB207_82
; %bb.72:                               ;   in Loop: Header=BB207_12 Depth=1
	v_mov_b32_e32 v2, 0
	v_mov_b32_e32 v3, 0
	s_and_not1_b32 vcc_lo, exec_lo, s80
	s_cbranch_vccnz .LBB207_81
; %bb.73:                               ;   in Loop: Header=BB207_12 Depth=1
	v_mov_b32_e32 v2, 0
	v_mov_b32_e32 v3, 0
	s_and_not1_b32 vcc_lo, exec_lo, s78
	s_cbranch_vccnz .LBB207_78
; %bb.74:                               ;   in Loop: Header=BB207_12 Depth=1
	v_lshl_add_u32 v4, s87, 10, v28
	s_mov_b32 s9, 0
	s_set_inst_prefetch_distance 0x1
	.p2align	6
.LBB207_75:                             ;   Parent Loop BB207_12 Depth=1
                                        ; =>  This Inner Loop Header: Depth=2
	ds_load_2addr_b64 v[5:8], v4 offset1:4
	ds_load_2addr_b64 v[18:21], v4 offset0:8 offset1:12
	ds_load_2addr_b64 v[33:36], v4 offset0:16 offset1:20
	s_add_i32 s9, s9, 8
	s_delay_alu instid0(SALU_CYCLE_1) | instskip(SKIP_3) | instid1(VALU_DEP_2)
	s_cmp_eq_u32 s79, s9
	s_waitcnt lgkmcnt(2)
	v_add_co_u32 v2, vcc_lo, v5, v2
	v_add_co_ci_u32_e32 v3, vcc_lo, v6, v3, vcc_lo
	v_add_co_u32 v2, vcc_lo, v7, v2
	s_delay_alu instid0(VALU_DEP_2)
	v_add_co_ci_u32_e32 v3, vcc_lo, v8, v3, vcc_lo
	ds_load_2addr_b64 v[5:8], v4 offset0:24 offset1:28
	s_waitcnt lgkmcnt(2)
	v_add_co_u32 v2, vcc_lo, v18, v2
	v_add_co_ci_u32_e32 v3, vcc_lo, v19, v3, vcc_lo
	v_add_nc_u32_e32 v4, 0x100, v4
	s_delay_alu instid0(VALU_DEP_3) | instskip(NEXT) | instid1(VALU_DEP_3)
	v_add_co_u32 v2, vcc_lo, v20, v2
	v_add_co_ci_u32_e32 v3, vcc_lo, v21, v3, vcc_lo
	s_waitcnt lgkmcnt(1)
	s_delay_alu instid0(VALU_DEP_2) | instskip(NEXT) | instid1(VALU_DEP_2)
	v_add_co_u32 v2, vcc_lo, v33, v2
	v_add_co_ci_u32_e32 v3, vcc_lo, v34, v3, vcc_lo
	s_delay_alu instid0(VALU_DEP_2) | instskip(NEXT) | instid1(VALU_DEP_2)
	v_add_co_u32 v2, vcc_lo, v35, v2
	v_add_co_ci_u32_e32 v3, vcc_lo, v36, v3, vcc_lo
	s_waitcnt lgkmcnt(0)
	s_delay_alu instid0(VALU_DEP_2) | instskip(NEXT) | instid1(VALU_DEP_2)
	v_add_co_u32 v2, vcc_lo, v5, v2
	v_add_co_ci_u32_e32 v3, vcc_lo, v6, v3, vcc_lo
	s_delay_alu instid0(VALU_DEP_2) | instskip(NEXT) | instid1(VALU_DEP_2)
	v_add_co_u32 v2, vcc_lo, v7, v2
	v_add_co_ci_u32_e32 v3, vcc_lo, v8, v3, vcc_lo
	s_cbranch_scc0 .LBB207_75
; %bb.76:                               ;   in Loop: Header=BB207_12 Depth=1
	s_set_inst_prefetch_distance 0x2
	s_mov_b32 s9, s79
	s_and_not1_b32 vcc_lo, exec_lo, s81
	s_cbranch_vccz .LBB207_79
	s_branch .LBB207_81
.LBB207_77:                             ;   in Loop: Header=BB207_12 Depth=1
                                        ; implicit-def: $vgpr2_vgpr3
	s_branch .LBB207_45
.LBB207_78:                             ;   in Loop: Header=BB207_12 Depth=1
	s_mov_b32 s9, 0
	s_and_not1_b32 vcc_lo, exec_lo, s81
	s_cbranch_vccnz .LBB207_81
.LBB207_79:                             ;   in Loop: Header=BB207_12 Depth=1
	s_lshl_b32 s10, s87, 10
	s_lshl_b32 s9, s9, 5
	s_delay_alu instid0(SALU_CYCLE_1)
	v_add3_u32 v4, s10, s9, v28
	s_mov_b32 s9, s77
.LBB207_80:                             ;   Parent Loop BB207_12 Depth=1
                                        ; =>  This Inner Loop Header: Depth=2
	ds_load_b64 v[5:6], v4
	v_add_nc_u32_e32 v4, 32, v4
	s_add_i32 s9, s9, -1
	s_delay_alu instid0(SALU_CYCLE_1)
	s_cmp_lg_u32 s9, 0
	s_waitcnt lgkmcnt(0)
	v_add_co_u32 v2, vcc_lo, v5, v2
	v_add_co_ci_u32_e32 v3, vcc_lo, v6, v3, vcc_lo
	s_cbranch_scc1 .LBB207_80
.LBB207_81:                             ;   in Loop: Header=BB207_12 Depth=1
	v_add_lshl_u32 v4, s7, v23, 3
	ds_store_b64 v4, v[2:3] offset:3072
.LBB207_82:                             ;   in Loop: Header=BB207_12 Depth=1
	s_or_b32 exec_lo, exec_lo, s8
	s_lshl_b32 s7, s7, 3
	s_waitcnt lgkmcnt(0)
	v_mov_b32_e32 v6, s7
	s_barrier
	buffer_gl0_inv
	s_and_b32 s22, s83, 0xfe
	v_cmp_eq_u64_e64 s7, 1, v[16:17]
	ds_load_b128 v[2:5], v6 offset:3072
	ds_load_b128 v[6:9], v6 offset:3088
	s_lshl_b32 s20, 3, s22
	s_and_not1_b32 vcc_lo, exec_lo, s53
	s_not_b32 s21, s20
	s_waitcnt lgkmcnt(1)
	v_readfirstlane_b32 s11, v3
	v_readfirstlane_b32 s10, v2
	;; [unrolled: 1-line block ×4, first 2 shown]
	s_waitcnt lgkmcnt(0)
	v_readfirstlane_b32 s15, v7
	v_readfirstlane_b32 s14, v6
	;; [unrolled: 1-line block ×4, first 2 shown]
	s_cbranch_vccnz .LBB207_98
; %bb.83:                               ;   in Loop: Header=BB207_12 Depth=1
	s_cmp_eq_u64 s[10:11], 1
	v_dual_mov_b32 v8, v31 :: v_dual_mov_b32 v9, v30
	v_mov_b32_e32 v6, v32
	s_cselect_b32 s8, -1, 0
                                        ; implicit-def: $sgpr23
                                        ; implicit-def: $sgpr62
                                        ; implicit-def: $sgpr58
	s_delay_alu instid0(SALU_CYCLE_1)
	s_and_b32 s65, s8, s7
	s_mov_b32 s8, -1
	s_and_saveexec_b32 s24, s65
	s_cbranch_execz .LBB207_117
; %bb.84:                               ;   in Loop: Header=BB207_12 Depth=1
	ds_load_b64 v[2:3], v13 offset:5120
	s_waitcnt lgkmcnt(0)
	s_barrier
	buffer_gl0_inv
	v_readfirstlane_b32 s18, v2
	v_readfirstlane_b32 s19, v3
	s_and_saveexec_b32 s8, s6
	s_cbranch_execz .LBB207_86
; %bb.85:                               ;   in Loop: Header=BB207_12 Depth=1
	ds_store_b16 v26, v13
.LBB207_86:                             ;   in Loop: Header=BB207_12 Depth=1
	s_or_b32 exec_lo, exec_lo, s8
	v_and_b32_e32 v8, s21, v31
	v_or_b32_e32 v9, s20, v30
	s_cmp_eq_u64 s[18:19], 0
	s_waitcnt lgkmcnt(0)
	s_barrier
	buffer_gl0_inv
	s_cbranch_scc1 .LBB207_100
; %bb.87:                               ;   in Loop: Header=BB207_12 Depth=1
	s_add_u32 s23, s74, s18
	s_addc_u32 s9, s75, s19
	s_mov_b32 s8, s59
	s_delay_alu instid0(SALU_CYCLE_1)
	s_cmp_lg_u64 s[8:9], 0
	s_cbranch_scc0 .LBB207_144
; %bb.88:                               ;   in Loop: Header=BB207_12 Depth=1
	v_cvt_f32_u32_e32 v2, s49
	s_sub_u32 s26, 0, s49
	s_subb_u32 s54, 0, 0
	s_delay_alu instid0(VALU_DEP_1) | instskip(NEXT) | instid1(VALU_DEP_1)
	v_fmac_f32_e64 v2, 0, 0x4f800000
	v_rcp_f32_e32 v2, v2
	s_waitcnt_depctr 0xfff
	v_mul_f32_e32 v2, 0x5f7ffffc, v2
	s_delay_alu instid0(VALU_DEP_1) | instskip(NEXT) | instid1(VALU_DEP_1)
	v_mul_f32_e32 v3, 0x2f800000, v2
	v_trunc_f32_e32 v3, v3
	s_delay_alu instid0(VALU_DEP_1) | instskip(SKIP_1) | instid1(VALU_DEP_2)
	v_fmac_f32_e32 v2, 0xcf800000, v3
	v_cvt_u32_f32_e32 v3, v3
	v_cvt_u32_f32_e32 v2, v2
	s_delay_alu instid0(VALU_DEP_2) | instskip(NEXT) | instid1(VALU_DEP_2)
	v_readfirstlane_b32 s8, v3
	v_readfirstlane_b32 s25, v2
	s_delay_alu instid0(VALU_DEP_2) | instskip(NEXT) | instid1(VALU_DEP_1)
	s_mul_i32 s55, s26, s8
	s_mul_hi_u32 s57, s26, s25
	s_mul_i32 s56, s54, s25
	s_add_i32 s55, s57, s55
	s_mul_i32 s58, s26, s25
	s_add_i32 s55, s55, s56
	s_mul_hi_u32 s57, s25, s58
	s_mul_hi_u32 s62, s8, s58
	s_mul_i32 s56, s8, s58
	s_mul_hi_u32 s58, s25, s55
	s_mul_i32 s25, s25, s55
	s_mul_hi_u32 s63, s8, s55
	s_add_u32 s25, s57, s25
	s_addc_u32 s57, 0, s58
	s_add_u32 s25, s25, s56
	s_mul_i32 s55, s8, s55
	s_addc_u32 s25, s57, s62
	s_addc_u32 s56, s63, 0
	s_add_u32 s25, s25, s55
	s_addc_u32 s55, 0, s56
	v_add_co_u32 v2, s25, v2, s25
	s_delay_alu instid0(VALU_DEP_1) | instskip(SKIP_1) | instid1(VALU_DEP_1)
	s_cmp_lg_u32 s25, 0
	s_addc_u32 s8, s8, s55
	v_readfirstlane_b32 s25, v2
	s_mul_i32 s55, s26, s8
	s_delay_alu instid0(VALU_DEP_1)
	s_mul_hi_u32 s56, s26, s25
	s_mul_i32 s54, s54, s25
	s_add_i32 s55, s56, s55
	s_mul_i32 s26, s26, s25
	s_add_i32 s55, s55, s54
	s_mul_hi_u32 s56, s8, s26
	s_mul_i32 s57, s8, s26
	s_mul_hi_u32 s26, s25, s26
	s_mul_hi_u32 s58, s25, s55
	s_mul_i32 s25, s25, s55
	s_mul_hi_u32 s54, s8, s55
	s_add_u32 s25, s26, s25
	s_addc_u32 s26, 0, s58
	s_add_u32 s25, s25, s57
	s_mul_i32 s55, s8, s55
	s_addc_u32 s25, s26, s56
	s_addc_u32 s26, s54, 0
	s_add_u32 s25, s25, s55
	s_addc_u32 s26, 0, s26
	v_add_co_u32 v2, s25, v2, s25
	s_delay_alu instid0(VALU_DEP_1) | instskip(SKIP_1) | instid1(VALU_DEP_1)
	s_cmp_lg_u32 s25, 0
	s_addc_u32 s8, s8, s26
	v_readfirstlane_b32 s25, v2
	s_mul_i32 s54, s23, s8
	s_mul_hi_u32 s26, s23, s8
	s_mul_hi_u32 s55, s9, s8
	s_mul_i32 s8, s9, s8
	s_mul_hi_u32 s56, s23, s25
	s_mul_hi_u32 s57, s9, s25
	s_mul_i32 s25, s9, s25
	s_add_u32 s54, s56, s54
	s_addc_u32 s26, 0, s26
	s_add_u32 s25, s54, s25
	s_addc_u32 s25, s26, s57
	s_addc_u32 s26, s55, 0
	s_add_u32 s8, s25, s8
	s_addc_u32 s25, 0, s26
	s_mul_hi_u32 s26, s49, s8
	s_mul_i32 s8, s49, s8
	s_mul_i32 s25, s49, s25
	v_sub_co_u32 v2, s8, s23, s8
	s_add_i32 s26, s26, s25
	s_cmp_lg_u32 s8, 0
	s_delay_alu instid0(VALU_DEP_1) | instskip(SKIP_2) | instid1(VALU_DEP_1)
	v_sub_co_u32 v3, s8, v2, s49
	s_subb_u32 s25, s9, s26
	s_cmp_lg_u32 s8, 0
	v_cmp_le_u32_e32 vcc_lo, s49, v3
	v_sub_co_u32 v4, s8, v3, s49
	s_subb_u32 s26, s25, 0
	s_cmp_lg_u32 s8, 0
	v_cndmask_b32_e64 v5, 0, -1, vcc_lo
	s_subb_u32 s8, s26, 0
	s_cmp_eq_u32 s26, 0
	v_mov_b32_e32 v7, s8
	s_cselect_b32 vcc_lo, -1, 0
	s_cmp_eq_u32 s25, 0
	v_cndmask_b32_e32 v5, -1, v5, vcc_lo
	v_cmp_le_u32_e32 vcc_lo, s49, v2
	s_cselect_b32 s8, -1, 0
	v_cndmask_b32_e64 v6, 0, -1, vcc_lo
	s_delay_alu instid0(VALU_DEP_3) | instskip(NEXT) | instid1(VALU_DEP_2)
	v_cmp_ne_u32_e32 vcc_lo, 0, v5
	v_cndmask_b32_e64 v5, -1, v6, s8
	v_cndmask_b32_e32 v6, s26, v7, vcc_lo
	v_cndmask_b32_e32 v4, v3, v4, vcc_lo
	s_delay_alu instid0(VALU_DEP_3) | instskip(NEXT) | instid1(VALU_DEP_3)
	v_cmp_ne_u32_e32 vcc_lo, 0, v5
	v_cndmask_b32_e32 v3, s25, v6, vcc_lo
	s_delay_alu instid0(VALU_DEP_3)
	v_cndmask_b32_e32 v2, v2, v4, vcc_lo
	s_cbranch_execnz .LBB207_90
.LBB207_89:                             ;   in Loop: Header=BB207_12 Depth=1
	v_cvt_f32_u32_e32 v2, s49
	s_sub_i32 s8, 0, s49
	s_delay_alu instid0(VALU_DEP_1) | instskip(SKIP_2) | instid1(VALU_DEP_1)
	v_rcp_iflag_f32_e32 v2, v2
	s_waitcnt_depctr 0xfff
	v_mul_f32_e32 v2, 0x4f7ffffe, v2
	v_cvt_u32_f32_e32 v2, v2
	s_delay_alu instid0(VALU_DEP_1) | instskip(NEXT) | instid1(VALU_DEP_1)
	v_mul_lo_u32 v3, s8, v2
	v_mul_hi_u32 v3, v2, v3
	s_delay_alu instid0(VALU_DEP_1) | instskip(NEXT) | instid1(VALU_DEP_1)
	v_add_nc_u32_e32 v2, v2, v3
	v_mul_hi_u32 v2, s23, v2
	s_delay_alu instid0(VALU_DEP_1) | instskip(NEXT) | instid1(VALU_DEP_1)
	v_mul_lo_u32 v2, v2, s49
	v_sub_nc_u32_e32 v2, s23, v2
	s_delay_alu instid0(VALU_DEP_1) | instskip(SKIP_1) | instid1(VALU_DEP_2)
	v_subrev_nc_u32_e32 v3, s49, v2
	v_cmp_le_u32_e32 vcc_lo, s49, v2
	v_cndmask_b32_e32 v2, v2, v3, vcc_lo
	s_delay_alu instid0(VALU_DEP_1) | instskip(SKIP_1) | instid1(VALU_DEP_2)
	v_subrev_nc_u32_e32 v3, s49, v2
	v_cmp_le_u32_e32 vcc_lo, s49, v2
	v_cndmask_b32_e32 v12, v2, v3, vcc_lo
	s_delay_alu instid0(VALU_DEP_1)
	v_dual_mov_b32 v2, v12 :: v_dual_mov_b32 v3, v13
.LBB207_90:                             ;   in Loop: Header=BB207_12 Depth=1
	s_delay_alu instid0(VALU_DEP_1) | instskip(NEXT) | instid1(VALU_DEP_2)
	v_sub_co_u32 v2, vcc_lo, s23, v2
	v_sub_co_ci_u32_e32 v3, vcc_lo, s9, v3, vcc_lo
	s_mov_b32 s8, 0
	s_mov_b32 s9, exec_lo
                                        ; implicit-def: $vgpr6
	s_delay_alu instid0(VALU_DEP_1)
	v_cmpx_gt_u64_e64 v[2:3], v[0:1]
	s_cbranch_execz .LBB207_102
; %bb.91:                               ;   in Loop: Header=BB207_12 Depth=1
	v_mov_b32_e32 v6, v25
	v_dual_mov_b32 v5, v1 :: v_dual_mov_b32 v4, v0
	s_mov_b32 s23, 0
                                        ; implicit-def: $sgpr25
	s_set_inst_prefetch_distance 0x1
	s_branch .LBB207_93
	.p2align	6
.LBB207_92:                             ;   in Loop: Header=BB207_93 Depth=2
	s_or_b32 exec_lo, exec_lo, s8
	s_waitcnt lgkmcnt(0)
	s_barrier
	buffer_gl0_inv
	ds_load_b32 v7, v13 offset:3072
	v_add_co_u32 v4, vcc_lo, v4, s49
	v_add_co_ci_u32_e32 v5, vcc_lo, 0, v5, vcc_lo
	v_add_nc_u32_e32 v6, s82, v6
	s_waitcnt lgkmcnt(0)
	s_barrier
	s_delay_alu instid0(VALU_DEP_2) | instskip(SKIP_2) | instid1(VALU_DEP_1)
	v_cmp_ge_u64_e32 vcc_lo, v[4:5], v[2:3]
	buffer_gl0_inv
	v_cmp_neq_f16_e64 s8, 0, v7
	s_or_b32 s26, vcc_lo, s8
	s_delay_alu instid0(SALU_CYCLE_1) | instskip(NEXT) | instid1(SALU_CYCLE_1)
	s_and_b32 s26, exec_lo, s26
	s_or_b32 s23, s26, s23
	s_and_not1_b32 s25, s25, exec_lo
	s_and_b32 s8, s8, exec_lo
	s_delay_alu instid0(SALU_CYCLE_1)
	s_or_b32 s25, s25, s8
	s_and_not1_b32 exec_lo, exec_lo, s23
	s_cbranch_execz .LBB207_101
.LBB207_93:                             ;   Parent Loop BB207_12 Depth=1
                                        ; =>  This Inner Loop Header: Depth=2
	s_delay_alu instid0(VALU_DEP_1)
	v_cmp_gt_u64_e32 vcc_lo, s[18:19], v[4:5]
	v_mov_b32_e32 v7, 0
	s_and_saveexec_b32 s8, vcc_lo
	s_cbranch_execz .LBB207_95
; %bb.94:                               ;   in Loop: Header=BB207_93 Depth=2
	ds_load_u16 v7, v6
.LBB207_95:                             ;   in Loop: Header=BB207_93 Depth=2
	s_or_b32 exec_lo, exec_lo, s8
	s_and_saveexec_b32 s8, vcc_lo
	s_cbranch_execz .LBB207_92
; %bb.96:                               ;   in Loop: Header=BB207_93 Depth=2
	s_waitcnt lgkmcnt(0)
	v_cmp_lt_i16_e32 vcc_lo, -1, v7
	v_and_b32_e32 v12, 0xffff, v7
	v_cndmask_b32_e32 v18, 0xffff, v29, vcc_lo
	v_cmp_o_f16_e32 vcc_lo, v7, v7
	s_delay_alu instid0(VALU_DEP_2) | instskip(NEXT) | instid1(VALU_DEP_1)
	v_xor_b32_e32 v12, v18, v12
	v_cndmask_b32_e32 v12, 0xffff, v12, vcc_lo
	s_delay_alu instid0(VALU_DEP_1) | instskip(NEXT) | instid1(VALU_DEP_1)
	v_and_b32_e32 v12, v12, v9
	v_cmp_eq_u32_e32 vcc_lo, v12, v8
	s_and_b32 exec_lo, exec_lo, vcc_lo
	s_cbranch_execz .LBB207_92
; %bb.97:                               ;   in Loop: Header=BB207_93 Depth=2
	v_perm_b32 v7, v7, s85, 0x5040100
	ds_store_b32 v13, v7 offset:3072
	s_branch .LBB207_92
.LBB207_98:                             ;   in Loop: Header=BB207_12 Depth=1
	s_mov_b32 s25, 0
	s_mov_b32 s24, 0
                                        ; implicit-def: $sgpr58
                                        ; implicit-def: $sgpr62
                                        ; implicit-def: $sgpr23
                                        ; implicit-def: $vgpr7
                                        ; implicit-def: $vgpr2_vgpr3
                                        ; implicit-def: $vgpr8
                                        ; implicit-def: $vgpr9
                                        ; implicit-def: $vgpr6
	s_cbranch_execnz .LBB207_281
.LBB207_99:                             ;   in Loop: Header=BB207_12 Depth=1
	s_mov_b32 s18, s23
	s_mov_b32 s19, s23
	s_and_saveexec_b32 s7, s25
	s_cbranch_execnz .LBB207_477
	s_branch .LBB207_478
.LBB207_100:                            ;   in Loop: Header=BB207_12 Depth=1
	s_mov_b32 s23, -1
	s_mov_b32 s8, 0
                                        ; implicit-def: $sgpr58
                                        ; implicit-def: $vgpr6
	s_mov_b32 s62, s23
	s_cbranch_execnz .LBB207_103
	s_branch .LBB207_116
.LBB207_101:                            ;   in Loop: Header=BB207_12 Depth=1
	s_set_inst_prefetch_distance 0x2
	s_or_b32 exec_lo, exec_lo, s23
	v_lshrrev_b32_e32 v6, 16, v7
	s_and_b32 s8, s25, exec_lo
.LBB207_102:                            ;   in Loop: Header=BB207_12 Depth=1
	s_or_b32 exec_lo, exec_lo, s9
	s_mov_b32 s58, -1
	s_mov_b32 s23, 0
	s_delay_alu instid0(SALU_CYCLE_1)
	s_mov_b32 s62, s23
	s_branch .LBB207_116
.LBB207_103:                            ;   in Loop: Header=BB207_12 Depth=1
	s_mov_b32 s26, s59
	s_delay_alu instid0(SALU_CYCLE_1)
	s_cmp_lg_u64 s[26:27], 0
	s_cbranch_scc0 .LBB207_145
; %bb.104:                              ;   in Loop: Header=BB207_12 Depth=1
	v_cvt_f32_u32_e32 v2, s49
	s_sub_u32 s18, 0, s49
	s_subb_u32 s19, 0, 0
	s_delay_alu instid0(VALU_DEP_1) | instskip(NEXT) | instid1(VALU_DEP_1)
	v_fmac_f32_e64 v2, 0, 0x4f800000
	v_rcp_f32_e32 v2, v2
	s_waitcnt_depctr 0xfff
	v_mul_f32_e32 v2, 0x5f7ffffc, v2
	s_delay_alu instid0(VALU_DEP_1) | instskip(NEXT) | instid1(VALU_DEP_1)
	v_mul_f32_e32 v3, 0x2f800000, v2
	v_trunc_f32_e32 v3, v3
	s_delay_alu instid0(VALU_DEP_1) | instskip(SKIP_1) | instid1(VALU_DEP_2)
	v_fmac_f32_e32 v2, 0xcf800000, v3
	v_cvt_u32_f32_e32 v3, v3
	v_cvt_u32_f32_e32 v2, v2
	s_delay_alu instid0(VALU_DEP_2) | instskip(NEXT) | instid1(VALU_DEP_2)
	v_readfirstlane_b32 s8, v3
	v_readfirstlane_b32 s9, v2
	s_delay_alu instid0(VALU_DEP_2) | instskip(NEXT) | instid1(VALU_DEP_1)
	s_mul_i32 s23, s18, s8
	s_mul_hi_u32 s26, s18, s9
	s_mul_i32 s25, s19, s9
	s_add_i32 s23, s26, s23
	s_mul_i32 s54, s18, s9
	s_add_i32 s23, s23, s25
	s_mul_hi_u32 s26, s9, s54
	s_mul_hi_u32 s55, s8, s54
	s_mul_i32 s25, s8, s54
	s_mul_hi_u32 s54, s9, s23
	s_mul_i32 s9, s9, s23
	s_mul_hi_u32 s56, s8, s23
	s_add_u32 s9, s26, s9
	s_addc_u32 s26, 0, s54
	s_add_u32 s9, s9, s25
	s_mul_i32 s23, s8, s23
	s_addc_u32 s9, s26, s55
	s_addc_u32 s25, s56, 0
	s_add_u32 s9, s9, s23
	s_addc_u32 s23, 0, s25
	v_add_co_u32 v2, s9, v2, s9
	s_delay_alu instid0(VALU_DEP_1) | instskip(SKIP_1) | instid1(VALU_DEP_1)
	s_cmp_lg_u32 s9, 0
	s_addc_u32 s8, s8, s23
	v_readfirstlane_b32 s9, v2
	s_mul_i32 s23, s18, s8
	s_delay_alu instid0(VALU_DEP_1)
	s_mul_hi_u32 s25, s18, s9
	s_mul_i32 s19, s19, s9
	s_add_i32 s23, s25, s23
	s_mul_i32 s18, s18, s9
	s_add_i32 s23, s23, s19
	s_mul_hi_u32 s25, s8, s18
	s_mul_i32 s26, s8, s18
	s_mul_hi_u32 s18, s9, s18
	s_mul_hi_u32 s54, s9, s23
	s_mul_i32 s9, s9, s23
	s_mul_hi_u32 s19, s8, s23
	s_add_u32 s9, s18, s9
	s_addc_u32 s18, 0, s54
	s_add_u32 s9, s9, s26
	s_mul_i32 s23, s8, s23
	s_addc_u32 s9, s18, s25
	s_addc_u32 s18, s19, 0
	s_add_u32 s9, s9, s23
	s_addc_u32 s18, 0, s18
	v_add_co_u32 v2, s9, v2, s9
	s_delay_alu instid0(VALU_DEP_1) | instskip(SKIP_1) | instid1(VALU_DEP_1)
	s_cmp_lg_u32 s9, 0
	s_addc_u32 s8, s8, s18
	v_readfirstlane_b32 s9, v2
	s_mul_i32 s19, s76, s8
	s_mul_hi_u32 s18, s76, s8
	s_mul_hi_u32 s23, s27, s8
	s_mul_i32 s8, s27, s8
	s_mul_hi_u32 s25, s76, s9
	s_mul_hi_u32 s26, s27, s9
	s_mul_i32 s9, s27, s9
	s_add_u32 s19, s25, s19
	s_addc_u32 s18, 0, s18
	s_add_u32 s9, s19, s9
	s_addc_u32 s9, s18, s26
	s_addc_u32 s18, s23, 0
	s_add_u32 s8, s9, s8
	s_addc_u32 s9, 0, s18
	s_mul_hi_u32 s18, s49, s8
	s_mul_i32 s8, s49, s8
	s_mul_i32 s9, s49, s9
	v_sub_co_u32 v2, s8, s76, s8
	s_add_i32 s18, s18, s9
	s_cmp_lg_u32 s8, 0
	s_delay_alu instid0(VALU_DEP_1) | instskip(SKIP_2) | instid1(VALU_DEP_1)
	v_sub_co_u32 v3, s8, v2, s49
	s_subb_u32 s9, s27, s18
	s_cmp_lg_u32 s8, 0
	v_cmp_le_u32_e32 vcc_lo, s49, v3
	v_sub_co_u32 v4, s8, v3, s49
	s_subb_u32 s18, s9, 0
	s_cmp_lg_u32 s8, 0
	v_cndmask_b32_e64 v5, 0, -1, vcc_lo
	s_subb_u32 s8, s18, 0
	s_cmp_eq_u32 s18, 0
	v_mov_b32_e32 v7, s8
	s_cselect_b32 vcc_lo, -1, 0
	s_cmp_eq_u32 s9, 0
	v_cndmask_b32_e32 v5, -1, v5, vcc_lo
	v_cmp_le_u32_e32 vcc_lo, s49, v2
	s_cselect_b32 s8, -1, 0
	v_cndmask_b32_e64 v6, 0, -1, vcc_lo
	s_delay_alu instid0(VALU_DEP_3) | instskip(NEXT) | instid1(VALU_DEP_2)
	v_cmp_ne_u32_e32 vcc_lo, 0, v5
	v_cndmask_b32_e64 v5, -1, v6, s8
	v_cndmask_b32_e32 v6, s18, v7, vcc_lo
	v_cndmask_b32_e32 v4, v3, v4, vcc_lo
	s_delay_alu instid0(VALU_DEP_3) | instskip(NEXT) | instid1(VALU_DEP_3)
	v_cmp_ne_u32_e32 vcc_lo, 0, v5
	v_cndmask_b32_e32 v3, s9, v6, vcc_lo
	s_delay_alu instid0(VALU_DEP_3)
	v_cndmask_b32_e32 v2, v2, v4, vcc_lo
	s_cbranch_execnz .LBB207_106
.LBB207_105:                            ;   in Loop: Header=BB207_12 Depth=1
	v_cvt_f32_u32_e32 v2, s49
	s_sub_i32 s8, 0, s49
	s_delay_alu instid0(VALU_DEP_1) | instskip(SKIP_2) | instid1(VALU_DEP_1)
	v_rcp_iflag_f32_e32 v2, v2
	s_waitcnt_depctr 0xfff
	v_mul_f32_e32 v2, 0x4f7ffffe, v2
	v_cvt_u32_f32_e32 v2, v2
	s_delay_alu instid0(VALU_DEP_1) | instskip(NEXT) | instid1(VALU_DEP_1)
	v_mul_lo_u32 v3, s8, v2
	v_mul_hi_u32 v3, v2, v3
	s_delay_alu instid0(VALU_DEP_1) | instskip(NEXT) | instid1(VALU_DEP_1)
	v_add_nc_u32_e32 v2, v2, v3
	v_mul_hi_u32 v2, s76, v2
	s_delay_alu instid0(VALU_DEP_1) | instskip(NEXT) | instid1(VALU_DEP_1)
	v_mul_lo_u32 v2, v2, s49
	v_sub_nc_u32_e32 v2, s76, v2
	s_delay_alu instid0(VALU_DEP_1) | instskip(SKIP_1) | instid1(VALU_DEP_2)
	v_subrev_nc_u32_e32 v3, s49, v2
	v_cmp_le_u32_e32 vcc_lo, s49, v2
	v_cndmask_b32_e32 v2, v2, v3, vcc_lo
	s_delay_alu instid0(VALU_DEP_1) | instskip(SKIP_1) | instid1(VALU_DEP_2)
	v_subrev_nc_u32_e32 v3, s49, v2
	v_cmp_le_u32_e32 vcc_lo, s49, v2
	v_cndmask_b32_e32 v12, v2, v3, vcc_lo
	s_delay_alu instid0(VALU_DEP_1)
	v_dual_mov_b32 v2, v12 :: v_dual_mov_b32 v3, v13
.LBB207_106:                            ;   in Loop: Header=BB207_12 Depth=1
	s_delay_alu instid0(VALU_DEP_1) | instskip(NEXT) | instid1(VALU_DEP_2)
	v_sub_co_u32 v2, vcc_lo, s76, v2
	v_sub_co_ci_u32_e32 v3, vcc_lo, s27, v3, vcc_lo
	s_mov_b32 s8, 0
	s_mov_b32 s9, exec_lo
                                        ; implicit-def: $vgpr6
	s_delay_alu instid0(VALU_DEP_1)
	v_cmpx_gt_u64_e64 v[2:3], v[0:1]
	s_cbranch_execz .LBB207_115
; %bb.107:                              ;   in Loop: Header=BB207_12 Depth=1
	v_dual_mov_b32 v5, v1 :: v_dual_mov_b32 v4, v0
	s_mov_b32 s18, 0
                                        ; implicit-def: $sgpr19
	s_branch .LBB207_109
.LBB207_108:                            ;   in Loop: Header=BB207_109 Depth=2
	s_or_b32 exec_lo, exec_lo, s8
	s_waitcnt vmcnt(0) lgkmcnt(0)
	s_barrier
	buffer_gl0_inv
	ds_load_b32 v6, v13 offset:3072
	v_add_co_u32 v4, vcc_lo, v4, s49
	v_add_co_ci_u32_e32 v5, vcc_lo, 0, v5, vcc_lo
	s_waitcnt lgkmcnt(0)
	s_barrier
	buffer_gl0_inv
	v_cmp_ge_u64_e32 vcc_lo, v[4:5], v[2:3]
	v_cmp_neq_f16_e64 s8, 0, v6
	s_delay_alu instid0(VALU_DEP_1) | instskip(NEXT) | instid1(SALU_CYCLE_1)
	s_or_b32 s23, vcc_lo, s8
	s_and_b32 s23, exec_lo, s23
	s_delay_alu instid0(SALU_CYCLE_1) | instskip(SKIP_2) | instid1(SALU_CYCLE_1)
	s_or_b32 s18, s23, s18
	s_and_not1_b32 s19, s19, exec_lo
	s_and_b32 s8, s8, exec_lo
	s_or_b32 s19, s19, s8
	s_and_not1_b32 exec_lo, exec_lo, s18
	s_cbranch_execz .LBB207_114
.LBB207_109:                            ;   Parent Loop BB207_12 Depth=1
                                        ; =>  This Inner Loop Header: Depth=2
	s_delay_alu instid0(VALU_DEP_1)
	v_cmp_gt_u64_e32 vcc_lo, s[36:37], v[4:5]
	v_mov_b32_e32 v6, 0
	s_and_saveexec_b32 s23, vcc_lo
	s_cbranch_execz .LBB207_111
; %bb.110:                              ;   in Loop: Header=BB207_109 Depth=2
	v_mul_lo_u32 v12, v5, s30
	v_mul_lo_u32 v18, v4, s31
	v_mad_u64_u32 v[6:7], null, v4, s30, 0
	s_delay_alu instid0(VALU_DEP_1) | instskip(NEXT) | instid1(VALU_DEP_1)
	v_add3_u32 v7, v7, v18, v12
	v_lshlrev_b64 v[6:7], 1, v[6:7]
	s_delay_alu instid0(VALU_DEP_1) | instskip(NEXT) | instid1(VALU_DEP_1)
	v_add_co_u32 v6, s8, s33, v6
	v_add_co_ci_u32_e64 v7, s8, s35, v7, s8
	global_load_u16 v6, v[6:7], off
.LBB207_111:                            ;   in Loop: Header=BB207_109 Depth=2
	s_or_b32 exec_lo, exec_lo, s23
	s_and_saveexec_b32 s8, vcc_lo
	s_cbranch_execz .LBB207_108
; %bb.112:                              ;   in Loop: Header=BB207_109 Depth=2
	s_waitcnt vmcnt(0)
	v_cmp_lt_i16_e32 vcc_lo, -1, v6
	v_dual_cndmask_b32 v12, 0xffff, v29 :: v_dual_and_b32 v7, 0xffff, v6
	v_cmp_o_f16_e32 vcc_lo, v6, v6
	s_delay_alu instid0(VALU_DEP_2) | instskip(NEXT) | instid1(VALU_DEP_1)
	v_xor_b32_e32 v7, v12, v7
	v_cndmask_b32_e32 v7, 0xffff, v7, vcc_lo
	s_delay_alu instid0(VALU_DEP_1) | instskip(NEXT) | instid1(VALU_DEP_1)
	v_and_b32_e32 v7, v7, v9
	v_cmp_eq_u32_e32 vcc_lo, v7, v8
	s_and_b32 exec_lo, exec_lo, vcc_lo
	s_cbranch_execz .LBB207_108
; %bb.113:                              ;   in Loop: Header=BB207_109 Depth=2
	v_perm_b32 v6, v6, s85, 0x5040100
	ds_store_b32 v13, v6 offset:3072
	s_branch .LBB207_108
.LBB207_114:                            ;   in Loop: Header=BB207_12 Depth=1
	s_or_b32 exec_lo, exec_lo, s18
	v_lshrrev_b32_e32 v6, 16, v6
	s_and_b32 s8, s19, exec_lo
.LBB207_115:                            ;   in Loop: Header=BB207_12 Depth=1
	s_or_b32 exec_lo, exec_lo, s9
	s_mov_b32 s62, -1
	s_mov_b32 s23, 0
	s_mov_b32 s58, 0
.LBB207_116:                            ;   in Loop: Header=BB207_12 Depth=1
	s_or_not1_b32 s8, s8, exec_lo
.LBB207_117:                            ;   in Loop: Header=BB207_12 Depth=1
	s_or_b32 exec_lo, exec_lo, s24
	s_mov_b32 s63, 0
	s_mov_b32 s25, 0
	;; [unrolled: 1-line block ×3, first 2 shown]
                                        ; implicit-def: $vgpr7
                                        ; implicit-def: $vgpr2_vgpr3
	s_and_saveexec_b32 s64, s8
	s_cbranch_execz .LBB207_280
; %bb.118:                              ;   in Loop: Header=BB207_12 Depth=1
	v_dual_mov_b32 v2, 1 :: v_dual_mov_b32 v7, 1
	v_mov_b32_e32 v3, 0
	s_xor_b32 s9, s65, -1
	s_delay_alu instid0(SALU_CYCLE_1)
	s_and_saveexec_b32 s8, s9
	s_cbranch_execz .LBB207_128
; %bb.119:                              ;   in Loop: Header=BB207_12 Depth=1
	s_mov_b32 s18, exec_lo
                                        ; implicit-def: $sgpr19
                                        ; implicit-def: $sgpr9
	v_cmpx_ge_u64_e64 s[10:11], v[16:17]
	s_xor_b32 s18, exec_lo, s18
	s_cbranch_execz .LBB207_125
; %bb.120:                              ;   in Loop: Header=BB207_12 Depth=1
	ds_load_b64 v[2:3], v13 offset:5120
	s_waitcnt lgkmcnt(0)
	v_cmp_ne_u64_e32 vcc_lo, 0, v[2:3]
	s_cbranch_vccnz .LBB207_124
; %bb.121:                              ;   in Loop: Header=BB207_12 Depth=1
	s_and_saveexec_b32 s9, s5
	s_cbranch_execz .LBB207_123
; %bb.122:                              ;   in Loop: Header=BB207_12 Depth=1
	v_dual_mov_b32 v2, s10 :: v_dual_mov_b32 v3, s11
	ds_store_b64 v13, v[2:3] offset:5128
.LBB207_123:                            ;   in Loop: Header=BB207_12 Depth=1
	s_or_b32 exec_lo, exec_lo, s9
	s_waitcnt lgkmcnt(0)
	s_barrier
	buffer_gl0_inv
.LBB207_124:                            ;   in Loop: Header=BB207_12 Depth=1
	v_and_b32_e32 v8, s21, v8
	v_or_b32_e32 v9, s20, v9
	s_mov_b32 s9, 0
	s_mov_b32 s19, 8
.LBB207_125:                            ;   in Loop: Header=BB207_12 Depth=1
	s_or_saveexec_b32 s18, s18
	v_dual_mov_b32 v7, s19 :: v_dual_mov_b32 v2, v16
	v_mov_b32_e32 v3, v17
	s_xor_b32 exec_lo, exec_lo, s18
; %bb.126:                              ;   in Loop: Header=BB207_12 Depth=1
	v_sub_co_u32 v2, vcc_lo, v16, s10
	v_subrev_co_ci_u32_e32 v3, vcc_lo, s11, v17, vcc_lo
	v_mov_b32_e32 v7, 0
	s_or_b32 s9, s9, exec_lo
; %bb.127:                              ;   in Loop: Header=BB207_12 Depth=1
	s_or_b32 exec_lo, exec_lo, s18
	s_delay_alu instid0(SALU_CYCLE_1)
	s_and_b32 s24, s9, exec_lo
.LBB207_128:                            ;   in Loop: Header=BB207_12 Depth=1
	s_or_b32 exec_lo, exec_lo, s8
	s_mov_b32 s25, -1
                                        ; implicit-def: $sgpr9
                                        ; implicit-def: $sgpr18
                                        ; implicit-def: $sgpr19
	s_and_saveexec_b32 s8, s24
	s_delay_alu instid0(SALU_CYCLE_1)
	s_xor_b32 s24, exec_lo, s8
	s_cbranch_execz .LBB207_277
; %bb.129:                              ;   in Loop: Header=BB207_12 Depth=1
	v_cmp_eq_u64_e32 vcc_lo, 1, v[2:3]
	s_cmp_eq_u64 s[12:13], 1
                                        ; implicit-def: $sgpr25
                                        ; implicit-def: $sgpr66
                                        ; implicit-def: $sgpr65
	s_cselect_b32 s8, -1, 0
	s_delay_alu instid0(SALU_CYCLE_1)
	s_and_b32 s68, s8, vcc_lo
	s_mov_b32 s8, -1
	s_and_saveexec_b32 s67, s68
	s_cbranch_execz .LBB207_163
; %bb.130:                              ;   in Loop: Header=BB207_12 Depth=1
	ds_load_b64 v[4:5], v13 offset:5120
	s_waitcnt lgkmcnt(0)
	s_barrier
	buffer_gl0_inv
	v_readfirstlane_b32 s18, v4
	v_readfirstlane_b32 s19, v5
	s_and_saveexec_b32 s8, s6
	s_cbranch_execz .LBB207_132
; %bb.131:                              ;   in Loop: Header=BB207_12 Depth=1
	ds_store_b16 v26, v13
.LBB207_132:                            ;   in Loop: Header=BB207_12 Depth=1
	s_or_b32 exec_lo, exec_lo, s8
	s_lshl_b32 s8, 1, s22
	v_or_b32_e32 v9, s20, v9
	v_and_or_b32 v8, v8, s21, s8
	s_cmp_eq_u64 s[18:19], 0
	s_waitcnt lgkmcnt(0)
	s_barrier
	buffer_gl0_inv
	s_cbranch_scc1 .LBB207_146
; %bb.133:                              ;   in Loop: Header=BB207_12 Depth=1
	s_add_u32 s25, s74, s18
	s_addc_u32 s9, s75, s19
	s_mov_b32 s8, s59
	s_delay_alu instid0(SALU_CYCLE_1)
	s_cmp_lg_u64 s[8:9], 0
	s_cbranch_scc0 .LBB207_190
; %bb.134:                              ;   in Loop: Header=BB207_12 Depth=1
	v_cvt_f32_u32_e32 v4, s49
	s_sub_u32 s65, 0, s49
	s_subb_u32 s66, 0, 0
	s_delay_alu instid0(VALU_DEP_1) | instskip(NEXT) | instid1(VALU_DEP_1)
	v_fmac_f32_e64 v4, 0, 0x4f800000
	v_rcp_f32_e32 v4, v4
	s_waitcnt_depctr 0xfff
	v_mul_f32_e32 v4, 0x5f7ffffc, v4
	s_delay_alu instid0(VALU_DEP_1) | instskip(NEXT) | instid1(VALU_DEP_1)
	v_mul_f32_e32 v5, 0x2f800000, v4
	v_trunc_f32_e32 v5, v5
	s_delay_alu instid0(VALU_DEP_1) | instskip(SKIP_1) | instid1(VALU_DEP_2)
	v_fmac_f32_e32 v4, 0xcf800000, v5
	v_cvt_u32_f32_e32 v5, v5
	v_cvt_u32_f32_e32 v4, v4
	s_delay_alu instid0(VALU_DEP_2) | instskip(NEXT) | instid1(VALU_DEP_2)
	v_readfirstlane_b32 s8, v5
	v_readfirstlane_b32 s26, v4
	s_delay_alu instid0(VALU_DEP_2) | instskip(NEXT) | instid1(VALU_DEP_1)
	s_mul_i32 s69, s65, s8
	s_mul_hi_u32 s71, s65, s26
	s_mul_i32 s70, s66, s26
	s_add_i32 s69, s71, s69
	s_mul_i32 s97, s65, s26
	s_add_i32 s69, s69, s70
	s_mul_hi_u32 s71, s26, s97
	s_mul_hi_u32 s98, s8, s97
	s_mul_i32 s70, s8, s97
	s_mul_hi_u32 s97, s26, s69
	s_mul_i32 s26, s26, s69
	s_mul_hi_u32 s99, s8, s69
	s_add_u32 s26, s71, s26
	s_addc_u32 s71, 0, s97
	s_add_u32 s26, s26, s70
	s_mul_i32 s69, s8, s69
	s_addc_u32 s26, s71, s98
	s_addc_u32 s70, s99, 0
	s_add_u32 s26, s26, s69
	s_addc_u32 s69, 0, s70
	v_add_co_u32 v4, s26, v4, s26
	s_delay_alu instid0(VALU_DEP_1) | instskip(SKIP_1) | instid1(VALU_DEP_1)
	s_cmp_lg_u32 s26, 0
	s_addc_u32 s8, s8, s69
	v_readfirstlane_b32 s26, v4
	s_mul_i32 s69, s65, s8
	s_delay_alu instid0(VALU_DEP_1)
	s_mul_hi_u32 s70, s65, s26
	s_mul_i32 s66, s66, s26
	s_add_i32 s69, s70, s69
	s_mul_i32 s65, s65, s26
	s_add_i32 s69, s69, s66
	s_mul_hi_u32 s70, s8, s65
	s_mul_i32 s71, s8, s65
	s_mul_hi_u32 s65, s26, s65
	s_mul_hi_u32 s97, s26, s69
	s_mul_i32 s26, s26, s69
	s_mul_hi_u32 s66, s8, s69
	s_add_u32 s26, s65, s26
	s_addc_u32 s65, 0, s97
	s_add_u32 s26, s26, s71
	s_mul_i32 s69, s8, s69
	s_addc_u32 s26, s65, s70
	s_addc_u32 s65, s66, 0
	s_add_u32 s26, s26, s69
	s_addc_u32 s65, 0, s65
	v_add_co_u32 v4, s26, v4, s26
	s_delay_alu instid0(VALU_DEP_1) | instskip(SKIP_1) | instid1(VALU_DEP_1)
	s_cmp_lg_u32 s26, 0
	s_addc_u32 s8, s8, s65
	v_readfirstlane_b32 s26, v4
	s_mul_i32 s66, s25, s8
	s_mul_hi_u32 s65, s25, s8
	s_mul_hi_u32 s69, s9, s8
	s_mul_i32 s8, s9, s8
	s_mul_hi_u32 s70, s25, s26
	s_mul_hi_u32 s71, s9, s26
	s_mul_i32 s26, s9, s26
	s_add_u32 s66, s70, s66
	s_addc_u32 s65, 0, s65
	s_add_u32 s26, s66, s26
	s_addc_u32 s26, s65, s71
	s_addc_u32 s65, s69, 0
	s_add_u32 s8, s26, s8
	s_addc_u32 s26, 0, s65
	s_mul_hi_u32 s65, s49, s8
	s_mul_i32 s8, s49, s8
	s_mul_i32 s26, s49, s26
	v_sub_co_u32 v4, s8, s25, s8
	s_add_i32 s65, s65, s26
	s_cmp_lg_u32 s8, 0
	s_delay_alu instid0(VALU_DEP_1) | instskip(SKIP_2) | instid1(VALU_DEP_1)
	v_sub_co_u32 v5, s8, v4, s49
	s_subb_u32 s26, s9, s65
	s_cmp_lg_u32 s8, 0
	v_cmp_le_u32_e32 vcc_lo, s49, v5
	v_sub_co_u32 v6, s8, v5, s49
	s_subb_u32 s65, s26, 0
	s_cmp_lg_u32 s8, 0
	v_cndmask_b32_e64 v7, 0, -1, vcc_lo
	s_subb_u32 s8, s65, 0
	s_cmp_eq_u32 s65, 0
	v_mov_b32_e32 v18, s8
	s_cselect_b32 vcc_lo, -1, 0
	s_cmp_eq_u32 s26, 0
	v_cndmask_b32_e32 v7, -1, v7, vcc_lo
	v_cmp_le_u32_e32 vcc_lo, s49, v4
	s_cselect_b32 s8, -1, 0
	v_cndmask_b32_e64 v12, 0, -1, vcc_lo
	s_delay_alu instid0(VALU_DEP_3) | instskip(NEXT) | instid1(VALU_DEP_2)
	v_cmp_ne_u32_e32 vcc_lo, 0, v7
	v_cndmask_b32_e64 v7, -1, v12, s8
	v_cndmask_b32_e32 v12, s65, v18, vcc_lo
	v_cndmask_b32_e32 v6, v5, v6, vcc_lo
	s_delay_alu instid0(VALU_DEP_3) | instskip(NEXT) | instid1(VALU_DEP_3)
	v_cmp_ne_u32_e32 vcc_lo, 0, v7
	v_cndmask_b32_e32 v5, s26, v12, vcc_lo
	s_delay_alu instid0(VALU_DEP_3)
	v_cndmask_b32_e32 v4, v4, v6, vcc_lo
	s_cbranch_execnz .LBB207_136
.LBB207_135:                            ;   in Loop: Header=BB207_12 Depth=1
	v_cvt_f32_u32_e32 v4, s49
	s_sub_i32 s8, 0, s49
	s_delay_alu instid0(VALU_DEP_1) | instskip(SKIP_2) | instid1(VALU_DEP_1)
	v_rcp_iflag_f32_e32 v4, v4
	s_waitcnt_depctr 0xfff
	v_mul_f32_e32 v4, 0x4f7ffffe, v4
	v_cvt_u32_f32_e32 v4, v4
	s_delay_alu instid0(VALU_DEP_1) | instskip(NEXT) | instid1(VALU_DEP_1)
	v_mul_lo_u32 v5, s8, v4
	v_mul_hi_u32 v5, v4, v5
	s_delay_alu instid0(VALU_DEP_1) | instskip(NEXT) | instid1(VALU_DEP_1)
	v_add_nc_u32_e32 v4, v4, v5
	v_mul_hi_u32 v4, s25, v4
	s_delay_alu instid0(VALU_DEP_1) | instskip(NEXT) | instid1(VALU_DEP_1)
	v_mul_lo_u32 v4, v4, s49
	v_sub_nc_u32_e32 v4, s25, v4
	s_delay_alu instid0(VALU_DEP_1) | instskip(SKIP_1) | instid1(VALU_DEP_2)
	v_subrev_nc_u32_e32 v5, s49, v4
	v_cmp_le_u32_e32 vcc_lo, s49, v4
	v_cndmask_b32_e32 v4, v4, v5, vcc_lo
	s_delay_alu instid0(VALU_DEP_1) | instskip(SKIP_1) | instid1(VALU_DEP_2)
	v_subrev_nc_u32_e32 v5, s49, v4
	v_cmp_le_u32_e32 vcc_lo, s49, v4
	v_cndmask_b32_e32 v12, v4, v5, vcc_lo
	s_delay_alu instid0(VALU_DEP_1)
	v_dual_mov_b32 v4, v12 :: v_dual_mov_b32 v5, v13
.LBB207_136:                            ;   in Loop: Header=BB207_12 Depth=1
	s_delay_alu instid0(VALU_DEP_1) | instskip(NEXT) | instid1(VALU_DEP_2)
	v_sub_co_u32 v4, vcc_lo, s25, v4
	v_sub_co_ci_u32_e32 v5, vcc_lo, s9, v5, vcc_lo
	s_mov_b32 s8, 0
	s_mov_b32 s9, exec_lo
                                        ; implicit-def: $vgpr6
	s_delay_alu instid0(VALU_DEP_1)
	v_cmpx_gt_u64_e64 v[4:5], v[0:1]
	s_cbranch_execz .LBB207_148
; %bb.137:                              ;   in Loop: Header=BB207_12 Depth=1
	v_mov_b32_e32 v12, v25
	v_dual_mov_b32 v7, v1 :: v_dual_mov_b32 v6, v0
	s_mov_b32 s25, 0
                                        ; implicit-def: $sgpr26
	s_set_inst_prefetch_distance 0x1
	s_branch .LBB207_139
	.p2align	6
.LBB207_138:                            ;   in Loop: Header=BB207_139 Depth=2
	s_or_b32 exec_lo, exec_lo, s8
	s_waitcnt lgkmcnt(0)
	s_barrier
	buffer_gl0_inv
	ds_load_b32 v18, v13 offset:3072
	v_add_co_u32 v6, vcc_lo, v6, s49
	v_add_co_ci_u32_e32 v7, vcc_lo, 0, v7, vcc_lo
	v_add_nc_u32_e32 v12, s82, v12
	s_waitcnt lgkmcnt(0)
	s_barrier
	s_delay_alu instid0(VALU_DEP_2) | instskip(SKIP_2) | instid1(VALU_DEP_1)
	v_cmp_ge_u64_e32 vcc_lo, v[6:7], v[4:5]
	buffer_gl0_inv
	v_cmp_neq_f16_e64 s8, 0, v18
	s_or_b32 s65, vcc_lo, s8
	s_delay_alu instid0(SALU_CYCLE_1) | instskip(NEXT) | instid1(SALU_CYCLE_1)
	s_and_b32 s65, exec_lo, s65
	s_or_b32 s25, s65, s25
	s_and_not1_b32 s26, s26, exec_lo
	s_and_b32 s8, s8, exec_lo
	s_delay_alu instid0(SALU_CYCLE_1)
	s_or_b32 s26, s26, s8
	s_and_not1_b32 exec_lo, exec_lo, s25
	s_cbranch_execz .LBB207_147
.LBB207_139:                            ;   Parent Loop BB207_12 Depth=1
                                        ; =>  This Inner Loop Header: Depth=2
	s_delay_alu instid0(VALU_DEP_1)
	v_cmp_gt_u64_e32 vcc_lo, s[18:19], v[6:7]
	v_mov_b32_e32 v18, 0
	s_and_saveexec_b32 s8, vcc_lo
	s_cbranch_execz .LBB207_141
; %bb.140:                              ;   in Loop: Header=BB207_139 Depth=2
	ds_load_u16 v18, v12
.LBB207_141:                            ;   in Loop: Header=BB207_139 Depth=2
	s_or_b32 exec_lo, exec_lo, s8
	s_and_saveexec_b32 s8, vcc_lo
	s_cbranch_execz .LBB207_138
; %bb.142:                              ;   in Loop: Header=BB207_139 Depth=2
	s_waitcnt lgkmcnt(0)
	v_cmp_lt_i16_e32 vcc_lo, -1, v18
	v_dual_cndmask_b32 v20, 0xffff, v29 :: v_dual_and_b32 v19, 0xffff, v18
	v_cmp_o_f16_e32 vcc_lo, v18, v18
	s_delay_alu instid0(VALU_DEP_2) | instskip(NEXT) | instid1(VALU_DEP_1)
	v_xor_b32_e32 v19, v20, v19
	v_cndmask_b32_e32 v19, 0xffff, v19, vcc_lo
	s_delay_alu instid0(VALU_DEP_1) | instskip(NEXT) | instid1(VALU_DEP_1)
	v_and_b32_e32 v19, v19, v9
	v_cmp_eq_u32_e32 vcc_lo, v19, v8
	s_and_b32 exec_lo, exec_lo, vcc_lo
	s_cbranch_execz .LBB207_138
; %bb.143:                              ;   in Loop: Header=BB207_139 Depth=2
	v_perm_b32 v18, v18, s85, 0x5040100
	ds_store_b32 v13, v18 offset:3072
	s_branch .LBB207_138
.LBB207_144:                            ;   in Loop: Header=BB207_12 Depth=1
                                        ; implicit-def: $vgpr2_vgpr3
	s_branch .LBB207_89
.LBB207_145:                            ;   in Loop: Header=BB207_12 Depth=1
                                        ; implicit-def: $vgpr2_vgpr3
	s_branch .LBB207_105
.LBB207_146:                            ;   in Loop: Header=BB207_12 Depth=1
	s_mov_b32 s25, -1
	s_mov_b32 s8, 0
                                        ; implicit-def: $sgpr65
                                        ; implicit-def: $vgpr6
	s_mov_b32 s66, s25
	s_cbranch_execnz .LBB207_149
	s_branch .LBB207_162
.LBB207_147:                            ;   in Loop: Header=BB207_12 Depth=1
	s_set_inst_prefetch_distance 0x2
	s_or_b32 exec_lo, exec_lo, s25
	v_lshrrev_b32_e32 v6, 16, v18
	s_and_b32 s8, s26, exec_lo
.LBB207_148:                            ;   in Loop: Header=BB207_12 Depth=1
	s_or_b32 exec_lo, exec_lo, s9
	s_mov_b32 s65, -1
	s_mov_b32 s25, 0
	s_delay_alu instid0(SALU_CYCLE_1)
	s_mov_b32 s66, s25
	s_branch .LBB207_162
.LBB207_149:                            ;   in Loop: Header=BB207_12 Depth=1
	s_mov_b32 s26, s59
	s_delay_alu instid0(SALU_CYCLE_1)
	s_cmp_lg_u64 s[26:27], 0
	s_cbranch_scc0 .LBB207_191
; %bb.150:                              ;   in Loop: Header=BB207_12 Depth=1
	v_cvt_f32_u32_e32 v4, s49
	s_sub_u32 s18, 0, s49
	s_subb_u32 s19, 0, 0
	s_delay_alu instid0(VALU_DEP_1) | instskip(NEXT) | instid1(VALU_DEP_1)
	v_fmac_f32_e64 v4, 0, 0x4f800000
	v_rcp_f32_e32 v4, v4
	s_waitcnt_depctr 0xfff
	v_mul_f32_e32 v4, 0x5f7ffffc, v4
	s_delay_alu instid0(VALU_DEP_1) | instskip(NEXT) | instid1(VALU_DEP_1)
	v_mul_f32_e32 v5, 0x2f800000, v4
	v_trunc_f32_e32 v5, v5
	s_delay_alu instid0(VALU_DEP_1) | instskip(SKIP_1) | instid1(VALU_DEP_2)
	v_fmac_f32_e32 v4, 0xcf800000, v5
	v_cvt_u32_f32_e32 v5, v5
	v_cvt_u32_f32_e32 v4, v4
	s_delay_alu instid0(VALU_DEP_2) | instskip(NEXT) | instid1(VALU_DEP_2)
	v_readfirstlane_b32 s8, v5
	v_readfirstlane_b32 s9, v4
	s_delay_alu instid0(VALU_DEP_2) | instskip(NEXT) | instid1(VALU_DEP_1)
	s_mul_i32 s25, s18, s8
	s_mul_hi_u32 s65, s18, s9
	s_mul_i32 s26, s19, s9
	s_add_i32 s25, s65, s25
	s_mul_i32 s66, s18, s9
	s_add_i32 s25, s25, s26
	s_mul_hi_u32 s65, s9, s66
	s_mul_hi_u32 s69, s8, s66
	s_mul_i32 s26, s8, s66
	s_mul_hi_u32 s66, s9, s25
	s_mul_i32 s9, s9, s25
	s_mul_hi_u32 s70, s8, s25
	s_add_u32 s9, s65, s9
	s_addc_u32 s65, 0, s66
	s_add_u32 s9, s9, s26
	s_mul_i32 s25, s8, s25
	s_addc_u32 s9, s65, s69
	s_addc_u32 s26, s70, 0
	s_add_u32 s9, s9, s25
	s_addc_u32 s25, 0, s26
	v_add_co_u32 v4, s9, v4, s9
	s_delay_alu instid0(VALU_DEP_1) | instskip(SKIP_1) | instid1(VALU_DEP_1)
	s_cmp_lg_u32 s9, 0
	s_addc_u32 s8, s8, s25
	v_readfirstlane_b32 s9, v4
	s_mul_i32 s25, s18, s8
	s_delay_alu instid0(VALU_DEP_1)
	s_mul_hi_u32 s26, s18, s9
	s_mul_i32 s19, s19, s9
	s_add_i32 s25, s26, s25
	s_mul_i32 s18, s18, s9
	s_add_i32 s25, s25, s19
	s_mul_hi_u32 s26, s8, s18
	s_mul_i32 s65, s8, s18
	s_mul_hi_u32 s18, s9, s18
	s_mul_hi_u32 s66, s9, s25
	s_mul_i32 s9, s9, s25
	s_mul_hi_u32 s19, s8, s25
	s_add_u32 s9, s18, s9
	s_addc_u32 s18, 0, s66
	s_add_u32 s9, s9, s65
	s_mul_i32 s25, s8, s25
	s_addc_u32 s9, s18, s26
	s_addc_u32 s18, s19, 0
	s_add_u32 s9, s9, s25
	s_addc_u32 s18, 0, s18
	v_add_co_u32 v4, s9, v4, s9
	s_delay_alu instid0(VALU_DEP_1) | instskip(SKIP_1) | instid1(VALU_DEP_1)
	s_cmp_lg_u32 s9, 0
	s_addc_u32 s8, s8, s18
	v_readfirstlane_b32 s9, v4
	s_mul_i32 s19, s76, s8
	s_mul_hi_u32 s18, s76, s8
	s_mul_hi_u32 s25, s27, s8
	s_mul_i32 s8, s27, s8
	s_mul_hi_u32 s26, s76, s9
	s_mul_hi_u32 s65, s27, s9
	s_mul_i32 s9, s27, s9
	s_add_u32 s19, s26, s19
	s_addc_u32 s18, 0, s18
	s_add_u32 s9, s19, s9
	s_addc_u32 s9, s18, s65
	s_addc_u32 s18, s25, 0
	s_add_u32 s8, s9, s8
	s_addc_u32 s9, 0, s18
	s_mul_hi_u32 s18, s49, s8
	s_mul_i32 s8, s49, s8
	s_mul_i32 s9, s49, s9
	v_sub_co_u32 v4, s8, s76, s8
	s_add_i32 s18, s18, s9
	s_cmp_lg_u32 s8, 0
	s_delay_alu instid0(VALU_DEP_1) | instskip(SKIP_2) | instid1(VALU_DEP_1)
	v_sub_co_u32 v5, s8, v4, s49
	s_subb_u32 s9, s27, s18
	s_cmp_lg_u32 s8, 0
	v_cmp_le_u32_e32 vcc_lo, s49, v5
	v_sub_co_u32 v6, s8, v5, s49
	s_subb_u32 s18, s9, 0
	s_cmp_lg_u32 s8, 0
	v_cndmask_b32_e64 v7, 0, -1, vcc_lo
	s_subb_u32 s8, s18, 0
	s_cmp_eq_u32 s18, 0
	v_mov_b32_e32 v18, s8
	s_cselect_b32 vcc_lo, -1, 0
	s_cmp_eq_u32 s9, 0
	v_cndmask_b32_e32 v7, -1, v7, vcc_lo
	v_cmp_le_u32_e32 vcc_lo, s49, v4
	s_cselect_b32 s8, -1, 0
	v_cndmask_b32_e64 v12, 0, -1, vcc_lo
	s_delay_alu instid0(VALU_DEP_3) | instskip(NEXT) | instid1(VALU_DEP_2)
	v_cmp_ne_u32_e32 vcc_lo, 0, v7
	v_cndmask_b32_e64 v7, -1, v12, s8
	v_cndmask_b32_e32 v12, s18, v18, vcc_lo
	v_cndmask_b32_e32 v6, v5, v6, vcc_lo
	s_delay_alu instid0(VALU_DEP_3) | instskip(NEXT) | instid1(VALU_DEP_3)
	v_cmp_ne_u32_e32 vcc_lo, 0, v7
	v_cndmask_b32_e32 v5, s9, v12, vcc_lo
	s_delay_alu instid0(VALU_DEP_3)
	v_cndmask_b32_e32 v4, v4, v6, vcc_lo
	s_cbranch_execnz .LBB207_152
.LBB207_151:                            ;   in Loop: Header=BB207_12 Depth=1
	v_cvt_f32_u32_e32 v4, s49
	s_sub_i32 s8, 0, s49
	s_delay_alu instid0(VALU_DEP_1) | instskip(SKIP_2) | instid1(VALU_DEP_1)
	v_rcp_iflag_f32_e32 v4, v4
	s_waitcnt_depctr 0xfff
	v_mul_f32_e32 v4, 0x4f7ffffe, v4
	v_cvt_u32_f32_e32 v4, v4
	s_delay_alu instid0(VALU_DEP_1) | instskip(NEXT) | instid1(VALU_DEP_1)
	v_mul_lo_u32 v5, s8, v4
	v_mul_hi_u32 v5, v4, v5
	s_delay_alu instid0(VALU_DEP_1) | instskip(NEXT) | instid1(VALU_DEP_1)
	v_add_nc_u32_e32 v4, v4, v5
	v_mul_hi_u32 v4, s76, v4
	s_delay_alu instid0(VALU_DEP_1) | instskip(NEXT) | instid1(VALU_DEP_1)
	v_mul_lo_u32 v4, v4, s49
	v_sub_nc_u32_e32 v4, s76, v4
	s_delay_alu instid0(VALU_DEP_1) | instskip(SKIP_1) | instid1(VALU_DEP_2)
	v_subrev_nc_u32_e32 v5, s49, v4
	v_cmp_le_u32_e32 vcc_lo, s49, v4
	v_cndmask_b32_e32 v4, v4, v5, vcc_lo
	s_delay_alu instid0(VALU_DEP_1) | instskip(SKIP_1) | instid1(VALU_DEP_2)
	v_subrev_nc_u32_e32 v5, s49, v4
	v_cmp_le_u32_e32 vcc_lo, s49, v4
	v_cndmask_b32_e32 v12, v4, v5, vcc_lo
	s_delay_alu instid0(VALU_DEP_1)
	v_dual_mov_b32 v4, v12 :: v_dual_mov_b32 v5, v13
.LBB207_152:                            ;   in Loop: Header=BB207_12 Depth=1
	s_delay_alu instid0(VALU_DEP_1) | instskip(NEXT) | instid1(VALU_DEP_2)
	v_sub_co_u32 v4, vcc_lo, s76, v4
	v_sub_co_ci_u32_e32 v5, vcc_lo, s27, v5, vcc_lo
	s_mov_b32 s8, 0
	s_mov_b32 s9, exec_lo
                                        ; implicit-def: $vgpr6
	s_delay_alu instid0(VALU_DEP_1)
	v_cmpx_gt_u64_e64 v[4:5], v[0:1]
	s_cbranch_execz .LBB207_161
; %bb.153:                              ;   in Loop: Header=BB207_12 Depth=1
	v_dual_mov_b32 v7, v1 :: v_dual_mov_b32 v6, v0
	s_mov_b32 s18, 0
                                        ; implicit-def: $sgpr19
	s_branch .LBB207_155
.LBB207_154:                            ;   in Loop: Header=BB207_155 Depth=2
	s_or_b32 exec_lo, exec_lo, s8
	s_waitcnt vmcnt(0) lgkmcnt(0)
	s_barrier
	buffer_gl0_inv
	ds_load_b32 v12, v13 offset:3072
	v_add_co_u32 v6, vcc_lo, v6, s49
	v_add_co_ci_u32_e32 v7, vcc_lo, 0, v7, vcc_lo
	s_waitcnt lgkmcnt(0)
	s_barrier
	buffer_gl0_inv
	v_cmp_ge_u64_e32 vcc_lo, v[6:7], v[4:5]
	v_cmp_neq_f16_e64 s8, 0, v12
	s_delay_alu instid0(VALU_DEP_1) | instskip(NEXT) | instid1(SALU_CYCLE_1)
	s_or_b32 s25, vcc_lo, s8
	s_and_b32 s25, exec_lo, s25
	s_delay_alu instid0(SALU_CYCLE_1) | instskip(SKIP_2) | instid1(SALU_CYCLE_1)
	s_or_b32 s18, s25, s18
	s_and_not1_b32 s19, s19, exec_lo
	s_and_b32 s8, s8, exec_lo
	s_or_b32 s19, s19, s8
	s_and_not1_b32 exec_lo, exec_lo, s18
	s_cbranch_execz .LBB207_160
.LBB207_155:                            ;   Parent Loop BB207_12 Depth=1
                                        ; =>  This Inner Loop Header: Depth=2
	s_delay_alu instid0(VALU_DEP_1)
	v_cmp_gt_u64_e32 vcc_lo, s[36:37], v[6:7]
	v_mov_b32_e32 v12, 0
	s_and_saveexec_b32 s25, vcc_lo
	s_cbranch_execz .LBB207_157
; %bb.156:                              ;   in Loop: Header=BB207_155 Depth=2
	v_mul_lo_u32 v12, v7, s30
	v_mul_lo_u32 v20, v6, s31
	v_mad_u64_u32 v[18:19], null, v6, s30, 0
	s_delay_alu instid0(VALU_DEP_1) | instskip(NEXT) | instid1(VALU_DEP_1)
	v_add3_u32 v19, v19, v20, v12
	v_lshlrev_b64 v[18:19], 1, v[18:19]
	s_delay_alu instid0(VALU_DEP_1) | instskip(NEXT) | instid1(VALU_DEP_1)
	v_add_co_u32 v18, s8, s33, v18
	v_add_co_ci_u32_e64 v19, s8, s35, v19, s8
	global_load_u16 v12, v[18:19], off
.LBB207_157:                            ;   in Loop: Header=BB207_155 Depth=2
	s_or_b32 exec_lo, exec_lo, s25
	s_and_saveexec_b32 s8, vcc_lo
	s_cbranch_execz .LBB207_154
; %bb.158:                              ;   in Loop: Header=BB207_155 Depth=2
	s_waitcnt vmcnt(0)
	v_cmp_lt_i16_e32 vcc_lo, -1, v12
	v_dual_cndmask_b32 v19, 0xffff, v29 :: v_dual_and_b32 v18, 0xffff, v12
	v_cmp_o_f16_e32 vcc_lo, v12, v12
	s_delay_alu instid0(VALU_DEP_2) | instskip(NEXT) | instid1(VALU_DEP_1)
	v_xor_b32_e32 v18, v19, v18
	v_cndmask_b32_e32 v18, 0xffff, v18, vcc_lo
	s_delay_alu instid0(VALU_DEP_1) | instskip(NEXT) | instid1(VALU_DEP_1)
	v_and_b32_e32 v18, v18, v9
	v_cmp_eq_u32_e32 vcc_lo, v18, v8
	s_and_b32 exec_lo, exec_lo, vcc_lo
	s_cbranch_execz .LBB207_154
; %bb.159:                              ;   in Loop: Header=BB207_155 Depth=2
	v_perm_b32 v12, v12, s85, 0x5040100
	ds_store_b32 v13, v12 offset:3072
	s_branch .LBB207_154
.LBB207_160:                            ;   in Loop: Header=BB207_12 Depth=1
	s_or_b32 exec_lo, exec_lo, s18
	v_lshrrev_b32_e32 v6, 16, v12
	s_and_b32 s8, s19, exec_lo
.LBB207_161:                            ;   in Loop: Header=BB207_12 Depth=1
	s_or_b32 exec_lo, exec_lo, s9
	s_mov_b32 s66, -1
	s_mov_b32 s25, 0
	s_mov_b32 s65, 0
.LBB207_162:                            ;   in Loop: Header=BB207_12 Depth=1
	s_or_not1_b32 s8, s8, exec_lo
.LBB207_163:                            ;   in Loop: Header=BB207_12 Depth=1
	s_or_b32 exec_lo, exec_lo, s67
	s_mov_b32 s26, 0
                                        ; implicit-def: $vgpr7
	s_and_saveexec_b32 s67, s8
	s_cbranch_execz .LBB207_276
; %bb.164:                              ;   in Loop: Header=BB207_12 Depth=1
	v_dual_mov_b32 v4, 1 :: v_dual_mov_b32 v7, 1
	v_mov_b32_e32 v5, 0
	s_xor_b32 s9, s68, -1
	s_delay_alu instid0(SALU_CYCLE_1)
	s_and_saveexec_b32 s8, s9
	s_cbranch_execz .LBB207_174
; %bb.165:                              ;   in Loop: Header=BB207_12 Depth=1
	s_mov_b32 s18, exec_lo
                                        ; implicit-def: $sgpr19
                                        ; implicit-def: $sgpr9
	v_cmpx_ge_u64_e64 s[12:13], v[2:3]
	s_xor_b32 s18, exec_lo, s18
	s_cbranch_execz .LBB207_171
; %bb.166:                              ;   in Loop: Header=BB207_12 Depth=1
	ds_load_b64 v[4:5], v13 offset:5120
	s_waitcnt lgkmcnt(0)
	v_cmp_ne_u64_e32 vcc_lo, 0, v[4:5]
	s_cbranch_vccnz .LBB207_170
; %bb.167:                              ;   in Loop: Header=BB207_12 Depth=1
	s_and_saveexec_b32 s9, s5
	s_cbranch_execz .LBB207_169
; %bb.168:                              ;   in Loop: Header=BB207_12 Depth=1
	v_dual_mov_b32 v4, s12 :: v_dual_mov_b32 v5, s13
	ds_store_b64 v13, v[4:5] offset:5128
.LBB207_169:                            ;   in Loop: Header=BB207_12 Depth=1
	s_or_b32 exec_lo, exec_lo, s9
	s_waitcnt lgkmcnt(0)
	s_barrier
	buffer_gl0_inv
.LBB207_170:                            ;   in Loop: Header=BB207_12 Depth=1
	s_lshl_b32 s9, 1, s22
	v_or_b32_e32 v9, s20, v9
	v_and_or_b32 v8, v8, s21, s9
	s_mov_b32 s9, 0
	s_mov_b32 s19, 8
.LBB207_171:                            ;   in Loop: Header=BB207_12 Depth=1
	s_or_saveexec_b32 s18, s18
	v_mov_b32_e32 v7, s19
	s_xor_b32 exec_lo, exec_lo, s18
; %bb.172:                              ;   in Loop: Header=BB207_12 Depth=1
	v_sub_co_u32 v2, vcc_lo, v2, s12
	v_subrev_co_ci_u32_e32 v3, vcc_lo, s13, v3, vcc_lo
	v_mov_b32_e32 v7, 0
	s_or_b32 s9, s9, exec_lo
; %bb.173:                              ;   in Loop: Header=BB207_12 Depth=1
	s_or_b32 exec_lo, exec_lo, s18
	s_delay_alu instid0(VALU_DEP_2)
	v_dual_mov_b32 v5, v3 :: v_dual_mov_b32 v4, v2
	s_and_b32 s26, s9, exec_lo
.LBB207_174:                            ;   in Loop: Header=BB207_12 Depth=1
	s_or_b32 exec_lo, exec_lo, s8
	s_mov_b32 s8, -1
                                        ; implicit-def: $sgpr9
                                        ; implicit-def: $sgpr18
                                        ; implicit-def: $sgpr19
	s_and_saveexec_b32 s68, s26
	s_cbranch_execz .LBB207_275
; %bb.175:                              ;   in Loop: Header=BB207_12 Depth=1
	v_cmp_eq_u64_e32 vcc_lo, 1, v[4:5]
	s_cmp_eq_u64 s[14:15], 1
                                        ; implicit-def: $sgpr69
                                        ; implicit-def: $sgpr71
                                        ; implicit-def: $sgpr70
	s_cselect_b32 s8, -1, 0
	s_delay_alu instid0(SALU_CYCLE_1)
	s_and_b32 s98, s8, vcc_lo
	s_mov_b32 s8, -1
	s_and_saveexec_b32 s97, s98
	s_cbranch_execz .LBB207_209
; %bb.176:                              ;   in Loop: Header=BB207_12 Depth=1
	ds_load_b64 v[2:3], v13 offset:5120
	s_waitcnt lgkmcnt(0)
	s_barrier
	buffer_gl0_inv
	v_readfirstlane_b32 s18, v2
	v_readfirstlane_b32 s19, v3
	s_and_saveexec_b32 s8, s6
	s_cbranch_execz .LBB207_178
; %bb.177:                              ;   in Loop: Header=BB207_12 Depth=1
	ds_store_b16 v26, v13
.LBB207_178:                            ;   in Loop: Header=BB207_12 Depth=1
	s_or_b32 exec_lo, exec_lo, s8
	s_lshl_b32 s8, 2, s22
	v_or_b32_e32 v9, s20, v9
	v_and_or_b32 v8, v8, s21, s8
	s_cmp_eq_u64 s[18:19], 0
	s_waitcnt lgkmcnt(0)
	s_barrier
	buffer_gl0_inv
	s_cbranch_scc1 .LBB207_192
; %bb.179:                              ;   in Loop: Header=BB207_12 Depth=1
	s_add_u32 s26, s74, s18
	s_addc_u32 s9, s75, s19
	s_mov_b32 s8, s59
	s_delay_alu instid0(SALU_CYCLE_1)
	s_cmp_lg_u64 s[8:9], 0
	s_cbranch_scc0 .LBB207_227
; %bb.180:                              ;   in Loop: Header=BB207_12 Depth=1
	v_cvt_f32_u32_e32 v2, s49
	s_sub_u32 s70, 0, s49
	s_subb_u32 s71, 0, 0
	s_delay_alu instid0(VALU_DEP_1) | instskip(NEXT) | instid1(VALU_DEP_1)
	v_fmac_f32_e64 v2, 0, 0x4f800000
	v_rcp_f32_e32 v2, v2
	s_waitcnt_depctr 0xfff
	v_mul_f32_e32 v2, 0x5f7ffffc, v2
	s_delay_alu instid0(VALU_DEP_1) | instskip(NEXT) | instid1(VALU_DEP_1)
	v_mul_f32_e32 v3, 0x2f800000, v2
	v_trunc_f32_e32 v3, v3
	s_delay_alu instid0(VALU_DEP_1) | instskip(SKIP_1) | instid1(VALU_DEP_2)
	v_fmac_f32_e32 v2, 0xcf800000, v3
	v_cvt_u32_f32_e32 v3, v3
	v_cvt_u32_f32_e32 v2, v2
	s_delay_alu instid0(VALU_DEP_2) | instskip(NEXT) | instid1(VALU_DEP_2)
	v_readfirstlane_b32 s8, v3
	v_readfirstlane_b32 s69, v2
	s_delay_alu instid0(VALU_DEP_2) | instskip(NEXT) | instid1(VALU_DEP_1)
	s_mul_i32 s99, s70, s8
	s_mul_hi_u32 s101, s70, s69
	s_mul_i32 s100, s71, s69
	s_add_i32 s99, s101, s99
	s_mul_i32 s102, s70, s69
	s_add_i32 s99, s99, s100
	s_mul_hi_u32 s101, s69, s102
	s_mul_hi_u32 s103, s8, s102
	s_mul_i32 s100, s8, s102
	s_mul_hi_u32 s102, s69, s99
	s_mul_i32 s69, s69, s99
	s_mul_hi_u32 s104, s8, s99
	s_add_u32 s69, s101, s69
	s_addc_u32 s101, 0, s102
	s_add_u32 s69, s69, s100
	s_mul_i32 s99, s8, s99
	s_addc_u32 s69, s101, s103
	s_addc_u32 s100, s104, 0
	s_add_u32 s69, s69, s99
	s_addc_u32 s99, 0, s100
	v_add_co_u32 v2, s69, v2, s69
	s_delay_alu instid0(VALU_DEP_1) | instskip(SKIP_1) | instid1(VALU_DEP_1)
	s_cmp_lg_u32 s69, 0
	s_addc_u32 s8, s8, s99
	v_readfirstlane_b32 s69, v2
	s_mul_i32 s99, s70, s8
	s_delay_alu instid0(VALU_DEP_1)
	s_mul_hi_u32 s100, s70, s69
	s_mul_i32 s71, s71, s69
	s_add_i32 s99, s100, s99
	s_mul_i32 s70, s70, s69
	s_add_i32 s99, s99, s71
	s_mul_hi_u32 s100, s8, s70
	s_mul_i32 s101, s8, s70
	s_mul_hi_u32 s70, s69, s70
	s_mul_hi_u32 s102, s69, s99
	s_mul_i32 s69, s69, s99
	s_mul_hi_u32 s71, s8, s99
	s_add_u32 s69, s70, s69
	s_addc_u32 s70, 0, s102
	s_add_u32 s69, s69, s101
	s_mul_i32 s99, s8, s99
	s_addc_u32 s69, s70, s100
	s_addc_u32 s70, s71, 0
	s_add_u32 s69, s69, s99
	s_addc_u32 s70, 0, s70
	v_add_co_u32 v2, s69, v2, s69
	s_delay_alu instid0(VALU_DEP_1) | instskip(SKIP_1) | instid1(VALU_DEP_1)
	s_cmp_lg_u32 s69, 0
	s_addc_u32 s8, s8, s70
	v_readfirstlane_b32 s69, v2
	s_mul_i32 s71, s26, s8
	s_mul_hi_u32 s70, s26, s8
	s_mul_hi_u32 s99, s9, s8
	s_mul_i32 s8, s9, s8
	s_mul_hi_u32 s100, s26, s69
	s_mul_hi_u32 s101, s9, s69
	s_mul_i32 s69, s9, s69
	s_add_u32 s71, s100, s71
	s_addc_u32 s70, 0, s70
	s_add_u32 s69, s71, s69
	s_addc_u32 s69, s70, s101
	s_addc_u32 s70, s99, 0
	s_add_u32 s8, s69, s8
	s_addc_u32 s69, 0, s70
	s_mul_hi_u32 s70, s49, s8
	s_mul_i32 s8, s49, s8
	s_mul_i32 s69, s49, s69
	v_sub_co_u32 v2, s8, s26, s8
	s_add_i32 s70, s70, s69
	s_cmp_lg_u32 s8, 0
	s_delay_alu instid0(VALU_DEP_1) | instskip(SKIP_2) | instid1(VALU_DEP_1)
	v_sub_co_u32 v3, s8, v2, s49
	s_subb_u32 s69, s9, s70
	s_cmp_lg_u32 s8, 0
	v_cmp_le_u32_e32 vcc_lo, s49, v3
	v_sub_co_u32 v6, s8, v3, s49
	s_subb_u32 s70, s69, 0
	s_cmp_lg_u32 s8, 0
	v_cndmask_b32_e64 v7, 0, -1, vcc_lo
	s_subb_u32 s8, s70, 0
	s_cmp_eq_u32 s70, 0
	v_mov_b32_e32 v18, s8
	s_cselect_b32 vcc_lo, -1, 0
	s_cmp_eq_u32 s69, 0
	v_cndmask_b32_e32 v7, -1, v7, vcc_lo
	v_cmp_le_u32_e32 vcc_lo, s49, v2
	s_cselect_b32 s8, -1, 0
	v_cndmask_b32_e64 v12, 0, -1, vcc_lo
	s_delay_alu instid0(VALU_DEP_3) | instskip(NEXT) | instid1(VALU_DEP_2)
	v_cmp_ne_u32_e32 vcc_lo, 0, v7
	v_cndmask_b32_e64 v7, -1, v12, s8
	v_cndmask_b32_e32 v12, s70, v18, vcc_lo
	v_cndmask_b32_e32 v6, v3, v6, vcc_lo
	s_delay_alu instid0(VALU_DEP_3) | instskip(NEXT) | instid1(VALU_DEP_3)
	v_cmp_ne_u32_e32 vcc_lo, 0, v7
	v_cndmask_b32_e32 v3, s69, v12, vcc_lo
	s_delay_alu instid0(VALU_DEP_3)
	v_cndmask_b32_e32 v2, v2, v6, vcc_lo
	s_cbranch_execnz .LBB207_182
.LBB207_181:                            ;   in Loop: Header=BB207_12 Depth=1
	v_cvt_f32_u32_e32 v2, s49
	s_sub_i32 s8, 0, s49
	s_delay_alu instid0(VALU_DEP_1) | instskip(SKIP_2) | instid1(VALU_DEP_1)
	v_rcp_iflag_f32_e32 v2, v2
	s_waitcnt_depctr 0xfff
	v_mul_f32_e32 v2, 0x4f7ffffe, v2
	v_cvt_u32_f32_e32 v2, v2
	s_delay_alu instid0(VALU_DEP_1) | instskip(NEXT) | instid1(VALU_DEP_1)
	v_mul_lo_u32 v3, s8, v2
	v_mul_hi_u32 v3, v2, v3
	s_delay_alu instid0(VALU_DEP_1) | instskip(NEXT) | instid1(VALU_DEP_1)
	v_add_nc_u32_e32 v2, v2, v3
	v_mul_hi_u32 v2, s26, v2
	s_delay_alu instid0(VALU_DEP_1) | instskip(NEXT) | instid1(VALU_DEP_1)
	v_mul_lo_u32 v2, v2, s49
	v_sub_nc_u32_e32 v2, s26, v2
	s_delay_alu instid0(VALU_DEP_1) | instskip(SKIP_1) | instid1(VALU_DEP_2)
	v_subrev_nc_u32_e32 v3, s49, v2
	v_cmp_le_u32_e32 vcc_lo, s49, v2
	v_cndmask_b32_e32 v2, v2, v3, vcc_lo
	s_delay_alu instid0(VALU_DEP_1) | instskip(SKIP_1) | instid1(VALU_DEP_2)
	v_subrev_nc_u32_e32 v3, s49, v2
	v_cmp_le_u32_e32 vcc_lo, s49, v2
	v_cndmask_b32_e32 v12, v2, v3, vcc_lo
	s_delay_alu instid0(VALU_DEP_1)
	v_dual_mov_b32 v2, v12 :: v_dual_mov_b32 v3, v13
.LBB207_182:                            ;   in Loop: Header=BB207_12 Depth=1
	s_delay_alu instid0(VALU_DEP_1) | instskip(NEXT) | instid1(VALU_DEP_2)
	v_sub_co_u32 v2, vcc_lo, s26, v2
	v_sub_co_ci_u32_e32 v3, vcc_lo, s9, v3, vcc_lo
	s_mov_b32 s8, 0
	s_mov_b32 s9, exec_lo
                                        ; implicit-def: $vgpr6
	s_delay_alu instid0(VALU_DEP_1)
	v_cmpx_gt_u64_e64 v[2:3], v[0:1]
	s_cbranch_execz .LBB207_194
; %bb.183:                              ;   in Loop: Header=BB207_12 Depth=1
	v_mov_b32_e32 v12, v25
	v_dual_mov_b32 v7, v1 :: v_dual_mov_b32 v6, v0
	s_mov_b32 s26, 0
                                        ; implicit-def: $sgpr69
	s_set_inst_prefetch_distance 0x1
	s_branch .LBB207_185
	.p2align	6
.LBB207_184:                            ;   in Loop: Header=BB207_185 Depth=2
	s_or_b32 exec_lo, exec_lo, s8
	s_waitcnt lgkmcnt(0)
	s_barrier
	buffer_gl0_inv
	ds_load_b32 v18, v13 offset:3072
	v_add_co_u32 v6, vcc_lo, v6, s49
	v_add_co_ci_u32_e32 v7, vcc_lo, 0, v7, vcc_lo
	v_add_nc_u32_e32 v12, s82, v12
	s_waitcnt lgkmcnt(0)
	s_barrier
	s_delay_alu instid0(VALU_DEP_2) | instskip(SKIP_2) | instid1(VALU_DEP_1)
	v_cmp_ge_u64_e32 vcc_lo, v[6:7], v[2:3]
	buffer_gl0_inv
	v_cmp_neq_f16_e64 s8, 0, v18
	s_or_b32 s70, vcc_lo, s8
	s_delay_alu instid0(SALU_CYCLE_1) | instskip(NEXT) | instid1(SALU_CYCLE_1)
	s_and_b32 s70, exec_lo, s70
	s_or_b32 s26, s70, s26
	s_and_not1_b32 s69, s69, exec_lo
	s_and_b32 s8, s8, exec_lo
	s_delay_alu instid0(SALU_CYCLE_1)
	s_or_b32 s69, s69, s8
	s_and_not1_b32 exec_lo, exec_lo, s26
	s_cbranch_execz .LBB207_193
.LBB207_185:                            ;   Parent Loop BB207_12 Depth=1
                                        ; =>  This Inner Loop Header: Depth=2
	s_delay_alu instid0(VALU_DEP_1)
	v_cmp_gt_u64_e32 vcc_lo, s[18:19], v[6:7]
	v_mov_b32_e32 v18, 0
	s_and_saveexec_b32 s8, vcc_lo
	s_cbranch_execz .LBB207_187
; %bb.186:                              ;   in Loop: Header=BB207_185 Depth=2
	ds_load_u16 v18, v12
.LBB207_187:                            ;   in Loop: Header=BB207_185 Depth=2
	s_or_b32 exec_lo, exec_lo, s8
	s_and_saveexec_b32 s8, vcc_lo
	s_cbranch_execz .LBB207_184
; %bb.188:                              ;   in Loop: Header=BB207_185 Depth=2
	s_waitcnt lgkmcnt(0)
	v_cmp_lt_i16_e32 vcc_lo, -1, v18
	v_dual_cndmask_b32 v20, 0xffff, v29 :: v_dual_and_b32 v19, 0xffff, v18
	v_cmp_o_f16_e32 vcc_lo, v18, v18
	s_delay_alu instid0(VALU_DEP_2) | instskip(NEXT) | instid1(VALU_DEP_1)
	v_xor_b32_e32 v19, v20, v19
	v_cndmask_b32_e32 v19, 0xffff, v19, vcc_lo
	s_delay_alu instid0(VALU_DEP_1) | instskip(NEXT) | instid1(VALU_DEP_1)
	v_and_b32_e32 v19, v19, v9
	v_cmp_eq_u32_e32 vcc_lo, v19, v8
	s_and_b32 exec_lo, exec_lo, vcc_lo
	s_cbranch_execz .LBB207_184
; %bb.189:                              ;   in Loop: Header=BB207_185 Depth=2
	v_perm_b32 v18, v18, s85, 0x5040100
	ds_store_b32 v13, v18 offset:3072
	s_branch .LBB207_184
.LBB207_190:                            ;   in Loop: Header=BB207_12 Depth=1
                                        ; implicit-def: $vgpr4_vgpr5
	s_branch .LBB207_135
.LBB207_191:                            ;   in Loop: Header=BB207_12 Depth=1
                                        ; implicit-def: $vgpr4_vgpr5
	s_branch .LBB207_151
.LBB207_192:                            ;   in Loop: Header=BB207_12 Depth=1
	s_mov_b32 s69, -1
	s_mov_b32 s8, 0
                                        ; implicit-def: $sgpr70
                                        ; implicit-def: $vgpr6
	s_mov_b32 s71, s69
	s_cbranch_execnz .LBB207_195
	s_branch .LBB207_208
.LBB207_193:                            ;   in Loop: Header=BB207_12 Depth=1
	s_set_inst_prefetch_distance 0x2
	s_or_b32 exec_lo, exec_lo, s26
	v_lshrrev_b32_e32 v6, 16, v18
	s_and_b32 s8, s69, exec_lo
.LBB207_194:                            ;   in Loop: Header=BB207_12 Depth=1
	s_or_b32 exec_lo, exec_lo, s9
	s_mov_b32 s70, -1
	s_mov_b32 s69, 0
	s_delay_alu instid0(SALU_CYCLE_1)
	s_mov_b32 s71, s69
	s_branch .LBB207_208
.LBB207_195:                            ;   in Loop: Header=BB207_12 Depth=1
	s_mov_b32 s26, s59
	s_delay_alu instid0(SALU_CYCLE_1)
	s_cmp_lg_u64 s[26:27], 0
	s_cbranch_scc0 .LBB207_228
; %bb.196:                              ;   in Loop: Header=BB207_12 Depth=1
	v_cvt_f32_u32_e32 v2, s49
	s_sub_u32 s18, 0, s49
	s_subb_u32 s19, 0, 0
	s_delay_alu instid0(VALU_DEP_1) | instskip(NEXT) | instid1(VALU_DEP_1)
	v_fmac_f32_e64 v2, 0, 0x4f800000
	v_rcp_f32_e32 v2, v2
	s_waitcnt_depctr 0xfff
	v_mul_f32_e32 v2, 0x5f7ffffc, v2
	s_delay_alu instid0(VALU_DEP_1) | instskip(NEXT) | instid1(VALU_DEP_1)
	v_mul_f32_e32 v3, 0x2f800000, v2
	v_trunc_f32_e32 v3, v3
	s_delay_alu instid0(VALU_DEP_1) | instskip(SKIP_1) | instid1(VALU_DEP_2)
	v_fmac_f32_e32 v2, 0xcf800000, v3
	v_cvt_u32_f32_e32 v3, v3
	v_cvt_u32_f32_e32 v2, v2
	s_delay_alu instid0(VALU_DEP_2) | instskip(NEXT) | instid1(VALU_DEP_2)
	v_readfirstlane_b32 s8, v3
	v_readfirstlane_b32 s9, v2
	s_delay_alu instid0(VALU_DEP_2) | instskip(NEXT) | instid1(VALU_DEP_1)
	s_mul_i32 s26, s18, s8
	s_mul_hi_u32 s70, s18, s9
	s_mul_i32 s69, s19, s9
	s_add_i32 s26, s70, s26
	s_mul_i32 s71, s18, s9
	s_add_i32 s26, s26, s69
	s_mul_hi_u32 s70, s9, s71
	s_mul_hi_u32 s99, s8, s71
	s_mul_i32 s69, s8, s71
	s_mul_hi_u32 s71, s9, s26
	s_mul_i32 s9, s9, s26
	s_mul_hi_u32 s100, s8, s26
	s_add_u32 s9, s70, s9
	s_addc_u32 s70, 0, s71
	s_add_u32 s9, s9, s69
	s_mul_i32 s26, s8, s26
	s_addc_u32 s9, s70, s99
	s_addc_u32 s69, s100, 0
	s_add_u32 s9, s9, s26
	s_addc_u32 s26, 0, s69
	v_add_co_u32 v2, s9, v2, s9
	s_delay_alu instid0(VALU_DEP_1) | instskip(SKIP_1) | instid1(VALU_DEP_1)
	s_cmp_lg_u32 s9, 0
	s_addc_u32 s8, s8, s26
	v_readfirstlane_b32 s9, v2
	s_mul_i32 s26, s18, s8
	s_delay_alu instid0(VALU_DEP_1)
	s_mul_hi_u32 s69, s18, s9
	s_mul_i32 s19, s19, s9
	s_add_i32 s26, s69, s26
	s_mul_i32 s18, s18, s9
	s_add_i32 s26, s26, s19
	s_mul_hi_u32 s69, s8, s18
	s_mul_i32 s70, s8, s18
	s_mul_hi_u32 s18, s9, s18
	s_mul_hi_u32 s71, s9, s26
	s_mul_i32 s9, s9, s26
	s_mul_hi_u32 s19, s8, s26
	s_add_u32 s9, s18, s9
	s_addc_u32 s18, 0, s71
	s_add_u32 s9, s9, s70
	s_mul_i32 s26, s8, s26
	s_addc_u32 s9, s18, s69
	s_addc_u32 s18, s19, 0
	s_add_u32 s9, s9, s26
	s_addc_u32 s18, 0, s18
	v_add_co_u32 v2, s9, v2, s9
	s_delay_alu instid0(VALU_DEP_1) | instskip(SKIP_1) | instid1(VALU_DEP_1)
	s_cmp_lg_u32 s9, 0
	s_addc_u32 s8, s8, s18
	v_readfirstlane_b32 s9, v2
	s_mul_i32 s19, s76, s8
	s_mul_hi_u32 s18, s76, s8
	s_mul_hi_u32 s26, s27, s8
	s_mul_i32 s8, s27, s8
	s_mul_hi_u32 s69, s76, s9
	s_mul_hi_u32 s70, s27, s9
	s_mul_i32 s9, s27, s9
	s_add_u32 s19, s69, s19
	s_addc_u32 s18, 0, s18
	s_add_u32 s9, s19, s9
	s_addc_u32 s9, s18, s70
	s_addc_u32 s18, s26, 0
	s_add_u32 s8, s9, s8
	s_addc_u32 s9, 0, s18
	s_mul_hi_u32 s18, s49, s8
	s_mul_i32 s8, s49, s8
	s_mul_i32 s9, s49, s9
	v_sub_co_u32 v2, s8, s76, s8
	s_add_i32 s18, s18, s9
	s_cmp_lg_u32 s8, 0
	s_delay_alu instid0(VALU_DEP_1) | instskip(SKIP_2) | instid1(VALU_DEP_1)
	v_sub_co_u32 v3, s8, v2, s49
	s_subb_u32 s9, s27, s18
	s_cmp_lg_u32 s8, 0
	v_cmp_le_u32_e32 vcc_lo, s49, v3
	v_sub_co_u32 v6, s8, v3, s49
	s_subb_u32 s18, s9, 0
	s_cmp_lg_u32 s8, 0
	v_cndmask_b32_e64 v7, 0, -1, vcc_lo
	s_subb_u32 s8, s18, 0
	s_cmp_eq_u32 s18, 0
	v_mov_b32_e32 v18, s8
	s_cselect_b32 vcc_lo, -1, 0
	s_cmp_eq_u32 s9, 0
	v_cndmask_b32_e32 v7, -1, v7, vcc_lo
	v_cmp_le_u32_e32 vcc_lo, s49, v2
	s_cselect_b32 s8, -1, 0
	v_cndmask_b32_e64 v12, 0, -1, vcc_lo
	s_delay_alu instid0(VALU_DEP_3) | instskip(NEXT) | instid1(VALU_DEP_2)
	v_cmp_ne_u32_e32 vcc_lo, 0, v7
	v_cndmask_b32_e64 v7, -1, v12, s8
	v_cndmask_b32_e32 v12, s18, v18, vcc_lo
	v_cndmask_b32_e32 v6, v3, v6, vcc_lo
	s_delay_alu instid0(VALU_DEP_3) | instskip(NEXT) | instid1(VALU_DEP_3)
	v_cmp_ne_u32_e32 vcc_lo, 0, v7
	v_cndmask_b32_e32 v3, s9, v12, vcc_lo
	s_delay_alu instid0(VALU_DEP_3)
	v_cndmask_b32_e32 v2, v2, v6, vcc_lo
	s_cbranch_execnz .LBB207_198
.LBB207_197:                            ;   in Loop: Header=BB207_12 Depth=1
	v_cvt_f32_u32_e32 v2, s49
	s_sub_i32 s8, 0, s49
	s_delay_alu instid0(VALU_DEP_1) | instskip(SKIP_2) | instid1(VALU_DEP_1)
	v_rcp_iflag_f32_e32 v2, v2
	s_waitcnt_depctr 0xfff
	v_mul_f32_e32 v2, 0x4f7ffffe, v2
	v_cvt_u32_f32_e32 v2, v2
	s_delay_alu instid0(VALU_DEP_1) | instskip(NEXT) | instid1(VALU_DEP_1)
	v_mul_lo_u32 v3, s8, v2
	v_mul_hi_u32 v3, v2, v3
	s_delay_alu instid0(VALU_DEP_1) | instskip(NEXT) | instid1(VALU_DEP_1)
	v_add_nc_u32_e32 v2, v2, v3
	v_mul_hi_u32 v2, s76, v2
	s_delay_alu instid0(VALU_DEP_1) | instskip(NEXT) | instid1(VALU_DEP_1)
	v_mul_lo_u32 v2, v2, s49
	v_sub_nc_u32_e32 v2, s76, v2
	s_delay_alu instid0(VALU_DEP_1) | instskip(SKIP_1) | instid1(VALU_DEP_2)
	v_subrev_nc_u32_e32 v3, s49, v2
	v_cmp_le_u32_e32 vcc_lo, s49, v2
	v_cndmask_b32_e32 v2, v2, v3, vcc_lo
	s_delay_alu instid0(VALU_DEP_1) | instskip(SKIP_1) | instid1(VALU_DEP_2)
	v_subrev_nc_u32_e32 v3, s49, v2
	v_cmp_le_u32_e32 vcc_lo, s49, v2
	v_cndmask_b32_e32 v12, v2, v3, vcc_lo
	s_delay_alu instid0(VALU_DEP_1)
	v_dual_mov_b32 v2, v12 :: v_dual_mov_b32 v3, v13
.LBB207_198:                            ;   in Loop: Header=BB207_12 Depth=1
	s_delay_alu instid0(VALU_DEP_1) | instskip(NEXT) | instid1(VALU_DEP_2)
	v_sub_co_u32 v2, vcc_lo, s76, v2
	v_sub_co_ci_u32_e32 v3, vcc_lo, s27, v3, vcc_lo
	s_mov_b32 s8, 0
	s_mov_b32 s9, exec_lo
                                        ; implicit-def: $vgpr6
	s_delay_alu instid0(VALU_DEP_1)
	v_cmpx_gt_u64_e64 v[2:3], v[0:1]
	s_cbranch_execz .LBB207_207
; %bb.199:                              ;   in Loop: Header=BB207_12 Depth=1
	v_dual_mov_b32 v7, v1 :: v_dual_mov_b32 v6, v0
	s_mov_b32 s18, 0
                                        ; implicit-def: $sgpr19
	s_branch .LBB207_201
.LBB207_200:                            ;   in Loop: Header=BB207_201 Depth=2
	s_or_b32 exec_lo, exec_lo, s8
	s_waitcnt vmcnt(0) lgkmcnt(0)
	s_barrier
	buffer_gl0_inv
	ds_load_b32 v12, v13 offset:3072
	v_add_co_u32 v6, vcc_lo, v6, s49
	v_add_co_ci_u32_e32 v7, vcc_lo, 0, v7, vcc_lo
	s_waitcnt lgkmcnt(0)
	s_barrier
	buffer_gl0_inv
	v_cmp_ge_u64_e32 vcc_lo, v[6:7], v[2:3]
	v_cmp_neq_f16_e64 s8, 0, v12
	s_delay_alu instid0(VALU_DEP_1) | instskip(NEXT) | instid1(SALU_CYCLE_1)
	s_or_b32 s26, vcc_lo, s8
	s_and_b32 s26, exec_lo, s26
	s_delay_alu instid0(SALU_CYCLE_1) | instskip(SKIP_2) | instid1(SALU_CYCLE_1)
	s_or_b32 s18, s26, s18
	s_and_not1_b32 s19, s19, exec_lo
	s_and_b32 s8, s8, exec_lo
	s_or_b32 s19, s19, s8
	s_and_not1_b32 exec_lo, exec_lo, s18
	s_cbranch_execz .LBB207_206
.LBB207_201:                            ;   Parent Loop BB207_12 Depth=1
                                        ; =>  This Inner Loop Header: Depth=2
	s_delay_alu instid0(VALU_DEP_1)
	v_cmp_gt_u64_e32 vcc_lo, s[36:37], v[6:7]
	v_mov_b32_e32 v12, 0
	s_and_saveexec_b32 s26, vcc_lo
	s_cbranch_execz .LBB207_203
; %bb.202:                              ;   in Loop: Header=BB207_201 Depth=2
	v_mul_lo_u32 v12, v7, s30
	v_mul_lo_u32 v20, v6, s31
	v_mad_u64_u32 v[18:19], null, v6, s30, 0
	s_delay_alu instid0(VALU_DEP_1) | instskip(NEXT) | instid1(VALU_DEP_1)
	v_add3_u32 v19, v19, v20, v12
	v_lshlrev_b64 v[18:19], 1, v[18:19]
	s_delay_alu instid0(VALU_DEP_1) | instskip(NEXT) | instid1(VALU_DEP_1)
	v_add_co_u32 v18, s8, s33, v18
	v_add_co_ci_u32_e64 v19, s8, s35, v19, s8
	global_load_u16 v12, v[18:19], off
.LBB207_203:                            ;   in Loop: Header=BB207_201 Depth=2
	s_or_b32 exec_lo, exec_lo, s26
	s_and_saveexec_b32 s8, vcc_lo
	s_cbranch_execz .LBB207_200
; %bb.204:                              ;   in Loop: Header=BB207_201 Depth=2
	s_waitcnt vmcnt(0)
	v_cmp_lt_i16_e32 vcc_lo, -1, v12
	v_dual_cndmask_b32 v19, 0xffff, v29 :: v_dual_and_b32 v18, 0xffff, v12
	v_cmp_o_f16_e32 vcc_lo, v12, v12
	s_delay_alu instid0(VALU_DEP_2) | instskip(NEXT) | instid1(VALU_DEP_1)
	v_xor_b32_e32 v18, v19, v18
	v_cndmask_b32_e32 v18, 0xffff, v18, vcc_lo
	s_delay_alu instid0(VALU_DEP_1) | instskip(NEXT) | instid1(VALU_DEP_1)
	v_and_b32_e32 v18, v18, v9
	v_cmp_eq_u32_e32 vcc_lo, v18, v8
	s_and_b32 exec_lo, exec_lo, vcc_lo
	s_cbranch_execz .LBB207_200
; %bb.205:                              ;   in Loop: Header=BB207_201 Depth=2
	v_perm_b32 v12, v12, s85, 0x5040100
	ds_store_b32 v13, v12 offset:3072
	s_branch .LBB207_200
.LBB207_206:                            ;   in Loop: Header=BB207_12 Depth=1
	s_or_b32 exec_lo, exec_lo, s18
	v_lshrrev_b32_e32 v6, 16, v12
	s_and_b32 s8, s19, exec_lo
.LBB207_207:                            ;   in Loop: Header=BB207_12 Depth=1
	s_or_b32 exec_lo, exec_lo, s9
	s_mov_b32 s71, -1
	s_mov_b32 s69, 0
	s_mov_b32 s70, 0
.LBB207_208:                            ;   in Loop: Header=BB207_12 Depth=1
	s_or_not1_b32 s8, s8, exec_lo
.LBB207_209:                            ;   in Loop: Header=BB207_12 Depth=1
	s_or_b32 exec_lo, exec_lo, s97
	s_mov_b32 s26, 0
                                        ; implicit-def: $vgpr7
	s_and_saveexec_b32 s97, s8
	s_cbranch_execz .LBB207_274
; %bb.210:                              ;   in Loop: Header=BB207_12 Depth=1
	v_dual_mov_b32 v2, 1 :: v_dual_mov_b32 v7, 1
	v_mov_b32_e32 v3, 0
	s_xor_b32 s9, s98, -1
	s_delay_alu instid0(SALU_CYCLE_1)
	s_and_saveexec_b32 s8, s9
	s_cbranch_execz .LBB207_220
; %bb.211:                              ;   in Loop: Header=BB207_12 Depth=1
	s_mov_b32 s18, exec_lo
                                        ; implicit-def: $sgpr19
                                        ; implicit-def: $sgpr9
	v_cmpx_ge_u64_e64 s[14:15], v[4:5]
	s_xor_b32 s18, exec_lo, s18
	s_cbranch_execz .LBB207_217
; %bb.212:                              ;   in Loop: Header=BB207_12 Depth=1
	ds_load_b64 v[2:3], v13 offset:5120
	s_waitcnt lgkmcnt(0)
	v_cmp_ne_u64_e32 vcc_lo, 0, v[2:3]
	s_cbranch_vccnz .LBB207_216
; %bb.213:                              ;   in Loop: Header=BB207_12 Depth=1
	s_and_saveexec_b32 s9, s5
	s_cbranch_execz .LBB207_215
; %bb.214:                              ;   in Loop: Header=BB207_12 Depth=1
	v_dual_mov_b32 v2, s14 :: v_dual_mov_b32 v3, s15
	ds_store_b64 v13, v[2:3] offset:5128
.LBB207_215:                            ;   in Loop: Header=BB207_12 Depth=1
	s_or_b32 exec_lo, exec_lo, s9
	s_waitcnt lgkmcnt(0)
	s_barrier
	buffer_gl0_inv
.LBB207_216:                            ;   in Loop: Header=BB207_12 Depth=1
	s_lshl_b32 s9, 2, s22
	v_or_b32_e32 v9, s20, v9
	v_and_or_b32 v8, v8, s21, s9
	s_mov_b32 s9, 0
	s_mov_b32 s19, 8
.LBB207_217:                            ;   in Loop: Header=BB207_12 Depth=1
	s_or_saveexec_b32 s18, s18
	v_mov_b32_e32 v7, s19
	s_xor_b32 exec_lo, exec_lo, s18
; %bb.218:                              ;   in Loop: Header=BB207_12 Depth=1
	v_sub_co_u32 v4, vcc_lo, v4, s14
	v_subrev_co_ci_u32_e32 v5, vcc_lo, s15, v5, vcc_lo
	v_mov_b32_e32 v7, 0
	s_or_b32 s9, s9, exec_lo
; %bb.219:                              ;   in Loop: Header=BB207_12 Depth=1
	s_or_b32 exec_lo, exec_lo, s18
	s_delay_alu instid0(VALU_DEP_2)
	v_dual_mov_b32 v2, v4 :: v_dual_mov_b32 v3, v5
	s_and_b32 s26, s9, exec_lo
.LBB207_220:                            ;   in Loop: Header=BB207_12 Depth=1
	s_or_b32 exec_lo, exec_lo, s8
	s_mov_b32 s19, -1
                                        ; implicit-def: $sgpr8
                                        ; implicit-def: $sgpr18
                                        ; implicit-def: $sgpr9
	s_and_saveexec_b32 s98, s26
	s_cbranch_execz .LBB207_273
; %bb.221:                              ;   in Loop: Header=BB207_12 Depth=1
	v_cmp_eq_u64_e32 vcc_lo, 1, v[2:3]
	s_cmp_eq_u64 s[16:17], 1
	s_mov_b32 s26, -1
	s_cselect_b32 s8, -1, 0
                                        ; implicit-def: $sgpr18
                                        ; implicit-def: $sgpr9
	s_delay_alu instid0(SALU_CYCLE_1) | instskip(NEXT) | instid1(SALU_CYCLE_1)
	s_and_b32 s99, s8, vcc_lo
                                        ; implicit-def: $sgpr8
	s_and_saveexec_b32 s100, s99
	s_cbranch_execz .LBB207_260
; %bb.222:                              ;   in Loop: Header=BB207_12 Depth=1
	ds_load_b64 v[4:5], v13 offset:5120
	s_waitcnt lgkmcnt(0)
	s_barrier
	buffer_gl0_inv
	v_readfirstlane_b32 s18, v4
	v_readfirstlane_b32 s19, v5
	s_and_saveexec_b32 s8, s6
	s_cbranch_execz .LBB207_224
; %bb.223:                              ;   in Loop: Header=BB207_12 Depth=1
	ds_store_b16 v26, v13
.LBB207_224:                            ;   in Loop: Header=BB207_12 Depth=1
	s_or_b32 exec_lo, exec_lo, s8
	v_or_b32_e32 v8, s20, v8
	v_or_b32_e32 v9, s20, v9
	s_cmp_eq_u64 s[18:19], 0
	s_waitcnt lgkmcnt(0)
	s_barrier
	buffer_gl0_inv
	s_cbranch_scc1 .LBB207_229
; %bb.225:                              ;   in Loop: Header=BB207_12 Depth=1
	s_add_u32 s26, s74, s18
	s_addc_u32 s9, s75, s19
	s_mov_b32 s8, s59
	s_delay_alu instid0(SALU_CYCLE_1)
	s_cmp_lg_u64 s[8:9], 0
	s_cbranch_scc0 .LBB207_230
; %bb.226:                              ;   in Loop: Header=BB207_12 Depth=1
	v_cvt_f32_u32_e32 v4, s49
	s_sub_u32 s102, 0, s49
	s_subb_u32 s103, 0, 0
	s_delay_alu instid0(VALU_DEP_1) | instskip(NEXT) | instid1(VALU_DEP_1)
	v_fmac_f32_e64 v4, 0, 0x4f800000
	v_rcp_f32_e32 v4, v4
	s_waitcnt_depctr 0xfff
	v_mul_f32_e32 v4, 0x5f7ffffc, v4
	s_delay_alu instid0(VALU_DEP_1) | instskip(NEXT) | instid1(VALU_DEP_1)
	v_mul_f32_e32 v5, 0x2f800000, v4
	v_trunc_f32_e32 v5, v5
	s_delay_alu instid0(VALU_DEP_1) | instskip(SKIP_1) | instid1(VALU_DEP_2)
	v_fmac_f32_e32 v4, 0xcf800000, v5
	v_cvt_u32_f32_e32 v5, v5
	v_cvt_u32_f32_e32 v4, v4
	s_delay_alu instid0(VALU_DEP_2) | instskip(NEXT) | instid1(VALU_DEP_2)
	v_readfirstlane_b32 s8, v5
	v_readfirstlane_b32 s101, v4
	s_delay_alu instid0(VALU_DEP_2) | instskip(NEXT) | instid1(VALU_DEP_1)
	s_mul_i32 s104, s102, s8
	s_mul_hi_u32 vcc_hi, s102, s101
	s_mul_i32 vcc_lo, s103, s101
	s_add_i32 s55, vcc_hi, s104
	s_mul_i32 s54, s102, s101
	s_add_i32 s55, s55, vcc_lo
	s_mul_hi_u32 s104, s101, s54
	s_mul_hi_u32 vcc_lo, s101, s55
	s_mul_i32 s101, s101, s55
	s_mul_hi_u32 vcc_hi, s8, s54
	s_mul_i32 s54, s8, s54
	s_add_u32 s57, s104, s101
	s_addc_u32 s101, 0, vcc_lo
	s_mul_hi_u32 s56, s8, s55
	s_add_u32 s54, s57, s54
	s_mul_i32 s55, s8, s55
	s_addc_u32 s54, s101, vcc_hi
	s_addc_u32 s56, s56, 0
	s_add_u32 s54, s54, s55
	s_addc_u32 s55, 0, s56
	v_add_co_u32 v4, s54, v4, s54
	s_delay_alu instid0(VALU_DEP_1) | instskip(SKIP_1) | instid1(VALU_DEP_1)
	s_cmp_lg_u32 s54, 0
	s_addc_u32 s8, s8, s55
	v_readfirstlane_b32 s54, v4
	s_mul_i32 s55, s102, s8
	s_delay_alu instid0(VALU_DEP_1)
	s_mul_hi_u32 s56, s102, s54
	s_mul_i32 s103, s103, s54
	s_add_i32 s55, s56, s55
	s_mul_i32 s102, s102, s54
	s_add_i32 s55, s55, s103
	s_mul_hi_u32 s101, s54, s102
	s_mul_hi_u32 s103, s54, s55
	s_mul_i32 s54, s54, s55
	s_mul_i32 s57, s8, s102
	s_add_u32 s54, s101, s54
	s_mul_hi_u32 s56, s8, s102
	s_addc_u32 s101, 0, s103
	s_mul_hi_u32 s102, s8, s55
	s_add_u32 s54, s54, s57
	s_mul_i32 s55, s8, s55
	s_addc_u32 s54, s101, s56
	s_addc_u32 s56, s102, 0
	s_add_u32 s54, s54, s55
	s_addc_u32 s55, 0, s56
	v_add_co_u32 v4, s54, v4, s54
	s_delay_alu instid0(VALU_DEP_1) | instskip(SKIP_1) | instid1(VALU_DEP_1)
	s_cmp_lg_u32 s54, 0
	s_addc_u32 s8, s8, s55
	v_readfirstlane_b32 s54, v4
	s_mul_i32 s56, s26, s8
	s_mul_hi_u32 s55, s26, s8
	s_mul_hi_u32 s57, s9, s8
	s_mul_i32 s8, s9, s8
	s_mul_hi_u32 s101, s26, s54
	s_mul_hi_u32 s102, s9, s54
	s_mul_i32 s54, s9, s54
	s_add_u32 s56, s101, s56
	s_addc_u32 s55, 0, s55
	s_add_u32 s54, s56, s54
	s_addc_u32 s54, s55, s102
	s_addc_u32 s55, s57, 0
	s_add_u32 s8, s54, s8
	s_addc_u32 s54, 0, s55
	s_mul_hi_u32 s55, s49, s8
	s_mul_i32 s8, s49, s8
	s_mul_i32 s54, s49, s54
	v_sub_co_u32 v4, s8, s26, s8
	s_add_i32 s55, s55, s54
	s_cmp_lg_u32 s8, 0
	s_delay_alu instid0(VALU_DEP_1) | instskip(SKIP_3) | instid1(VALU_DEP_2)
	v_sub_co_u32 v5, s8, v4, s49
	s_subb_u32 s54, s9, s55
	s_cmp_lg_u32 s8, 0
	v_cmp_le_u32_e32 vcc_lo, s49, v4
	v_cmp_le_u32_e64 s8, s49, v5
	v_sub_co_u32 v6, s55, v5, s49
	s_subb_u32 s56, s54, 0
	s_cmp_lg_u32 s55, 0
	s_delay_alu instid0(VALU_DEP_2)
	v_cndmask_b32_e64 v7, 0, -1, s8
	s_subb_u32 s55, s56, 0
	s_cmp_eq_u32 s56, 0
	v_mov_b32_e32 v18, s55
	v_cndmask_b32_e64 v12, 0, -1, vcc_lo
	s_cselect_b32 vcc_lo, -1, 0
	s_cmp_eq_u32 s54, 0
	v_cndmask_b32_e32 v7, -1, v7, vcc_lo
	s_cselect_b32 vcc_lo, -1, 0
	v_cndmask_b32_e32 v12, -1, v12, vcc_lo
	s_delay_alu instid0(VALU_DEP_2) | instskip(NEXT) | instid1(VALU_DEP_2)
	v_cmp_ne_u32_e32 vcc_lo, 0, v7
	v_cmp_ne_u32_e64 s8, 0, v12
	v_cndmask_b32_e32 v7, s56, v18, vcc_lo
	v_cndmask_b32_e32 v6, v5, v6, vcc_lo
	s_delay_alu instid0(VALU_DEP_2) | instskip(NEXT) | instid1(VALU_DEP_2)
	v_cndmask_b32_e64 v5, s54, v7, s8
	v_cndmask_b32_e64 v4, v4, v6, s8
	s_mov_b32 s8, 0
	s_branch .LBB207_231
.LBB207_227:                            ;   in Loop: Header=BB207_12 Depth=1
                                        ; implicit-def: $vgpr2_vgpr3
	s_branch .LBB207_181
.LBB207_228:                            ;   in Loop: Header=BB207_12 Depth=1
                                        ; implicit-def: $vgpr2_vgpr3
	s_branch .LBB207_197
.LBB207_229:                            ;   in Loop: Header=BB207_12 Depth=1
	s_mov_b32 s8, -1
	s_mov_b32 s26, 0
                                        ; implicit-def: $sgpr9
                                        ; implicit-def: $vgpr6
	s_branch .LBB207_243
.LBB207_230:                            ;   in Loop: Header=BB207_12 Depth=1
	s_mov_b32 s8, -1
                                        ; implicit-def: $vgpr4_vgpr5
.LBB207_231:                            ;   in Loop: Header=BB207_12 Depth=1
	s_delay_alu instid0(SALU_CYCLE_1)
	s_and_not1_b32 vcc_lo, exec_lo, s8
	s_cbranch_vccnz .LBB207_233
; %bb.232:                              ;   in Loop: Header=BB207_12 Depth=1
	v_cvt_f32_u32_e32 v4, s49
	s_sub_i32 s8, 0, s49
	s_delay_alu instid0(VALU_DEP_1) | instskip(SKIP_2) | instid1(VALU_DEP_1)
	v_rcp_iflag_f32_e32 v4, v4
	s_waitcnt_depctr 0xfff
	v_mul_f32_e32 v4, 0x4f7ffffe, v4
	v_cvt_u32_f32_e32 v4, v4
	s_delay_alu instid0(VALU_DEP_1) | instskip(NEXT) | instid1(VALU_DEP_1)
	v_mul_lo_u32 v5, s8, v4
	v_mul_hi_u32 v5, v4, v5
	s_delay_alu instid0(VALU_DEP_1) | instskip(NEXT) | instid1(VALU_DEP_1)
	v_add_nc_u32_e32 v4, v4, v5
	v_mul_hi_u32 v4, s26, v4
	s_delay_alu instid0(VALU_DEP_1) | instskip(NEXT) | instid1(VALU_DEP_1)
	v_mul_lo_u32 v4, v4, s49
	v_sub_nc_u32_e32 v4, s26, v4
	s_delay_alu instid0(VALU_DEP_1) | instskip(SKIP_1) | instid1(VALU_DEP_2)
	v_subrev_nc_u32_e32 v5, s49, v4
	v_cmp_le_u32_e32 vcc_lo, s49, v4
	v_cndmask_b32_e32 v4, v4, v5, vcc_lo
	s_delay_alu instid0(VALU_DEP_1) | instskip(SKIP_1) | instid1(VALU_DEP_2)
	v_subrev_nc_u32_e32 v5, s49, v4
	v_cmp_le_u32_e32 vcc_lo, s49, v4
	v_cndmask_b32_e32 v12, v4, v5, vcc_lo
	s_delay_alu instid0(VALU_DEP_1)
	v_dual_mov_b32 v4, v12 :: v_dual_mov_b32 v5, v13
.LBB207_233:                            ;   in Loop: Header=BB207_12 Depth=1
	s_delay_alu instid0(VALU_DEP_1) | instskip(NEXT) | instid1(VALU_DEP_2)
	v_sub_co_u32 v4, vcc_lo, s26, v4
	v_sub_co_ci_u32_e32 v5, vcc_lo, s9, v5, vcc_lo
	s_mov_b32 s26, 0
	s_mov_b32 s9, exec_lo
                                        ; implicit-def: $vgpr6
	s_delay_alu instid0(VALU_DEP_1)
	v_cmpx_gt_u64_e64 v[4:5], v[0:1]
	s_cbranch_execz .LBB207_242
; %bb.234:                              ;   in Loop: Header=BB207_12 Depth=1
	v_mov_b32_e32 v12, v25
	v_dual_mov_b32 v7, v1 :: v_dual_mov_b32 v6, v0
                                        ; implicit-def: $sgpr101
	s_set_inst_prefetch_distance 0x1
	s_branch .LBB207_236
	.p2align	6
.LBB207_235:                            ;   in Loop: Header=BB207_236 Depth=2
	s_or_b32 exec_lo, exec_lo, s8
	s_waitcnt lgkmcnt(0)
	s_barrier
	buffer_gl0_inv
	ds_load_b32 v18, v13 offset:3072
	v_add_co_u32 v6, vcc_lo, v6, s49
	v_add_co_ci_u32_e32 v7, vcc_lo, 0, v7, vcc_lo
	v_add_nc_u32_e32 v12, s82, v12
	s_waitcnt lgkmcnt(0)
	s_barrier
	s_delay_alu instid0(VALU_DEP_2) | instskip(SKIP_2) | instid1(VALU_DEP_1)
	v_cmp_ge_u64_e32 vcc_lo, v[6:7], v[4:5]
	buffer_gl0_inv
	v_cmp_neq_f16_e64 s8, 0, v18
	s_or_b32 s54, vcc_lo, s8
	s_delay_alu instid0(SALU_CYCLE_1) | instskip(NEXT) | instid1(SALU_CYCLE_1)
	s_and_b32 s54, exec_lo, s54
	s_or_b32 s26, s54, s26
	s_and_not1_b32 s54, s101, exec_lo
	s_and_b32 s8, s8, exec_lo
	s_delay_alu instid0(SALU_CYCLE_1)
	s_or_b32 s101, s54, s8
	s_and_not1_b32 exec_lo, exec_lo, s26
	s_cbranch_execz .LBB207_241
.LBB207_236:                            ;   Parent Loop BB207_12 Depth=1
                                        ; =>  This Inner Loop Header: Depth=2
	s_delay_alu instid0(VALU_DEP_1)
	v_cmp_gt_u64_e32 vcc_lo, s[18:19], v[6:7]
	v_mov_b32_e32 v18, 0
	s_and_saveexec_b32 s8, vcc_lo
	s_cbranch_execz .LBB207_238
; %bb.237:                              ;   in Loop: Header=BB207_236 Depth=2
	ds_load_u16 v18, v12
.LBB207_238:                            ;   in Loop: Header=BB207_236 Depth=2
	s_or_b32 exec_lo, exec_lo, s8
	s_and_saveexec_b32 s8, vcc_lo
	s_cbranch_execz .LBB207_235
; %bb.239:                              ;   in Loop: Header=BB207_236 Depth=2
	s_waitcnt lgkmcnt(0)
	v_cmp_lt_i16_e32 vcc_lo, -1, v18
	v_dual_cndmask_b32 v20, 0xffff, v29 :: v_dual_and_b32 v19, 0xffff, v18
	v_cmp_o_f16_e32 vcc_lo, v18, v18
	s_delay_alu instid0(VALU_DEP_2) | instskip(NEXT) | instid1(VALU_DEP_1)
	v_xor_b32_e32 v19, v20, v19
	v_cndmask_b32_e32 v19, 0xffff, v19, vcc_lo
	s_delay_alu instid0(VALU_DEP_1) | instskip(NEXT) | instid1(VALU_DEP_1)
	v_and_b32_e32 v19, v19, v9
	v_cmp_eq_u32_e32 vcc_lo, v19, v8
	s_and_b32 exec_lo, exec_lo, vcc_lo
	s_cbranch_execz .LBB207_235
; %bb.240:                              ;   in Loop: Header=BB207_236 Depth=2
	v_perm_b32 v18, v18, s85, 0x5040100
	ds_store_b32 v13, v18 offset:3072
	s_branch .LBB207_235
.LBB207_241:                            ;   in Loop: Header=BB207_12 Depth=1
	s_set_inst_prefetch_distance 0x2
	s_or_b32 exec_lo, exec_lo, s26
	v_lshrrev_b32_e32 v6, 16, v18
	s_and_b32 s26, s101, exec_lo
.LBB207_242:                            ;   in Loop: Header=BB207_12 Depth=1
	s_or_b32 exec_lo, exec_lo, s9
	s_mov_b32 s9, -1
	s_mov_b32 s8, 0
.LBB207_243:                            ;   in Loop: Header=BB207_12 Depth=1
	s_delay_alu instid0(SALU_CYCLE_1)
	s_and_b32 vcc_lo, exec_lo, s8
	s_mov_b32 s18, s8
	s_cbranch_vccz .LBB207_259
; %bb.244:                              ;   in Loop: Header=BB207_12 Depth=1
	s_mov_b32 s26, s59
	s_delay_alu instid0(SALU_CYCLE_1)
	s_cmp_lg_u64 s[26:27], 0
	s_cbranch_scc0 .LBB207_246
; %bb.245:                              ;   in Loop: Header=BB207_12 Depth=1
	v_cvt_f32_u32_e32 v4, s49
	s_sub_u32 s18, 0, s49
	s_subb_u32 s19, 0, 0
	s_delay_alu instid0(VALU_DEP_1) | instskip(NEXT) | instid1(VALU_DEP_1)
	v_fmac_f32_e64 v4, 0, 0x4f800000
	v_rcp_f32_e32 v4, v4
	s_waitcnt_depctr 0xfff
	v_mul_f32_e32 v4, 0x5f7ffffc, v4
	s_delay_alu instid0(VALU_DEP_1) | instskip(NEXT) | instid1(VALU_DEP_1)
	v_mul_f32_e32 v5, 0x2f800000, v4
	v_trunc_f32_e32 v5, v5
	s_delay_alu instid0(VALU_DEP_1) | instskip(SKIP_1) | instid1(VALU_DEP_2)
	v_fmac_f32_e32 v4, 0xcf800000, v5
	v_cvt_u32_f32_e32 v5, v5
	v_cvt_u32_f32_e32 v4, v4
	s_delay_alu instid0(VALU_DEP_2) | instskip(NEXT) | instid1(VALU_DEP_2)
	v_readfirstlane_b32 s8, v5
	v_readfirstlane_b32 s9, v4
	s_delay_alu instid0(VALU_DEP_2) | instskip(NEXT) | instid1(VALU_DEP_1)
	s_mul_i32 s26, s18, s8
	s_mul_hi_u32 s55, s18, s9
	s_mul_i32 s54, s19, s9
	s_add_i32 s26, s55, s26
	s_mul_i32 s56, s18, s9
	s_add_i32 s26, s26, s54
	s_mul_hi_u32 s55, s9, s56
	s_mul_hi_u32 s57, s8, s56
	s_mul_i32 s54, s8, s56
	s_mul_hi_u32 s56, s9, s26
	s_mul_i32 s9, s9, s26
	s_mul_hi_u32 s101, s8, s26
	s_add_u32 s9, s55, s9
	s_addc_u32 s55, 0, s56
	s_add_u32 s9, s9, s54
	s_mul_i32 s26, s8, s26
	s_addc_u32 s9, s55, s57
	s_addc_u32 s54, s101, 0
	s_add_u32 s9, s9, s26
	s_addc_u32 s26, 0, s54
	v_add_co_u32 v4, s9, v4, s9
	s_delay_alu instid0(VALU_DEP_1) | instskip(SKIP_1) | instid1(VALU_DEP_1)
	s_cmp_lg_u32 s9, 0
	s_addc_u32 s8, s8, s26
	v_readfirstlane_b32 s9, v4
	s_mul_i32 s26, s18, s8
	s_delay_alu instid0(VALU_DEP_1)
	s_mul_hi_u32 s54, s18, s9
	s_mul_i32 s19, s19, s9
	s_add_i32 s26, s54, s26
	s_mul_i32 s18, s18, s9
	s_add_i32 s26, s26, s19
	s_mul_hi_u32 s54, s8, s18
	s_mul_i32 s55, s8, s18
	s_mul_hi_u32 s18, s9, s18
	s_mul_hi_u32 s56, s9, s26
	s_mul_i32 s9, s9, s26
	s_mul_hi_u32 s19, s8, s26
	s_add_u32 s9, s18, s9
	s_addc_u32 s18, 0, s56
	s_add_u32 s9, s9, s55
	s_mul_i32 s26, s8, s26
	s_addc_u32 s9, s18, s54
	s_addc_u32 s18, s19, 0
	s_add_u32 s9, s9, s26
	s_addc_u32 s18, 0, s18
	v_add_co_u32 v4, s9, v4, s9
	s_delay_alu instid0(VALU_DEP_1) | instskip(SKIP_1) | instid1(VALU_DEP_1)
	s_cmp_lg_u32 s9, 0
	s_addc_u32 s8, s8, s18
	v_readfirstlane_b32 s9, v4
	s_mul_i32 s19, s76, s8
	s_mul_hi_u32 s18, s76, s8
	s_mul_hi_u32 s26, s27, s8
	s_mul_i32 s8, s27, s8
	s_mul_hi_u32 s54, s76, s9
	s_mul_hi_u32 s55, s27, s9
	s_mul_i32 s9, s27, s9
	s_add_u32 s19, s54, s19
	s_addc_u32 s18, 0, s18
	s_add_u32 s9, s19, s9
	s_addc_u32 s9, s18, s55
	s_addc_u32 s18, s26, 0
	s_add_u32 s8, s9, s8
	s_addc_u32 s9, 0, s18
	s_mul_hi_u32 s18, s49, s8
	s_mul_i32 s8, s49, s8
	s_mul_i32 s9, s49, s9
	v_sub_co_u32 v4, s8, s76, s8
	s_add_i32 s18, s18, s9
	s_cmp_lg_u32 s8, 0
	s_delay_alu instid0(VALU_DEP_1) | instskip(SKIP_2) | instid1(VALU_DEP_1)
	v_sub_co_u32 v5, s8, v4, s49
	s_subb_u32 s9, s27, s18
	s_cmp_lg_u32 s8, 0
	v_cmp_le_u32_e32 vcc_lo, s49, v5
	v_sub_co_u32 v6, s8, v5, s49
	s_subb_u32 s18, s9, 0
	s_cmp_lg_u32 s8, 0
	v_cndmask_b32_e64 v7, 0, -1, vcc_lo
	s_subb_u32 s8, s18, 0
	s_cmp_eq_u32 s18, 0
	v_mov_b32_e32 v18, s8
	s_cselect_b32 vcc_lo, -1, 0
	s_cmp_eq_u32 s9, 0
	v_cndmask_b32_e32 v7, -1, v7, vcc_lo
	v_cmp_le_u32_e32 vcc_lo, s49, v4
	s_cselect_b32 s8, -1, 0
	v_cndmask_b32_e64 v12, 0, -1, vcc_lo
	s_delay_alu instid0(VALU_DEP_3) | instskip(NEXT) | instid1(VALU_DEP_2)
	v_cmp_ne_u32_e32 vcc_lo, 0, v7
	v_cndmask_b32_e64 v7, -1, v12, s8
	v_cndmask_b32_e32 v12, s18, v18, vcc_lo
	v_cndmask_b32_e32 v6, v5, v6, vcc_lo
	s_mov_b32 s8, 0
	s_delay_alu instid0(VALU_DEP_3) | instskip(NEXT) | instid1(VALU_DEP_3)
	v_cmp_ne_u32_e32 vcc_lo, 0, v7
	v_cndmask_b32_e32 v5, s9, v12, vcc_lo
	s_delay_alu instid0(VALU_DEP_3)
	v_cndmask_b32_e32 v4, v4, v6, vcc_lo
	s_branch .LBB207_247
.LBB207_246:                            ;   in Loop: Header=BB207_12 Depth=1
	s_mov_b32 s8, -1
                                        ; implicit-def: $vgpr4_vgpr5
.LBB207_247:                            ;   in Loop: Header=BB207_12 Depth=1
	s_delay_alu instid0(SALU_CYCLE_1)
	s_and_not1_b32 vcc_lo, exec_lo, s8
	s_cbranch_vccnz .LBB207_249
; %bb.248:                              ;   in Loop: Header=BB207_12 Depth=1
	v_cvt_f32_u32_e32 v4, s49
	s_sub_i32 s8, 0, s49
	s_delay_alu instid0(VALU_DEP_1) | instskip(SKIP_2) | instid1(VALU_DEP_1)
	v_rcp_iflag_f32_e32 v4, v4
	s_waitcnt_depctr 0xfff
	v_mul_f32_e32 v4, 0x4f7ffffe, v4
	v_cvt_u32_f32_e32 v4, v4
	s_delay_alu instid0(VALU_DEP_1) | instskip(NEXT) | instid1(VALU_DEP_1)
	v_mul_lo_u32 v5, s8, v4
	v_mul_hi_u32 v5, v4, v5
	s_delay_alu instid0(VALU_DEP_1) | instskip(NEXT) | instid1(VALU_DEP_1)
	v_add_nc_u32_e32 v4, v4, v5
	v_mul_hi_u32 v4, s76, v4
	s_delay_alu instid0(VALU_DEP_1) | instskip(NEXT) | instid1(VALU_DEP_1)
	v_mul_lo_u32 v4, v4, s49
	v_sub_nc_u32_e32 v4, s76, v4
	s_delay_alu instid0(VALU_DEP_1) | instskip(SKIP_1) | instid1(VALU_DEP_2)
	v_subrev_nc_u32_e32 v5, s49, v4
	v_cmp_le_u32_e32 vcc_lo, s49, v4
	v_cndmask_b32_e32 v4, v4, v5, vcc_lo
	s_delay_alu instid0(VALU_DEP_1) | instskip(SKIP_1) | instid1(VALU_DEP_2)
	v_subrev_nc_u32_e32 v5, s49, v4
	v_cmp_le_u32_e32 vcc_lo, s49, v4
	v_cndmask_b32_e32 v12, v4, v5, vcc_lo
	s_delay_alu instid0(VALU_DEP_1)
	v_dual_mov_b32 v4, v12 :: v_dual_mov_b32 v5, v13
.LBB207_249:                            ;   in Loop: Header=BB207_12 Depth=1
	s_delay_alu instid0(VALU_DEP_1) | instskip(NEXT) | instid1(VALU_DEP_2)
	v_sub_co_u32 v4, vcc_lo, s76, v4
	v_sub_co_ci_u32_e32 v5, vcc_lo, s27, v5, vcc_lo
	s_mov_b32 s26, 0
	s_mov_b32 s9, exec_lo
                                        ; implicit-def: $vgpr6
	s_delay_alu instid0(VALU_DEP_1)
	v_cmpx_gt_u64_e64 v[4:5], v[0:1]
	s_cbranch_execz .LBB207_258
; %bb.250:                              ;   in Loop: Header=BB207_12 Depth=1
	v_dual_mov_b32 v7, v1 :: v_dual_mov_b32 v6, v0
	s_mov_b32 s18, 0
                                        ; implicit-def: $sgpr19
	s_branch .LBB207_252
.LBB207_251:                            ;   in Loop: Header=BB207_252 Depth=2
	s_or_b32 exec_lo, exec_lo, s8
	s_waitcnt vmcnt(0) lgkmcnt(0)
	s_barrier
	buffer_gl0_inv
	ds_load_b32 v12, v13 offset:3072
	v_add_co_u32 v6, vcc_lo, v6, s49
	v_add_co_ci_u32_e32 v7, vcc_lo, 0, v7, vcc_lo
	s_waitcnt lgkmcnt(0)
	s_barrier
	buffer_gl0_inv
	v_cmp_ge_u64_e32 vcc_lo, v[6:7], v[4:5]
	v_cmp_neq_f16_e64 s8, 0, v12
	s_delay_alu instid0(VALU_DEP_1) | instskip(NEXT) | instid1(SALU_CYCLE_1)
	s_or_b32 s26, vcc_lo, s8
	s_and_b32 s26, exec_lo, s26
	s_delay_alu instid0(SALU_CYCLE_1) | instskip(SKIP_2) | instid1(SALU_CYCLE_1)
	s_or_b32 s18, s26, s18
	s_and_not1_b32 s19, s19, exec_lo
	s_and_b32 s8, s8, exec_lo
	s_or_b32 s19, s19, s8
	s_and_not1_b32 exec_lo, exec_lo, s18
	s_cbranch_execz .LBB207_257
.LBB207_252:                            ;   Parent Loop BB207_12 Depth=1
                                        ; =>  This Inner Loop Header: Depth=2
	s_delay_alu instid0(VALU_DEP_1)
	v_cmp_gt_u64_e32 vcc_lo, s[36:37], v[6:7]
	v_mov_b32_e32 v12, 0
	s_and_saveexec_b32 s26, vcc_lo
	s_cbranch_execz .LBB207_254
; %bb.253:                              ;   in Loop: Header=BB207_252 Depth=2
	v_mul_lo_u32 v12, v7, s30
	v_mul_lo_u32 v20, v6, s31
	v_mad_u64_u32 v[18:19], null, v6, s30, 0
	s_delay_alu instid0(VALU_DEP_1) | instskip(NEXT) | instid1(VALU_DEP_1)
	v_add3_u32 v19, v19, v20, v12
	v_lshlrev_b64 v[18:19], 1, v[18:19]
	s_delay_alu instid0(VALU_DEP_1) | instskip(NEXT) | instid1(VALU_DEP_1)
	v_add_co_u32 v18, s8, s33, v18
	v_add_co_ci_u32_e64 v19, s8, s35, v19, s8
	global_load_u16 v12, v[18:19], off
.LBB207_254:                            ;   in Loop: Header=BB207_252 Depth=2
	s_or_b32 exec_lo, exec_lo, s26
	s_and_saveexec_b32 s8, vcc_lo
	s_cbranch_execz .LBB207_251
; %bb.255:                              ;   in Loop: Header=BB207_252 Depth=2
	s_waitcnt vmcnt(0)
	v_cmp_lt_i16_e32 vcc_lo, -1, v12
	v_dual_cndmask_b32 v19, 0xffff, v29 :: v_dual_and_b32 v18, 0xffff, v12
	v_cmp_o_f16_e32 vcc_lo, v12, v12
	s_delay_alu instid0(VALU_DEP_2) | instskip(NEXT) | instid1(VALU_DEP_1)
	v_xor_b32_e32 v18, v19, v18
	v_cndmask_b32_e32 v18, 0xffff, v18, vcc_lo
	s_delay_alu instid0(VALU_DEP_1) | instskip(NEXT) | instid1(VALU_DEP_1)
	v_and_b32_e32 v18, v18, v9
	v_cmp_eq_u32_e32 vcc_lo, v18, v8
	s_and_b32 exec_lo, exec_lo, vcc_lo
	s_cbranch_execz .LBB207_251
; %bb.256:                              ;   in Loop: Header=BB207_252 Depth=2
	v_perm_b32 v12, v12, s85, 0x5040100
	ds_store_b32 v13, v12 offset:3072
	s_branch .LBB207_251
.LBB207_257:                            ;   in Loop: Header=BB207_12 Depth=1
	s_or_b32 exec_lo, exec_lo, s18
	v_lshrrev_b32_e32 v6, 16, v12
	s_and_b32 s26, s19, exec_lo
.LBB207_258:                            ;   in Loop: Header=BB207_12 Depth=1
	s_or_b32 exec_lo, exec_lo, s9
	s_mov_b32 s18, -1
	s_mov_b32 s8, 0
	s_mov_b32 s9, 0
.LBB207_259:                            ;   in Loop: Header=BB207_12 Depth=1
	s_or_not1_b32 s26, s26, exec_lo
.LBB207_260:                            ;   in Loop: Header=BB207_12 Depth=1
	s_or_b32 exec_lo, exec_lo, s100
	s_mov_b32 s100, 0
                                        ; implicit-def: $vgpr7
                                        ; implicit-def: $vgpr4_vgpr5
	s_and_saveexec_b32 s19, s26
	s_cbranch_execz .LBB207_272
; %bb.261:                              ;   in Loop: Header=BB207_12 Depth=1
	v_dual_mov_b32 v4, 1 :: v_dual_mov_b32 v7, 1
	v_mov_b32_e32 v5, 0
	s_xor_b32 s54, s99, -1
	s_delay_alu instid0(SALU_CYCLE_1)
	s_and_saveexec_b32 s26, s54
	s_cbranch_execz .LBB207_271
; %bb.262:                              ;   in Loop: Header=BB207_12 Depth=1
                                        ; implicit-def: $sgpr100
	s_mov_b32 s54, exec_lo
	v_cmpx_ge_u64_e64 s[16:17], v[2:3]
	s_xor_b32 s99, exec_lo, s54
	s_cbranch_execz .LBB207_268
; %bb.263:                              ;   in Loop: Header=BB207_12 Depth=1
	ds_load_b64 v[4:5], v13 offset:5120
	s_waitcnt lgkmcnt(0)
	v_cmp_ne_u64_e32 vcc_lo, 0, v[4:5]
	s_cbranch_vccnz .LBB207_267
; %bb.264:                              ;   in Loop: Header=BB207_12 Depth=1
	s_and_saveexec_b32 s100, s5
	s_cbranch_execz .LBB207_266
; %bb.265:                              ;   in Loop: Header=BB207_12 Depth=1
	v_dual_mov_b32 v4, s16 :: v_dual_mov_b32 v5, s17
	ds_store_b64 v13, v[4:5] offset:5128
.LBB207_266:                            ;   in Loop: Header=BB207_12 Depth=1
	s_or_b32 exec_lo, exec_lo, s100
	s_waitcnt lgkmcnt(0)
	s_barrier
	buffer_gl0_inv
.LBB207_267:                            ;   in Loop: Header=BB207_12 Depth=1
	v_or_b32_e32 v8, s20, v8
	v_or_b32_e32 v9, s20, v9
	s_mov_b32 s100, 8
.LBB207_268:                            ;   in Loop: Header=BB207_12 Depth=1
	s_or_saveexec_b32 s99, s99
	v_mov_b32_e32 v7, s100
	s_xor_b32 exec_lo, exec_lo, s99
; %bb.269:                              ;   in Loop: Header=BB207_12 Depth=1
	v_sub_co_u32 v2, vcc_lo, v2, s16
	v_subrev_co_ci_u32_e32 v3, vcc_lo, s17, v3, vcc_lo
	v_mov_b32_e32 v7, 8
; %bb.270:                              ;   in Loop: Header=BB207_12 Depth=1
	s_or_b32 exec_lo, exec_lo, s99
	s_delay_alu instid0(VALU_DEP_2)
	v_dual_mov_b32 v5, v3 :: v_dual_mov_b32 v4, v2
.LBB207_271:                            ;   in Loop: Header=BB207_12 Depth=1
	s_or_b32 exec_lo, exec_lo, s26
	s_delay_alu instid0(SALU_CYCLE_1)
	s_mov_b32 s100, exec_lo
.LBB207_272:                            ;   in Loop: Header=BB207_12 Depth=1
	s_or_b32 exec_lo, exec_lo, s19
	s_delay_alu instid0(VALU_DEP_1)
	v_dual_mov_b32 v2, v4 :: v_dual_mov_b32 v3, v5
	s_or_not1_b32 s19, s100, exec_lo
.LBB207_273:                            ;   in Loop: Header=BB207_12 Depth=1
	s_or_b32 exec_lo, exec_lo, s98
	s_delay_alu instid0(SALU_CYCLE_1)
	s_and_not1_b32 s26, s69, exec_lo
	s_and_b32 s8, s8, exec_lo
	v_dual_mov_b32 v5, v3 :: v_dual_mov_b32 v4, v2
	s_or_b32 s69, s26, s8
	s_and_not1_b32 s8, s71, exec_lo
	s_and_b32 s18, s18, exec_lo
	s_and_not1_b32 s26, s70, exec_lo
	s_and_b32 s9, s9, exec_lo
	s_or_b32 s71, s8, s18
	s_or_b32 s70, s26, s9
	s_and_b32 s26, s19, exec_lo
.LBB207_274:                            ;   in Loop: Header=BB207_12 Depth=1
	s_or_b32 exec_lo, exec_lo, s97
	s_delay_alu instid0(SALU_CYCLE_1)
	s_and_b32 s19, s69, exec_lo
	s_and_b32 s18, s71, exec_lo
	;; [unrolled: 1-line block ×3, first 2 shown]
	s_or_not1_b32 s8, s26, exec_lo
.LBB207_275:                            ;   in Loop: Header=BB207_12 Depth=1
	s_or_b32 exec_lo, exec_lo, s68
	s_delay_alu instid0(SALU_CYCLE_1)
	s_and_not1_b32 s25, s25, exec_lo
	s_and_b32 s19, s19, exec_lo
	v_dual_mov_b32 v2, v4 :: v_dual_mov_b32 v3, v5
	s_or_b32 s25, s25, s19
	s_and_not1_b32 s19, s66, exec_lo
	s_and_b32 s18, s18, exec_lo
	s_and_not1_b32 s26, s65, exec_lo
	s_and_b32 s9, s9, exec_lo
	s_or_b32 s66, s19, s18
	s_or_b32 s65, s26, s9
	s_and_b32 s26, s8, exec_lo
.LBB207_276:                            ;   in Loop: Header=BB207_12 Depth=1
	s_or_b32 exec_lo, exec_lo, s67
	s_delay_alu instid0(SALU_CYCLE_1)
	s_and_b32 s19, s25, exec_lo
	s_and_b32 s18, s66, exec_lo
	;; [unrolled: 1-line block ×3, first 2 shown]
	s_or_not1_b32 s25, s26, exec_lo
.LBB207_277:                            ;   in Loop: Header=BB207_12 Depth=1
	s_or_b32 exec_lo, exec_lo, s24
	s_mov_b32 s8, 0
	s_mov_b32 s24, 0
	s_and_saveexec_b32 s26, s25
	s_delay_alu instid0(SALU_CYCLE_1)
	s_xor_b32 s25, exec_lo, s26
; %bb.278:                              ;   in Loop: Header=BB207_12 Depth=1
	v_cmp_ne_u32_e32 vcc_lo, 8, v7
	v_cmp_eq_u32_e64 s8, 8, v7
	s_and_not1_b32 s19, s19, exec_lo
	s_and_not1_b32 s18, s18, exec_lo
	s_and_not1_b32 s9, s9, exec_lo
	s_and_b32 s24, vcc_lo, exec_lo
	s_and_b32 s8, s8, exec_lo
; %bb.279:                              ;   in Loop: Header=BB207_12 Depth=1
	s_or_b32 exec_lo, exec_lo, s25
	s_delay_alu instid0(SALU_CYCLE_1)
	s_and_not1_b32 s23, s23, exec_lo
	s_and_b32 s19, s19, exec_lo
	s_and_b32 s18, s18, exec_lo
	s_or_b32 s23, s23, s19
	s_and_not1_b32 s19, s62, exec_lo
	s_and_not1_b32 s25, s58, exec_lo
	s_and_b32 s9, s9, exec_lo
	s_or_b32 s62, s19, s18
	s_or_b32 s58, s25, s9
	s_and_b32 s24, s24, exec_lo
	s_and_b32 s25, s8, exec_lo
.LBB207_280:                            ;   in Loop: Header=BB207_12 Depth=1
	s_or_b32 exec_lo, exec_lo, s64
	s_delay_alu instid0(SALU_CYCLE_1)
	s_and_b32 vcc_lo, exec_lo, s63
	s_cbranch_vccz .LBB207_99
.LBB207_281:                            ;   in Loop: Header=BB207_12 Depth=1
	s_cmp_eq_u64 s[16:17], 1
                                        ; implicit-def: $sgpr18
                                        ; implicit-def: $sgpr19
                                        ; implicit-def: $sgpr23
	s_cselect_b32 s8, -1, 0
	s_delay_alu instid0(SALU_CYCLE_1)
	s_and_b32 s62, s8, s7
	s_mov_b32 s7, -1
	s_and_saveexec_b32 s58, s62
	s_cbranch_execz .LBB207_313
; %bb.282:                              ;   in Loop: Header=BB207_12 Depth=1
	ds_load_b64 v[2:3], v13 offset:5120
	s_waitcnt lgkmcnt(0)
	s_barrier
	buffer_gl0_inv
	v_readfirstlane_b32 s8, v2
	v_readfirstlane_b32 s9, v3
	s_and_saveexec_b32 s7, s6
	s_cbranch_execz .LBB207_284
; %bb.283:                              ;   in Loop: Header=BB207_12 Depth=1
	ds_store_b16 v26, v13
.LBB207_284:                            ;   in Loop: Header=BB207_12 Depth=1
	s_or_b32 exec_lo, exec_lo, s7
	v_or_b32_e32 v31, s20, v31
	v_or_b32_e32 v30, s20, v30
	s_cmp_eq_u64 s[8:9], 0
	s_waitcnt lgkmcnt(0)
	s_barrier
	buffer_gl0_inv
	s_cbranch_scc1 .LBB207_296
; %bb.285:                              ;   in Loop: Header=BB207_12 Depth=1
	s_add_u32 s23, s74, s8
	s_addc_u32 s19, s75, s9
	s_mov_b32 s18, s59
	s_delay_alu instid0(SALU_CYCLE_1)
	s_cmp_lg_u64 s[18:19], 0
	s_cbranch_scc0 .LBB207_340
; %bb.286:                              ;   in Loop: Header=BB207_12 Depth=1
	v_cvt_f32_u32_e32 v2, s49
	s_sub_u32 s26, 0, s49
	s_subb_u32 s63, 0, 0
	s_delay_alu instid0(VALU_DEP_1) | instskip(NEXT) | instid1(VALU_DEP_1)
	v_fmac_f32_e64 v2, 0, 0x4f800000
	v_rcp_f32_e32 v2, v2
	s_waitcnt_depctr 0xfff
	v_mul_f32_e32 v2, 0x5f7ffffc, v2
	s_delay_alu instid0(VALU_DEP_1) | instskip(NEXT) | instid1(VALU_DEP_1)
	v_mul_f32_e32 v3, 0x2f800000, v2
	v_trunc_f32_e32 v3, v3
	s_delay_alu instid0(VALU_DEP_1) | instskip(SKIP_1) | instid1(VALU_DEP_2)
	v_fmac_f32_e32 v2, 0xcf800000, v3
	v_cvt_u32_f32_e32 v3, v3
	v_cvt_u32_f32_e32 v2, v2
	s_delay_alu instid0(VALU_DEP_2) | instskip(NEXT) | instid1(VALU_DEP_2)
	v_readfirstlane_b32 s7, v3
	v_readfirstlane_b32 s18, v2
	s_delay_alu instid0(VALU_DEP_2) | instskip(NEXT) | instid1(VALU_DEP_1)
	s_mul_i32 s64, s26, s7
	s_mul_hi_u32 s66, s26, s18
	s_mul_i32 s65, s63, s18
	s_add_i32 s64, s66, s64
	s_mul_i32 s67, s26, s18
	s_add_i32 s64, s64, s65
	s_mul_hi_u32 s66, s18, s67
	s_mul_hi_u32 s68, s7, s67
	s_mul_i32 s65, s7, s67
	s_mul_hi_u32 s67, s18, s64
	s_mul_i32 s18, s18, s64
	s_mul_hi_u32 s69, s7, s64
	s_add_u32 s18, s66, s18
	s_addc_u32 s66, 0, s67
	s_add_u32 s18, s18, s65
	s_mul_i32 s64, s7, s64
	s_addc_u32 s18, s66, s68
	s_addc_u32 s65, s69, 0
	s_add_u32 s18, s18, s64
	s_addc_u32 s64, 0, s65
	v_add_co_u32 v2, s18, v2, s18
	s_delay_alu instid0(VALU_DEP_1) | instskip(SKIP_1) | instid1(VALU_DEP_1)
	s_cmp_lg_u32 s18, 0
	s_addc_u32 s7, s7, s64
	v_readfirstlane_b32 s18, v2
	s_mul_i32 s64, s26, s7
	s_delay_alu instid0(VALU_DEP_1)
	s_mul_hi_u32 s65, s26, s18
	s_mul_i32 s63, s63, s18
	s_add_i32 s64, s65, s64
	s_mul_i32 s26, s26, s18
	s_add_i32 s64, s64, s63
	s_mul_hi_u32 s65, s7, s26
	s_mul_i32 s66, s7, s26
	s_mul_hi_u32 s26, s18, s26
	s_mul_hi_u32 s67, s18, s64
	s_mul_i32 s18, s18, s64
	s_mul_hi_u32 s63, s7, s64
	s_add_u32 s18, s26, s18
	s_addc_u32 s26, 0, s67
	s_add_u32 s18, s18, s66
	s_mul_i32 s64, s7, s64
	s_addc_u32 s18, s26, s65
	s_addc_u32 s26, s63, 0
	s_add_u32 s18, s18, s64
	s_addc_u32 s26, 0, s26
	v_add_co_u32 v2, s18, v2, s18
	s_delay_alu instid0(VALU_DEP_1) | instskip(SKIP_1) | instid1(VALU_DEP_1)
	s_cmp_lg_u32 s18, 0
	s_addc_u32 s7, s7, s26
	v_readfirstlane_b32 s18, v2
	s_mul_i32 s63, s23, s7
	s_mul_hi_u32 s26, s23, s7
	s_mul_hi_u32 s64, s19, s7
	s_mul_i32 s7, s19, s7
	s_mul_hi_u32 s65, s23, s18
	s_mul_hi_u32 s66, s19, s18
	s_mul_i32 s18, s19, s18
	s_add_u32 s63, s65, s63
	s_addc_u32 s26, 0, s26
	s_add_u32 s18, s63, s18
	s_addc_u32 s18, s26, s66
	s_addc_u32 s26, s64, 0
	s_add_u32 s7, s18, s7
	s_addc_u32 s18, 0, s26
	s_mul_hi_u32 s26, s49, s7
	s_mul_i32 s7, s49, s7
	s_mul_i32 s18, s49, s18
	v_sub_co_u32 v2, s7, s23, s7
	s_add_i32 s26, s26, s18
	s_cmp_lg_u32 s7, 0
	s_delay_alu instid0(VALU_DEP_1) | instskip(SKIP_2) | instid1(VALU_DEP_1)
	v_sub_co_u32 v3, s7, v2, s49
	s_subb_u32 s18, s19, s26
	s_cmp_lg_u32 s7, 0
	v_cmp_le_u32_e32 vcc_lo, s49, v3
	v_sub_co_u32 v4, s7, v3, s49
	s_subb_u32 s26, s18, 0
	s_cmp_lg_u32 s7, 0
	v_cndmask_b32_e64 v5, 0, -1, vcc_lo
	s_subb_u32 s7, s26, 0
	s_cmp_eq_u32 s26, 0
	v_mov_b32_e32 v7, s7
	s_cselect_b32 vcc_lo, -1, 0
	s_cmp_eq_u32 s18, 0
	v_cndmask_b32_e32 v5, -1, v5, vcc_lo
	v_cmp_le_u32_e32 vcc_lo, s49, v2
	s_cselect_b32 s7, -1, 0
	v_cndmask_b32_e64 v6, 0, -1, vcc_lo
	s_delay_alu instid0(VALU_DEP_3) | instskip(NEXT) | instid1(VALU_DEP_2)
	v_cmp_ne_u32_e32 vcc_lo, 0, v5
	v_cndmask_b32_e64 v5, -1, v6, s7
	v_cndmask_b32_e32 v6, s26, v7, vcc_lo
	v_cndmask_b32_e32 v4, v3, v4, vcc_lo
	s_delay_alu instid0(VALU_DEP_3) | instskip(NEXT) | instid1(VALU_DEP_3)
	v_cmp_ne_u32_e32 vcc_lo, 0, v5
	v_cndmask_b32_e32 v3, s18, v6, vcc_lo
	s_delay_alu instid0(VALU_DEP_3)
	v_cndmask_b32_e32 v2, v2, v4, vcc_lo
	s_cbranch_execnz .LBB207_288
.LBB207_287:                            ;   in Loop: Header=BB207_12 Depth=1
	v_cvt_f32_u32_e32 v2, s49
	s_sub_i32 s7, 0, s49
	s_delay_alu instid0(VALU_DEP_1) | instskip(SKIP_2) | instid1(VALU_DEP_1)
	v_rcp_iflag_f32_e32 v2, v2
	s_waitcnt_depctr 0xfff
	v_mul_f32_e32 v2, 0x4f7ffffe, v2
	v_cvt_u32_f32_e32 v2, v2
	s_delay_alu instid0(VALU_DEP_1) | instskip(NEXT) | instid1(VALU_DEP_1)
	v_mul_lo_u32 v3, s7, v2
	v_mul_hi_u32 v3, v2, v3
	s_delay_alu instid0(VALU_DEP_1) | instskip(NEXT) | instid1(VALU_DEP_1)
	v_add_nc_u32_e32 v2, v2, v3
	v_mul_hi_u32 v2, s23, v2
	s_delay_alu instid0(VALU_DEP_1) | instskip(NEXT) | instid1(VALU_DEP_1)
	v_mul_lo_u32 v2, v2, s49
	v_sub_nc_u32_e32 v2, s23, v2
	s_delay_alu instid0(VALU_DEP_1) | instskip(SKIP_1) | instid1(VALU_DEP_2)
	v_subrev_nc_u32_e32 v3, s49, v2
	v_cmp_le_u32_e32 vcc_lo, s49, v2
	v_cndmask_b32_e32 v2, v2, v3, vcc_lo
	s_delay_alu instid0(VALU_DEP_1) | instskip(SKIP_1) | instid1(VALU_DEP_2)
	v_subrev_nc_u32_e32 v3, s49, v2
	v_cmp_le_u32_e32 vcc_lo, s49, v2
	v_cndmask_b32_e32 v12, v2, v3, vcc_lo
	s_delay_alu instid0(VALU_DEP_1)
	v_dual_mov_b32 v2, v12 :: v_dual_mov_b32 v3, v13
.LBB207_288:                            ;   in Loop: Header=BB207_12 Depth=1
	s_delay_alu instid0(VALU_DEP_1) | instskip(NEXT) | instid1(VALU_DEP_2)
	v_sub_co_u32 v2, vcc_lo, s23, v2
	v_sub_co_ci_u32_e32 v3, vcc_lo, s19, v3, vcc_lo
	s_mov_b32 s7, 0
	s_mov_b32 s18, exec_lo
                                        ; implicit-def: $vgpr32
	s_delay_alu instid0(VALU_DEP_1)
	v_cmpx_gt_u64_e64 v[2:3], v[0:1]
	s_cbranch_execz .LBB207_298
; %bb.289:                              ;   in Loop: Header=BB207_12 Depth=1
	v_mov_b32_e32 v6, v25
	v_dual_mov_b32 v5, v1 :: v_dual_mov_b32 v4, v0
	s_mov_b32 s19, 0
                                        ; implicit-def: $sgpr23
	s_set_inst_prefetch_distance 0x1
	s_branch .LBB207_291
	.p2align	6
.LBB207_290:                            ;   in Loop: Header=BB207_291 Depth=2
	s_or_b32 exec_lo, exec_lo, s7
	s_waitcnt lgkmcnt(0)
	s_barrier
	buffer_gl0_inv
	ds_load_b32 v7, v13 offset:3072
	v_add_co_u32 v4, vcc_lo, v4, s49
	v_add_co_ci_u32_e32 v5, vcc_lo, 0, v5, vcc_lo
	v_add_nc_u32_e32 v6, s82, v6
	s_waitcnt lgkmcnt(0)
	s_barrier
	s_delay_alu instid0(VALU_DEP_2) | instskip(SKIP_2) | instid1(VALU_DEP_1)
	v_cmp_ge_u64_e32 vcc_lo, v[4:5], v[2:3]
	buffer_gl0_inv
	v_cmp_neq_f16_e64 s7, 0, v7
	s_or_b32 s26, vcc_lo, s7
	s_delay_alu instid0(SALU_CYCLE_1) | instskip(NEXT) | instid1(SALU_CYCLE_1)
	s_and_b32 s26, exec_lo, s26
	s_or_b32 s19, s26, s19
	s_and_not1_b32 s23, s23, exec_lo
	s_and_b32 s7, s7, exec_lo
	s_delay_alu instid0(SALU_CYCLE_1)
	s_or_b32 s23, s23, s7
	s_and_not1_b32 exec_lo, exec_lo, s19
	s_cbranch_execz .LBB207_297
.LBB207_291:                            ;   Parent Loop BB207_12 Depth=1
                                        ; =>  This Inner Loop Header: Depth=2
	s_delay_alu instid0(VALU_DEP_1)
	v_cmp_gt_u64_e32 vcc_lo, s[8:9], v[4:5]
	v_mov_b32_e32 v7, 0
	s_and_saveexec_b32 s7, vcc_lo
	s_cbranch_execz .LBB207_293
; %bb.292:                              ;   in Loop: Header=BB207_291 Depth=2
	ds_load_u16 v7, v6
.LBB207_293:                            ;   in Loop: Header=BB207_291 Depth=2
	s_or_b32 exec_lo, exec_lo, s7
	s_and_saveexec_b32 s7, vcc_lo
	s_cbranch_execz .LBB207_290
; %bb.294:                              ;   in Loop: Header=BB207_291 Depth=2
	s_waitcnt lgkmcnt(0)
	v_cmp_lt_i16_e32 vcc_lo, -1, v7
	v_dual_cndmask_b32 v9, 0xffff, v29 :: v_dual_and_b32 v8, 0xffff, v7
	v_cmp_o_f16_e32 vcc_lo, v7, v7
	s_delay_alu instid0(VALU_DEP_2) | instskip(NEXT) | instid1(VALU_DEP_1)
	v_xor_b32_e32 v8, v9, v8
	v_cndmask_b32_e32 v8, 0xffff, v8, vcc_lo
	s_delay_alu instid0(VALU_DEP_1) | instskip(NEXT) | instid1(VALU_DEP_1)
	v_and_b32_e32 v8, v8, v30
	v_cmp_eq_u32_e32 vcc_lo, v8, v31
	s_and_b32 exec_lo, exec_lo, vcc_lo
	s_cbranch_execz .LBB207_290
; %bb.295:                              ;   in Loop: Header=BB207_291 Depth=2
	v_perm_b32 v7, v7, s85, 0x5040100
	ds_store_b32 v13, v7 offset:3072
	s_branch .LBB207_290
.LBB207_296:                            ;   in Loop: Header=BB207_12 Depth=1
	s_mov_b32 s18, -1
	s_mov_b32 s7, 0
                                        ; implicit-def: $sgpr19
                                        ; implicit-def: $vgpr32
	s_mov_b32 s23, s18
	s_cbranch_execnz .LBB207_299
	s_branch .LBB207_312
.LBB207_297:                            ;   in Loop: Header=BB207_12 Depth=1
	s_set_inst_prefetch_distance 0x2
	s_or_b32 exec_lo, exec_lo, s19
	v_lshrrev_b32_e32 v32, 16, v7
	s_and_b32 s7, s23, exec_lo
.LBB207_298:                            ;   in Loop: Header=BB207_12 Depth=1
	s_or_b32 exec_lo, exec_lo, s18
	s_mov_b32 s18, 0
	s_mov_b32 s19, -1
	s_mov_b32 s23, s18
	s_branch .LBB207_312
.LBB207_299:                            ;   in Loop: Header=BB207_12 Depth=1
	s_mov_b32 s26, s59
	s_delay_alu instid0(SALU_CYCLE_1)
	s_cmp_lg_u64 s[26:27], 0
	s_cbranch_scc0 .LBB207_341
; %bb.300:                              ;   in Loop: Header=BB207_12 Depth=1
	v_cvt_f32_u32_e32 v2, s49
	s_sub_u32 s9, 0, s49
	s_subb_u32 s18, 0, 0
	s_delay_alu instid0(VALU_DEP_1) | instskip(NEXT) | instid1(VALU_DEP_1)
	v_fmac_f32_e64 v2, 0, 0x4f800000
	v_rcp_f32_e32 v2, v2
	s_waitcnt_depctr 0xfff
	v_mul_f32_e32 v2, 0x5f7ffffc, v2
	s_delay_alu instid0(VALU_DEP_1) | instskip(NEXT) | instid1(VALU_DEP_1)
	v_mul_f32_e32 v3, 0x2f800000, v2
	v_trunc_f32_e32 v3, v3
	s_delay_alu instid0(VALU_DEP_1) | instskip(SKIP_1) | instid1(VALU_DEP_2)
	v_fmac_f32_e32 v2, 0xcf800000, v3
	v_cvt_u32_f32_e32 v3, v3
	v_cvt_u32_f32_e32 v2, v2
	s_delay_alu instid0(VALU_DEP_2) | instskip(NEXT) | instid1(VALU_DEP_2)
	v_readfirstlane_b32 s7, v3
	v_readfirstlane_b32 s8, v2
	s_delay_alu instid0(VALU_DEP_2) | instskip(NEXT) | instid1(VALU_DEP_1)
	s_mul_i32 s19, s9, s7
	s_mul_hi_u32 s26, s9, s8
	s_mul_i32 s23, s18, s8
	s_add_i32 s19, s26, s19
	s_mul_i32 s63, s9, s8
	s_add_i32 s19, s19, s23
	s_mul_hi_u32 s26, s8, s63
	s_mul_hi_u32 s64, s7, s63
	s_mul_i32 s23, s7, s63
	s_mul_hi_u32 s63, s8, s19
	s_mul_i32 s8, s8, s19
	s_mul_hi_u32 s65, s7, s19
	s_add_u32 s8, s26, s8
	s_addc_u32 s26, 0, s63
	s_add_u32 s8, s8, s23
	s_mul_i32 s19, s7, s19
	s_addc_u32 s8, s26, s64
	s_addc_u32 s23, s65, 0
	s_add_u32 s8, s8, s19
	s_addc_u32 s19, 0, s23
	v_add_co_u32 v2, s8, v2, s8
	s_delay_alu instid0(VALU_DEP_1) | instskip(SKIP_1) | instid1(VALU_DEP_1)
	s_cmp_lg_u32 s8, 0
	s_addc_u32 s7, s7, s19
	v_readfirstlane_b32 s8, v2
	s_mul_i32 s19, s9, s7
	s_delay_alu instid0(VALU_DEP_1)
	s_mul_hi_u32 s23, s9, s8
	s_mul_i32 s18, s18, s8
	s_add_i32 s19, s23, s19
	s_mul_i32 s9, s9, s8
	s_add_i32 s19, s19, s18
	s_mul_hi_u32 s23, s7, s9
	s_mul_i32 s26, s7, s9
	s_mul_hi_u32 s9, s8, s9
	s_mul_hi_u32 s63, s8, s19
	s_mul_i32 s8, s8, s19
	s_mul_hi_u32 s18, s7, s19
	s_add_u32 s8, s9, s8
	s_addc_u32 s9, 0, s63
	s_add_u32 s8, s8, s26
	s_mul_i32 s19, s7, s19
	s_addc_u32 s8, s9, s23
	s_addc_u32 s9, s18, 0
	s_add_u32 s8, s8, s19
	s_addc_u32 s9, 0, s9
	v_add_co_u32 v2, s8, v2, s8
	s_delay_alu instid0(VALU_DEP_1) | instskip(SKIP_1) | instid1(VALU_DEP_1)
	s_cmp_lg_u32 s8, 0
	s_addc_u32 s7, s7, s9
	v_readfirstlane_b32 s8, v2
	s_mul_i32 s18, s76, s7
	s_mul_hi_u32 s9, s76, s7
	s_mul_hi_u32 s19, s27, s7
	s_mul_i32 s7, s27, s7
	s_mul_hi_u32 s23, s76, s8
	s_mul_hi_u32 s26, s27, s8
	s_mul_i32 s8, s27, s8
	s_add_u32 s18, s23, s18
	s_addc_u32 s9, 0, s9
	s_add_u32 s8, s18, s8
	s_addc_u32 s8, s9, s26
	s_addc_u32 s9, s19, 0
	s_add_u32 s7, s8, s7
	s_addc_u32 s8, 0, s9
	s_mul_hi_u32 s9, s49, s7
	s_mul_i32 s7, s49, s7
	s_mul_i32 s8, s49, s8
	v_sub_co_u32 v2, s7, s76, s7
	s_add_i32 s9, s9, s8
	s_cmp_lg_u32 s7, 0
	s_delay_alu instid0(VALU_DEP_1) | instskip(SKIP_2) | instid1(VALU_DEP_1)
	v_sub_co_u32 v3, s7, v2, s49
	s_subb_u32 s8, s27, s9
	s_cmp_lg_u32 s7, 0
	v_cmp_le_u32_e32 vcc_lo, s49, v3
	v_sub_co_u32 v4, s7, v3, s49
	s_subb_u32 s9, s8, 0
	s_cmp_lg_u32 s7, 0
	v_cndmask_b32_e64 v5, 0, -1, vcc_lo
	s_subb_u32 s7, s9, 0
	s_cmp_eq_u32 s9, 0
	v_mov_b32_e32 v7, s7
	s_cselect_b32 vcc_lo, -1, 0
	s_cmp_eq_u32 s8, 0
	v_cndmask_b32_e32 v5, -1, v5, vcc_lo
	v_cmp_le_u32_e32 vcc_lo, s49, v2
	s_cselect_b32 s7, -1, 0
	v_cndmask_b32_e64 v6, 0, -1, vcc_lo
	s_delay_alu instid0(VALU_DEP_3) | instskip(NEXT) | instid1(VALU_DEP_2)
	v_cmp_ne_u32_e32 vcc_lo, 0, v5
	v_cndmask_b32_e64 v5, -1, v6, s7
	v_cndmask_b32_e32 v6, s9, v7, vcc_lo
	v_cndmask_b32_e32 v4, v3, v4, vcc_lo
	s_delay_alu instid0(VALU_DEP_3) | instskip(NEXT) | instid1(VALU_DEP_3)
	v_cmp_ne_u32_e32 vcc_lo, 0, v5
	v_cndmask_b32_e32 v3, s8, v6, vcc_lo
	s_delay_alu instid0(VALU_DEP_3)
	v_cndmask_b32_e32 v2, v2, v4, vcc_lo
	s_cbranch_execnz .LBB207_302
.LBB207_301:                            ;   in Loop: Header=BB207_12 Depth=1
	v_cvt_f32_u32_e32 v2, s49
	s_sub_i32 s7, 0, s49
	s_delay_alu instid0(VALU_DEP_1) | instskip(SKIP_2) | instid1(VALU_DEP_1)
	v_rcp_iflag_f32_e32 v2, v2
	s_waitcnt_depctr 0xfff
	v_mul_f32_e32 v2, 0x4f7ffffe, v2
	v_cvt_u32_f32_e32 v2, v2
	s_delay_alu instid0(VALU_DEP_1) | instskip(NEXT) | instid1(VALU_DEP_1)
	v_mul_lo_u32 v3, s7, v2
	v_mul_hi_u32 v3, v2, v3
	s_delay_alu instid0(VALU_DEP_1) | instskip(NEXT) | instid1(VALU_DEP_1)
	v_add_nc_u32_e32 v2, v2, v3
	v_mul_hi_u32 v2, s76, v2
	s_delay_alu instid0(VALU_DEP_1) | instskip(NEXT) | instid1(VALU_DEP_1)
	v_mul_lo_u32 v2, v2, s49
	v_sub_nc_u32_e32 v2, s76, v2
	s_delay_alu instid0(VALU_DEP_1) | instskip(SKIP_1) | instid1(VALU_DEP_2)
	v_subrev_nc_u32_e32 v3, s49, v2
	v_cmp_le_u32_e32 vcc_lo, s49, v2
	v_cndmask_b32_e32 v2, v2, v3, vcc_lo
	s_delay_alu instid0(VALU_DEP_1) | instskip(SKIP_1) | instid1(VALU_DEP_2)
	v_subrev_nc_u32_e32 v3, s49, v2
	v_cmp_le_u32_e32 vcc_lo, s49, v2
	v_cndmask_b32_e32 v12, v2, v3, vcc_lo
	s_delay_alu instid0(VALU_DEP_1)
	v_dual_mov_b32 v2, v12 :: v_dual_mov_b32 v3, v13
.LBB207_302:                            ;   in Loop: Header=BB207_12 Depth=1
	s_delay_alu instid0(VALU_DEP_1) | instskip(NEXT) | instid1(VALU_DEP_2)
	v_sub_co_u32 v2, vcc_lo, s76, v2
	v_sub_co_ci_u32_e32 v3, vcc_lo, s27, v3, vcc_lo
	s_mov_b32 s7, 0
	s_mov_b32 s8, exec_lo
                                        ; implicit-def: $vgpr32
	s_delay_alu instid0(VALU_DEP_1)
	v_cmpx_gt_u64_e64 v[2:3], v[0:1]
	s_cbranch_execz .LBB207_311
; %bb.303:                              ;   in Loop: Header=BB207_12 Depth=1
	v_dual_mov_b32 v5, v1 :: v_dual_mov_b32 v4, v0
	s_mov_b32 s9, 0
                                        ; implicit-def: $sgpr18
	s_branch .LBB207_305
.LBB207_304:                            ;   in Loop: Header=BB207_305 Depth=2
	s_or_b32 exec_lo, exec_lo, s7
	s_waitcnt vmcnt(0) lgkmcnt(0)
	s_barrier
	buffer_gl0_inv
	ds_load_b32 v6, v13 offset:3072
	v_add_co_u32 v4, vcc_lo, v4, s49
	v_add_co_ci_u32_e32 v5, vcc_lo, 0, v5, vcc_lo
	s_waitcnt lgkmcnt(0)
	s_barrier
	buffer_gl0_inv
	v_cmp_ge_u64_e32 vcc_lo, v[4:5], v[2:3]
	v_cmp_neq_f16_e64 s7, 0, v6
	s_delay_alu instid0(VALU_DEP_1) | instskip(NEXT) | instid1(SALU_CYCLE_1)
	s_or_b32 s19, vcc_lo, s7
	s_and_b32 s19, exec_lo, s19
	s_delay_alu instid0(SALU_CYCLE_1) | instskip(SKIP_2) | instid1(SALU_CYCLE_1)
	s_or_b32 s9, s19, s9
	s_and_not1_b32 s18, s18, exec_lo
	s_and_b32 s7, s7, exec_lo
	s_or_b32 s18, s18, s7
	s_and_not1_b32 exec_lo, exec_lo, s9
	s_cbranch_execz .LBB207_310
.LBB207_305:                            ;   Parent Loop BB207_12 Depth=1
                                        ; =>  This Inner Loop Header: Depth=2
	s_delay_alu instid0(VALU_DEP_1)
	v_cmp_gt_u64_e32 vcc_lo, s[36:37], v[4:5]
	v_mov_b32_e32 v6, 0
	s_and_saveexec_b32 s19, vcc_lo
	s_cbranch_execz .LBB207_307
; %bb.306:                              ;   in Loop: Header=BB207_305 Depth=2
	v_mul_lo_u32 v8, v5, s30
	v_mul_lo_u32 v9, v4, s31
	v_mad_u64_u32 v[6:7], null, v4, s30, 0
	s_delay_alu instid0(VALU_DEP_1) | instskip(NEXT) | instid1(VALU_DEP_1)
	v_add3_u32 v7, v7, v9, v8
	v_lshlrev_b64 v[6:7], 1, v[6:7]
	s_delay_alu instid0(VALU_DEP_1) | instskip(NEXT) | instid1(VALU_DEP_1)
	v_add_co_u32 v6, s7, s33, v6
	v_add_co_ci_u32_e64 v7, s7, s35, v7, s7
	global_load_u16 v6, v[6:7], off
.LBB207_307:                            ;   in Loop: Header=BB207_305 Depth=2
	s_or_b32 exec_lo, exec_lo, s19
	s_and_saveexec_b32 s7, vcc_lo
	s_cbranch_execz .LBB207_304
; %bb.308:                              ;   in Loop: Header=BB207_305 Depth=2
	s_waitcnt vmcnt(0)
	v_cmp_lt_i16_e32 vcc_lo, -1, v6
	v_dual_cndmask_b32 v8, 0xffff, v29 :: v_dual_and_b32 v7, 0xffff, v6
	v_cmp_o_f16_e32 vcc_lo, v6, v6
	s_delay_alu instid0(VALU_DEP_2) | instskip(NEXT) | instid1(VALU_DEP_1)
	v_xor_b32_e32 v7, v8, v7
	v_cndmask_b32_e32 v7, 0xffff, v7, vcc_lo
	s_delay_alu instid0(VALU_DEP_1) | instskip(NEXT) | instid1(VALU_DEP_1)
	v_and_b32_e32 v7, v7, v30
	v_cmp_eq_u32_e32 vcc_lo, v7, v31
	s_and_b32 exec_lo, exec_lo, vcc_lo
	s_cbranch_execz .LBB207_304
; %bb.309:                              ;   in Loop: Header=BB207_305 Depth=2
	v_perm_b32 v6, v6, s85, 0x5040100
	ds_store_b32 v13, v6 offset:3072
	s_branch .LBB207_304
.LBB207_310:                            ;   in Loop: Header=BB207_12 Depth=1
	s_or_b32 exec_lo, exec_lo, s9
	v_lshrrev_b32_e32 v32, 16, v6
	s_and_b32 s7, s18, exec_lo
.LBB207_311:                            ;   in Loop: Header=BB207_12 Depth=1
	s_or_b32 exec_lo, exec_lo, s8
	s_mov_b32 s19, 0
	s_mov_b32 s18, -1
	s_mov_b32 s23, 0
.LBB207_312:                            ;   in Loop: Header=BB207_12 Depth=1
	s_or_not1_b32 s7, s7, exec_lo
.LBB207_313:                            ;   in Loop: Header=BB207_12 Depth=1
	s_or_b32 exec_lo, exec_lo, s58
                                        ; implicit-def: $vgpr7
                                        ; implicit-def: $vgpr2_vgpr3
                                        ; implicit-def: $vgpr8
                                        ; implicit-def: $vgpr9
                                        ; implicit-def: $vgpr6
	s_and_saveexec_b32 s58, s7
	s_cbranch_execz .LBB207_476
; %bb.314:                              ;   in Loop: Header=BB207_12 Depth=1
	v_dual_mov_b32 v2, 1 :: v_dual_mov_b32 v7, 1
	v_mov_b32_e32 v3, 0
	s_xor_b32 s8, s62, -1
	s_mov_b32 s26, 0
	s_and_saveexec_b32 s7, s8
	s_cbranch_execz .LBB207_324
; %bb.315:                              ;   in Loop: Header=BB207_12 Depth=1
	s_mov_b32 s9, exec_lo
                                        ; implicit-def: $sgpr26
                                        ; implicit-def: $sgpr8
	v_cmpx_ge_u64_e64 s[16:17], v[16:17]
	s_xor_b32 s9, exec_lo, s9
	s_cbranch_execz .LBB207_321
; %bb.316:                              ;   in Loop: Header=BB207_12 Depth=1
	ds_load_b64 v[2:3], v13 offset:5120
	s_waitcnt lgkmcnt(0)
	v_cmp_ne_u64_e32 vcc_lo, 0, v[2:3]
	s_cbranch_vccnz .LBB207_320
; %bb.317:                              ;   in Loop: Header=BB207_12 Depth=1
	s_and_saveexec_b32 s8, s5
	s_cbranch_execz .LBB207_319
; %bb.318:                              ;   in Loop: Header=BB207_12 Depth=1
	v_dual_mov_b32 v2, s16 :: v_dual_mov_b32 v3, s17
	ds_store_b64 v13, v[2:3] offset:5128
.LBB207_319:                            ;   in Loop: Header=BB207_12 Depth=1
	s_or_b32 exec_lo, exec_lo, s8
	s_waitcnt lgkmcnt(0)
	s_barrier
	buffer_gl0_inv
.LBB207_320:                            ;   in Loop: Header=BB207_12 Depth=1
	v_or_b32_e32 v31, s20, v31
	v_or_b32_e32 v30, s20, v30
	s_mov_b32 s8, 0
	s_mov_b32 s26, 5
.LBB207_321:                            ;   in Loop: Header=BB207_12 Depth=1
	s_or_saveexec_b32 s9, s9
	v_mov_b32_e32 v7, s26
	s_xor_b32 exec_lo, exec_lo, s9
; %bb.322:                              ;   in Loop: Header=BB207_12 Depth=1
	v_sub_co_u32 v16, vcc_lo, v16, s16
	v_subrev_co_ci_u32_e32 v17, vcc_lo, s17, v17, vcc_lo
	v_mov_b32_e32 v7, 0
	s_or_b32 s8, s8, exec_lo
; %bb.323:                              ;   in Loop: Header=BB207_12 Depth=1
	s_or_b32 exec_lo, exec_lo, s9
	s_delay_alu instid0(VALU_DEP_2)
	v_dual_mov_b32 v2, v16 :: v_dual_mov_b32 v3, v17
	s_and_b32 s26, s8, exec_lo
.LBB207_324:                            ;   in Loop: Header=BB207_12 Depth=1
	s_or_b32 exec_lo, exec_lo, s7
	s_mov_b32 s17, -1
                                        ; implicit-def: $sgpr8
                                        ; implicit-def: $sgpr9
                                        ; implicit-def: $sgpr16
	s_and_saveexec_b32 s7, s26
	s_delay_alu instid0(SALU_CYCLE_1)
	s_xor_b32 s62, exec_lo, s7
	s_cbranch_execz .LBB207_473
; %bb.325:                              ;   in Loop: Header=BB207_12 Depth=1
	v_cmp_eq_u64_e32 vcc_lo, 1, v[2:3]
	s_cmp_eq_u64 s[14:15], 1
                                        ; implicit-def: $sgpr16
                                        ; implicit-def: $sgpr17
                                        ; implicit-def: $sgpr63
	s_cselect_b32 s7, -1, 0
	s_delay_alu instid0(SALU_CYCLE_1)
	s_and_b32 s65, s7, vcc_lo
	s_mov_b32 s7, -1
	s_and_saveexec_b32 s64, s65
	s_cbranch_execz .LBB207_359
; %bb.326:                              ;   in Loop: Header=BB207_12 Depth=1
	ds_load_b64 v[4:5], v13 offset:5120
	s_waitcnt lgkmcnt(0)
	s_barrier
	buffer_gl0_inv
	v_readfirstlane_b32 s8, v4
	v_readfirstlane_b32 s9, v5
	s_and_saveexec_b32 s7, s6
	s_cbranch_execz .LBB207_328
; %bb.327:                              ;   in Loop: Header=BB207_12 Depth=1
	ds_store_b16 v26, v13
.LBB207_328:                            ;   in Loop: Header=BB207_12 Depth=1
	s_or_b32 exec_lo, exec_lo, s7
	s_lshl_b32 s7, 2, s22
	v_or_b32_e32 v30, s20, v30
	v_and_or_b32 v31, v31, s21, s7
	s_cmp_eq_u64 s[8:9], 0
	s_waitcnt lgkmcnt(0)
	s_barrier
	buffer_gl0_inv
	s_cbranch_scc1 .LBB207_342
; %bb.329:                              ;   in Loop: Header=BB207_12 Depth=1
	s_add_u32 s26, s74, s8
	s_addc_u32 s17, s75, s9
	s_mov_b32 s16, s59
	s_delay_alu instid0(SALU_CYCLE_1)
	s_cmp_lg_u64 s[16:17], 0
	s_cbranch_scc0 .LBB207_386
; %bb.330:                              ;   in Loop: Header=BB207_12 Depth=1
	v_cvt_f32_u32_e32 v4, s49
	s_sub_u32 s63, 0, s49
	s_subb_u32 s66, 0, 0
	s_delay_alu instid0(VALU_DEP_1) | instskip(NEXT) | instid1(VALU_DEP_1)
	v_fmac_f32_e64 v4, 0, 0x4f800000
	v_rcp_f32_e32 v4, v4
	s_waitcnt_depctr 0xfff
	v_mul_f32_e32 v4, 0x5f7ffffc, v4
	s_delay_alu instid0(VALU_DEP_1) | instskip(NEXT) | instid1(VALU_DEP_1)
	v_mul_f32_e32 v5, 0x2f800000, v4
	v_trunc_f32_e32 v5, v5
	s_delay_alu instid0(VALU_DEP_1) | instskip(SKIP_1) | instid1(VALU_DEP_2)
	v_fmac_f32_e32 v4, 0xcf800000, v5
	v_cvt_u32_f32_e32 v5, v5
	v_cvt_u32_f32_e32 v4, v4
	s_delay_alu instid0(VALU_DEP_2) | instskip(NEXT) | instid1(VALU_DEP_2)
	v_readfirstlane_b32 s7, v5
	v_readfirstlane_b32 s16, v4
	s_delay_alu instid0(VALU_DEP_2) | instskip(NEXT) | instid1(VALU_DEP_1)
	s_mul_i32 s67, s63, s7
	s_mul_hi_u32 s69, s63, s16
	s_mul_i32 s68, s66, s16
	s_add_i32 s67, s69, s67
	s_mul_i32 s70, s63, s16
	s_add_i32 s67, s67, s68
	s_mul_hi_u32 s69, s16, s70
	s_mul_hi_u32 s71, s7, s70
	s_mul_i32 s68, s7, s70
	s_mul_hi_u32 s70, s16, s67
	s_mul_i32 s16, s16, s67
	s_mul_hi_u32 s97, s7, s67
	s_add_u32 s16, s69, s16
	s_addc_u32 s69, 0, s70
	s_add_u32 s16, s16, s68
	s_mul_i32 s67, s7, s67
	s_addc_u32 s16, s69, s71
	s_addc_u32 s68, s97, 0
	s_add_u32 s16, s16, s67
	s_addc_u32 s67, 0, s68
	v_add_co_u32 v4, s16, v4, s16
	s_delay_alu instid0(VALU_DEP_1) | instskip(SKIP_1) | instid1(VALU_DEP_1)
	s_cmp_lg_u32 s16, 0
	s_addc_u32 s7, s7, s67
	v_readfirstlane_b32 s16, v4
	s_mul_i32 s67, s63, s7
	s_delay_alu instid0(VALU_DEP_1)
	s_mul_hi_u32 s68, s63, s16
	s_mul_i32 s66, s66, s16
	s_add_i32 s67, s68, s67
	s_mul_i32 s63, s63, s16
	s_add_i32 s67, s67, s66
	s_mul_hi_u32 s68, s7, s63
	s_mul_i32 s69, s7, s63
	s_mul_hi_u32 s63, s16, s63
	s_mul_hi_u32 s70, s16, s67
	s_mul_i32 s16, s16, s67
	s_mul_hi_u32 s66, s7, s67
	s_add_u32 s16, s63, s16
	s_addc_u32 s63, 0, s70
	s_add_u32 s16, s16, s69
	s_mul_i32 s67, s7, s67
	s_addc_u32 s16, s63, s68
	s_addc_u32 s63, s66, 0
	s_add_u32 s16, s16, s67
	s_addc_u32 s63, 0, s63
	v_add_co_u32 v4, s16, v4, s16
	s_delay_alu instid0(VALU_DEP_1) | instskip(SKIP_1) | instid1(VALU_DEP_1)
	s_cmp_lg_u32 s16, 0
	s_addc_u32 s7, s7, s63
	v_readfirstlane_b32 s16, v4
	s_mul_i32 s66, s26, s7
	s_mul_hi_u32 s63, s26, s7
	s_mul_hi_u32 s67, s17, s7
	s_mul_i32 s7, s17, s7
	s_mul_hi_u32 s68, s26, s16
	s_mul_hi_u32 s69, s17, s16
	s_mul_i32 s16, s17, s16
	s_add_u32 s66, s68, s66
	s_addc_u32 s63, 0, s63
	s_add_u32 s16, s66, s16
	s_addc_u32 s16, s63, s69
	s_addc_u32 s63, s67, 0
	s_add_u32 s7, s16, s7
	s_addc_u32 s16, 0, s63
	s_mul_hi_u32 s63, s49, s7
	s_mul_i32 s7, s49, s7
	s_mul_i32 s16, s49, s16
	v_sub_co_u32 v4, s7, s26, s7
	s_add_i32 s63, s63, s16
	s_cmp_lg_u32 s7, 0
	s_delay_alu instid0(VALU_DEP_1) | instskip(SKIP_2) | instid1(VALU_DEP_1)
	v_sub_co_u32 v5, s7, v4, s49
	s_subb_u32 s16, s17, s63
	s_cmp_lg_u32 s7, 0
	v_cmp_le_u32_e32 vcc_lo, s49, v5
	v_sub_co_u32 v6, s7, v5, s49
	s_subb_u32 s63, s16, 0
	s_cmp_lg_u32 s7, 0
	v_cndmask_b32_e64 v7, 0, -1, vcc_lo
	s_subb_u32 s7, s63, 0
	s_cmp_eq_u32 s63, 0
	v_mov_b32_e32 v9, s7
	s_cselect_b32 vcc_lo, -1, 0
	s_cmp_eq_u32 s16, 0
	v_cndmask_b32_e32 v7, -1, v7, vcc_lo
	v_cmp_le_u32_e32 vcc_lo, s49, v4
	s_cselect_b32 s7, -1, 0
	v_cndmask_b32_e64 v8, 0, -1, vcc_lo
	s_delay_alu instid0(VALU_DEP_3) | instskip(NEXT) | instid1(VALU_DEP_2)
	v_cmp_ne_u32_e32 vcc_lo, 0, v7
	v_cndmask_b32_e64 v7, -1, v8, s7
	v_cndmask_b32_e32 v8, s63, v9, vcc_lo
	v_cndmask_b32_e32 v6, v5, v6, vcc_lo
	s_delay_alu instid0(VALU_DEP_3) | instskip(NEXT) | instid1(VALU_DEP_3)
	v_cmp_ne_u32_e32 vcc_lo, 0, v7
	v_cndmask_b32_e32 v5, s16, v8, vcc_lo
	s_delay_alu instid0(VALU_DEP_3)
	v_cndmask_b32_e32 v4, v4, v6, vcc_lo
	s_cbranch_execnz .LBB207_332
.LBB207_331:                            ;   in Loop: Header=BB207_12 Depth=1
	v_cvt_f32_u32_e32 v4, s49
	s_sub_i32 s7, 0, s49
	s_delay_alu instid0(VALU_DEP_1) | instskip(SKIP_2) | instid1(VALU_DEP_1)
	v_rcp_iflag_f32_e32 v4, v4
	s_waitcnt_depctr 0xfff
	v_mul_f32_e32 v4, 0x4f7ffffe, v4
	v_cvt_u32_f32_e32 v4, v4
	s_delay_alu instid0(VALU_DEP_1) | instskip(NEXT) | instid1(VALU_DEP_1)
	v_mul_lo_u32 v5, s7, v4
	v_mul_hi_u32 v5, v4, v5
	s_delay_alu instid0(VALU_DEP_1) | instskip(NEXT) | instid1(VALU_DEP_1)
	v_add_nc_u32_e32 v4, v4, v5
	v_mul_hi_u32 v4, s26, v4
	s_delay_alu instid0(VALU_DEP_1) | instskip(NEXT) | instid1(VALU_DEP_1)
	v_mul_lo_u32 v4, v4, s49
	v_sub_nc_u32_e32 v4, s26, v4
	s_delay_alu instid0(VALU_DEP_1) | instskip(SKIP_1) | instid1(VALU_DEP_2)
	v_subrev_nc_u32_e32 v5, s49, v4
	v_cmp_le_u32_e32 vcc_lo, s49, v4
	v_cndmask_b32_e32 v4, v4, v5, vcc_lo
	s_delay_alu instid0(VALU_DEP_1) | instskip(SKIP_1) | instid1(VALU_DEP_2)
	v_subrev_nc_u32_e32 v5, s49, v4
	v_cmp_le_u32_e32 vcc_lo, s49, v4
	v_cndmask_b32_e32 v12, v4, v5, vcc_lo
	s_delay_alu instid0(VALU_DEP_1)
	v_dual_mov_b32 v4, v12 :: v_dual_mov_b32 v5, v13
.LBB207_332:                            ;   in Loop: Header=BB207_12 Depth=1
	s_delay_alu instid0(VALU_DEP_1) | instskip(NEXT) | instid1(VALU_DEP_2)
	v_sub_co_u32 v4, vcc_lo, s26, v4
	v_sub_co_ci_u32_e32 v5, vcc_lo, s17, v5, vcc_lo
	s_mov_b32 s7, 0
	s_mov_b32 s16, exec_lo
                                        ; implicit-def: $vgpr32
	s_delay_alu instid0(VALU_DEP_1)
	v_cmpx_gt_u64_e64 v[4:5], v[0:1]
	s_cbranch_execz .LBB207_344
; %bb.333:                              ;   in Loop: Header=BB207_12 Depth=1
	v_mov_b32_e32 v8, v25
	v_dual_mov_b32 v7, v1 :: v_dual_mov_b32 v6, v0
	s_mov_b32 s17, 0
                                        ; implicit-def: $sgpr26
	s_set_inst_prefetch_distance 0x1
	s_branch .LBB207_335
	.p2align	6
.LBB207_334:                            ;   in Loop: Header=BB207_335 Depth=2
	s_or_b32 exec_lo, exec_lo, s7
	s_waitcnt lgkmcnt(0)
	s_barrier
	buffer_gl0_inv
	ds_load_b32 v9, v13 offset:3072
	v_add_co_u32 v6, vcc_lo, v6, s49
	v_add_co_ci_u32_e32 v7, vcc_lo, 0, v7, vcc_lo
	v_add_nc_u32_e32 v8, s82, v8
	s_waitcnt lgkmcnt(0)
	s_barrier
	s_delay_alu instid0(VALU_DEP_2) | instskip(SKIP_2) | instid1(VALU_DEP_1)
	v_cmp_ge_u64_e32 vcc_lo, v[6:7], v[4:5]
	buffer_gl0_inv
	v_cmp_neq_f16_e64 s7, 0, v9
	s_or_b32 s63, vcc_lo, s7
	s_delay_alu instid0(SALU_CYCLE_1) | instskip(NEXT) | instid1(SALU_CYCLE_1)
	s_and_b32 s63, exec_lo, s63
	s_or_b32 s17, s63, s17
	s_and_not1_b32 s26, s26, exec_lo
	s_and_b32 s7, s7, exec_lo
	s_delay_alu instid0(SALU_CYCLE_1)
	s_or_b32 s26, s26, s7
	s_and_not1_b32 exec_lo, exec_lo, s17
	s_cbranch_execz .LBB207_343
.LBB207_335:                            ;   Parent Loop BB207_12 Depth=1
                                        ; =>  This Inner Loop Header: Depth=2
	s_delay_alu instid0(VALU_DEP_1)
	v_cmp_gt_u64_e32 vcc_lo, s[8:9], v[6:7]
	v_mov_b32_e32 v9, 0
	s_and_saveexec_b32 s7, vcc_lo
	s_cbranch_execz .LBB207_337
; %bb.336:                              ;   in Loop: Header=BB207_335 Depth=2
	ds_load_u16 v9, v8
.LBB207_337:                            ;   in Loop: Header=BB207_335 Depth=2
	s_or_b32 exec_lo, exec_lo, s7
	s_and_saveexec_b32 s7, vcc_lo
	s_cbranch_execz .LBB207_334
; %bb.338:                              ;   in Loop: Header=BB207_335 Depth=2
	s_waitcnt lgkmcnt(0)
	v_cmp_lt_i16_e32 vcc_lo, -1, v9
	v_and_b32_e32 v12, 0xffff, v9
	v_cndmask_b32_e32 v16, 0xffff, v29, vcc_lo
	v_cmp_o_f16_e32 vcc_lo, v9, v9
	s_delay_alu instid0(VALU_DEP_2) | instskip(NEXT) | instid1(VALU_DEP_1)
	v_xor_b32_e32 v12, v16, v12
	v_cndmask_b32_e32 v12, 0xffff, v12, vcc_lo
	s_delay_alu instid0(VALU_DEP_1) | instskip(NEXT) | instid1(VALU_DEP_1)
	v_and_b32_e32 v12, v12, v30
	v_cmp_eq_u32_e32 vcc_lo, v12, v31
	s_and_b32 exec_lo, exec_lo, vcc_lo
	s_cbranch_execz .LBB207_334
; %bb.339:                              ;   in Loop: Header=BB207_335 Depth=2
	v_perm_b32 v9, v9, s85, 0x5040100
	ds_store_b32 v13, v9 offset:3072
	s_branch .LBB207_334
.LBB207_340:                            ;   in Loop: Header=BB207_12 Depth=1
                                        ; implicit-def: $vgpr2_vgpr3
	s_branch .LBB207_287
.LBB207_341:                            ;   in Loop: Header=BB207_12 Depth=1
                                        ; implicit-def: $vgpr2_vgpr3
	s_branch .LBB207_301
.LBB207_342:                            ;   in Loop: Header=BB207_12 Depth=1
	s_mov_b32 s16, -1
	s_mov_b32 s7, 0
                                        ; implicit-def: $sgpr17
                                        ; implicit-def: $vgpr32
	s_mov_b32 s63, s16
	s_cbranch_execnz .LBB207_345
	s_branch .LBB207_358
.LBB207_343:                            ;   in Loop: Header=BB207_12 Depth=1
	s_set_inst_prefetch_distance 0x2
	s_or_b32 exec_lo, exec_lo, s17
	v_lshrrev_b32_e32 v32, 16, v9
	s_and_b32 s7, s26, exec_lo
.LBB207_344:                            ;   in Loop: Header=BB207_12 Depth=1
	s_or_b32 exec_lo, exec_lo, s16
	s_mov_b32 s16, 0
	s_mov_b32 s17, -1
	s_mov_b32 s63, s16
	s_branch .LBB207_358
.LBB207_345:                            ;   in Loop: Header=BB207_12 Depth=1
	s_mov_b32 s26, s59
	s_delay_alu instid0(SALU_CYCLE_1)
	s_cmp_lg_u64 s[26:27], 0
	s_cbranch_scc0 .LBB207_387
; %bb.346:                              ;   in Loop: Header=BB207_12 Depth=1
	v_cvt_f32_u32_e32 v4, s49
	s_sub_u32 s9, 0, s49
	s_subb_u32 s16, 0, 0
	s_delay_alu instid0(VALU_DEP_1) | instskip(NEXT) | instid1(VALU_DEP_1)
	v_fmac_f32_e64 v4, 0, 0x4f800000
	v_rcp_f32_e32 v4, v4
	s_waitcnt_depctr 0xfff
	v_mul_f32_e32 v4, 0x5f7ffffc, v4
	s_delay_alu instid0(VALU_DEP_1) | instskip(NEXT) | instid1(VALU_DEP_1)
	v_mul_f32_e32 v5, 0x2f800000, v4
	v_trunc_f32_e32 v5, v5
	s_delay_alu instid0(VALU_DEP_1) | instskip(SKIP_1) | instid1(VALU_DEP_2)
	v_fmac_f32_e32 v4, 0xcf800000, v5
	v_cvt_u32_f32_e32 v5, v5
	v_cvt_u32_f32_e32 v4, v4
	s_delay_alu instid0(VALU_DEP_2) | instskip(NEXT) | instid1(VALU_DEP_2)
	v_readfirstlane_b32 s7, v5
	v_readfirstlane_b32 s8, v4
	s_delay_alu instid0(VALU_DEP_2) | instskip(NEXT) | instid1(VALU_DEP_1)
	s_mul_i32 s17, s9, s7
	s_mul_hi_u32 s63, s9, s8
	s_mul_i32 s26, s16, s8
	s_add_i32 s17, s63, s17
	s_mul_i32 s66, s9, s8
	s_add_i32 s17, s17, s26
	s_mul_hi_u32 s63, s8, s66
	s_mul_hi_u32 s67, s7, s66
	s_mul_i32 s26, s7, s66
	s_mul_hi_u32 s66, s8, s17
	s_mul_i32 s8, s8, s17
	s_mul_hi_u32 s68, s7, s17
	s_add_u32 s8, s63, s8
	s_addc_u32 s63, 0, s66
	s_add_u32 s8, s8, s26
	s_mul_i32 s17, s7, s17
	s_addc_u32 s8, s63, s67
	s_addc_u32 s26, s68, 0
	s_add_u32 s8, s8, s17
	s_addc_u32 s17, 0, s26
	v_add_co_u32 v4, s8, v4, s8
	s_delay_alu instid0(VALU_DEP_1) | instskip(SKIP_1) | instid1(VALU_DEP_1)
	s_cmp_lg_u32 s8, 0
	s_addc_u32 s7, s7, s17
	v_readfirstlane_b32 s8, v4
	s_mul_i32 s17, s9, s7
	s_delay_alu instid0(VALU_DEP_1)
	s_mul_hi_u32 s26, s9, s8
	s_mul_i32 s16, s16, s8
	s_add_i32 s17, s26, s17
	s_mul_i32 s9, s9, s8
	s_add_i32 s17, s17, s16
	s_mul_hi_u32 s26, s7, s9
	s_mul_i32 s63, s7, s9
	s_mul_hi_u32 s9, s8, s9
	s_mul_hi_u32 s66, s8, s17
	s_mul_i32 s8, s8, s17
	s_mul_hi_u32 s16, s7, s17
	s_add_u32 s8, s9, s8
	s_addc_u32 s9, 0, s66
	s_add_u32 s8, s8, s63
	s_mul_i32 s17, s7, s17
	s_addc_u32 s8, s9, s26
	s_addc_u32 s9, s16, 0
	s_add_u32 s8, s8, s17
	s_addc_u32 s9, 0, s9
	v_add_co_u32 v4, s8, v4, s8
	s_delay_alu instid0(VALU_DEP_1) | instskip(SKIP_1) | instid1(VALU_DEP_1)
	s_cmp_lg_u32 s8, 0
	s_addc_u32 s7, s7, s9
	v_readfirstlane_b32 s8, v4
	s_mul_i32 s16, s76, s7
	s_mul_hi_u32 s9, s76, s7
	s_mul_hi_u32 s17, s27, s7
	s_mul_i32 s7, s27, s7
	s_mul_hi_u32 s26, s76, s8
	s_mul_hi_u32 s63, s27, s8
	s_mul_i32 s8, s27, s8
	s_add_u32 s16, s26, s16
	s_addc_u32 s9, 0, s9
	s_add_u32 s8, s16, s8
	s_addc_u32 s8, s9, s63
	s_addc_u32 s9, s17, 0
	s_add_u32 s7, s8, s7
	s_addc_u32 s8, 0, s9
	s_mul_hi_u32 s9, s49, s7
	s_mul_i32 s7, s49, s7
	s_mul_i32 s8, s49, s8
	v_sub_co_u32 v4, s7, s76, s7
	s_add_i32 s9, s9, s8
	s_cmp_lg_u32 s7, 0
	s_delay_alu instid0(VALU_DEP_1) | instskip(SKIP_2) | instid1(VALU_DEP_1)
	v_sub_co_u32 v5, s7, v4, s49
	s_subb_u32 s8, s27, s9
	s_cmp_lg_u32 s7, 0
	v_cmp_le_u32_e32 vcc_lo, s49, v5
	v_sub_co_u32 v6, s7, v5, s49
	s_subb_u32 s9, s8, 0
	s_cmp_lg_u32 s7, 0
	v_cndmask_b32_e64 v7, 0, -1, vcc_lo
	s_subb_u32 s7, s9, 0
	s_cmp_eq_u32 s9, 0
	v_mov_b32_e32 v9, s7
	s_cselect_b32 vcc_lo, -1, 0
	s_cmp_eq_u32 s8, 0
	v_cndmask_b32_e32 v7, -1, v7, vcc_lo
	v_cmp_le_u32_e32 vcc_lo, s49, v4
	s_cselect_b32 s7, -1, 0
	v_cndmask_b32_e64 v8, 0, -1, vcc_lo
	s_delay_alu instid0(VALU_DEP_3) | instskip(NEXT) | instid1(VALU_DEP_2)
	v_cmp_ne_u32_e32 vcc_lo, 0, v7
	v_cndmask_b32_e64 v7, -1, v8, s7
	v_cndmask_b32_e32 v8, s9, v9, vcc_lo
	v_cndmask_b32_e32 v6, v5, v6, vcc_lo
	s_delay_alu instid0(VALU_DEP_3) | instskip(NEXT) | instid1(VALU_DEP_3)
	v_cmp_ne_u32_e32 vcc_lo, 0, v7
	v_cndmask_b32_e32 v5, s8, v8, vcc_lo
	s_delay_alu instid0(VALU_DEP_3)
	v_cndmask_b32_e32 v4, v4, v6, vcc_lo
	s_cbranch_execnz .LBB207_348
.LBB207_347:                            ;   in Loop: Header=BB207_12 Depth=1
	v_cvt_f32_u32_e32 v4, s49
	s_sub_i32 s7, 0, s49
	s_delay_alu instid0(VALU_DEP_1) | instskip(SKIP_2) | instid1(VALU_DEP_1)
	v_rcp_iflag_f32_e32 v4, v4
	s_waitcnt_depctr 0xfff
	v_mul_f32_e32 v4, 0x4f7ffffe, v4
	v_cvt_u32_f32_e32 v4, v4
	s_delay_alu instid0(VALU_DEP_1) | instskip(NEXT) | instid1(VALU_DEP_1)
	v_mul_lo_u32 v5, s7, v4
	v_mul_hi_u32 v5, v4, v5
	s_delay_alu instid0(VALU_DEP_1) | instskip(NEXT) | instid1(VALU_DEP_1)
	v_add_nc_u32_e32 v4, v4, v5
	v_mul_hi_u32 v4, s76, v4
	s_delay_alu instid0(VALU_DEP_1) | instskip(NEXT) | instid1(VALU_DEP_1)
	v_mul_lo_u32 v4, v4, s49
	v_sub_nc_u32_e32 v4, s76, v4
	s_delay_alu instid0(VALU_DEP_1) | instskip(SKIP_1) | instid1(VALU_DEP_2)
	v_subrev_nc_u32_e32 v5, s49, v4
	v_cmp_le_u32_e32 vcc_lo, s49, v4
	v_cndmask_b32_e32 v4, v4, v5, vcc_lo
	s_delay_alu instid0(VALU_DEP_1) | instskip(SKIP_1) | instid1(VALU_DEP_2)
	v_subrev_nc_u32_e32 v5, s49, v4
	v_cmp_le_u32_e32 vcc_lo, s49, v4
	v_cndmask_b32_e32 v12, v4, v5, vcc_lo
	s_delay_alu instid0(VALU_DEP_1)
	v_dual_mov_b32 v4, v12 :: v_dual_mov_b32 v5, v13
.LBB207_348:                            ;   in Loop: Header=BB207_12 Depth=1
	s_delay_alu instid0(VALU_DEP_1) | instskip(NEXT) | instid1(VALU_DEP_2)
	v_sub_co_u32 v4, vcc_lo, s76, v4
	v_sub_co_ci_u32_e32 v5, vcc_lo, s27, v5, vcc_lo
	s_mov_b32 s7, 0
	s_mov_b32 s8, exec_lo
                                        ; implicit-def: $vgpr32
	s_delay_alu instid0(VALU_DEP_1)
	v_cmpx_gt_u64_e64 v[4:5], v[0:1]
	s_cbranch_execz .LBB207_357
; %bb.349:                              ;   in Loop: Header=BB207_12 Depth=1
	v_dual_mov_b32 v7, v1 :: v_dual_mov_b32 v6, v0
	s_mov_b32 s9, 0
                                        ; implicit-def: $sgpr16
	s_branch .LBB207_351
.LBB207_350:                            ;   in Loop: Header=BB207_351 Depth=2
	s_or_b32 exec_lo, exec_lo, s7
	s_waitcnt vmcnt(0) lgkmcnt(0)
	s_barrier
	buffer_gl0_inv
	ds_load_b32 v8, v13 offset:3072
	v_add_co_u32 v6, vcc_lo, v6, s49
	v_add_co_ci_u32_e32 v7, vcc_lo, 0, v7, vcc_lo
	s_waitcnt lgkmcnt(0)
	s_barrier
	buffer_gl0_inv
	v_cmp_ge_u64_e32 vcc_lo, v[6:7], v[4:5]
	v_cmp_neq_f16_e64 s7, 0, v8
	s_delay_alu instid0(VALU_DEP_1) | instskip(NEXT) | instid1(SALU_CYCLE_1)
	s_or_b32 s17, vcc_lo, s7
	s_and_b32 s17, exec_lo, s17
	s_delay_alu instid0(SALU_CYCLE_1) | instskip(SKIP_2) | instid1(SALU_CYCLE_1)
	s_or_b32 s9, s17, s9
	s_and_not1_b32 s16, s16, exec_lo
	s_and_b32 s7, s7, exec_lo
	s_or_b32 s16, s16, s7
	s_and_not1_b32 exec_lo, exec_lo, s9
	s_cbranch_execz .LBB207_356
.LBB207_351:                            ;   Parent Loop BB207_12 Depth=1
                                        ; =>  This Inner Loop Header: Depth=2
	s_delay_alu instid0(VALU_DEP_1)
	v_cmp_gt_u64_e32 vcc_lo, s[36:37], v[6:7]
	v_mov_b32_e32 v8, 0
	s_and_saveexec_b32 s17, vcc_lo
	s_cbranch_execz .LBB207_353
; %bb.352:                              ;   in Loop: Header=BB207_351 Depth=2
	v_mul_lo_u32 v12, v7, s30
	v_mul_lo_u32 v16, v6, s31
	v_mad_u64_u32 v[8:9], null, v6, s30, 0
	s_delay_alu instid0(VALU_DEP_1) | instskip(NEXT) | instid1(VALU_DEP_1)
	v_add3_u32 v9, v9, v16, v12
	v_lshlrev_b64 v[8:9], 1, v[8:9]
	s_delay_alu instid0(VALU_DEP_1) | instskip(NEXT) | instid1(VALU_DEP_1)
	v_add_co_u32 v8, s7, s33, v8
	v_add_co_ci_u32_e64 v9, s7, s35, v9, s7
	global_load_u16 v8, v[8:9], off
.LBB207_353:                            ;   in Loop: Header=BB207_351 Depth=2
	s_or_b32 exec_lo, exec_lo, s17
	s_and_saveexec_b32 s7, vcc_lo
	s_cbranch_execz .LBB207_350
; %bb.354:                              ;   in Loop: Header=BB207_351 Depth=2
	s_waitcnt vmcnt(0)
	v_cmp_lt_i16_e32 vcc_lo, -1, v8
	v_dual_cndmask_b32 v12, 0xffff, v29 :: v_dual_and_b32 v9, 0xffff, v8
	v_cmp_o_f16_e32 vcc_lo, v8, v8
	s_delay_alu instid0(VALU_DEP_2) | instskip(NEXT) | instid1(VALU_DEP_1)
	v_xor_b32_e32 v9, v12, v9
	v_cndmask_b32_e32 v9, 0xffff, v9, vcc_lo
	s_delay_alu instid0(VALU_DEP_1) | instskip(NEXT) | instid1(VALU_DEP_1)
	v_and_b32_e32 v9, v9, v30
	v_cmp_eq_u32_e32 vcc_lo, v9, v31
	s_and_b32 exec_lo, exec_lo, vcc_lo
	s_cbranch_execz .LBB207_350
; %bb.355:                              ;   in Loop: Header=BB207_351 Depth=2
	v_perm_b32 v8, v8, s85, 0x5040100
	ds_store_b32 v13, v8 offset:3072
	s_branch .LBB207_350
.LBB207_356:                            ;   in Loop: Header=BB207_12 Depth=1
	s_or_b32 exec_lo, exec_lo, s9
	v_lshrrev_b32_e32 v32, 16, v8
	s_and_b32 s7, s16, exec_lo
.LBB207_357:                            ;   in Loop: Header=BB207_12 Depth=1
	s_or_b32 exec_lo, exec_lo, s8
	s_mov_b32 s17, 0
	s_mov_b32 s16, -1
	s_mov_b32 s63, 0
.LBB207_358:                            ;   in Loop: Header=BB207_12 Depth=1
	s_or_not1_b32 s7, s7, exec_lo
.LBB207_359:                            ;   in Loop: Header=BB207_12 Depth=1
	s_or_b32 exec_lo, exec_lo, s64
	s_mov_b32 s26, 0
                                        ; implicit-def: $vgpr7
	s_and_saveexec_b32 s64, s7
	s_cbranch_execz .LBB207_472
; %bb.360:                              ;   in Loop: Header=BB207_12 Depth=1
	v_dual_mov_b32 v4, 1 :: v_dual_mov_b32 v7, 1
	v_mov_b32_e32 v5, 0
	s_xor_b32 s8, s65, -1
	s_delay_alu instid0(SALU_CYCLE_1)
	s_and_saveexec_b32 s7, s8
	s_cbranch_execz .LBB207_370
; %bb.361:                              ;   in Loop: Header=BB207_12 Depth=1
	s_mov_b32 s9, exec_lo
                                        ; implicit-def: $sgpr26
                                        ; implicit-def: $sgpr8
	v_cmpx_ge_u64_e64 s[14:15], v[2:3]
	s_xor_b32 s9, exec_lo, s9
	s_cbranch_execz .LBB207_367
; %bb.362:                              ;   in Loop: Header=BB207_12 Depth=1
	ds_load_b64 v[4:5], v13 offset:5120
	s_waitcnt lgkmcnt(0)
	v_cmp_ne_u64_e32 vcc_lo, 0, v[4:5]
	s_cbranch_vccnz .LBB207_366
; %bb.363:                              ;   in Loop: Header=BB207_12 Depth=1
	s_and_saveexec_b32 s8, s5
	s_cbranch_execz .LBB207_365
; %bb.364:                              ;   in Loop: Header=BB207_12 Depth=1
	v_dual_mov_b32 v4, s14 :: v_dual_mov_b32 v5, s15
	ds_store_b64 v13, v[4:5] offset:5128
.LBB207_365:                            ;   in Loop: Header=BB207_12 Depth=1
	s_or_b32 exec_lo, exec_lo, s8
	s_waitcnt lgkmcnt(0)
	s_barrier
	buffer_gl0_inv
.LBB207_366:                            ;   in Loop: Header=BB207_12 Depth=1
	s_lshl_b32 s8, 2, s22
	v_or_b32_e32 v30, s20, v30
	v_and_or_b32 v31, v31, s21, s8
	s_mov_b32 s8, 0
	s_mov_b32 s26, 5
.LBB207_367:                            ;   in Loop: Header=BB207_12 Depth=1
	s_or_saveexec_b32 s9, s9
	v_mov_b32_e32 v7, s26
	s_xor_b32 exec_lo, exec_lo, s9
; %bb.368:                              ;   in Loop: Header=BB207_12 Depth=1
	v_sub_co_u32 v2, vcc_lo, v2, s14
	v_subrev_co_ci_u32_e32 v3, vcc_lo, s15, v3, vcc_lo
	v_mov_b32_e32 v7, 0
	s_or_b32 s8, s8, exec_lo
; %bb.369:                              ;   in Loop: Header=BB207_12 Depth=1
	s_or_b32 exec_lo, exec_lo, s9
	s_delay_alu instid0(VALU_DEP_2)
	v_dual_mov_b32 v5, v3 :: v_dual_mov_b32 v4, v2
	s_and_b32 s26, s8, exec_lo
.LBB207_370:                            ;   in Loop: Header=BB207_12 Depth=1
	s_or_b32 exec_lo, exec_lo, s7
	s_mov_b32 s7, -1
                                        ; implicit-def: $sgpr8
                                        ; implicit-def: $sgpr9
                                        ; implicit-def: $sgpr14
	s_and_saveexec_b32 s65, s26
	s_cbranch_execz .LBB207_471
; %bb.371:                              ;   in Loop: Header=BB207_12 Depth=1
	v_cmp_eq_u64_e32 vcc_lo, 1, v[4:5]
	s_cmp_eq_u64 s[12:13], 1
                                        ; implicit-def: $sgpr14
                                        ; implicit-def: $sgpr15
                                        ; implicit-def: $sgpr66
	s_cselect_b32 s7, -1, 0
	s_delay_alu instid0(SALU_CYCLE_1)
	s_and_b32 s68, s7, vcc_lo
	s_mov_b32 s7, -1
	s_and_saveexec_b32 s67, s68
	s_cbranch_execz .LBB207_405
; %bb.372:                              ;   in Loop: Header=BB207_12 Depth=1
	ds_load_b64 v[2:3], v13 offset:5120
	s_waitcnt lgkmcnt(0)
	s_barrier
	buffer_gl0_inv
	v_readfirstlane_b32 s8, v2
	v_readfirstlane_b32 s9, v3
	s_and_saveexec_b32 s7, s6
	s_cbranch_execz .LBB207_374
; %bb.373:                              ;   in Loop: Header=BB207_12 Depth=1
	ds_store_b16 v26, v13
.LBB207_374:                            ;   in Loop: Header=BB207_12 Depth=1
	s_or_b32 exec_lo, exec_lo, s7
	s_lshl_b32 s7, 1, s22
	v_or_b32_e32 v30, s20, v30
	v_and_or_b32 v31, v31, s21, s7
	s_cmp_eq_u64 s[8:9], 0
	s_waitcnt lgkmcnt(0)
	s_barrier
	buffer_gl0_inv
	s_cbranch_scc1 .LBB207_388
; %bb.375:                              ;   in Loop: Header=BB207_12 Depth=1
	s_add_u32 s26, s74, s8
	s_addc_u32 s15, s75, s9
	s_mov_b32 s14, s59
	s_delay_alu instid0(SALU_CYCLE_1)
	s_cmp_lg_u64 s[14:15], 0
	s_cbranch_scc0 .LBB207_423
; %bb.376:                              ;   in Loop: Header=BB207_12 Depth=1
	v_cvt_f32_u32_e32 v2, s49
	s_sub_u32 s66, 0, s49
	s_subb_u32 s69, 0, 0
	s_delay_alu instid0(VALU_DEP_1) | instskip(NEXT) | instid1(VALU_DEP_1)
	v_fmac_f32_e64 v2, 0, 0x4f800000
	v_rcp_f32_e32 v2, v2
	s_waitcnt_depctr 0xfff
	v_mul_f32_e32 v2, 0x5f7ffffc, v2
	s_delay_alu instid0(VALU_DEP_1) | instskip(NEXT) | instid1(VALU_DEP_1)
	v_mul_f32_e32 v3, 0x2f800000, v2
	v_trunc_f32_e32 v3, v3
	s_delay_alu instid0(VALU_DEP_1) | instskip(SKIP_1) | instid1(VALU_DEP_2)
	v_fmac_f32_e32 v2, 0xcf800000, v3
	v_cvt_u32_f32_e32 v3, v3
	v_cvt_u32_f32_e32 v2, v2
	s_delay_alu instid0(VALU_DEP_2) | instskip(NEXT) | instid1(VALU_DEP_2)
	v_readfirstlane_b32 s7, v3
	v_readfirstlane_b32 s14, v2
	s_delay_alu instid0(VALU_DEP_2) | instskip(NEXT) | instid1(VALU_DEP_1)
	s_mul_i32 s70, s66, s7
	s_mul_hi_u32 s97, s66, s14
	s_mul_i32 s71, s69, s14
	s_add_i32 s70, s97, s70
	s_mul_i32 s98, s66, s14
	s_add_i32 s70, s70, s71
	s_mul_hi_u32 s97, s14, s98
	s_mul_hi_u32 s99, s7, s98
	s_mul_i32 s71, s7, s98
	s_mul_hi_u32 s98, s14, s70
	s_mul_i32 s14, s14, s70
	s_mul_hi_u32 s100, s7, s70
	s_add_u32 s14, s97, s14
	s_addc_u32 s97, 0, s98
	s_add_u32 s14, s14, s71
	s_mul_i32 s70, s7, s70
	s_addc_u32 s14, s97, s99
	s_addc_u32 s71, s100, 0
	s_add_u32 s14, s14, s70
	s_addc_u32 s70, 0, s71
	v_add_co_u32 v2, s14, v2, s14
	s_delay_alu instid0(VALU_DEP_1) | instskip(SKIP_1) | instid1(VALU_DEP_1)
	s_cmp_lg_u32 s14, 0
	s_addc_u32 s7, s7, s70
	v_readfirstlane_b32 s14, v2
	s_mul_i32 s70, s66, s7
	s_delay_alu instid0(VALU_DEP_1)
	s_mul_hi_u32 s71, s66, s14
	s_mul_i32 s69, s69, s14
	s_add_i32 s70, s71, s70
	s_mul_i32 s66, s66, s14
	s_add_i32 s70, s70, s69
	s_mul_hi_u32 s71, s7, s66
	s_mul_i32 s97, s7, s66
	s_mul_hi_u32 s66, s14, s66
	s_mul_hi_u32 s98, s14, s70
	s_mul_i32 s14, s14, s70
	s_mul_hi_u32 s69, s7, s70
	s_add_u32 s14, s66, s14
	s_addc_u32 s66, 0, s98
	s_add_u32 s14, s14, s97
	s_mul_i32 s70, s7, s70
	s_addc_u32 s14, s66, s71
	s_addc_u32 s66, s69, 0
	s_add_u32 s14, s14, s70
	s_addc_u32 s66, 0, s66
	v_add_co_u32 v2, s14, v2, s14
	s_delay_alu instid0(VALU_DEP_1) | instskip(SKIP_1) | instid1(VALU_DEP_1)
	s_cmp_lg_u32 s14, 0
	s_addc_u32 s7, s7, s66
	v_readfirstlane_b32 s14, v2
	s_mul_i32 s69, s26, s7
	s_mul_hi_u32 s66, s26, s7
	s_mul_hi_u32 s70, s15, s7
	s_mul_i32 s7, s15, s7
	s_mul_hi_u32 s71, s26, s14
	s_mul_hi_u32 s97, s15, s14
	s_mul_i32 s14, s15, s14
	s_add_u32 s69, s71, s69
	s_addc_u32 s66, 0, s66
	s_add_u32 s14, s69, s14
	s_addc_u32 s14, s66, s97
	s_addc_u32 s66, s70, 0
	s_add_u32 s7, s14, s7
	s_addc_u32 s14, 0, s66
	s_mul_hi_u32 s66, s49, s7
	s_mul_i32 s7, s49, s7
	s_mul_i32 s14, s49, s14
	v_sub_co_u32 v2, s7, s26, s7
	s_add_i32 s66, s66, s14
	s_cmp_lg_u32 s7, 0
	s_delay_alu instid0(VALU_DEP_1) | instskip(SKIP_2) | instid1(VALU_DEP_1)
	v_sub_co_u32 v3, s7, v2, s49
	s_subb_u32 s14, s15, s66
	s_cmp_lg_u32 s7, 0
	v_cmp_le_u32_e32 vcc_lo, s49, v3
	v_sub_co_u32 v6, s7, v3, s49
	s_subb_u32 s66, s14, 0
	s_cmp_lg_u32 s7, 0
	v_cndmask_b32_e64 v7, 0, -1, vcc_lo
	s_subb_u32 s7, s66, 0
	s_cmp_eq_u32 s66, 0
	v_mov_b32_e32 v9, s7
	s_cselect_b32 vcc_lo, -1, 0
	s_cmp_eq_u32 s14, 0
	v_cndmask_b32_e32 v7, -1, v7, vcc_lo
	v_cmp_le_u32_e32 vcc_lo, s49, v2
	s_cselect_b32 s7, -1, 0
	v_cndmask_b32_e64 v8, 0, -1, vcc_lo
	s_delay_alu instid0(VALU_DEP_3) | instskip(NEXT) | instid1(VALU_DEP_2)
	v_cmp_ne_u32_e32 vcc_lo, 0, v7
	v_cndmask_b32_e64 v7, -1, v8, s7
	v_cndmask_b32_e32 v8, s66, v9, vcc_lo
	v_cndmask_b32_e32 v6, v3, v6, vcc_lo
	s_delay_alu instid0(VALU_DEP_3) | instskip(NEXT) | instid1(VALU_DEP_3)
	v_cmp_ne_u32_e32 vcc_lo, 0, v7
	v_cndmask_b32_e32 v3, s14, v8, vcc_lo
	s_delay_alu instid0(VALU_DEP_3)
	v_cndmask_b32_e32 v2, v2, v6, vcc_lo
	s_cbranch_execnz .LBB207_378
.LBB207_377:                            ;   in Loop: Header=BB207_12 Depth=1
	v_cvt_f32_u32_e32 v2, s49
	s_sub_i32 s7, 0, s49
	s_delay_alu instid0(VALU_DEP_1) | instskip(SKIP_2) | instid1(VALU_DEP_1)
	v_rcp_iflag_f32_e32 v2, v2
	s_waitcnt_depctr 0xfff
	v_mul_f32_e32 v2, 0x4f7ffffe, v2
	v_cvt_u32_f32_e32 v2, v2
	s_delay_alu instid0(VALU_DEP_1) | instskip(NEXT) | instid1(VALU_DEP_1)
	v_mul_lo_u32 v3, s7, v2
	v_mul_hi_u32 v3, v2, v3
	s_delay_alu instid0(VALU_DEP_1) | instskip(NEXT) | instid1(VALU_DEP_1)
	v_add_nc_u32_e32 v2, v2, v3
	v_mul_hi_u32 v2, s26, v2
	s_delay_alu instid0(VALU_DEP_1) | instskip(NEXT) | instid1(VALU_DEP_1)
	v_mul_lo_u32 v2, v2, s49
	v_sub_nc_u32_e32 v2, s26, v2
	s_delay_alu instid0(VALU_DEP_1) | instskip(SKIP_1) | instid1(VALU_DEP_2)
	v_subrev_nc_u32_e32 v3, s49, v2
	v_cmp_le_u32_e32 vcc_lo, s49, v2
	v_cndmask_b32_e32 v2, v2, v3, vcc_lo
	s_delay_alu instid0(VALU_DEP_1) | instskip(SKIP_1) | instid1(VALU_DEP_2)
	v_subrev_nc_u32_e32 v3, s49, v2
	v_cmp_le_u32_e32 vcc_lo, s49, v2
	v_cndmask_b32_e32 v12, v2, v3, vcc_lo
	s_delay_alu instid0(VALU_DEP_1)
	v_dual_mov_b32 v2, v12 :: v_dual_mov_b32 v3, v13
.LBB207_378:                            ;   in Loop: Header=BB207_12 Depth=1
	s_delay_alu instid0(VALU_DEP_1) | instskip(NEXT) | instid1(VALU_DEP_2)
	v_sub_co_u32 v2, vcc_lo, s26, v2
	v_sub_co_ci_u32_e32 v3, vcc_lo, s15, v3, vcc_lo
	s_mov_b32 s7, 0
	s_mov_b32 s14, exec_lo
                                        ; implicit-def: $vgpr32
	s_delay_alu instid0(VALU_DEP_1)
	v_cmpx_gt_u64_e64 v[2:3], v[0:1]
	s_cbranch_execz .LBB207_390
; %bb.379:                              ;   in Loop: Header=BB207_12 Depth=1
	v_mov_b32_e32 v8, v25
	v_dual_mov_b32 v7, v1 :: v_dual_mov_b32 v6, v0
	s_mov_b32 s15, 0
                                        ; implicit-def: $sgpr26
	s_set_inst_prefetch_distance 0x1
	s_branch .LBB207_381
	.p2align	6
.LBB207_380:                            ;   in Loop: Header=BB207_381 Depth=2
	s_or_b32 exec_lo, exec_lo, s7
	s_waitcnt lgkmcnt(0)
	s_barrier
	buffer_gl0_inv
	ds_load_b32 v9, v13 offset:3072
	v_add_co_u32 v6, vcc_lo, v6, s49
	v_add_co_ci_u32_e32 v7, vcc_lo, 0, v7, vcc_lo
	v_add_nc_u32_e32 v8, s82, v8
	s_waitcnt lgkmcnt(0)
	s_barrier
	s_delay_alu instid0(VALU_DEP_2) | instskip(SKIP_2) | instid1(VALU_DEP_1)
	v_cmp_ge_u64_e32 vcc_lo, v[6:7], v[2:3]
	buffer_gl0_inv
	v_cmp_neq_f16_e64 s7, 0, v9
	s_or_b32 s66, vcc_lo, s7
	s_delay_alu instid0(SALU_CYCLE_1) | instskip(NEXT) | instid1(SALU_CYCLE_1)
	s_and_b32 s66, exec_lo, s66
	s_or_b32 s15, s66, s15
	s_and_not1_b32 s26, s26, exec_lo
	s_and_b32 s7, s7, exec_lo
	s_delay_alu instid0(SALU_CYCLE_1)
	s_or_b32 s26, s26, s7
	s_and_not1_b32 exec_lo, exec_lo, s15
	s_cbranch_execz .LBB207_389
.LBB207_381:                            ;   Parent Loop BB207_12 Depth=1
                                        ; =>  This Inner Loop Header: Depth=2
	s_delay_alu instid0(VALU_DEP_1)
	v_cmp_gt_u64_e32 vcc_lo, s[8:9], v[6:7]
	v_mov_b32_e32 v9, 0
	s_and_saveexec_b32 s7, vcc_lo
	s_cbranch_execz .LBB207_383
; %bb.382:                              ;   in Loop: Header=BB207_381 Depth=2
	ds_load_u16 v9, v8
.LBB207_383:                            ;   in Loop: Header=BB207_381 Depth=2
	s_or_b32 exec_lo, exec_lo, s7
	s_and_saveexec_b32 s7, vcc_lo
	s_cbranch_execz .LBB207_380
; %bb.384:                              ;   in Loop: Header=BB207_381 Depth=2
	s_waitcnt lgkmcnt(0)
	v_cmp_lt_i16_e32 vcc_lo, -1, v9
	v_and_b32_e32 v12, 0xffff, v9
	v_cndmask_b32_e32 v16, 0xffff, v29, vcc_lo
	v_cmp_o_f16_e32 vcc_lo, v9, v9
	s_delay_alu instid0(VALU_DEP_2) | instskip(NEXT) | instid1(VALU_DEP_1)
	v_xor_b32_e32 v12, v16, v12
	v_cndmask_b32_e32 v12, 0xffff, v12, vcc_lo
	s_delay_alu instid0(VALU_DEP_1) | instskip(NEXT) | instid1(VALU_DEP_1)
	v_and_b32_e32 v12, v12, v30
	v_cmp_eq_u32_e32 vcc_lo, v12, v31
	s_and_b32 exec_lo, exec_lo, vcc_lo
	s_cbranch_execz .LBB207_380
; %bb.385:                              ;   in Loop: Header=BB207_381 Depth=2
	v_perm_b32 v9, v9, s85, 0x5040100
	ds_store_b32 v13, v9 offset:3072
	s_branch .LBB207_380
.LBB207_386:                            ;   in Loop: Header=BB207_12 Depth=1
                                        ; implicit-def: $vgpr4_vgpr5
	s_branch .LBB207_331
.LBB207_387:                            ;   in Loop: Header=BB207_12 Depth=1
                                        ; implicit-def: $vgpr4_vgpr5
	s_branch .LBB207_347
.LBB207_388:                            ;   in Loop: Header=BB207_12 Depth=1
	s_mov_b32 s14, -1
	s_mov_b32 s7, 0
                                        ; implicit-def: $sgpr15
                                        ; implicit-def: $vgpr32
	s_mov_b32 s66, s14
	s_cbranch_execnz .LBB207_391
	s_branch .LBB207_404
.LBB207_389:                            ;   in Loop: Header=BB207_12 Depth=1
	s_set_inst_prefetch_distance 0x2
	s_or_b32 exec_lo, exec_lo, s15
	v_lshrrev_b32_e32 v32, 16, v9
	s_and_b32 s7, s26, exec_lo
.LBB207_390:                            ;   in Loop: Header=BB207_12 Depth=1
	s_or_b32 exec_lo, exec_lo, s14
	s_mov_b32 s14, 0
	s_mov_b32 s15, -1
	s_mov_b32 s66, s14
	s_branch .LBB207_404
.LBB207_391:                            ;   in Loop: Header=BB207_12 Depth=1
	s_mov_b32 s26, s59
	s_delay_alu instid0(SALU_CYCLE_1)
	s_cmp_lg_u64 s[26:27], 0
	s_cbranch_scc0 .LBB207_424
; %bb.392:                              ;   in Loop: Header=BB207_12 Depth=1
	v_cvt_f32_u32_e32 v2, s49
	s_sub_u32 s9, 0, s49
	s_subb_u32 s14, 0, 0
	s_delay_alu instid0(VALU_DEP_1) | instskip(NEXT) | instid1(VALU_DEP_1)
	v_fmac_f32_e64 v2, 0, 0x4f800000
	v_rcp_f32_e32 v2, v2
	s_waitcnt_depctr 0xfff
	v_mul_f32_e32 v2, 0x5f7ffffc, v2
	s_delay_alu instid0(VALU_DEP_1) | instskip(NEXT) | instid1(VALU_DEP_1)
	v_mul_f32_e32 v3, 0x2f800000, v2
	v_trunc_f32_e32 v3, v3
	s_delay_alu instid0(VALU_DEP_1) | instskip(SKIP_1) | instid1(VALU_DEP_2)
	v_fmac_f32_e32 v2, 0xcf800000, v3
	v_cvt_u32_f32_e32 v3, v3
	v_cvt_u32_f32_e32 v2, v2
	s_delay_alu instid0(VALU_DEP_2) | instskip(NEXT) | instid1(VALU_DEP_2)
	v_readfirstlane_b32 s7, v3
	v_readfirstlane_b32 s8, v2
	s_delay_alu instid0(VALU_DEP_2) | instskip(NEXT) | instid1(VALU_DEP_1)
	s_mul_i32 s15, s9, s7
	s_mul_hi_u32 s66, s9, s8
	s_mul_i32 s26, s14, s8
	s_add_i32 s15, s66, s15
	s_mul_i32 s69, s9, s8
	s_add_i32 s15, s15, s26
	s_mul_hi_u32 s66, s8, s69
	s_mul_hi_u32 s70, s7, s69
	s_mul_i32 s26, s7, s69
	s_mul_hi_u32 s69, s8, s15
	s_mul_i32 s8, s8, s15
	s_mul_hi_u32 s71, s7, s15
	s_add_u32 s8, s66, s8
	s_addc_u32 s66, 0, s69
	s_add_u32 s8, s8, s26
	s_mul_i32 s15, s7, s15
	s_addc_u32 s8, s66, s70
	s_addc_u32 s26, s71, 0
	s_add_u32 s8, s8, s15
	s_addc_u32 s15, 0, s26
	v_add_co_u32 v2, s8, v2, s8
	s_delay_alu instid0(VALU_DEP_1) | instskip(SKIP_1) | instid1(VALU_DEP_1)
	s_cmp_lg_u32 s8, 0
	s_addc_u32 s7, s7, s15
	v_readfirstlane_b32 s8, v2
	s_mul_i32 s15, s9, s7
	s_delay_alu instid0(VALU_DEP_1)
	s_mul_hi_u32 s26, s9, s8
	s_mul_i32 s14, s14, s8
	s_add_i32 s15, s26, s15
	s_mul_i32 s9, s9, s8
	s_add_i32 s15, s15, s14
	s_mul_hi_u32 s26, s7, s9
	s_mul_i32 s66, s7, s9
	s_mul_hi_u32 s9, s8, s9
	s_mul_hi_u32 s69, s8, s15
	s_mul_i32 s8, s8, s15
	s_mul_hi_u32 s14, s7, s15
	s_add_u32 s8, s9, s8
	s_addc_u32 s9, 0, s69
	s_add_u32 s8, s8, s66
	s_mul_i32 s15, s7, s15
	s_addc_u32 s8, s9, s26
	s_addc_u32 s9, s14, 0
	s_add_u32 s8, s8, s15
	s_addc_u32 s9, 0, s9
	v_add_co_u32 v2, s8, v2, s8
	s_delay_alu instid0(VALU_DEP_1) | instskip(SKIP_1) | instid1(VALU_DEP_1)
	s_cmp_lg_u32 s8, 0
	s_addc_u32 s7, s7, s9
	v_readfirstlane_b32 s8, v2
	s_mul_i32 s14, s76, s7
	s_mul_hi_u32 s9, s76, s7
	s_mul_hi_u32 s15, s27, s7
	s_mul_i32 s7, s27, s7
	s_mul_hi_u32 s26, s76, s8
	s_mul_hi_u32 s66, s27, s8
	s_mul_i32 s8, s27, s8
	s_add_u32 s14, s26, s14
	s_addc_u32 s9, 0, s9
	s_add_u32 s8, s14, s8
	s_addc_u32 s8, s9, s66
	s_addc_u32 s9, s15, 0
	s_add_u32 s7, s8, s7
	s_addc_u32 s8, 0, s9
	s_mul_hi_u32 s9, s49, s7
	s_mul_i32 s7, s49, s7
	s_mul_i32 s8, s49, s8
	v_sub_co_u32 v2, s7, s76, s7
	s_add_i32 s9, s9, s8
	s_cmp_lg_u32 s7, 0
	s_delay_alu instid0(VALU_DEP_1) | instskip(SKIP_2) | instid1(VALU_DEP_1)
	v_sub_co_u32 v3, s7, v2, s49
	s_subb_u32 s8, s27, s9
	s_cmp_lg_u32 s7, 0
	v_cmp_le_u32_e32 vcc_lo, s49, v3
	v_sub_co_u32 v6, s7, v3, s49
	s_subb_u32 s9, s8, 0
	s_cmp_lg_u32 s7, 0
	v_cndmask_b32_e64 v7, 0, -1, vcc_lo
	s_subb_u32 s7, s9, 0
	s_cmp_eq_u32 s9, 0
	v_mov_b32_e32 v9, s7
	s_cselect_b32 vcc_lo, -1, 0
	s_cmp_eq_u32 s8, 0
	v_cndmask_b32_e32 v7, -1, v7, vcc_lo
	v_cmp_le_u32_e32 vcc_lo, s49, v2
	s_cselect_b32 s7, -1, 0
	v_cndmask_b32_e64 v8, 0, -1, vcc_lo
	s_delay_alu instid0(VALU_DEP_3) | instskip(NEXT) | instid1(VALU_DEP_2)
	v_cmp_ne_u32_e32 vcc_lo, 0, v7
	v_cndmask_b32_e64 v7, -1, v8, s7
	v_cndmask_b32_e32 v8, s9, v9, vcc_lo
	v_cndmask_b32_e32 v6, v3, v6, vcc_lo
	s_delay_alu instid0(VALU_DEP_3) | instskip(NEXT) | instid1(VALU_DEP_3)
	v_cmp_ne_u32_e32 vcc_lo, 0, v7
	v_cndmask_b32_e32 v3, s8, v8, vcc_lo
	s_delay_alu instid0(VALU_DEP_3)
	v_cndmask_b32_e32 v2, v2, v6, vcc_lo
	s_cbranch_execnz .LBB207_394
.LBB207_393:                            ;   in Loop: Header=BB207_12 Depth=1
	v_cvt_f32_u32_e32 v2, s49
	s_sub_i32 s7, 0, s49
	s_delay_alu instid0(VALU_DEP_1) | instskip(SKIP_2) | instid1(VALU_DEP_1)
	v_rcp_iflag_f32_e32 v2, v2
	s_waitcnt_depctr 0xfff
	v_mul_f32_e32 v2, 0x4f7ffffe, v2
	v_cvt_u32_f32_e32 v2, v2
	s_delay_alu instid0(VALU_DEP_1) | instskip(NEXT) | instid1(VALU_DEP_1)
	v_mul_lo_u32 v3, s7, v2
	v_mul_hi_u32 v3, v2, v3
	s_delay_alu instid0(VALU_DEP_1) | instskip(NEXT) | instid1(VALU_DEP_1)
	v_add_nc_u32_e32 v2, v2, v3
	v_mul_hi_u32 v2, s76, v2
	s_delay_alu instid0(VALU_DEP_1) | instskip(NEXT) | instid1(VALU_DEP_1)
	v_mul_lo_u32 v2, v2, s49
	v_sub_nc_u32_e32 v2, s76, v2
	s_delay_alu instid0(VALU_DEP_1) | instskip(SKIP_1) | instid1(VALU_DEP_2)
	v_subrev_nc_u32_e32 v3, s49, v2
	v_cmp_le_u32_e32 vcc_lo, s49, v2
	v_cndmask_b32_e32 v2, v2, v3, vcc_lo
	s_delay_alu instid0(VALU_DEP_1) | instskip(SKIP_1) | instid1(VALU_DEP_2)
	v_subrev_nc_u32_e32 v3, s49, v2
	v_cmp_le_u32_e32 vcc_lo, s49, v2
	v_cndmask_b32_e32 v12, v2, v3, vcc_lo
	s_delay_alu instid0(VALU_DEP_1)
	v_dual_mov_b32 v2, v12 :: v_dual_mov_b32 v3, v13
.LBB207_394:                            ;   in Loop: Header=BB207_12 Depth=1
	s_delay_alu instid0(VALU_DEP_1) | instskip(NEXT) | instid1(VALU_DEP_2)
	v_sub_co_u32 v2, vcc_lo, s76, v2
	v_sub_co_ci_u32_e32 v3, vcc_lo, s27, v3, vcc_lo
	s_mov_b32 s7, 0
	s_mov_b32 s8, exec_lo
                                        ; implicit-def: $vgpr32
	s_delay_alu instid0(VALU_DEP_1)
	v_cmpx_gt_u64_e64 v[2:3], v[0:1]
	s_cbranch_execz .LBB207_403
; %bb.395:                              ;   in Loop: Header=BB207_12 Depth=1
	v_dual_mov_b32 v7, v1 :: v_dual_mov_b32 v6, v0
	s_mov_b32 s9, 0
                                        ; implicit-def: $sgpr14
	s_branch .LBB207_397
.LBB207_396:                            ;   in Loop: Header=BB207_397 Depth=2
	s_or_b32 exec_lo, exec_lo, s7
	s_waitcnt vmcnt(0) lgkmcnt(0)
	s_barrier
	buffer_gl0_inv
	ds_load_b32 v8, v13 offset:3072
	v_add_co_u32 v6, vcc_lo, v6, s49
	v_add_co_ci_u32_e32 v7, vcc_lo, 0, v7, vcc_lo
	s_waitcnt lgkmcnt(0)
	s_barrier
	buffer_gl0_inv
	v_cmp_ge_u64_e32 vcc_lo, v[6:7], v[2:3]
	v_cmp_neq_f16_e64 s7, 0, v8
	s_delay_alu instid0(VALU_DEP_1) | instskip(NEXT) | instid1(SALU_CYCLE_1)
	s_or_b32 s15, vcc_lo, s7
	s_and_b32 s15, exec_lo, s15
	s_delay_alu instid0(SALU_CYCLE_1) | instskip(SKIP_2) | instid1(SALU_CYCLE_1)
	s_or_b32 s9, s15, s9
	s_and_not1_b32 s14, s14, exec_lo
	s_and_b32 s7, s7, exec_lo
	s_or_b32 s14, s14, s7
	s_and_not1_b32 exec_lo, exec_lo, s9
	s_cbranch_execz .LBB207_402
.LBB207_397:                            ;   Parent Loop BB207_12 Depth=1
                                        ; =>  This Inner Loop Header: Depth=2
	s_delay_alu instid0(VALU_DEP_1)
	v_cmp_gt_u64_e32 vcc_lo, s[36:37], v[6:7]
	v_mov_b32_e32 v8, 0
	s_and_saveexec_b32 s15, vcc_lo
	s_cbranch_execz .LBB207_399
; %bb.398:                              ;   in Loop: Header=BB207_397 Depth=2
	v_mul_lo_u32 v12, v7, s30
	v_mul_lo_u32 v16, v6, s31
	v_mad_u64_u32 v[8:9], null, v6, s30, 0
	s_delay_alu instid0(VALU_DEP_1) | instskip(NEXT) | instid1(VALU_DEP_1)
	v_add3_u32 v9, v9, v16, v12
	v_lshlrev_b64 v[8:9], 1, v[8:9]
	s_delay_alu instid0(VALU_DEP_1) | instskip(NEXT) | instid1(VALU_DEP_1)
	v_add_co_u32 v8, s7, s33, v8
	v_add_co_ci_u32_e64 v9, s7, s35, v9, s7
	global_load_u16 v8, v[8:9], off
.LBB207_399:                            ;   in Loop: Header=BB207_397 Depth=2
	s_or_b32 exec_lo, exec_lo, s15
	s_and_saveexec_b32 s7, vcc_lo
	s_cbranch_execz .LBB207_396
; %bb.400:                              ;   in Loop: Header=BB207_397 Depth=2
	s_waitcnt vmcnt(0)
	v_cmp_lt_i16_e32 vcc_lo, -1, v8
	v_dual_cndmask_b32 v12, 0xffff, v29 :: v_dual_and_b32 v9, 0xffff, v8
	v_cmp_o_f16_e32 vcc_lo, v8, v8
	s_delay_alu instid0(VALU_DEP_2) | instskip(NEXT) | instid1(VALU_DEP_1)
	v_xor_b32_e32 v9, v12, v9
	v_cndmask_b32_e32 v9, 0xffff, v9, vcc_lo
	s_delay_alu instid0(VALU_DEP_1) | instskip(NEXT) | instid1(VALU_DEP_1)
	v_and_b32_e32 v9, v9, v30
	v_cmp_eq_u32_e32 vcc_lo, v9, v31
	s_and_b32 exec_lo, exec_lo, vcc_lo
	s_cbranch_execz .LBB207_396
; %bb.401:                              ;   in Loop: Header=BB207_397 Depth=2
	v_perm_b32 v8, v8, s85, 0x5040100
	ds_store_b32 v13, v8 offset:3072
	s_branch .LBB207_396
.LBB207_402:                            ;   in Loop: Header=BB207_12 Depth=1
	s_or_b32 exec_lo, exec_lo, s9
	v_lshrrev_b32_e32 v32, 16, v8
	s_and_b32 s7, s14, exec_lo
.LBB207_403:                            ;   in Loop: Header=BB207_12 Depth=1
	s_or_b32 exec_lo, exec_lo, s8
	s_mov_b32 s15, 0
	s_mov_b32 s14, -1
	s_mov_b32 s66, 0
.LBB207_404:                            ;   in Loop: Header=BB207_12 Depth=1
	s_or_not1_b32 s7, s7, exec_lo
.LBB207_405:                            ;   in Loop: Header=BB207_12 Depth=1
	s_or_b32 exec_lo, exec_lo, s67
	s_mov_b32 s26, 0
                                        ; implicit-def: $vgpr7
	s_and_saveexec_b32 s67, s7
	s_cbranch_execz .LBB207_470
; %bb.406:                              ;   in Loop: Header=BB207_12 Depth=1
	v_dual_mov_b32 v2, 1 :: v_dual_mov_b32 v7, 1
	v_mov_b32_e32 v3, 0
	s_xor_b32 s8, s68, -1
	s_delay_alu instid0(SALU_CYCLE_1)
	s_and_saveexec_b32 s7, s8
	s_cbranch_execz .LBB207_416
; %bb.407:                              ;   in Loop: Header=BB207_12 Depth=1
	s_mov_b32 s9, exec_lo
                                        ; implicit-def: $sgpr26
                                        ; implicit-def: $sgpr8
	v_cmpx_ge_u64_e64 s[12:13], v[4:5]
	s_xor_b32 s9, exec_lo, s9
	s_cbranch_execz .LBB207_413
; %bb.408:                              ;   in Loop: Header=BB207_12 Depth=1
	ds_load_b64 v[2:3], v13 offset:5120
	s_waitcnt lgkmcnt(0)
	v_cmp_ne_u64_e32 vcc_lo, 0, v[2:3]
	s_cbranch_vccnz .LBB207_412
; %bb.409:                              ;   in Loop: Header=BB207_12 Depth=1
	s_and_saveexec_b32 s8, s5
	s_cbranch_execz .LBB207_411
; %bb.410:                              ;   in Loop: Header=BB207_12 Depth=1
	v_dual_mov_b32 v2, s12 :: v_dual_mov_b32 v3, s13
	ds_store_b64 v13, v[2:3] offset:5128
.LBB207_411:                            ;   in Loop: Header=BB207_12 Depth=1
	s_or_b32 exec_lo, exec_lo, s8
	s_waitcnt lgkmcnt(0)
	s_barrier
	buffer_gl0_inv
.LBB207_412:                            ;   in Loop: Header=BB207_12 Depth=1
	s_lshl_b32 s8, 1, s22
	v_or_b32_e32 v30, s20, v30
	v_and_or_b32 v31, v31, s21, s8
	s_mov_b32 s8, 0
	s_mov_b32 s26, 5
.LBB207_413:                            ;   in Loop: Header=BB207_12 Depth=1
	s_or_saveexec_b32 s9, s9
	v_mov_b32_e32 v7, s26
	s_xor_b32 exec_lo, exec_lo, s9
; %bb.414:                              ;   in Loop: Header=BB207_12 Depth=1
	v_sub_co_u32 v4, vcc_lo, v4, s12
	v_subrev_co_ci_u32_e32 v5, vcc_lo, s13, v5, vcc_lo
	v_mov_b32_e32 v7, 0
	s_or_b32 s8, s8, exec_lo
; %bb.415:                              ;   in Loop: Header=BB207_12 Depth=1
	s_or_b32 exec_lo, exec_lo, s9
	s_delay_alu instid0(VALU_DEP_2)
	v_dual_mov_b32 v2, v4 :: v_dual_mov_b32 v3, v5
	s_and_b32 s26, s8, exec_lo
.LBB207_416:                            ;   in Loop: Header=BB207_12 Depth=1
	s_or_b32 exec_lo, exec_lo, s7
	s_mov_b32 s12, -1
                                        ; implicit-def: $sgpr7
                                        ; implicit-def: $sgpr8
                                        ; implicit-def: $sgpr9
	s_and_saveexec_b32 s22, s26
	s_cbranch_execz .LBB207_469
; %bb.417:                              ;   in Loop: Header=BB207_12 Depth=1
	v_cmp_eq_u64_e32 vcc_lo, 1, v[2:3]
	s_cmp_eq_u64 s[10:11], 1
	s_mov_b32 s13, -1
	s_cselect_b32 s7, -1, 0
                                        ; implicit-def: $sgpr8
                                        ; implicit-def: $sgpr9
	s_delay_alu instid0(SALU_CYCLE_1) | instskip(NEXT) | instid1(SALU_CYCLE_1)
	s_and_b32 s68, s7, vcc_lo
                                        ; implicit-def: $sgpr7
	s_and_saveexec_b32 s69, s68
	s_cbranch_execz .LBB207_456
; %bb.418:                              ;   in Loop: Header=BB207_12 Depth=1
	ds_load_b64 v[4:5], v13 offset:5120
	s_waitcnt lgkmcnt(0)
	s_barrier
	buffer_gl0_inv
	v_readfirstlane_b32 s8, v4
	v_readfirstlane_b32 s9, v5
	s_and_saveexec_b32 s7, s6
	s_cbranch_execz .LBB207_420
; %bb.419:                              ;   in Loop: Header=BB207_12 Depth=1
	ds_store_b16 v26, v13
.LBB207_420:                            ;   in Loop: Header=BB207_12 Depth=1
	s_or_b32 exec_lo, exec_lo, s7
	v_and_b32_e32 v31, s21, v31
	v_or_b32_e32 v30, s20, v30
	s_cmp_eq_u64 s[8:9], 0
	s_waitcnt lgkmcnt(0)
	s_barrier
	buffer_gl0_inv
	s_cbranch_scc1 .LBB207_425
; %bb.421:                              ;   in Loop: Header=BB207_12 Depth=1
	s_add_u32 s26, s74, s8
	s_addc_u32 s13, s75, s9
	s_mov_b32 s12, s59
	s_delay_alu instid0(SALU_CYCLE_1)
	s_cmp_lg_u64 s[12:13], 0
	s_cbranch_scc0 .LBB207_426
; %bb.422:                              ;   in Loop: Header=BB207_12 Depth=1
	v_cvt_f32_u32_e32 v4, s49
	s_sub_u32 s70, 0, s49
	s_subb_u32 s71, 0, 0
	s_delay_alu instid0(VALU_DEP_1) | instskip(NEXT) | instid1(VALU_DEP_1)
	v_fmac_f32_e64 v4, 0, 0x4f800000
	v_rcp_f32_e32 v4, v4
	s_waitcnt_depctr 0xfff
	v_mul_f32_e32 v4, 0x5f7ffffc, v4
	s_delay_alu instid0(VALU_DEP_1) | instskip(NEXT) | instid1(VALU_DEP_1)
	v_mul_f32_e32 v5, 0x2f800000, v4
	v_trunc_f32_e32 v5, v5
	s_delay_alu instid0(VALU_DEP_1) | instskip(SKIP_1) | instid1(VALU_DEP_2)
	v_fmac_f32_e32 v4, 0xcf800000, v5
	v_cvt_u32_f32_e32 v5, v5
	v_cvt_u32_f32_e32 v4, v4
	s_delay_alu instid0(VALU_DEP_2) | instskip(NEXT) | instid1(VALU_DEP_2)
	v_readfirstlane_b32 s7, v5
	v_readfirstlane_b32 s12, v4
	s_delay_alu instid0(VALU_DEP_2) | instskip(NEXT) | instid1(VALU_DEP_1)
	s_mul_i32 s97, s70, s7
	s_mul_hi_u32 s99, s70, s12
	s_mul_i32 s98, s71, s12
	s_add_i32 s97, s99, s97
	s_mul_i32 s100, s70, s12
	s_add_i32 s97, s97, s98
	s_mul_hi_u32 s99, s12, s100
	s_mul_hi_u32 s101, s7, s100
	s_mul_i32 s98, s7, s100
	s_mul_hi_u32 s100, s12, s97
	s_mul_i32 s12, s12, s97
	s_mul_hi_u32 s102, s7, s97
	s_add_u32 s12, s99, s12
	s_addc_u32 s99, 0, s100
	s_add_u32 s12, s12, s98
	s_mul_i32 s97, s7, s97
	s_addc_u32 s12, s99, s101
	s_addc_u32 s98, s102, 0
	s_add_u32 s12, s12, s97
	s_addc_u32 s97, 0, s98
	v_add_co_u32 v4, s12, v4, s12
	s_delay_alu instid0(VALU_DEP_1) | instskip(SKIP_1) | instid1(VALU_DEP_1)
	s_cmp_lg_u32 s12, 0
	s_addc_u32 s7, s7, s97
	v_readfirstlane_b32 s12, v4
	s_mul_i32 s97, s70, s7
	s_delay_alu instid0(VALU_DEP_1)
	s_mul_hi_u32 s98, s70, s12
	s_mul_i32 s71, s71, s12
	s_add_i32 s97, s98, s97
	s_mul_i32 s70, s70, s12
	s_add_i32 s97, s97, s71
	s_mul_hi_u32 s98, s7, s70
	s_mul_i32 s99, s7, s70
	s_mul_hi_u32 s70, s12, s70
	s_mul_hi_u32 s100, s12, s97
	s_mul_i32 s12, s12, s97
	s_mul_hi_u32 s71, s7, s97
	s_add_u32 s12, s70, s12
	s_addc_u32 s70, 0, s100
	s_add_u32 s12, s12, s99
	s_mul_i32 s97, s7, s97
	s_addc_u32 s12, s70, s98
	s_addc_u32 s70, s71, 0
	s_add_u32 s12, s12, s97
	s_addc_u32 s70, 0, s70
	v_add_co_u32 v4, s12, v4, s12
	s_delay_alu instid0(VALU_DEP_1) | instskip(SKIP_1) | instid1(VALU_DEP_1)
	s_cmp_lg_u32 s12, 0
	s_addc_u32 s7, s7, s70
	v_readfirstlane_b32 s12, v4
	s_mul_i32 s71, s26, s7
	s_mul_hi_u32 s70, s26, s7
	s_mul_hi_u32 s97, s13, s7
	s_mul_i32 s7, s13, s7
	s_mul_hi_u32 s98, s26, s12
	s_mul_hi_u32 s99, s13, s12
	s_mul_i32 s12, s13, s12
	s_add_u32 s71, s98, s71
	s_addc_u32 s70, 0, s70
	s_add_u32 s12, s71, s12
	s_addc_u32 s12, s70, s99
	s_addc_u32 s70, s97, 0
	s_add_u32 s7, s12, s7
	s_addc_u32 s12, 0, s70
	s_mul_hi_u32 s70, s49, s7
	s_mul_i32 s7, s49, s7
	s_mul_i32 s12, s49, s12
	v_sub_co_u32 v4, s7, s26, s7
	s_add_i32 s70, s70, s12
	s_cmp_lg_u32 s7, 0
	s_delay_alu instid0(VALU_DEP_1) | instskip(SKIP_2) | instid1(VALU_DEP_1)
	v_sub_co_u32 v5, s7, v4, s49
	s_subb_u32 s12, s13, s70
	s_cmp_lg_u32 s7, 0
	v_cmp_le_u32_e32 vcc_lo, s49, v5
	v_sub_co_u32 v6, s7, v5, s49
	s_subb_u32 s70, s12, 0
	s_cmp_lg_u32 s7, 0
	v_cndmask_b32_e64 v7, 0, -1, vcc_lo
	s_subb_u32 s7, s70, 0
	s_cmp_eq_u32 s70, 0
	v_mov_b32_e32 v9, s7
	s_cselect_b32 vcc_lo, -1, 0
	s_cmp_eq_u32 s12, 0
	v_cndmask_b32_e32 v7, -1, v7, vcc_lo
	v_cmp_le_u32_e32 vcc_lo, s49, v4
	s_cselect_b32 s7, -1, 0
	v_cndmask_b32_e64 v8, 0, -1, vcc_lo
	s_delay_alu instid0(VALU_DEP_3) | instskip(NEXT) | instid1(VALU_DEP_2)
	v_cmp_ne_u32_e32 vcc_lo, 0, v7
	v_cndmask_b32_e64 v7, -1, v8, s7
	v_cndmask_b32_e32 v8, s70, v9, vcc_lo
	v_cndmask_b32_e32 v6, v5, v6, vcc_lo
	s_mov_b32 s7, 0
	s_delay_alu instid0(VALU_DEP_3) | instskip(NEXT) | instid1(VALU_DEP_3)
	v_cmp_ne_u32_e32 vcc_lo, 0, v7
	v_cndmask_b32_e32 v5, s12, v8, vcc_lo
	s_delay_alu instid0(VALU_DEP_3)
	v_cndmask_b32_e32 v4, v4, v6, vcc_lo
	s_branch .LBB207_427
.LBB207_423:                            ;   in Loop: Header=BB207_12 Depth=1
                                        ; implicit-def: $vgpr2_vgpr3
	s_branch .LBB207_377
.LBB207_424:                            ;   in Loop: Header=BB207_12 Depth=1
                                        ; implicit-def: $vgpr2_vgpr3
	s_branch .LBB207_393
.LBB207_425:                            ;   in Loop: Header=BB207_12 Depth=1
	s_mov_b32 s7, -1
	s_mov_b32 s13, 0
                                        ; implicit-def: $sgpr8
                                        ; implicit-def: $vgpr32
	s_branch .LBB207_439
.LBB207_426:                            ;   in Loop: Header=BB207_12 Depth=1
	s_mov_b32 s7, -1
                                        ; implicit-def: $vgpr4_vgpr5
.LBB207_427:                            ;   in Loop: Header=BB207_12 Depth=1
	s_delay_alu instid0(SALU_CYCLE_1)
	s_and_not1_b32 vcc_lo, exec_lo, s7
	s_cbranch_vccnz .LBB207_429
; %bb.428:                              ;   in Loop: Header=BB207_12 Depth=1
	v_cvt_f32_u32_e32 v4, s49
	s_sub_i32 s7, 0, s49
	s_delay_alu instid0(VALU_DEP_1) | instskip(SKIP_2) | instid1(VALU_DEP_1)
	v_rcp_iflag_f32_e32 v4, v4
	s_waitcnt_depctr 0xfff
	v_mul_f32_e32 v4, 0x4f7ffffe, v4
	v_cvt_u32_f32_e32 v4, v4
	s_delay_alu instid0(VALU_DEP_1) | instskip(NEXT) | instid1(VALU_DEP_1)
	v_mul_lo_u32 v5, s7, v4
	v_mul_hi_u32 v5, v4, v5
	s_delay_alu instid0(VALU_DEP_1) | instskip(NEXT) | instid1(VALU_DEP_1)
	v_add_nc_u32_e32 v4, v4, v5
	v_mul_hi_u32 v4, s26, v4
	s_delay_alu instid0(VALU_DEP_1) | instskip(NEXT) | instid1(VALU_DEP_1)
	v_mul_lo_u32 v4, v4, s49
	v_sub_nc_u32_e32 v4, s26, v4
	s_delay_alu instid0(VALU_DEP_1) | instskip(SKIP_1) | instid1(VALU_DEP_2)
	v_subrev_nc_u32_e32 v5, s49, v4
	v_cmp_le_u32_e32 vcc_lo, s49, v4
	v_cndmask_b32_e32 v4, v4, v5, vcc_lo
	s_delay_alu instid0(VALU_DEP_1) | instskip(SKIP_1) | instid1(VALU_DEP_2)
	v_subrev_nc_u32_e32 v5, s49, v4
	v_cmp_le_u32_e32 vcc_lo, s49, v4
	v_cndmask_b32_e32 v12, v4, v5, vcc_lo
	s_delay_alu instid0(VALU_DEP_1)
	v_dual_mov_b32 v4, v12 :: v_dual_mov_b32 v5, v13
.LBB207_429:                            ;   in Loop: Header=BB207_12 Depth=1
	s_delay_alu instid0(VALU_DEP_1) | instskip(NEXT) | instid1(VALU_DEP_2)
	v_sub_co_u32 v4, vcc_lo, s26, v4
	v_sub_co_ci_u32_e32 v5, vcc_lo, s13, v5, vcc_lo
	s_mov_b32 s13, 0
	s_mov_b32 s12, exec_lo
                                        ; implicit-def: $vgpr32
	s_delay_alu instid0(VALU_DEP_1)
	v_cmpx_gt_u64_e64 v[4:5], v[0:1]
	s_cbranch_execz .LBB207_438
; %bb.430:                              ;   in Loop: Header=BB207_12 Depth=1
	v_mov_b32_e32 v8, v25
	v_dual_mov_b32 v7, v1 :: v_dual_mov_b32 v6, v0
                                        ; implicit-def: $sgpr26
	s_set_inst_prefetch_distance 0x1
	s_branch .LBB207_432
	.p2align	6
.LBB207_431:                            ;   in Loop: Header=BB207_432 Depth=2
	s_or_b32 exec_lo, exec_lo, s7
	s_waitcnt lgkmcnt(0)
	s_barrier
	buffer_gl0_inv
	ds_load_b32 v9, v13 offset:3072
	v_add_co_u32 v6, vcc_lo, v6, s49
	v_add_co_ci_u32_e32 v7, vcc_lo, 0, v7, vcc_lo
	v_add_nc_u32_e32 v8, s82, v8
	s_waitcnt lgkmcnt(0)
	s_barrier
	s_delay_alu instid0(VALU_DEP_2) | instskip(SKIP_2) | instid1(VALU_DEP_1)
	v_cmp_ge_u64_e32 vcc_lo, v[6:7], v[4:5]
	buffer_gl0_inv
	v_cmp_neq_f16_e64 s7, 0, v9
	s_or_b32 s70, vcc_lo, s7
	s_delay_alu instid0(SALU_CYCLE_1) | instskip(NEXT) | instid1(SALU_CYCLE_1)
	s_and_b32 s70, exec_lo, s70
	s_or_b32 s13, s70, s13
	s_and_not1_b32 s26, s26, exec_lo
	s_and_b32 s7, s7, exec_lo
	s_delay_alu instid0(SALU_CYCLE_1)
	s_or_b32 s26, s26, s7
	s_and_not1_b32 exec_lo, exec_lo, s13
	s_cbranch_execz .LBB207_437
.LBB207_432:                            ;   Parent Loop BB207_12 Depth=1
                                        ; =>  This Inner Loop Header: Depth=2
	s_delay_alu instid0(VALU_DEP_1)
	v_cmp_gt_u64_e32 vcc_lo, s[8:9], v[6:7]
	v_mov_b32_e32 v9, 0
	s_and_saveexec_b32 s7, vcc_lo
	s_cbranch_execz .LBB207_434
; %bb.433:                              ;   in Loop: Header=BB207_432 Depth=2
	ds_load_u16 v9, v8
.LBB207_434:                            ;   in Loop: Header=BB207_432 Depth=2
	s_or_b32 exec_lo, exec_lo, s7
	s_and_saveexec_b32 s7, vcc_lo
	s_cbranch_execz .LBB207_431
; %bb.435:                              ;   in Loop: Header=BB207_432 Depth=2
	s_waitcnt lgkmcnt(0)
	v_cmp_lt_i16_e32 vcc_lo, -1, v9
	v_and_b32_e32 v12, 0xffff, v9
	v_cndmask_b32_e32 v16, 0xffff, v29, vcc_lo
	v_cmp_o_f16_e32 vcc_lo, v9, v9
	s_delay_alu instid0(VALU_DEP_2) | instskip(NEXT) | instid1(VALU_DEP_1)
	v_xor_b32_e32 v12, v16, v12
	v_cndmask_b32_e32 v12, 0xffff, v12, vcc_lo
	s_delay_alu instid0(VALU_DEP_1) | instskip(NEXT) | instid1(VALU_DEP_1)
	v_and_b32_e32 v12, v12, v30
	v_cmp_eq_u32_e32 vcc_lo, v12, v31
	s_and_b32 exec_lo, exec_lo, vcc_lo
	s_cbranch_execz .LBB207_431
; %bb.436:                              ;   in Loop: Header=BB207_432 Depth=2
	v_perm_b32 v9, v9, s85, 0x5040100
	ds_store_b32 v13, v9 offset:3072
	s_branch .LBB207_431
.LBB207_437:                            ;   in Loop: Header=BB207_12 Depth=1
	s_set_inst_prefetch_distance 0x2
	s_or_b32 exec_lo, exec_lo, s13
	v_lshrrev_b32_e32 v32, 16, v9
	s_and_b32 s13, s26, exec_lo
.LBB207_438:                            ;   in Loop: Header=BB207_12 Depth=1
	s_or_b32 exec_lo, exec_lo, s12
	s_mov_b32 s7, 0
	s_mov_b32 s8, -1
.LBB207_439:                            ;   in Loop: Header=BB207_12 Depth=1
	s_and_b32 vcc_lo, exec_lo, s7
	s_mov_b32 s9, s7
	s_cbranch_vccz .LBB207_455
; %bb.440:                              ;   in Loop: Header=BB207_12 Depth=1
	s_mov_b32 s26, s59
	s_delay_alu instid0(SALU_CYCLE_1)
	s_cmp_lg_u64 s[26:27], 0
	s_cbranch_scc0 .LBB207_442
; %bb.441:                              ;   in Loop: Header=BB207_12 Depth=1
	v_cvt_f32_u32_e32 v4, s49
	s_sub_u32 s9, 0, s49
	s_subb_u32 s12, 0, 0
	s_delay_alu instid0(VALU_DEP_1) | instskip(NEXT) | instid1(VALU_DEP_1)
	v_fmac_f32_e64 v4, 0, 0x4f800000
	v_rcp_f32_e32 v4, v4
	s_waitcnt_depctr 0xfff
	v_mul_f32_e32 v4, 0x5f7ffffc, v4
	s_delay_alu instid0(VALU_DEP_1) | instskip(NEXT) | instid1(VALU_DEP_1)
	v_mul_f32_e32 v5, 0x2f800000, v4
	v_trunc_f32_e32 v5, v5
	s_delay_alu instid0(VALU_DEP_1) | instskip(SKIP_1) | instid1(VALU_DEP_2)
	v_fmac_f32_e32 v4, 0xcf800000, v5
	v_cvt_u32_f32_e32 v5, v5
	v_cvt_u32_f32_e32 v4, v4
	s_delay_alu instid0(VALU_DEP_2) | instskip(NEXT) | instid1(VALU_DEP_2)
	v_readfirstlane_b32 s7, v5
	v_readfirstlane_b32 s8, v4
	s_delay_alu instid0(VALU_DEP_2) | instskip(NEXT) | instid1(VALU_DEP_1)
	s_mul_i32 s13, s9, s7
	s_mul_hi_u32 s70, s9, s8
	s_mul_i32 s26, s12, s8
	s_add_i32 s13, s70, s13
	s_mul_i32 s71, s9, s8
	s_add_i32 s13, s13, s26
	s_mul_hi_u32 s70, s8, s71
	s_mul_hi_u32 s97, s7, s71
	s_mul_i32 s26, s7, s71
	s_mul_hi_u32 s71, s8, s13
	s_mul_i32 s8, s8, s13
	s_mul_hi_u32 s98, s7, s13
	s_add_u32 s8, s70, s8
	s_addc_u32 s70, 0, s71
	s_add_u32 s8, s8, s26
	s_mul_i32 s13, s7, s13
	s_addc_u32 s8, s70, s97
	s_addc_u32 s26, s98, 0
	s_add_u32 s8, s8, s13
	s_addc_u32 s13, 0, s26
	v_add_co_u32 v4, s8, v4, s8
	s_delay_alu instid0(VALU_DEP_1) | instskip(SKIP_1) | instid1(VALU_DEP_1)
	s_cmp_lg_u32 s8, 0
	s_addc_u32 s7, s7, s13
	v_readfirstlane_b32 s8, v4
	s_mul_i32 s13, s9, s7
	s_delay_alu instid0(VALU_DEP_1)
	s_mul_hi_u32 s26, s9, s8
	s_mul_i32 s12, s12, s8
	s_add_i32 s13, s26, s13
	s_mul_i32 s9, s9, s8
	s_add_i32 s13, s13, s12
	s_mul_hi_u32 s26, s7, s9
	s_mul_i32 s70, s7, s9
	s_mul_hi_u32 s9, s8, s9
	s_mul_hi_u32 s71, s8, s13
	s_mul_i32 s8, s8, s13
	s_mul_hi_u32 s12, s7, s13
	s_add_u32 s8, s9, s8
	s_addc_u32 s9, 0, s71
	s_add_u32 s8, s8, s70
	s_mul_i32 s13, s7, s13
	s_addc_u32 s8, s9, s26
	s_addc_u32 s9, s12, 0
	s_add_u32 s8, s8, s13
	s_addc_u32 s9, 0, s9
	v_add_co_u32 v4, s8, v4, s8
	s_delay_alu instid0(VALU_DEP_1) | instskip(SKIP_1) | instid1(VALU_DEP_1)
	s_cmp_lg_u32 s8, 0
	s_addc_u32 s7, s7, s9
	v_readfirstlane_b32 s8, v4
	s_mul_i32 s12, s76, s7
	s_mul_hi_u32 s9, s76, s7
	s_mul_hi_u32 s13, s27, s7
	s_mul_i32 s7, s27, s7
	s_mul_hi_u32 s26, s76, s8
	s_mul_hi_u32 s70, s27, s8
	s_mul_i32 s8, s27, s8
	s_add_u32 s12, s26, s12
	s_addc_u32 s9, 0, s9
	s_add_u32 s8, s12, s8
	s_addc_u32 s8, s9, s70
	s_addc_u32 s9, s13, 0
	s_add_u32 s7, s8, s7
	s_addc_u32 s8, 0, s9
	s_mul_hi_u32 s9, s49, s7
	s_mul_i32 s7, s49, s7
	s_mul_i32 s8, s49, s8
	v_sub_co_u32 v4, s7, s76, s7
	s_add_i32 s9, s9, s8
	s_cmp_lg_u32 s7, 0
	s_delay_alu instid0(VALU_DEP_1) | instskip(SKIP_2) | instid1(VALU_DEP_1)
	v_sub_co_u32 v5, s7, v4, s49
	s_subb_u32 s8, s27, s9
	s_cmp_lg_u32 s7, 0
	v_cmp_le_u32_e32 vcc_lo, s49, v5
	v_sub_co_u32 v6, s7, v5, s49
	s_subb_u32 s9, s8, 0
	s_cmp_lg_u32 s7, 0
	v_cndmask_b32_e64 v7, 0, -1, vcc_lo
	s_subb_u32 s7, s9, 0
	s_cmp_eq_u32 s9, 0
	v_mov_b32_e32 v9, s7
	s_cselect_b32 vcc_lo, -1, 0
	s_cmp_eq_u32 s8, 0
	v_cndmask_b32_e32 v7, -1, v7, vcc_lo
	v_cmp_le_u32_e32 vcc_lo, s49, v4
	s_cselect_b32 s7, -1, 0
	v_cndmask_b32_e64 v8, 0, -1, vcc_lo
	s_delay_alu instid0(VALU_DEP_3) | instskip(NEXT) | instid1(VALU_DEP_2)
	v_cmp_ne_u32_e32 vcc_lo, 0, v7
	v_cndmask_b32_e64 v7, -1, v8, s7
	v_cndmask_b32_e32 v8, s9, v9, vcc_lo
	v_cndmask_b32_e32 v6, v5, v6, vcc_lo
	s_mov_b32 s7, 0
	s_delay_alu instid0(VALU_DEP_3) | instskip(NEXT) | instid1(VALU_DEP_3)
	v_cmp_ne_u32_e32 vcc_lo, 0, v7
	v_cndmask_b32_e32 v5, s8, v8, vcc_lo
	s_delay_alu instid0(VALU_DEP_3)
	v_cndmask_b32_e32 v4, v4, v6, vcc_lo
	s_branch .LBB207_443
.LBB207_442:                            ;   in Loop: Header=BB207_12 Depth=1
	s_mov_b32 s7, -1
                                        ; implicit-def: $vgpr4_vgpr5
.LBB207_443:                            ;   in Loop: Header=BB207_12 Depth=1
	s_delay_alu instid0(SALU_CYCLE_1)
	s_and_not1_b32 vcc_lo, exec_lo, s7
	s_cbranch_vccnz .LBB207_445
; %bb.444:                              ;   in Loop: Header=BB207_12 Depth=1
	v_cvt_f32_u32_e32 v4, s49
	s_sub_i32 s7, 0, s49
	s_delay_alu instid0(VALU_DEP_1) | instskip(SKIP_2) | instid1(VALU_DEP_1)
	v_rcp_iflag_f32_e32 v4, v4
	s_waitcnt_depctr 0xfff
	v_mul_f32_e32 v4, 0x4f7ffffe, v4
	v_cvt_u32_f32_e32 v4, v4
	s_delay_alu instid0(VALU_DEP_1) | instskip(NEXT) | instid1(VALU_DEP_1)
	v_mul_lo_u32 v5, s7, v4
	v_mul_hi_u32 v5, v4, v5
	s_delay_alu instid0(VALU_DEP_1) | instskip(NEXT) | instid1(VALU_DEP_1)
	v_add_nc_u32_e32 v4, v4, v5
	v_mul_hi_u32 v4, s76, v4
	s_delay_alu instid0(VALU_DEP_1) | instskip(NEXT) | instid1(VALU_DEP_1)
	v_mul_lo_u32 v4, v4, s49
	v_sub_nc_u32_e32 v4, s76, v4
	s_delay_alu instid0(VALU_DEP_1) | instskip(SKIP_1) | instid1(VALU_DEP_2)
	v_subrev_nc_u32_e32 v5, s49, v4
	v_cmp_le_u32_e32 vcc_lo, s49, v4
	v_cndmask_b32_e32 v4, v4, v5, vcc_lo
	s_delay_alu instid0(VALU_DEP_1) | instskip(SKIP_1) | instid1(VALU_DEP_2)
	v_subrev_nc_u32_e32 v5, s49, v4
	v_cmp_le_u32_e32 vcc_lo, s49, v4
	v_cndmask_b32_e32 v12, v4, v5, vcc_lo
	s_delay_alu instid0(VALU_DEP_1)
	v_dual_mov_b32 v4, v12 :: v_dual_mov_b32 v5, v13
.LBB207_445:                            ;   in Loop: Header=BB207_12 Depth=1
	s_delay_alu instid0(VALU_DEP_1) | instskip(NEXT) | instid1(VALU_DEP_2)
	v_sub_co_u32 v4, vcc_lo, s76, v4
	v_sub_co_ci_u32_e32 v5, vcc_lo, s27, v5, vcc_lo
	s_mov_b32 s13, 0
	s_mov_b32 s8, exec_lo
                                        ; implicit-def: $vgpr32
	s_delay_alu instid0(VALU_DEP_1)
	v_cmpx_gt_u64_e64 v[4:5], v[0:1]
	s_cbranch_execz .LBB207_454
; %bb.446:                              ;   in Loop: Header=BB207_12 Depth=1
	v_dual_mov_b32 v7, v1 :: v_dual_mov_b32 v6, v0
	s_mov_b32 s9, 0
                                        ; implicit-def: $sgpr12
	s_branch .LBB207_448
.LBB207_447:                            ;   in Loop: Header=BB207_448 Depth=2
	s_or_b32 exec_lo, exec_lo, s7
	s_waitcnt vmcnt(0) lgkmcnt(0)
	s_barrier
	buffer_gl0_inv
	ds_load_b32 v8, v13 offset:3072
	v_add_co_u32 v6, vcc_lo, v6, s49
	v_add_co_ci_u32_e32 v7, vcc_lo, 0, v7, vcc_lo
	s_waitcnt lgkmcnt(0)
	s_barrier
	buffer_gl0_inv
	v_cmp_ge_u64_e32 vcc_lo, v[6:7], v[4:5]
	v_cmp_neq_f16_e64 s7, 0, v8
	s_delay_alu instid0(VALU_DEP_1) | instskip(NEXT) | instid1(SALU_CYCLE_1)
	s_or_b32 s13, vcc_lo, s7
	s_and_b32 s13, exec_lo, s13
	s_delay_alu instid0(SALU_CYCLE_1) | instskip(SKIP_2) | instid1(SALU_CYCLE_1)
	s_or_b32 s9, s13, s9
	s_and_not1_b32 s12, s12, exec_lo
	s_and_b32 s7, s7, exec_lo
	s_or_b32 s12, s12, s7
	s_and_not1_b32 exec_lo, exec_lo, s9
	s_cbranch_execz .LBB207_453
.LBB207_448:                            ;   Parent Loop BB207_12 Depth=1
                                        ; =>  This Inner Loop Header: Depth=2
	s_delay_alu instid0(VALU_DEP_1)
	v_cmp_gt_u64_e32 vcc_lo, s[36:37], v[6:7]
	v_mov_b32_e32 v8, 0
	s_and_saveexec_b32 s13, vcc_lo
	s_cbranch_execz .LBB207_450
; %bb.449:                              ;   in Loop: Header=BB207_448 Depth=2
	v_mul_lo_u32 v12, v7, s30
	v_mul_lo_u32 v16, v6, s31
	v_mad_u64_u32 v[8:9], null, v6, s30, 0
	s_delay_alu instid0(VALU_DEP_1) | instskip(NEXT) | instid1(VALU_DEP_1)
	v_add3_u32 v9, v9, v16, v12
	v_lshlrev_b64 v[8:9], 1, v[8:9]
	s_delay_alu instid0(VALU_DEP_1) | instskip(NEXT) | instid1(VALU_DEP_1)
	v_add_co_u32 v8, s7, s33, v8
	v_add_co_ci_u32_e64 v9, s7, s35, v9, s7
	global_load_u16 v8, v[8:9], off
.LBB207_450:                            ;   in Loop: Header=BB207_448 Depth=2
	s_or_b32 exec_lo, exec_lo, s13
	s_and_saveexec_b32 s7, vcc_lo
	s_cbranch_execz .LBB207_447
; %bb.451:                              ;   in Loop: Header=BB207_448 Depth=2
	s_waitcnt vmcnt(0)
	v_cmp_lt_i16_e32 vcc_lo, -1, v8
	v_dual_cndmask_b32 v12, 0xffff, v29 :: v_dual_and_b32 v9, 0xffff, v8
	v_cmp_o_f16_e32 vcc_lo, v8, v8
	s_delay_alu instid0(VALU_DEP_2) | instskip(NEXT) | instid1(VALU_DEP_1)
	v_xor_b32_e32 v9, v12, v9
	v_cndmask_b32_e32 v9, 0xffff, v9, vcc_lo
	s_delay_alu instid0(VALU_DEP_1) | instskip(NEXT) | instid1(VALU_DEP_1)
	v_and_b32_e32 v9, v9, v30
	v_cmp_eq_u32_e32 vcc_lo, v9, v31
	s_and_b32 exec_lo, exec_lo, vcc_lo
	s_cbranch_execz .LBB207_447
; %bb.452:                              ;   in Loop: Header=BB207_448 Depth=2
	v_perm_b32 v8, v8, s85, 0x5040100
	ds_store_b32 v13, v8 offset:3072
	s_branch .LBB207_447
.LBB207_453:                            ;   in Loop: Header=BB207_12 Depth=1
	s_or_b32 exec_lo, exec_lo, s9
	v_lshrrev_b32_e32 v32, 16, v8
	s_and_b32 s13, s12, exec_lo
.LBB207_454:                            ;   in Loop: Header=BB207_12 Depth=1
	s_or_b32 exec_lo, exec_lo, s8
	s_mov_b32 s8, 0
	s_mov_b32 s7, -1
	s_mov_b32 s9, 0
.LBB207_455:                            ;   in Loop: Header=BB207_12 Depth=1
	s_or_not1_b32 s13, s13, exec_lo
.LBB207_456:                            ;   in Loop: Header=BB207_12 Depth=1
	s_or_b32 exec_lo, exec_lo, s69
	s_mov_b32 s26, 0
                                        ; implicit-def: $vgpr7
                                        ; implicit-def: $vgpr4_vgpr5
	s_and_saveexec_b32 s12, s13
	s_cbranch_execz .LBB207_468
; %bb.457:                              ;   in Loop: Header=BB207_12 Depth=1
	v_dual_mov_b32 v4, 1 :: v_dual_mov_b32 v7, 1
	v_mov_b32_e32 v5, 0
	s_xor_b32 s26, s68, -1
	s_delay_alu instid0(SALU_CYCLE_1)
	s_and_saveexec_b32 s13, s26
	s_cbranch_execz .LBB207_467
; %bb.458:                              ;   in Loop: Header=BB207_12 Depth=1
	s_mov_b32 s26, exec_lo
                                        ; implicit-def: $sgpr68
	v_cmpx_ge_u64_e64 s[10:11], v[2:3]
	s_xor_b32 s26, exec_lo, s26
	s_cbranch_execz .LBB207_464
; %bb.459:                              ;   in Loop: Header=BB207_12 Depth=1
	ds_load_b64 v[4:5], v13 offset:5120
	s_waitcnt lgkmcnt(0)
	v_cmp_ne_u64_e32 vcc_lo, 0, v[4:5]
	s_cbranch_vccnz .LBB207_463
; %bb.460:                              ;   in Loop: Header=BB207_12 Depth=1
	s_and_saveexec_b32 s68, s5
	s_cbranch_execz .LBB207_462
; %bb.461:                              ;   in Loop: Header=BB207_12 Depth=1
	v_dual_mov_b32 v4, s10 :: v_dual_mov_b32 v5, s11
	ds_store_b64 v13, v[4:5] offset:5128
.LBB207_462:                            ;   in Loop: Header=BB207_12 Depth=1
	s_or_b32 exec_lo, exec_lo, s68
	s_waitcnt lgkmcnt(0)
	s_barrier
	buffer_gl0_inv
.LBB207_463:                            ;   in Loop: Header=BB207_12 Depth=1
	v_and_b32_e32 v31, s21, v31
	v_or_b32_e32 v30, s20, v30
	s_mov_b32 s68, 5
.LBB207_464:                            ;   in Loop: Header=BB207_12 Depth=1
	s_or_saveexec_b32 s20, s26
	v_mov_b32_e32 v7, s68
	s_xor_b32 exec_lo, exec_lo, s20
; %bb.465:                              ;   in Loop: Header=BB207_12 Depth=1
	v_sub_co_u32 v2, vcc_lo, v2, s10
	v_subrev_co_ci_u32_e32 v3, vcc_lo, s11, v3, vcc_lo
	v_mov_b32_e32 v7, 5
; %bb.466:                              ;   in Loop: Header=BB207_12 Depth=1
	s_or_b32 exec_lo, exec_lo, s20
	s_delay_alu instid0(VALU_DEP_2)
	v_dual_mov_b32 v5, v3 :: v_dual_mov_b32 v4, v2
.LBB207_467:                            ;   in Loop: Header=BB207_12 Depth=1
	s_or_b32 exec_lo, exec_lo, s13
	s_delay_alu instid0(SALU_CYCLE_1)
	s_mov_b32 s26, exec_lo
.LBB207_468:                            ;   in Loop: Header=BB207_12 Depth=1
	s_or_b32 exec_lo, exec_lo, s12
	s_delay_alu instid0(VALU_DEP_1)
	v_dual_mov_b32 v2, v4 :: v_dual_mov_b32 v3, v5
	s_or_not1_b32 s12, s26, exec_lo
.LBB207_469:                            ;   in Loop: Header=BB207_12 Depth=1
	s_or_b32 exec_lo, exec_lo, s22
	s_delay_alu instid0(SALU_CYCLE_1)
	s_and_not1_b32 s10, s14, exec_lo
	s_and_b32 s7, s7, exec_lo
	s_and_b32 s8, s8, exec_lo
	s_or_b32 s14, s10, s7
	s_and_not1_b32 s7, s15, exec_lo
	s_and_not1_b32 s10, s66, exec_lo
	s_and_b32 s9, s9, exec_lo
	v_dual_mov_b32 v5, v3 :: v_dual_mov_b32 v4, v2
	s_or_b32 s15, s7, s8
	s_or_b32 s66, s10, s9
	s_and_b32 s26, s12, exec_lo
.LBB207_470:                            ;   in Loop: Header=BB207_12 Depth=1
	s_or_b32 exec_lo, exec_lo, s67
	s_delay_alu instid0(SALU_CYCLE_1)
	s_and_b32 s14, s14, exec_lo
	s_and_b32 s9, s15, exec_lo
	;; [unrolled: 1-line block ×3, first 2 shown]
	s_or_not1_b32 s7, s26, exec_lo
.LBB207_471:                            ;   in Loop: Header=BB207_12 Depth=1
	s_or_b32 exec_lo, exec_lo, s65
	s_delay_alu instid0(SALU_CYCLE_1)
	s_and_not1_b32 s10, s16, exec_lo
	s_and_b32 s11, s14, exec_lo
	s_and_b32 s9, s9, exec_lo
	s_or_b32 s16, s10, s11
	s_and_not1_b32 s10, s17, exec_lo
	s_and_not1_b32 s11, s63, exec_lo
	s_and_b32 s8, s8, exec_lo
	v_dual_mov_b32 v2, v4 :: v_dual_mov_b32 v3, v5
	s_or_b32 s17, s10, s9
	s_or_b32 s63, s11, s8
	s_and_b32 s26, s7, exec_lo
.LBB207_472:                            ;   in Loop: Header=BB207_12 Depth=1
	s_or_b32 exec_lo, exec_lo, s64
	s_delay_alu instid0(SALU_CYCLE_1)
	s_and_b32 s16, s16, exec_lo
	s_and_b32 s9, s17, exec_lo
	;; [unrolled: 1-line block ×3, first 2 shown]
	s_or_not1_b32 s17, s26, exec_lo
.LBB207_473:                            ;   in Loop: Header=BB207_12 Depth=1
	s_or_b32 exec_lo, exec_lo, s62
	s_mov_b32 s7, s25
	s_mov_b32 s10, s24
	s_and_saveexec_b32 s11, s17
; %bb.474:                              ;   in Loop: Header=BB207_12 Depth=1
	v_cmp_eq_u32_e32 vcc_lo, 5, v7
	v_cmp_ne_u32_e64 s7, 5, v7
	s_and_not1_b32 s10, s24, exec_lo
	s_and_not1_b32 s12, s25, exec_lo
	;; [unrolled: 1-line block ×3, first 2 shown]
	s_and_b32 s13, vcc_lo, exec_lo
	s_and_b32 s7, s7, exec_lo
	s_and_not1_b32 s9, s9, exec_lo
	s_and_not1_b32 s8, s8, exec_lo
	s_or_b32 s10, s10, s7
	s_or_b32 s7, s12, s13
; %bb.475:                              ;   in Loop: Header=BB207_12 Depth=1
	s_or_b32 exec_lo, exec_lo, s11
	s_delay_alu instid0(SALU_CYCLE_1)
	s_and_not1_b32 s11, s18, exec_lo
	s_and_b32 s12, s16, exec_lo
	s_and_b32 s9, s9, exec_lo
	s_or_b32 s18, s11, s12
	s_and_not1_b32 s11, s19, exec_lo
	s_and_not1_b32 s12, s23, exec_lo
	s_and_b32 s8, s8, exec_lo
	v_dual_mov_b32 v8, v31 :: v_dual_mov_b32 v9, v30
	v_mov_b32_e32 v6, v32
	s_or_b32 s19, s11, s9
	s_or_b32 s23, s12, s8
	s_and_not1_b32 s8, s24, exec_lo
	s_and_b32 s9, s10, exec_lo
	s_and_not1_b32 s10, s25, exec_lo
	s_and_b32 s7, s7, exec_lo
	s_or_b32 s24, s8, s9
	s_or_b32 s25, s10, s7
.LBB207_476:                            ;   in Loop: Header=BB207_12 Depth=1
	s_or_b32 exec_lo, exec_lo, s58
	s_mov_b32 s62, s23
	s_mov_b32 s58, s23
	s_and_saveexec_b32 s7, s25
.LBB207_477:                            ;   in Loop: Header=BB207_12 Depth=1
	v_mov_b32_e32 v7, 0
	s_and_not1_b32 s23, s23, exec_lo
	s_and_not1_b32 s18, s18, exec_lo
	;; [unrolled: 1-line block ×5, first 2 shown]
	s_or_b32 s24, s24, exec_lo
.LBB207_478:                            ;   in Loop: Header=BB207_12 Depth=1
	s_or_b32 exec_lo, exec_lo, s7
	s_delay_alu instid0(SALU_CYCLE_1)
	s_and_not1_b32 s7, s96, exec_lo
	s_and_b32 s9, s23, exec_lo
	s_and_not1_b32 s10, s93, exec_lo
	s_or_b32 s96, s7, s9
	s_and_not1_b32 s7, s95, exec_lo
	s_and_b32 s9, s18, exec_lo
	s_and_b32 s11, s19, exec_lo
	s_or_b32 s95, s7, s9
	s_or_b32 s93, s10, s11
	s_and_not1_b32 s7, s94, exec_lo
	s_and_b32 s9, s62, exec_lo
	s_and_not1_b32 s10, s92, exec_lo
	s_and_b32 s11, s58, exec_lo
	s_mov_b32 s8, -1
	s_or_b32 s94, s7, s9
	s_or_b32 s92, s10, s11
                                        ; implicit-def: $vgpr30
                                        ; implicit-def: $vgpr31
                                        ; implicit-def: $vgpr16_vgpr17
                                        ; implicit-def: $vgpr32
	s_and_saveexec_b32 s7, s24
	s_delay_alu instid0(SALU_CYCLE_1)
	s_xor_b32 s7, exec_lo, s7
	s_cbranch_execz .LBB207_11
; %bb.479:                              ;   in Loop: Header=BB207_12 Depth=1
	s_mov_b32 s9, -1
	s_mov_b32 s10, exec_lo
	v_cmpx_eq_u32_e32 0, v7
	s_cbranch_execz .LBB207_10
; %bb.480:                              ;   in Loop: Header=BB207_12 Depth=1
	s_xor_b32 s87, s87, 1
	s_add_i32 s11, s83, -2
	s_cmp_eq_u32 s83, 0
	s_mov_b32 s83, s11
	s_cselect_b32 s8, -1, 0
	s_xor_b32 s9, exec_lo, -1
	s_or_not1_b32 s8, s8, exec_lo
	s_branch .LBB207_10
.LBB207_481:
	s_or_b32 exec_lo, exec_lo, s84
	s_xor_b32 s7, s91, -1
	s_xor_b32 s9, s89, -1
	s_xor_b32 s10, s90, -1
	s_xor_b32 s11, s86, -1
	s_xor_b32 s6, s88, -1
	s_mov_b32 s8, 0
	s_and_saveexec_b32 s12, s11
	s_delay_alu instid0(SALU_CYCLE_1)
	s_xor_b32 s12, exec_lo, s12
	s_cbranch_execz .LBB207_540
; %bb.482:
	s_and_saveexec_b32 s11, s10
	s_delay_alu instid0(SALU_CYCLE_1)
	s_xor_b32 s13, exec_lo, s11
	s_cbranch_execz .LBB207_538
; %bb.483:
	;; [unrolled: 5-line block ×4, first 2 shown]
	s_and_saveexec_b32 s7, s6
	s_delay_alu instid0(SALU_CYCLE_1)
	s_xor_b32 s6, exec_lo, s7
; %bb.486:
	v_and_b32_e32 v2, 0x8000, v8
	v_mov_b32_e32 v3, 0xffff
	s_delay_alu instid0(VALU_DEP_2) | instskip(NEXT) | instid1(VALU_DEP_2)
	v_cmp_eq_u32_e32 vcc_lo, 0, v2
	v_cndmask_b32_e32 v2, 0x8000, v3, vcc_lo
	s_delay_alu instid0(VALU_DEP_1)
	v_xor_b32_e32 v6, v2, v8
; %bb.487:
	s_or_b32 exec_lo, exec_lo, s6
	s_and_saveexec_b32 s6, s5
	s_cbranch_execz .LBB207_489
; %bb.488:
	v_mov_b32_e32 v2, 0
	s_delay_alu instid0(VALU_DEP_1)
	v_mov_b32_e32 v3, v2
	ds_store_b64 v2, v[2:3] offset:5136
.LBB207_489:
	s_or_b32 exec_lo, exec_lo, s6
	v_mov_b32_e32 v16, 0
	s_waitcnt lgkmcnt(0)
	s_barrier
	buffer_gl0_inv
	s_and_saveexec_b32 s5, s4
	s_cbranch_execz .LBB207_491
; %bb.490:
	global_load_u16 v16, v[10:11], off
.LBB207_491:
	s_or_b32 exec_lo, exec_lo, s5
	s_load_b128 s[24:27], s[0:1], 0x298
	s_add_u32 s5, s36, 31
	s_mul_i32 s8, s48, s51
	s_mul_hi_u32 s9, s48, s50
	s_mul_i32 s10, s48, s50
	s_addc_u32 s7, s37, 0
	s_and_b32 s6, s5, 0xffffffe0
	s_add_i32 s9, s9, s8
	s_sub_u32 s5, s34, s10
	s_subb_u32 s9, 0, s9
	v_mov_b32_e32 v15, 0x8000
	v_cmp_lt_i16_e32 vcc_lo, -1, v6
	v_and_b32_e32 v2, 0xffff, v6
	s_mul_hi_u32 s22, s52, s44
	s_mov_b32 s21, -1
	v_cndmask_b32_e32 v3, 0xffff, v15, vcc_lo
	v_cmp_o_f16_e32 vcc_lo, v6, v6
	s_waitcnt lgkmcnt(0)
	s_mul_i32 s8, s5, s27
	s_mul_hi_u32 s10, s5, s26
	s_mul_i32 s9, s9, s26
	s_add_i32 s8, s10, s8
	s_mul_i32 s10, s48, s25
	s_mul_hi_u32 s11, s48, s24
	s_add_i32 s17, s8, s9
	s_mul_i32 s8, s52, s29
	s_mul_hi_u32 s9, s52, s28
	s_add_i32 s19, s11, s10
	s_mul_i32 s10, s52, s28
	s_add_i32 s9, s9, s8
	s_sub_u32 s20, s34, s10
	s_mul_i32 s16, s5, s26
	s_mul_i32 s5, s20, s47
	s_mul_hi_u32 s8, s20, s46
	s_subb_u32 s9, 0, s9
	s_add_i32 s5, s8, s5
	s_mul_i32 s9, s9, s46
	s_mul_i32 s18, s48, s24
	s_add_i32 s23, s5, s9
	s_clause 0x1
	s_load_b64 s[8:9], s[0:1], 0x368
	s_load_b64 s[10:11], s[0:1], 0x510
	s_mul_i32 s5, s52, s45
	s_lshl_b64 s[0:1], s[18:19], 1
	s_add_i32 s19, s22, s5
	s_add_u32 s5, s42, s0
	v_xor_b32_e32 v2, v3, v2
	s_addc_u32 s22, s43, s1
	s_lshl_b64 s[0:1], s[16:17], 1
	s_mul_i32 s18, s52, s44
	s_add_u32 s5, s5, s0
	s_addc_u32 s16, s22, s1
	s_lshl_b64 s[0:1], s[18:19], 3
	s_mul_i32 s22, s20, s46
	v_cndmask_b32_e32 v14, 0xffff, v2, vcc_lo
	s_add_u32 s17, s40, s0
	v_cmp_gt_u64_e32 vcc_lo, s[6:7], v[0:1]
	s_addc_u32 s18, s41, s1
	s_lshl_b64 s[0:1], s[22:23], 3
	s_mov_b32 s19, 0
	s_add_u32 s17, s17, s0
	s_addc_u32 s18, s18, s1
	s_mov_b32 s1, 0
	s_and_saveexec_b32 s20, vcc_lo
	s_cbranch_execz .LBB207_509
; %bb.492:
	v_mov_b32_e32 v9, v1
	v_dual_mov_b32 v3, 0 :: v_dual_mov_b32 v8, v0
	s_mov_b32 s21, 0
                                        ; implicit-def: $sgpr22
                                        ; implicit-def: $vgpr6_vgpr7
	s_branch .LBB207_494
.LBB207_493:                            ;   in Loop: Header=BB207_494 Depth=1
	s_or_b32 exec_lo, exec_lo, s23
	s_xor_b32 s0, s25, -1
	s_and_b32 s1, exec_lo, s1
	v_dual_mov_b32 v9, v5 :: v_dual_mov_b32 v8, v4
	s_or_b32 s21, s1, s21
	s_waitcnt vmcnt(0)
	v_mov_b32_e32 v16, v17
	s_and_not1_b32 s1, s22, exec_lo
	s_and_b32 s0, s0, exec_lo
	s_delay_alu instid0(SALU_CYCLE_1)
	s_or_b32 s22, s1, s0
	s_and_not1_b32 exec_lo, exec_lo, s21
	s_cbranch_execz .LBB207_508
.LBB207_494:                            ; =>This Inner Loop Header: Depth=1
	s_delay_alu instid0(VALU_DEP_1) | instskip(NEXT) | instid1(VALU_DEP_1)
	v_add_co_u32 v4, s0, v8, s49
	v_add_co_ci_u32_e64 v5, s0, 0, v9, s0
	v_mov_b32_e32 v17, 0
	s_mov_b32 s1, exec_lo
	s_delay_alu instid0(VALU_DEP_2)
	v_cmpx_gt_u64_e64 s[36:37], v[4:5]
	s_cbranch_execz .LBB207_496
; %bb.495:                              ;   in Loop: Header=BB207_494 Depth=1
	v_mul_lo_u32 v2, v5, s30
	v_mul_lo_u32 v17, v4, s31
	v_mad_u64_u32 v[12:13], null, v4, s30, 0
	s_delay_alu instid0(VALU_DEP_1) | instskip(NEXT) | instid1(VALU_DEP_1)
	v_add3_u32 v13, v13, v17, v2
	v_lshlrev_b64 v[12:13], 1, v[12:13]
	s_delay_alu instid0(VALU_DEP_1) | instskip(NEXT) | instid1(VALU_DEP_1)
	v_add_co_u32 v12, s0, s33, v12
	v_add_co_ci_u32_e64 v13, s0, s35, v13, s0
	global_load_u16 v17, v[12:13], off
.LBB207_496:                            ;   in Loop: Header=BB207_494 Depth=1
	s_or_b32 exec_lo, exec_lo, s1
	s_mov_b32 s23, 0
	s_mov_b32 s1, exec_lo
	v_cmpx_gt_u64_e64 s[36:37], v[8:9]
	s_cbranch_execz .LBB207_498
; %bb.497:                              ;   in Loop: Header=BB207_494 Depth=1
	s_waitcnt vmcnt(0)
	v_cmp_lt_i16_e64 s0, -1, v16
	v_and_b32_e32 v2, 0xffff, v16
	s_delay_alu instid0(VALU_DEP_2) | instskip(SKIP_1) | instid1(VALU_DEP_2)
	v_cndmask_b32_e64 v12, 0xffff, v15, s0
	v_cmp_o_f16_e64 s0, v16, v16
	v_xor_b32_e32 v2, v12, v2
	s_delay_alu instid0(VALU_DEP_1) | instskip(NEXT) | instid1(VALU_DEP_1)
	v_cndmask_b32_e64 v2, 0xffff, v2, s0
	v_cmp_gt_u32_e64 s0, v2, v14
	s_delay_alu instid0(VALU_DEP_1) | instskip(SKIP_1) | instid1(VALU_DEP_1)
	v_cndmask_b32_e64 v12, 0, 1, s0
	v_cmp_lt_u32_e64 s0, v2, v14
	v_cndmask_b32_e64 v2, 0, 1, s0
	s_delay_alu instid0(VALU_DEP_1) | instskip(NEXT) | instid1(VALU_DEP_1)
	v_cndmask_b32_e64 v2, v2, v12, s3
	v_and_b32_e32 v2, 1, v2
	s_delay_alu instid0(VALU_DEP_1) | instskip(NEXT) | instid1(VALU_DEP_1)
	v_cmp_eq_u32_e64 s0, 1, v2
	s_and_b32 s23, s0, exec_lo
.LBB207_498:                            ;   in Loop: Header=BB207_494 Depth=1
	s_or_b32 exec_lo, exec_lo, s1
	v_cndmask_b32_e64 v2, 0, 1, s23
	s_delay_alu instid0(VALU_DEP_1) | instskip(NEXT) | instid1(VALU_DEP_1)
	v_cmp_ne_u32_e64 s0, 0, v2
	s_cmp_lg_u32 s0, 0
	s_cselect_b32 s1, -1, 0
	s_delay_alu instid0(SALU_CYCLE_1) | instskip(NEXT) | instid1(SALU_CYCLE_1)
	s_and_b32 s1, s2, s1
	s_and_saveexec_b32 s24, s1
	s_cbranch_execz .LBB207_502
; %bb.499:                              ;   in Loop: Header=BB207_494 Depth=1
	s_mov_b32 s27, exec_lo
	s_bcnt1_i32_b32 s25, s0
	v_mbcnt_lo_u32_b32 v12, s27, 0
	s_mov_b32 s26, exec_lo
                                        ; implicit-def: $vgpr6_vgpr7
	s_delay_alu instid0(VALU_DEP_1)
	v_cmpx_eq_u32_e32 0, v12
	s_cbranch_execz .LBB207_501
; %bb.500:                              ;   in Loop: Header=BB207_494 Depth=1
	s_bcnt1_i32_b32 s1, s27
	s_delay_alu instid0(SALU_CYCLE_1) | instskip(NEXT) | instid1(SALU_CYCLE_1)
	s_mul_i32 s1, s25, s1
	v_mov_b32_e32 v2, s1
	s_waitcnt lgkmcnt(0)
	ds_add_rtn_u64 v[6:7], v3, v[2:3] offset:5136
.LBB207_501:                            ;   in Loop: Header=BB207_494 Depth=1
	s_or_b32 exec_lo, exec_lo, s26
	s_waitcnt lgkmcnt(0)
	v_readfirstlane_b32 s27, v7
	v_readfirstlane_b32 s26, v6
	s_delay_alu instid0(VALU_DEP_1)
	v_mad_u64_u32 v[6:7], null, s25, v12, s[26:27]
.LBB207_502:                            ;   in Loop: Header=BB207_494 Depth=1
	s_or_b32 exec_lo, exec_lo, s24
	s_waitcnt lgkmcnt(0)
	ds_bpermute_b32 v6, v3, v6
	ds_bpermute_b32 v7, v3, v7
	s_mov_b32 s1, -1
	s_mov_b32 s26, -1
                                        ; implicit-def: $sgpr25
	s_and_saveexec_b32 s24, s23
	s_cbranch_execz .LBB207_506
; %bb.503:                              ;   in Loop: Header=BB207_494 Depth=1
	v_and_b32_e32 v2, s0, v22
	s_mov_b32 s23, 0
	s_mov_b32 s25, exec_lo
	s_delay_alu instid0(VALU_DEP_1) | instskip(SKIP_1) | instid1(VALU_DEP_1)
	v_bcnt_u32_b32 v2, v2, 0
	s_waitcnt lgkmcnt(0)
	v_add_co_u32 v12, s0, v6, v2
	s_delay_alu instid0(VALU_DEP_1) | instskip(NEXT) | instid1(VALU_DEP_1)
	v_add_co_ci_u32_e64 v13, s0, 0, v7, s0
	v_cmpx_gt_u64_e64 s[38:39], v[12:13]
	s_cbranch_execz .LBB207_505
; %bb.504:                              ;   in Loop: Header=BB207_494 Depth=1
	v_mul_lo_u32 v2, v13, s8
	v_mul_lo_u32 v23, v12, s9
	v_mad_u64_u32 v[18:19], null, v12, s8, 0
	v_mul_lo_u32 v13, v13, s10
	v_mul_lo_u32 v24, v12, s11
	v_mad_u64_u32 v[20:21], null, v12, s10, 0
	s_mov_b32 s23, exec_lo
	s_delay_alu instid0(VALU_DEP_4) | instskip(NEXT) | instid1(VALU_DEP_2)
	v_add3_u32 v19, v19, v23, v2
	v_add3_u32 v21, v21, v24, v13
	s_delay_alu instid0(VALU_DEP_2) | instskip(NEXT) | instid1(VALU_DEP_2)
	v_lshlrev_b64 v[12:13], 1, v[18:19]
	v_lshlrev_b64 v[18:19], 3, v[20:21]
	s_delay_alu instid0(VALU_DEP_2) | instskip(NEXT) | instid1(VALU_DEP_1)
	v_add_co_u32 v12, s0, s5, v12
	v_add_co_ci_u32_e64 v13, s0, s16, v13, s0
	s_delay_alu instid0(VALU_DEP_3) | instskip(NEXT) | instid1(VALU_DEP_1)
	v_add_co_u32 v18, s0, s17, v18
	v_add_co_ci_u32_e64 v19, s0, s18, v19, s0
	s_waitcnt vmcnt(0)
	global_store_b16 v[12:13], v16, off
	global_store_b64 v[18:19], v[8:9], off
.LBB207_505:                            ;   in Loop: Header=BB207_494 Depth=1
	s_or_b32 exec_lo, exec_lo, s25
	s_mov_b32 s25, -1
	s_or_not1_b32 s26, s23, exec_lo
.LBB207_506:                            ;   in Loop: Header=BB207_494 Depth=1
	s_or_b32 exec_lo, exec_lo, s24
	s_and_saveexec_b32 s23, s26
	s_cbranch_execz .LBB207_493
; %bb.507:                              ;   in Loop: Header=BB207_494 Depth=1
	v_cmp_le_u64_e64 s0, s[6:7], v[4:5]
	s_and_not1_b32 s25, s25, exec_lo
	s_delay_alu instid0(VALU_DEP_1)
	s_or_not1_b32 s1, s0, exec_lo
	s_branch .LBB207_493
.LBB207_508:
	s_or_b32 exec_lo, exec_lo, s21
	s_delay_alu instid0(SALU_CYCLE_1)
	s_mov_b32 s1, exec_lo
	s_or_not1_b32 s21, s22, exec_lo
.LBB207_509:
	s_or_b32 exec_lo, exec_lo, s20
	s_and_saveexec_b32 s3, s21
	s_cbranch_execz .LBB207_532
; %bb.510:
	v_mov_b32_e32 v12, 0
	s_waitcnt vmcnt(0) lgkmcnt(0)
	s_waitcnt_vscnt null, 0x0
	s_barrier
	buffer_gl0_inv
	s_and_saveexec_b32 s0, s4
	s_cbranch_execz .LBB207_512
; %bb.511:
	global_load_u16 v12, v[10:11], off
.LBB207_512:
	s_or_b32 exec_lo, exec_lo, s0
	s_mov_b32 s0, 0
	s_and_saveexec_b32 s4, vcc_lo
	s_cbranch_execz .LBB207_531
; %bb.513:
	v_dual_mov_b32 v10, 0x8000 :: v_dual_mov_b32 v3, 0
	s_mov_b32 s20, 0
                                        ; implicit-def: $sgpr19
                                        ; implicit-def: $vgpr4_vgpr5
	s_branch .LBB207_516
.LBB207_514:                            ;   in Loop: Header=BB207_516 Depth=1
	s_or_b32 exec_lo, exec_lo, s22
	v_mov_b32_e32 v12, v11
	v_dual_mov_b32 v0, v6 :: v_dual_mov_b32 v1, v7
	s_or_not1_b32 s23, s23, exec_lo
	s_or_not1_b32 s21, s21, exec_lo
.LBB207_515:                            ;   in Loop: Header=BB207_516 Depth=1
	s_or_b32 exec_lo, exec_lo, s0
	s_xor_b32 s0, s23, -1
	s_and_b32 s21, exec_lo, s21
	s_delay_alu instid0(SALU_CYCLE_1) | instskip(SKIP_2) | instid1(SALU_CYCLE_1)
	s_or_b32 s20, s21, s20
	s_and_not1_b32 s19, s19, exec_lo
	s_and_b32 s0, s0, exec_lo
	s_or_b32 s19, s19, s0
	s_and_not1_b32 exec_lo, exec_lo, s20
	s_cbranch_execz .LBB207_529
.LBB207_516:                            ; =>This Inner Loop Header: Depth=1
	v_add_co_u32 v6, vcc_lo, v0, s49
	v_add_co_ci_u32_e32 v7, vcc_lo, 0, v1, vcc_lo
	v_mov_b32_e32 v11, 0
	s_mov_b32 s0, exec_lo
	s_delay_alu instid0(VALU_DEP_2)
	v_cmpx_gt_u64_e64 s[36:37], v[6:7]
	s_cbranch_execz .LBB207_518
; %bb.517:                              ;   in Loop: Header=BB207_516 Depth=1
	v_mul_lo_u32 v2, v7, s30
	v_mul_lo_u32 v11, v6, s31
	v_mad_u64_u32 v[8:9], null, v6, s30, 0
	s_delay_alu instid0(VALU_DEP_1) | instskip(NEXT) | instid1(VALU_DEP_1)
	v_add3_u32 v9, v9, v11, v2
	v_lshlrev_b64 v[8:9], 1, v[8:9]
	s_delay_alu instid0(VALU_DEP_1) | instskip(NEXT) | instid1(VALU_DEP_2)
	v_add_co_u32 v8, vcc_lo, s33, v8
	v_add_co_ci_u32_e32 v9, vcc_lo, s35, v9, vcc_lo
	global_load_u16 v11, v[8:9], off
.LBB207_518:                            ;   in Loop: Header=BB207_516 Depth=1
	s_or_b32 exec_lo, exec_lo, s0
	s_waitcnt vmcnt(0)
	v_cmp_lt_i16_e32 vcc_lo, -1, v12
	v_and_b32_e32 v2, 0xffff, v12
	v_cndmask_b32_e32 v8, 0xffff, v10, vcc_lo
	v_cmp_o_f16_e32 vcc_lo, v12, v12
	s_delay_alu instid0(VALU_DEP_2) | instskip(NEXT) | instid1(VALU_DEP_1)
	v_xor_b32_e32 v2, v8, v2
	v_cndmask_b32_e32 v2, 0xffff, v2, vcc_lo
	v_cmp_gt_u64_e32 vcc_lo, s[36:37], v[0:1]
	s_delay_alu instid0(VALU_DEP_2) | instskip(NEXT) | instid1(VALU_DEP_1)
	v_cmp_eq_u32_e64 s0, v2, v14
	s_and_b32 s22, vcc_lo, s0
	s_delay_alu instid0(SALU_CYCLE_1) | instskip(NEXT) | instid1(VALU_DEP_1)
	v_cndmask_b32_e64 v2, 0, 1, s22
	v_cmp_ne_u32_e32 vcc_lo, 0, v2
	s_cmp_lg_u32 vcc_lo, 0
	s_cselect_b32 s0, -1, 0
	s_delay_alu instid0(SALU_CYCLE_1) | instskip(NEXT) | instid1(SALU_CYCLE_1)
	s_and_b32 s0, s2, s0
	s_and_saveexec_b32 s21, s0
	s_cbranch_execz .LBB207_522
; %bb.519:                              ;   in Loop: Header=BB207_516 Depth=1
	s_mov_b32 s25, exec_lo
	s_bcnt1_i32_b32 s23, vcc_lo
	v_mbcnt_lo_u32_b32 v8, s25, 0
	s_mov_b32 s24, exec_lo
                                        ; implicit-def: $vgpr4_vgpr5
	s_delay_alu instid0(VALU_DEP_1)
	v_cmpx_eq_u32_e32 0, v8
	s_cbranch_execz .LBB207_521
; %bb.520:                              ;   in Loop: Header=BB207_516 Depth=1
	s_bcnt1_i32_b32 s0, s25
	s_delay_alu instid0(SALU_CYCLE_1) | instskip(NEXT) | instid1(SALU_CYCLE_1)
	s_mul_i32 s0, s23, s0
	v_mov_b32_e32 v2, s0
	ds_add_rtn_u64 v[4:5], v3, v[2:3] offset:5136
.LBB207_521:                            ;   in Loop: Header=BB207_516 Depth=1
	s_or_b32 exec_lo, exec_lo, s24
	s_waitcnt lgkmcnt(0)
	v_readfirstlane_b32 s25, v5
	v_readfirstlane_b32 s24, v4
	s_delay_alu instid0(VALU_DEP_1)
	v_mad_u64_u32 v[4:5], null, s23, v8, s[24:25]
.LBB207_522:                            ;   in Loop: Header=BB207_516 Depth=1
	s_or_b32 exec_lo, exec_lo, s21
	ds_bpermute_b32 v4, v3, v4
	ds_bpermute_b32 v5, v3, v5
	s_cmp_eq_u32 vcc_lo, 0
	s_mov_b32 s21, -1
	s_cselect_b32 s23, -1, 0
	s_waitcnt lgkmcnt(0)
	v_cmp_gt_u64_e64 s0, s[38:39], v[4:5]
	s_delay_alu instid0(VALU_DEP_1)
	s_or_b32 s24, s23, s0
	s_mov_b32 s23, -1
	s_and_saveexec_b32 s0, s24
	s_cbranch_execz .LBB207_515
; %bb.523:                              ;   in Loop: Header=BB207_516 Depth=1
	v_and_b32_e32 v2, vcc_lo, v22
	v_sub_co_u32 v8, vcc_lo, s38, v4
	v_sub_co_ci_u32_e32 v9, vcc_lo, s39, v5, vcc_lo
	s_delay_alu instid0(VALU_DEP_3) | instskip(SKIP_1) | instid1(VALU_DEP_1)
	v_bcnt_u32_b32 v2, v2, 0
	s_mov_b32 s24, -1
	v_bcnt_u32_b32 v2, 0, v2
	s_delay_alu instid0(VALU_DEP_1) | instskip(SKIP_1) | instid1(SALU_CYCLE_1)
	v_cmp_gt_u64_e32 vcc_lo, v[8:9], v[2:3]
	s_and_b32 s25, s22, vcc_lo
	s_and_saveexec_b32 s22, s25
	s_cbranch_execz .LBB207_527
; %bb.524:                              ;   in Loop: Header=BB207_516 Depth=1
	v_add_co_u32 v8, vcc_lo, v4, v2
	v_add_co_ci_u32_e32 v9, vcc_lo, 0, v5, vcc_lo
	s_mov_b32 s24, 0
	s_mov_b32 s23, exec_lo
	s_delay_alu instid0(VALU_DEP_1)
	v_cmpx_gt_u64_e64 s[38:39], v[8:9]
	s_cbranch_execz .LBB207_526
; %bb.525:                              ;   in Loop: Header=BB207_516 Depth=1
	v_mul_lo_u32 v2, v9, s8
	v_mul_lo_u32 v13, v8, s9
	v_mad_u64_u32 v[15:16], null, v8, s8, 0
	v_mul_lo_u32 v9, v9, s10
	v_mul_lo_u32 v19, v8, s11
	v_mad_u64_u32 v[17:18], null, v8, s10, 0
	s_mov_b32 s24, exec_lo
	s_delay_alu instid0(VALU_DEP_4) | instskip(NEXT) | instid1(VALU_DEP_2)
	v_add3_u32 v16, v16, v13, v2
	v_add3_u32 v18, v18, v19, v9
	s_delay_alu instid0(VALU_DEP_2) | instskip(NEXT) | instid1(VALU_DEP_2)
	v_lshlrev_b64 v[8:9], 1, v[15:16]
	v_lshlrev_b64 v[15:16], 3, v[17:18]
	s_delay_alu instid0(VALU_DEP_2) | instskip(NEXT) | instid1(VALU_DEP_3)
	v_add_co_u32 v8, vcc_lo, s5, v8
	v_add_co_ci_u32_e32 v9, vcc_lo, s16, v9, vcc_lo
	s_delay_alu instid0(VALU_DEP_3) | instskip(NEXT) | instid1(VALU_DEP_4)
	v_add_co_u32 v15, vcc_lo, s17, v15
	v_add_co_ci_u32_e32 v16, vcc_lo, s18, v16, vcc_lo
	global_store_b16 v[8:9], v12, off
	global_store_b64 v[15:16], v[0:1], off
.LBB207_526:                            ;   in Loop: Header=BB207_516 Depth=1
	s_or_b32 exec_lo, exec_lo, s23
	s_delay_alu instid0(SALU_CYCLE_1)
	s_xor_b32 s23, exec_lo, -1
	s_or_not1_b32 s24, s24, exec_lo
.LBB207_527:                            ;   in Loop: Header=BB207_516 Depth=1
	s_or_b32 exec_lo, exec_lo, s22
	s_and_saveexec_b32 s22, s24
	s_cbranch_execz .LBB207_514
; %bb.528:                              ;   in Loop: Header=BB207_516 Depth=1
	v_cmp_le_u64_e32 vcc_lo, s[6:7], v[6:7]
	s_or_b32 s23, s23, exec_lo
	s_or_not1_b32 s21, vcc_lo, exec_lo
	s_branch .LBB207_514
.LBB207_529:
	s_or_b32 exec_lo, exec_lo, s20
	s_mov_b32 s0, 0
	s_and_saveexec_b32 s2, s19
	s_delay_alu instid0(SALU_CYCLE_1)
	s_xor_b32 s2, exec_lo, s2
	s_cbranch_execnz .LBB207_564
.LBB207_530:
	s_or_b32 exec_lo, exec_lo, s2
	s_delay_alu instid0(SALU_CYCLE_1)
	s_and_b32 s0, s0, exec_lo
.LBB207_531:
	s_or_b32 exec_lo, exec_lo, s4
	s_delay_alu instid0(SALU_CYCLE_1)
	s_and_b32 s19, s0, exec_lo
	s_and_not1_b32 s1, s1, exec_lo
.LBB207_532:
	s_or_b32 exec_lo, exec_lo, s3
	s_and_saveexec_b32 s0, s1
	s_delay_alu instid0(SALU_CYCLE_1)
	s_xor_b32 s0, exec_lo, s0
	s_cbranch_execnz .LBB207_558
.LBB207_533:
	s_or_b32 exec_lo, exec_lo, s0
	s_waitcnt lgkmcnt(0)
	s_and_b32 s8, s19, exec_lo
.LBB207_534:
	s_and_not1_saveexec_b32 s0, s15
	s_cbranch_execnz .LBB207_554
.LBB207_535:
	s_or_b32 exec_lo, exec_lo, s0
	s_delay_alu instid0(SALU_CYCLE_1)
	s_and_b32 s8, s8, exec_lo
.LBB207_536:
	s_and_not1_saveexec_b32 s0, s14
	s_cbranch_execnz .LBB207_550
.LBB207_537:
	s_or_b32 exec_lo, exec_lo, s0
	s_delay_alu instid0(SALU_CYCLE_1)
	s_and_b32 s8, s8, exec_lo
.LBB207_538:
	s_and_not1_saveexec_b32 s0, s13
	s_cbranch_execnz .LBB207_546
.LBB207_539:
	s_or_b32 exec_lo, exec_lo, s0
	s_delay_alu instid0(SALU_CYCLE_1)
	s_and_b32 s8, s8, exec_lo
.LBB207_540:
	s_and_not1_saveexec_b32 s0, s12
	s_cbranch_execnz .LBB207_544
; %bb.541:
	s_or_b32 exec_lo, exec_lo, s0
	s_and_saveexec_b32 s0, s8
.LBB207_542:
	; divergent unreachable
.LBB207_543:
	s_nop 0
	s_sendmsg sendmsg(MSG_DEALLOC_VGPRS)
	s_endpgm
.LBB207_544:
	s_cbranch_execnz .LBB207_548
; %bb.545:
	s_or_b32 s8, s8, exec_lo
	s_or_b32 exec_lo, exec_lo, s0
	s_and_saveexec_b32 s0, s8
	s_cbranch_execnz .LBB207_542
	s_branch .LBB207_543
.LBB207_546:
	s_cbranch_execnz .LBB207_552
; %bb.547:
	s_or_b32 s8, s8, exec_lo
	s_branch .LBB207_539
.LBB207_548:
	s_trap 2
	s_sendmsg_rtn_b32 s0, sendmsg(MSG_RTN_GET_DOORBELL)
	s_mov_b32 ttmp2, m0
	s_waitcnt lgkmcnt(0)
	s_and_b32 s0, s0, 0x3ff
	s_delay_alu instid0(SALU_CYCLE_1) | instskip(NEXT) | instid1(SALU_CYCLE_1)
	s_bitset1_b32 s0, 10
	s_mov_b32 m0, s0
	s_sendmsg sendmsg(MSG_INTERRUPT)
	s_mov_b32 m0, ttmp2
.LBB207_549:                            ; =>This Inner Loop Header: Depth=1
	s_sethalt 5
	s_branch .LBB207_549
.LBB207_550:
	s_cbranch_execnz .LBB207_556
; %bb.551:
	s_or_b32 s8, s8, exec_lo
	s_branch .LBB207_537
.LBB207_552:
	s_trap 2
	s_sendmsg_rtn_b32 s0, sendmsg(MSG_RTN_GET_DOORBELL)
	s_mov_b32 ttmp2, m0
	s_waitcnt lgkmcnt(0)
	s_and_b32 s0, s0, 0x3ff
	s_delay_alu instid0(SALU_CYCLE_1) | instskip(NEXT) | instid1(SALU_CYCLE_1)
	s_bitset1_b32 s0, 10
	s_mov_b32 m0, s0
	s_sendmsg sendmsg(MSG_INTERRUPT)
	s_mov_b32 m0, ttmp2
.LBB207_553:                            ; =>This Inner Loop Header: Depth=1
	s_sethalt 5
	s_branch .LBB207_553
.LBB207_554:
	s_cbranch_execnz .LBB207_560
; %bb.555:
	s_or_b32 s8, s8, exec_lo
	s_branch .LBB207_535
.LBB207_556:
	s_trap 2
	s_sendmsg_rtn_b32 s0, sendmsg(MSG_RTN_GET_DOORBELL)
	s_mov_b32 ttmp2, m0
	s_waitcnt lgkmcnt(0)
	s_and_b32 s0, s0, 0x3ff
	s_delay_alu instid0(SALU_CYCLE_1) | instskip(NEXT) | instid1(SALU_CYCLE_1)
	s_bitset1_b32 s0, 10
	s_mov_b32 m0, s0
	s_sendmsg sendmsg(MSG_INTERRUPT)
	s_mov_b32 m0, ttmp2
.LBB207_557:                            ; =>This Inner Loop Header: Depth=1
	s_sethalt 5
	s_branch .LBB207_557
.LBB207_558:
	s_cbranch_execnz .LBB207_562
; %bb.559:
	s_or_b32 s19, s19, exec_lo
	s_branch .LBB207_533
.LBB207_560:
	s_trap 2
	s_sendmsg_rtn_b32 s0, sendmsg(MSG_RTN_GET_DOORBELL)
	s_mov_b32 ttmp2, m0
	s_waitcnt lgkmcnt(0)
	s_and_b32 s0, s0, 0x3ff
	s_delay_alu instid0(SALU_CYCLE_1) | instskip(NEXT) | instid1(SALU_CYCLE_1)
	s_bitset1_b32 s0, 10
	s_mov_b32 m0, s0
	s_sendmsg sendmsg(MSG_INTERRUPT)
	s_mov_b32 m0, ttmp2
.LBB207_561:                            ; =>This Inner Loop Header: Depth=1
	s_sethalt 5
	s_branch .LBB207_561
.LBB207_562:
	s_trap 2
	s_sendmsg_rtn_b32 s0, sendmsg(MSG_RTN_GET_DOORBELL)
	s_mov_b32 ttmp2, m0
	s_waitcnt lgkmcnt(0)
	s_and_b32 s0, s0, 0x3ff
	s_delay_alu instid0(SALU_CYCLE_1) | instskip(NEXT) | instid1(SALU_CYCLE_1)
	s_bitset1_b32 s0, 10
	s_mov_b32 m0, s0
	s_sendmsg sendmsg(MSG_INTERRUPT)
	s_mov_b32 m0, ttmp2
.LBB207_563:                            ; =>This Inner Loop Header: Depth=1
	s_sethalt 5
	s_branch .LBB207_563
.LBB207_564:
	s_cbranch_execnz .LBB207_566
; %bb.565:
	s_mov_b32 s0, exec_lo
	s_branch .LBB207_530
.LBB207_566:
	s_trap 2
	s_sendmsg_rtn_b32 s0, sendmsg(MSG_RTN_GET_DOORBELL)
	s_mov_b32 ttmp2, m0
	s_waitcnt lgkmcnt(0)
	s_and_b32 s0, s0, 0x3ff
	s_delay_alu instid0(SALU_CYCLE_1) | instskip(NEXT) | instid1(SALU_CYCLE_1)
	s_bitset1_b32 s0, 10
	s_mov_b32 m0, s0
	s_sendmsg sendmsg(MSG_INTERRUPT)
	s_mov_b32 m0, ttmp2
.LBB207_567:                            ; =>This Inner Loop Header: Depth=1
	s_sethalt 5
	s_branch .LBB207_567
	.section	.rodata,"a",@progbits
	.p2align	6, 0x0
	.amdhsa_kernel _ZN2at6native6sbtopk10gatherTopKIN3c104HalfEmLi2ELb0EEEvNS_4cuda6detail10TensorInfoIKT_T0_EESA_SA_bSA_SA_NS7_IS8_SA_EESA_NS7_IlSA_EESA_PS8_
		.amdhsa_group_segment_fixed_size 5152
		.amdhsa_private_segment_fixed_size 0
		.amdhsa_kernarg_size 1568
		.amdhsa_user_sgpr_count 13
		.amdhsa_user_sgpr_dispatch_ptr 0
		.amdhsa_user_sgpr_queue_ptr 0
		.amdhsa_user_sgpr_kernarg_segment_ptr 1
		.amdhsa_user_sgpr_dispatch_id 0
		.amdhsa_user_sgpr_private_segment_size 0
		.amdhsa_wavefront_size32 1
		.amdhsa_uses_dynamic_stack 0
		.amdhsa_enable_private_segment 0
		.amdhsa_system_sgpr_workgroup_id_x 1
		.amdhsa_system_sgpr_workgroup_id_y 1
		.amdhsa_system_sgpr_workgroup_id_z 1
		.amdhsa_system_sgpr_workgroup_info 0
		.amdhsa_system_vgpr_workitem_id 0
		.amdhsa_next_free_vgpr 37
		.amdhsa_next_free_sgpr 105
		.amdhsa_reserve_vcc 1
		.amdhsa_float_round_mode_32 0
		.amdhsa_float_round_mode_16_64 0
		.amdhsa_float_denorm_mode_32 3
		.amdhsa_float_denorm_mode_16_64 3
		.amdhsa_dx10_clamp 1
		.amdhsa_ieee_mode 1
		.amdhsa_fp16_overflow 0
		.amdhsa_workgroup_processor_mode 1
		.amdhsa_memory_ordered 1
		.amdhsa_forward_progress 0
		.amdhsa_shared_vgpr_count 0
		.amdhsa_exception_fp_ieee_invalid_op 0
		.amdhsa_exception_fp_denorm_src 0
		.amdhsa_exception_fp_ieee_div_zero 0
		.amdhsa_exception_fp_ieee_overflow 0
		.amdhsa_exception_fp_ieee_underflow 0
		.amdhsa_exception_fp_ieee_inexact 0
		.amdhsa_exception_int_div_zero 0
	.end_amdhsa_kernel
	.section	.text._ZN2at6native6sbtopk10gatherTopKIN3c104HalfEmLi2ELb0EEEvNS_4cuda6detail10TensorInfoIKT_T0_EESA_SA_bSA_SA_NS7_IS8_SA_EESA_NS7_IlSA_EESA_PS8_,"axG",@progbits,_ZN2at6native6sbtopk10gatherTopKIN3c104HalfEmLi2ELb0EEEvNS_4cuda6detail10TensorInfoIKT_T0_EESA_SA_bSA_SA_NS7_IS8_SA_EESA_NS7_IlSA_EESA_PS8_,comdat
.Lfunc_end207:
	.size	_ZN2at6native6sbtopk10gatherTopKIN3c104HalfEmLi2ELb0EEEvNS_4cuda6detail10TensorInfoIKT_T0_EESA_SA_bSA_SA_NS7_IS8_SA_EESA_NS7_IlSA_EESA_PS8_, .Lfunc_end207-_ZN2at6native6sbtopk10gatherTopKIN3c104HalfEmLi2ELb0EEEvNS_4cuda6detail10TensorInfoIKT_T0_EESA_SA_bSA_SA_NS7_IS8_SA_EESA_NS7_IlSA_EESA_PS8_
                                        ; -- End function
	.section	.AMDGPU.csdata,"",@progbits
; Kernel info:
; codeLenInByte = 30096
; NumSgprs: 107
; NumVgprs: 37
; ScratchSize: 0
; MemoryBound: 0
; FloatMode: 240
; IeeeMode: 1
; LDSByteSize: 5152 bytes/workgroup (compile time only)
; SGPRBlocks: 13
; VGPRBlocks: 4
; NumSGPRsForWavesPerEU: 107
; NumVGPRsForWavesPerEU: 37
; Occupancy: 16
; WaveLimiterHint : 1
; COMPUTE_PGM_RSRC2:SCRATCH_EN: 0
; COMPUTE_PGM_RSRC2:USER_SGPR: 13
; COMPUTE_PGM_RSRC2:TRAP_HANDLER: 0
; COMPUTE_PGM_RSRC2:TGID_X_EN: 1
; COMPUTE_PGM_RSRC2:TGID_Y_EN: 1
; COMPUTE_PGM_RSRC2:TGID_Z_EN: 1
; COMPUTE_PGM_RSRC2:TIDIG_COMP_CNT: 0
	.section	.text._ZN2at6native6mbtopk23computeBlockDigitCountsIN3c104HalfEmjLi3EEEvNS_4cuda6detail10TensorInfoIKT_T0_EEjPjjSA_iijT1_PSD_Ps,"axG",@progbits,_ZN2at6native6mbtopk23computeBlockDigitCountsIN3c104HalfEmjLi3EEEvNS_4cuda6detail10TensorInfoIKT_T0_EEjPjjSA_iijT1_PSD_Ps,comdat
	.protected	_ZN2at6native6mbtopk23computeBlockDigitCountsIN3c104HalfEmjLi3EEEvNS_4cuda6detail10TensorInfoIKT_T0_EEjPjjSA_iijT1_PSD_Ps ; -- Begin function _ZN2at6native6mbtopk23computeBlockDigitCountsIN3c104HalfEmjLi3EEEvNS_4cuda6detail10TensorInfoIKT_T0_EEjPjjSA_iijT1_PSD_Ps
	.globl	_ZN2at6native6mbtopk23computeBlockDigitCountsIN3c104HalfEmjLi3EEEvNS_4cuda6detail10TensorInfoIKT_T0_EEjPjjSA_iijT1_PSD_Ps
	.p2align	8
	.type	_ZN2at6native6mbtopk23computeBlockDigitCountsIN3c104HalfEmjLi3EEEvNS_4cuda6detail10TensorInfoIKT_T0_EEjPjjSA_iijT1_PSD_Ps,@function
_ZN2at6native6mbtopk23computeBlockDigitCountsIN3c104HalfEmjLi3EEEvNS_4cuda6detail10TensorInfoIKT_T0_EEjPjjSA_iijT1_PSD_Ps: ; @_ZN2at6native6mbtopk23computeBlockDigitCountsIN3c104HalfEmjLi3EEEvNS_4cuda6detail10TensorInfoIKT_T0_EEjPjjSA_iijT1_PSD_Ps
; %bb.0:
	s_clause 0x2
	s_load_b128 s[8:11], s[0:1], 0x1c0
	s_load_b32 s5, s[0:1], 0x1b0
	s_load_b64 s[2:3], s[0:1], 0x1e0
	s_waitcnt lgkmcnt(0)
	v_cvt_f32_u32_e32 v1, s10
	s_sub_i32 s6, 0, s10
	s_mul_i32 s3, s3, s15
	s_delay_alu instid0(SALU_CYCLE_1) | instskip(NEXT) | instid1(VALU_DEP_1)
	s_add_i32 s3, s3, s14
	v_rcp_iflag_f32_e32 v1, v1
	s_mul_i32 s24, s3, s2
	s_delay_alu instid0(SALU_CYCLE_1) | instskip(SKIP_2) | instid1(VALU_DEP_1)
	s_add_i32 s24, s24, s13
	s_waitcnt_depctr 0xfff
	v_mul_f32_e32 v1, 0x4f7ffffe, v1
	v_cvt_u32_f32_e32 v1, v1
	s_delay_alu instid0(VALU_DEP_1) | instskip(NEXT) | instid1(VALU_DEP_1)
	v_readfirstlane_b32 s4, v1
	s_mul_i32 s6, s6, s4
	s_delay_alu instid0(SALU_CYCLE_1) | instskip(NEXT) | instid1(SALU_CYCLE_1)
	s_mul_hi_u32 s2, s4, s6
	s_add_i32 s4, s4, s2
	s_delay_alu instid0(SALU_CYCLE_1) | instskip(NEXT) | instid1(SALU_CYCLE_1)
	s_mul_hi_u32 s2, s24, s4
	s_mul_i32 s3, s2, s10
	s_add_i32 s4, s2, 1
	s_sub_i32 s3, s24, s3
	s_delay_alu instid0(SALU_CYCLE_1)
	s_sub_i32 s6, s3, s10
	s_cmp_ge_u32 s3, s10
	s_cselect_b32 s2, s4, s2
	s_cselect_b32 s3, s6, s3
	s_add_i32 s4, s2, 1
	s_cmp_ge_u32 s3, s10
	s_mov_b32 s3, 0
	s_cselect_b32 s2, s4, s2
	s_delay_alu instid0(SALU_CYCLE_1)
	s_cmp_ge_u32 s2, s5
	s_cbranch_scc1 .LBB208_27
; %bb.1:
	s_clause 0x1
	s_load_b128 s[12:15], s[0:1], 0x10
	s_load_b128 s[4:7], s[0:1], 0x1d0
	s_lshl_b64 s[16:17], s[2:3], 2
	s_mov_b64 s[20:21], 0
	s_mov_b64 s[22:23], 0
	s_waitcnt lgkmcnt(0)
	v_cmp_lt_u64_e64 s18, s[2:3], s[14:15]
	s_add_u32 s4, s4, s16
	s_addc_u32 s5, s5, s17
	s_delay_alu instid0(VALU_DEP_1)
	s_and_b32 vcc_lo, exec_lo, s18
	s_cbranch_vccz .LBB208_15
; %bb.2:
	v_cmp_lt_u64_e64 s3, s[22:23], s[12:13]
	s_delay_alu instid0(VALU_DEP_1)
	s_and_b32 vcc_lo, exec_lo, s3
	s_cbranch_vccz .LBB208_16
.LBB208_3:
	v_cmp_gt_u32_e32 vcc_lo, 0x100, v0
	v_lshlrev_b32_e32 v1, 2, v0
	s_and_saveexec_b32 s3, vcc_lo
	s_cbranch_execz .LBB208_5
.LBB208_4:
	v_mov_b32_e32 v2, 0
	ds_store_b32 v1, v2
.LBB208_5:
	s_or_b32 exec_lo, exec_lo, s3
	s_load_b32 s3, s[0:1], 0x1a0
	s_mul_i32 s16, s2, s10
	s_mov_b32 s21, 0
	s_sub_i32 s16, s24, s16
	s_waitcnt lgkmcnt(0)
	s_mul_i32 s17, s9, s16
	s_add_i32 s16, s16, 1
	s_lshl_b32 s25, s17, 8
	s_barrier
	buffer_gl0_inv
	s_sub_i32 s17, s3, s25
	s_delay_alu instid0(SALU_CYCLE_1) | instskip(SKIP_3) | instid1(VALU_DEP_1)
	s_add_u32 s17, s17, 0xff
	s_addc_u32 s18, 0, 0
	s_cmp_lt_u32 s16, s10
	v_alignbit_b32 v2, s18, s17, 8
	v_readfirstlane_b32 s17, v2
	s_delay_alu instid0(VALU_DEP_1) | instskip(NEXT) | instid1(SALU_CYCLE_1)
	s_cselect_b32 s10, s9, s17
	s_cmp_lt_i32 s10, 1
	s_cbranch_scc1 .LBB208_23
; %bb.6:
	s_clause 0x2
	s_load_b64 s[26:27], s[0:1], 0xe0
	s_load_b128 s[16:19], s[0:1], 0xd0
	s_load_b64 s[28:29], s[0:1], 0x0
	s_load_b32 s9, s[4:5], 0x0
	s_mul_i32 s15, s22, s15
	s_mul_hi_u32 s30, s22, s14
	s_mul_i32 s14, s22, s14
	s_add_i32 s30, s30, s15
	s_mul_i32 s13, s20, s13
	s_mul_hi_u32 s31, s20, s12
	s_sub_u32 s2, s2, s14
	s_load_b64 s[4:5], s[0:1], 0x1b8
	s_subb_u32 s0, 0, s30
	s_add_i32 s31, s31, s13
	s_mul_i32 s12, s20, s12
	v_add_nc_u32_e32 v2, s25, v0
	s_waitcnt lgkmcnt(0)
	s_mul_i32 s1, s2, s27
	s_mul_hi_u32 s13, s2, s26
	s_mul_i32 s14, s0, s26
	s_add_i32 s1, s13, s1
	s_mul_i32 s15, s20, s17
	s_add_i32 s13, s1, s14
	s_mul_hi_u32 s17, s20, s16
	s_sub_u32 s12, s22, s12
	s_mul_i32 s0, s20, s16
	s_subb_u32 s14, s23, s31
	s_add_i32 s1, s17, s15
	s_mul_i32 s15, s12, s19
	s_mul_hi_u32 s16, s12, s18
	s_mul_i32 s14, s14, s18
	s_add_i32 s15, s16, s15
	s_lshl_b64 s[0:1], s[0:1], 1
	s_add_i32 s15, s15, s14
	s_mul_i32 s14, s12, s18
	s_add_u32 s16, s28, s0
	s_addc_u32 s17, s29, s1
	s_lshl_b64 s[0:1], s[14:15], 1
	s_mul_i32 s12, s2, s26
	s_add_u32 s2, s16, s0
	s_addc_u32 s14, s17, s1
	s_lshl_b64 s[0:1], s[12:13], 1
	s_delay_alu instid0(SALU_CYCLE_1)
	s_add_u32 s2, s2, s0
	s_addc_u32 s12, s14, s1
	s_and_b32 s1, s8, 0xff
	s_cmp_eq_u32 s10, 1
	s_cbranch_scc1 .LBB208_18
; %bb.7:
	v_dual_mov_b32 v3, 1 :: v_dual_mov_b32 v4, 0x8000
	v_mov_b32_e32 v5, v2
	s_and_b32 s8, s10, 0x7ffffffe
	s_mov_b32 s13, 0
	s_branch .LBB208_9
.LBB208_8:                              ;   in Loop: Header=BB208_9 Depth=1
	s_or_b32 exec_lo, exec_lo, s14
	v_add_nc_u32_e32 v5, 0x200, v5
	s_add_i32 s13, s13, 2
	s_delay_alu instid0(SALU_CYCLE_1)
	s_cmp_eq_u32 s8, s13
	s_cbranch_scc1 .LBB208_17
.LBB208_9:                              ; =>This Inner Loop Header: Depth=1
	s_mov_b32 s14, exec_lo
	v_cmpx_gt_u32_e64 s3, v5
	s_cbranch_execz .LBB208_12
; %bb.10:                               ;   in Loop: Header=BB208_9 Depth=1
	v_mad_u64_u32 v[6:7], null, v5, s4, 0
	s_delay_alu instid0(VALU_DEP_1) | instskip(NEXT) | instid1(VALU_DEP_1)
	v_mad_u64_u32 v[8:9], null, v5, s5, v[7:8]
	v_mov_b32_e32 v7, v8
	s_delay_alu instid0(VALU_DEP_1) | instskip(NEXT) | instid1(VALU_DEP_1)
	v_lshlrev_b64 v[6:7], 1, v[6:7]
	v_add_co_u32 v6, s0, s2, v6
	s_delay_alu instid0(VALU_DEP_1) | instskip(SKIP_4) | instid1(VALU_DEP_2)
	v_add_co_ci_u32_e64 v7, s0, s12, v7, s0
	global_load_u16 v6, v[6:7], off
	s_waitcnt vmcnt(0)
	v_cmp_lt_i16_e64 s0, -1, v6
	v_and_b32_e32 v7, 0xffff, v6
	v_cndmask_b32_e64 v8, 0xffff, v4, s0
	v_cmp_o_f16_e64 s0, v6, v6
	s_delay_alu instid0(VALU_DEP_2) | instskip(NEXT) | instid1(VALU_DEP_1)
	v_xor_b32_e32 v7, v8, v7
	v_cndmask_b32_e64 v6, 0xffff, v7, s0
	s_delay_alu instid0(VALU_DEP_1) | instskip(NEXT) | instid1(VALU_DEP_1)
	v_xor_b32_e32 v7, s9, v6
	v_and_b32_e32 v7, s11, v7
	s_delay_alu instid0(VALU_DEP_1) | instskip(NEXT) | instid1(VALU_DEP_1)
	v_cmp_eq_u32_e64 s0, 0, v7
	s_and_b32 exec_lo, exec_lo, s0
	s_cbranch_execz .LBB208_12
; %bb.11:                               ;   in Loop: Header=BB208_9 Depth=1
	v_bfe_u32 v6, v6, s1, 8
	s_delay_alu instid0(VALU_DEP_1)
	v_lshlrev_b32_e32 v6, 2, v6
	ds_add_u32 v6, v3
.LBB208_12:                             ;   in Loop: Header=BB208_9 Depth=1
	s_or_b32 exec_lo, exec_lo, s14
	v_add_nc_u32_e32 v6, 0x100, v5
	s_mov_b32 s14, exec_lo
	s_delay_alu instid0(VALU_DEP_1)
	v_cmpx_gt_u32_e64 s3, v6
	s_cbranch_execz .LBB208_8
; %bb.13:                               ;   in Loop: Header=BB208_9 Depth=1
	v_mad_u64_u32 v[7:8], null, v6, s4, 0
	s_delay_alu instid0(VALU_DEP_1) | instskip(NEXT) | instid1(VALU_DEP_1)
	v_mad_u64_u32 v[9:10], null, v6, s5, v[8:9]
	v_mov_b32_e32 v8, v9
	s_delay_alu instid0(VALU_DEP_1) | instskip(NEXT) | instid1(VALU_DEP_1)
	v_lshlrev_b64 v[6:7], 1, v[7:8]
	v_add_co_u32 v6, s0, s2, v6
	s_delay_alu instid0(VALU_DEP_1) | instskip(SKIP_4) | instid1(VALU_DEP_1)
	v_add_co_ci_u32_e64 v7, s0, s12, v7, s0
	global_load_u16 v6, v[6:7], off
	s_waitcnt vmcnt(0)
	v_and_b32_e32 v7, 0xffff, v6
	v_cmp_lt_i16_e64 s0, -1, v6
	v_cndmask_b32_e64 v8, 0xffff, v4, s0
	v_cmp_o_f16_e64 s0, v6, v6
	s_delay_alu instid0(VALU_DEP_2) | instskip(NEXT) | instid1(VALU_DEP_1)
	v_xor_b32_e32 v7, v8, v7
	v_cndmask_b32_e64 v6, 0xffff, v7, s0
	s_delay_alu instid0(VALU_DEP_1) | instskip(NEXT) | instid1(VALU_DEP_1)
	v_xor_b32_e32 v7, s9, v6
	v_and_b32_e32 v7, s11, v7
	s_delay_alu instid0(VALU_DEP_1) | instskip(NEXT) | instid1(VALU_DEP_1)
	v_cmp_eq_u32_e64 s0, 0, v7
	s_and_b32 exec_lo, exec_lo, s0
	s_cbranch_execz .LBB208_8
; %bb.14:                               ;   in Loop: Header=BB208_9 Depth=1
	v_bfe_u32 v6, v6, s1, 8
	s_delay_alu instid0(VALU_DEP_1)
	v_lshlrev_b32_e32 v6, 2, v6
	ds_add_u32 v6, v3
	s_branch .LBB208_8
.LBB208_15:
	v_cvt_f32_u32_e32 v1, s14
	s_sub_i32 s16, 0, s14
	s_mov_b32 s23, 0
	s_delay_alu instid0(VALU_DEP_1) | instskip(SKIP_2) | instid1(VALU_DEP_1)
	v_rcp_iflag_f32_e32 v1, v1
	s_waitcnt_depctr 0xfff
	v_mul_f32_e32 v1, 0x4f7ffffe, v1
	v_cvt_u32_f32_e32 v1, v1
	s_delay_alu instid0(VALU_DEP_1) | instskip(NEXT) | instid1(VALU_DEP_1)
	v_readfirstlane_b32 s3, v1
	s_mul_i32 s16, s16, s3
	s_delay_alu instid0(SALU_CYCLE_1) | instskip(NEXT) | instid1(SALU_CYCLE_1)
	s_mul_hi_u32 s16, s3, s16
	s_add_i32 s3, s3, s16
	s_delay_alu instid0(SALU_CYCLE_1) | instskip(NEXT) | instid1(SALU_CYCLE_1)
	s_mul_hi_u32 s3, s2, s3
	s_mul_i32 s16, s3, s14
	s_add_i32 s17, s3, 1
	s_sub_i32 s16, s2, s16
	s_delay_alu instid0(SALU_CYCLE_1)
	s_sub_i32 s18, s16, s14
	s_cmp_ge_u32 s16, s14
	s_cselect_b32 s3, s17, s3
	s_cselect_b32 s16, s18, s16
	s_add_i32 s17, s3, 1
	s_cmp_ge_u32 s16, s14
	s_cselect_b32 s22, s17, s3
	s_delay_alu instid0(SALU_CYCLE_1) | instskip(NEXT) | instid1(VALU_DEP_1)
	v_cmp_lt_u64_e64 s3, s[22:23], s[12:13]
	s_and_b32 vcc_lo, exec_lo, s3
	s_cbranch_vccnz .LBB208_3
.LBB208_16:
	v_cvt_f32_u32_e32 v1, s12
	s_sub_i32 s16, 0, s12
	s_delay_alu instid0(VALU_DEP_1) | instskip(SKIP_2) | instid1(VALU_DEP_1)
	v_rcp_iflag_f32_e32 v1, v1
	s_waitcnt_depctr 0xfff
	v_mul_f32_e32 v1, 0x4f7ffffe, v1
	v_cvt_u32_f32_e32 v1, v1
	s_delay_alu instid0(VALU_DEP_1) | instskip(NEXT) | instid1(VALU_DEP_1)
	v_readfirstlane_b32 s3, v1
	s_mul_i32 s16, s16, s3
	s_delay_alu instid0(SALU_CYCLE_1) | instskip(NEXT) | instid1(SALU_CYCLE_1)
	s_mul_hi_u32 s16, s3, s16
	s_add_i32 s3, s3, s16
	s_delay_alu instid0(SALU_CYCLE_1) | instskip(NEXT) | instid1(SALU_CYCLE_1)
	s_mul_hi_u32 s3, s22, s3
	s_mul_i32 s16, s3, s12
	s_add_i32 s17, s3, 1
	s_sub_i32 s16, s22, s16
	s_delay_alu instid0(SALU_CYCLE_1)
	s_sub_i32 s18, s16, s12
	s_cmp_ge_u32 s16, s12
	s_cselect_b32 s3, s17, s3
	s_cselect_b32 s16, s18, s16
	s_add_i32 s17, s3, 1
	s_cmp_ge_u32 s16, s12
	s_cselect_b32 s20, s17, s3
	v_cmp_gt_u32_e32 vcc_lo, 0x100, v0
	v_lshlrev_b32_e32 v1, 2, v0
	s_and_saveexec_b32 s3, vcc_lo
	s_cbranch_execnz .LBB208_4
	s_branch .LBB208_5
.LBB208_17:
	s_lshl_b32 s21, s8, 8
.LBB208_18:
	s_bitcmp0_b32 s10, 0
	s_cbranch_scc1 .LBB208_23
; %bb.19:
	v_add_nc_u32_e32 v2, s21, v2
	s_delay_alu instid0(VALU_DEP_1) | instskip(NEXT) | instid1(VALU_DEP_1)
	v_cmp_gt_u32_e64 s0, s3, v2
	s_and_saveexec_b32 s3, s0
	s_cbranch_execz .LBB208_22
; %bb.20:
	v_mad_u64_u32 v[3:4], null, v2, s4, 0
	s_delay_alu instid0(VALU_DEP_1) | instskip(NEXT) | instid1(VALU_DEP_1)
	v_mad_u64_u32 v[5:6], null, v2, s5, v[4:5]
	v_mov_b32_e32 v4, v5
	s_delay_alu instid0(VALU_DEP_1) | instskip(NEXT) | instid1(VALU_DEP_1)
	v_lshlrev_b64 v[2:3], 1, v[3:4]
	v_add_co_u32 v2, s0, s2, v2
	s_delay_alu instid0(VALU_DEP_1)
	v_add_co_ci_u32_e64 v3, s0, s12, v3, s0
	global_load_u16 v2, v[2:3], off
	v_mov_b32_e32 v3, 0x8000
	s_waitcnt vmcnt(0)
	v_cmp_lt_i16_e64 s0, -1, v2
	v_and_b32_e32 v4, 0xffff, v2
	s_delay_alu instid0(VALU_DEP_2) | instskip(SKIP_1) | instid1(VALU_DEP_2)
	v_cndmask_b32_e64 v3, 0xffff, v3, s0
	v_cmp_o_f16_e64 s0, v2, v2
	v_xor_b32_e32 v3, v3, v4
	s_delay_alu instid0(VALU_DEP_1) | instskip(NEXT) | instid1(VALU_DEP_1)
	v_cndmask_b32_e64 v2, 0xffff, v3, s0
	v_xor_b32_e32 v3, s9, v2
	s_delay_alu instid0(VALU_DEP_1) | instskip(NEXT) | instid1(VALU_DEP_1)
	v_and_b32_e32 v3, s11, v3
	v_cmp_eq_u32_e64 s0, 0, v3
	s_delay_alu instid0(VALU_DEP_1)
	s_and_b32 exec_lo, exec_lo, s0
	s_cbranch_execz .LBB208_22
; %bb.21:
	v_bfe_u32 v2, v2, s1, 8
	s_delay_alu instid0(VALU_DEP_1)
	v_dual_mov_b32 v3, 1 :: v_dual_lshlrev_b32 v2, 2, v2
	ds_add_u32 v2, v3
.LBB208_22:
	s_or_b32 exec_lo, exec_lo, s3
.LBB208_23:
	v_mov_b32_e32 v2, 0
	s_waitcnt lgkmcnt(0)
	s_barrier
	buffer_gl0_inv
	s_and_saveexec_b32 s0, vcc_lo
	s_cbranch_execz .LBB208_25
; %bb.24:
	ds_load_b32 v2, v1
.LBB208_25:
	s_or_b32 exec_lo, exec_lo, s0
	s_and_saveexec_b32 s0, vcc_lo
	s_cbranch_execz .LBB208_27
; %bb.26:
	v_lshl_or_b32 v0, s24, 8, v0
	v_mov_b32_e32 v1, 0
	s_delay_alu instid0(VALU_DEP_1) | instskip(NEXT) | instid1(VALU_DEP_1)
	v_lshlrev_b64 v[0:1], 1, v[0:1]
	v_add_co_u32 v0, vcc_lo, s6, v0
	s_delay_alu instid0(VALU_DEP_2)
	v_add_co_ci_u32_e32 v1, vcc_lo, s7, v1, vcc_lo
	s_waitcnt lgkmcnt(0)
	global_store_b16 v[0:1], v2, off
.LBB208_27:
	s_nop 0
	s_sendmsg sendmsg(MSG_DEALLOC_VGPRS)
	s_endpgm
	.section	.rodata,"a",@progbits
	.p2align	6, 0x0
	.amdhsa_kernel _ZN2at6native6mbtopk23computeBlockDigitCountsIN3c104HalfEmjLi3EEEvNS_4cuda6detail10TensorInfoIKT_T0_EEjPjjSA_iijT1_PSD_Ps
		.amdhsa_group_segment_fixed_size 1024
		.amdhsa_private_segment_fixed_size 0
		.amdhsa_kernarg_size 736
		.amdhsa_user_sgpr_count 13
		.amdhsa_user_sgpr_dispatch_ptr 0
		.amdhsa_user_sgpr_queue_ptr 0
		.amdhsa_user_sgpr_kernarg_segment_ptr 1
		.amdhsa_user_sgpr_dispatch_id 0
		.amdhsa_user_sgpr_private_segment_size 0
		.amdhsa_wavefront_size32 1
		.amdhsa_uses_dynamic_stack 0
		.amdhsa_enable_private_segment 0
		.amdhsa_system_sgpr_workgroup_id_x 1
		.amdhsa_system_sgpr_workgroup_id_y 1
		.amdhsa_system_sgpr_workgroup_id_z 1
		.amdhsa_system_sgpr_workgroup_info 0
		.amdhsa_system_vgpr_workitem_id 0
		.amdhsa_next_free_vgpr 11
		.amdhsa_next_free_sgpr 32
		.amdhsa_reserve_vcc 1
		.amdhsa_float_round_mode_32 0
		.amdhsa_float_round_mode_16_64 0
		.amdhsa_float_denorm_mode_32 3
		.amdhsa_float_denorm_mode_16_64 3
		.amdhsa_dx10_clamp 1
		.amdhsa_ieee_mode 1
		.amdhsa_fp16_overflow 0
		.amdhsa_workgroup_processor_mode 1
		.amdhsa_memory_ordered 1
		.amdhsa_forward_progress 0
		.amdhsa_shared_vgpr_count 0
		.amdhsa_exception_fp_ieee_invalid_op 0
		.amdhsa_exception_fp_denorm_src 0
		.amdhsa_exception_fp_ieee_div_zero 0
		.amdhsa_exception_fp_ieee_overflow 0
		.amdhsa_exception_fp_ieee_underflow 0
		.amdhsa_exception_fp_ieee_inexact 0
		.amdhsa_exception_int_div_zero 0
	.end_amdhsa_kernel
	.section	.text._ZN2at6native6mbtopk23computeBlockDigitCountsIN3c104HalfEmjLi3EEEvNS_4cuda6detail10TensorInfoIKT_T0_EEjPjjSA_iijT1_PSD_Ps,"axG",@progbits,_ZN2at6native6mbtopk23computeBlockDigitCountsIN3c104HalfEmjLi3EEEvNS_4cuda6detail10TensorInfoIKT_T0_EEjPjjSA_iijT1_PSD_Ps,comdat
.Lfunc_end208:
	.size	_ZN2at6native6mbtopk23computeBlockDigitCountsIN3c104HalfEmjLi3EEEvNS_4cuda6detail10TensorInfoIKT_T0_EEjPjjSA_iijT1_PSD_Ps, .Lfunc_end208-_ZN2at6native6mbtopk23computeBlockDigitCountsIN3c104HalfEmjLi3EEEvNS_4cuda6detail10TensorInfoIKT_T0_EEjPjjSA_iijT1_PSD_Ps
                                        ; -- End function
	.section	.AMDGPU.csdata,"",@progbits
; Kernel info:
; codeLenInByte = 1700
; NumSgprs: 34
; NumVgprs: 11
; ScratchSize: 0
; MemoryBound: 0
; FloatMode: 240
; IeeeMode: 1
; LDSByteSize: 1024 bytes/workgroup (compile time only)
; SGPRBlocks: 4
; VGPRBlocks: 1
; NumSGPRsForWavesPerEU: 34
; NumVGPRsForWavesPerEU: 11
; Occupancy: 16
; WaveLimiterHint : 1
; COMPUTE_PGM_RSRC2:SCRATCH_EN: 0
; COMPUTE_PGM_RSRC2:USER_SGPR: 13
; COMPUTE_PGM_RSRC2:TRAP_HANDLER: 0
; COMPUTE_PGM_RSRC2:TGID_X_EN: 1
; COMPUTE_PGM_RSRC2:TGID_Y_EN: 1
; COMPUTE_PGM_RSRC2:TGID_Z_EN: 1
; COMPUTE_PGM_RSRC2:TIDIG_COMP_CNT: 0
	.section	.text._ZN2at6native6mbtopk10gatherTopKIN3c104HalfEmLi3EEEvNS_4cuda6detail10TensorInfoIKT_T0_EESA_SA_bjSA_NS7_IS8_SA_EESA_NS7_IlSA_EESA_jjPS8_PjSF_j,"axG",@progbits,_ZN2at6native6mbtopk10gatherTopKIN3c104HalfEmLi3EEEvNS_4cuda6detail10TensorInfoIKT_T0_EESA_SA_bjSA_NS7_IS8_SA_EESA_NS7_IlSA_EESA_jjPS8_PjSF_j,comdat
	.protected	_ZN2at6native6mbtopk10gatherTopKIN3c104HalfEmLi3EEEvNS_4cuda6detail10TensorInfoIKT_T0_EESA_SA_bjSA_NS7_IS8_SA_EESA_NS7_IlSA_EESA_jjPS8_PjSF_j ; -- Begin function _ZN2at6native6mbtopk10gatherTopKIN3c104HalfEmLi3EEEvNS_4cuda6detail10TensorInfoIKT_T0_EESA_SA_bjSA_NS7_IS8_SA_EESA_NS7_IlSA_EESA_jjPS8_PjSF_j
	.globl	_ZN2at6native6mbtopk10gatherTopKIN3c104HalfEmLi3EEEvNS_4cuda6detail10TensorInfoIKT_T0_EESA_SA_bjSA_NS7_IS8_SA_EESA_NS7_IlSA_EESA_jjPS8_PjSF_j
	.p2align	8
	.type	_ZN2at6native6mbtopk10gatherTopKIN3c104HalfEmLi3EEEvNS_4cuda6detail10TensorInfoIKT_T0_EESA_SA_bjSA_NS7_IS8_SA_EESA_NS7_IlSA_EESA_jjPS8_PjSF_j,@function
_ZN2at6native6mbtopk10gatherTopKIN3c104HalfEmLi3EEEvNS_4cuda6detail10TensorInfoIKT_T0_EESA_SA_bjSA_NS7_IS8_SA_EESA_NS7_IlSA_EESA_jjPS8_PjSF_j: ; @_ZN2at6native6mbtopk10gatherTopKIN3c104HalfEmLi3EEEvNS_4cuda6detail10TensorInfoIKT_T0_EESA_SA_bjSA_NS7_IS8_SA_EESA_NS7_IlSA_EESA_jjPS8_PjSF_j
; %bb.0:
	s_clause 0x1
	s_load_b64 s[2:3], s[0:1], 0x538
	s_load_b32 s4, s[0:1], 0x530
	s_waitcnt lgkmcnt(0)
	s_mul_i32 s3, s3, s15
	s_delay_alu instid0(SALU_CYCLE_1) | instskip(NEXT) | instid1(SALU_CYCLE_1)
	s_add_i32 s3, s3, s14
	s_mul_i32 s2, s3, s2
	s_delay_alu instid0(SALU_CYCLE_1) | instskip(NEXT) | instid1(SALU_CYCLE_1)
	s_add_i32 s2, s2, s13
	s_cmp_ge_u32 s2, s4
	s_cbranch_scc1 .LBB209_54
; %bb.1:
	s_load_b64 s[34:35], s[0:1], 0x510
	s_mov_b32 s45, 0
	s_waitcnt lgkmcnt(0)
	v_cvt_f32_u32_e32 v1, s35
	s_sub_i32 s4, 0, s35
	s_lshl_b32 s33, s34, 8
	s_delay_alu instid0(VALU_DEP_1) | instskip(SKIP_2) | instid1(VALU_DEP_1)
	v_rcp_iflag_f32_e32 v1, v1
	s_waitcnt_depctr 0xfff
	v_mul_f32_e32 v1, 0x4f7ffffe, v1
	v_cvt_u32_f32_e32 v1, v1
	s_delay_alu instid0(VALU_DEP_1) | instskip(NEXT) | instid1(VALU_DEP_1)
	v_readfirstlane_b32 s3, v1
	s_mul_i32 s4, s4, s3
	s_delay_alu instid0(SALU_CYCLE_1) | instskip(NEXT) | instid1(SALU_CYCLE_1)
	s_mul_hi_u32 s4, s3, s4
	s_add_i32 s3, s3, s4
	s_clause 0x1
	s_load_b128 s[4:7], s[0:1], 0x1a0
	s_load_b128 s[8:11], s[0:1], 0x10
	s_mul_hi_u32 s3, s2, s3
	s_delay_alu instid0(SALU_CYCLE_1) | instskip(SKIP_2) | instid1(SALU_CYCLE_1)
	s_mul_i32 s12, s3, s35
	s_add_i32 s13, s3, 1
	s_sub_i32 s12, s2, s12
	s_sub_i32 s14, s12, s35
	s_cmp_ge_u32 s12, s35
	s_cselect_b32 s3, s13, s3
	s_cselect_b32 s12, s14, s12
	s_add_i32 s13, s3, 1
	s_cmp_ge_u32 s12, s35
	s_cselect_b32 s44, s13, s3
	s_delay_alu instid0(SALU_CYCLE_1) | instskip(NEXT) | instid1(SALU_CYCLE_1)
	s_mul_i32 s52, s44, s35
	s_sub_i32 s72, s2, s52
	s_delay_alu instid0(SALU_CYCLE_1) | instskip(NEXT) | instid1(SALU_CYCLE_1)
	s_add_i32 s2, s72, 1
	s_cmp_lt_u32 s2, s35
	s_cbranch_scc1 .LBB209_3
; %bb.2:
	s_mul_i32 s2, s72, s33
	s_waitcnt lgkmcnt(0)
	s_sub_u32 s2, s4, s2
	s_subb_u32 s3, s5, 0
	s_add_u32 s2, s2, 0xff
	s_addc_u32 s3, s3, 0
	s_delay_alu instid0(SALU_CYCLE_1) | instskip(NEXT) | instid1(SALU_CYCLE_1)
	s_ashr_i32 s12, s3, 31
	s_lshr_b32 s12, s12, 24
	s_delay_alu instid0(SALU_CYCLE_1) | instskip(SKIP_1) | instid1(SALU_CYCLE_1)
	s_add_u32 s2, s2, s12
	s_addc_u32 s3, s3, 0
	v_alignbit_b32 v1, s3, s2, 8
	s_delay_alu instid0(VALU_DEP_1)
	v_readfirstlane_b32 s34, v1
.LBB209_3:
	s_waitcnt lgkmcnt(0)
	v_cmp_lt_u64_e64 s2, s[44:45], s[10:11]
	s_mov_b64 s[46:47], 0
	s_mov_b64 s[48:49], 0
	s_delay_alu instid0(VALU_DEP_1)
	s_and_b32 vcc_lo, exec_lo, s2
	s_cbranch_vccnz .LBB209_5
; %bb.4:
	v_cvt_f32_u32_e32 v1, s10
	s_sub_i32 s3, 0, s10
	s_mov_b32 s49, 0
	s_delay_alu instid0(VALU_DEP_1) | instskip(SKIP_2) | instid1(VALU_DEP_1)
	v_rcp_iflag_f32_e32 v1, v1
	s_waitcnt_depctr 0xfff
	v_mul_f32_e32 v1, 0x4f7ffffe, v1
	v_cvt_u32_f32_e32 v1, v1
	s_delay_alu instid0(VALU_DEP_1) | instskip(NEXT) | instid1(VALU_DEP_1)
	v_readfirstlane_b32 s2, v1
	s_mul_i32 s3, s3, s2
	s_delay_alu instid0(SALU_CYCLE_1) | instskip(NEXT) | instid1(SALU_CYCLE_1)
	s_mul_hi_u32 s3, s2, s3
	s_add_i32 s2, s2, s3
	s_delay_alu instid0(SALU_CYCLE_1) | instskip(NEXT) | instid1(SALU_CYCLE_1)
	s_mul_hi_u32 s2, s44, s2
	s_mul_i32 s3, s2, s10
	s_add_i32 s12, s2, 1
	s_sub_i32 s3, s44, s3
	s_delay_alu instid0(SALU_CYCLE_1)
	s_sub_i32 s13, s3, s10
	s_cmp_ge_u32 s3, s10
	s_cselect_b32 s2, s12, s2
	s_cselect_b32 s3, s13, s3
	s_add_i32 s12, s2, 1
	s_cmp_ge_u32 s3, s10
	s_cselect_b32 s48, s12, s2
.LBB209_5:
	s_load_b128 s[20:23], s[0:1], 0x1d0
	v_cmp_lt_u64_e64 s2, s[48:49], s[8:9]
	s_delay_alu instid0(VALU_DEP_1)
	s_and_b32 vcc_lo, exec_lo, s2
	s_cbranch_vccnz .LBB209_7
; %bb.6:
	v_cvt_f32_u32_e32 v1, s8
	s_sub_i32 s3, 0, s8
	s_delay_alu instid0(VALU_DEP_1) | instskip(SKIP_2) | instid1(VALU_DEP_1)
	v_rcp_iflag_f32_e32 v1, v1
	s_waitcnt_depctr 0xfff
	v_mul_f32_e32 v1, 0x4f7ffffe, v1
	v_cvt_u32_f32_e32 v1, v1
	s_delay_alu instid0(VALU_DEP_1) | instskip(NEXT) | instid1(VALU_DEP_1)
	v_readfirstlane_b32 s2, v1
	s_mul_i32 s3, s3, s2
	s_delay_alu instid0(SALU_CYCLE_1) | instskip(NEXT) | instid1(SALU_CYCLE_1)
	s_mul_hi_u32 s3, s2, s3
	s_add_i32 s2, s2, s3
	s_delay_alu instid0(SALU_CYCLE_1) | instskip(NEXT) | instid1(SALU_CYCLE_1)
	s_mul_hi_u32 s2, s48, s2
	s_mul_i32 s3, s2, s8
	s_add_i32 s12, s2, 1
	s_sub_i32 s3, s48, s3
	s_delay_alu instid0(SALU_CYCLE_1)
	s_sub_i32 s13, s3, s8
	s_cmp_ge_u32 s3, s8
	s_cselect_b32 s2, s12, s2
	s_cselect_b32 s3, s13, s3
	s_add_i32 s12, s2, 1
	s_cmp_ge_u32 s3, s8
	s_cselect_b32 s46, s12, s2
.LBB209_7:
	s_waitcnt lgkmcnt(0)
	v_cmp_lt_u64_e64 s2, s[44:45], s[22:23]
	s_mov_b64 s[50:51], 0
	s_mov_b64 s[58:59], 0
	s_delay_alu instid0(VALU_DEP_1)
	s_and_b32 vcc_lo, exec_lo, s2
	s_cbranch_vccnz .LBB209_9
; %bb.8:
	v_cvt_f32_u32_e32 v1, s22
	s_sub_i32 s3, 0, s22
	s_mov_b32 s59, 0
	s_delay_alu instid0(VALU_DEP_1) | instskip(SKIP_2) | instid1(VALU_DEP_1)
	v_rcp_iflag_f32_e32 v1, v1
	s_waitcnt_depctr 0xfff
	v_mul_f32_e32 v1, 0x4f7ffffe, v1
	v_cvt_u32_f32_e32 v1, v1
	s_delay_alu instid0(VALU_DEP_1) | instskip(NEXT) | instid1(VALU_DEP_1)
	v_readfirstlane_b32 s2, v1
	s_mul_i32 s3, s3, s2
	s_delay_alu instid0(SALU_CYCLE_1) | instskip(NEXT) | instid1(SALU_CYCLE_1)
	s_mul_hi_u32 s3, s2, s3
	s_add_i32 s2, s2, s3
	s_delay_alu instid0(SALU_CYCLE_1) | instskip(NEXT) | instid1(SALU_CYCLE_1)
	s_mul_hi_u32 s2, s44, s2
	s_mul_i32 s3, s2, s22
	s_add_i32 s12, s2, 1
	s_sub_i32 s3, s44, s3
	s_delay_alu instid0(SALU_CYCLE_1)
	s_sub_i32 s13, s3, s22
	s_cmp_ge_u32 s3, s22
	s_cselect_b32 s2, s12, s2
	s_cselect_b32 s3, s13, s3
	s_add_i32 s12, s2, 1
	s_cmp_ge_u32 s3, s22
	s_cselect_b32 s58, s12, s2
.LBB209_9:
	s_load_b128 s[24:27], s[0:1], 0x378
	v_cmp_lt_u64_e64 s2, s[58:59], s[20:21]
	s_delay_alu instid0(VALU_DEP_1)
	s_and_b32 vcc_lo, exec_lo, s2
	s_cbranch_vccnz .LBB209_11
; %bb.10:
	v_cvt_f32_u32_e32 v1, s20
	s_sub_i32 s3, 0, s20
	s_delay_alu instid0(VALU_DEP_1) | instskip(SKIP_2) | instid1(VALU_DEP_1)
	v_rcp_iflag_f32_e32 v1, v1
	s_waitcnt_depctr 0xfff
	v_mul_f32_e32 v1, 0x4f7ffffe, v1
	v_cvt_u32_f32_e32 v1, v1
	s_delay_alu instid0(VALU_DEP_1) | instskip(NEXT) | instid1(VALU_DEP_1)
	v_readfirstlane_b32 s2, v1
	s_mul_i32 s3, s3, s2
	s_delay_alu instid0(SALU_CYCLE_1) | instskip(NEXT) | instid1(SALU_CYCLE_1)
	s_mul_hi_u32 s3, s2, s3
	s_add_i32 s2, s2, s3
	s_delay_alu instid0(SALU_CYCLE_1) | instskip(NEXT) | instid1(SALU_CYCLE_1)
	s_mul_hi_u32 s2, s58, s2
	s_mul_i32 s3, s2, s20
	s_add_i32 s12, s2, 1
	s_sub_i32 s3, s58, s3
	s_delay_alu instid0(SALU_CYCLE_1)
	s_sub_i32 s13, s3, s20
	s_cmp_ge_u32 s3, s20
	s_cselect_b32 s2, s12, s2
	s_cselect_b32 s3, s13, s3
	s_add_i32 s12, s2, 1
	s_cmp_ge_u32 s3, s20
	s_cselect_b32 s50, s12, s2
.LBB209_11:
	s_waitcnt lgkmcnt(0)
	v_cmp_lt_u64_e64 s2, s[44:45], s[26:27]
	s_mov_b64 s[56:57], 0
	s_mov_b64 s[64:65], 0
	s_delay_alu instid0(VALU_DEP_1)
	s_and_b32 vcc_lo, exec_lo, s2
	s_cbranch_vccnz .LBB209_13
; %bb.12:
	v_cvt_f32_u32_e32 v1, s26
	s_sub_i32 s3, 0, s26
	s_mov_b32 s65, 0
	s_delay_alu instid0(VALU_DEP_1) | instskip(SKIP_2) | instid1(VALU_DEP_1)
	v_rcp_iflag_f32_e32 v1, v1
	s_waitcnt_depctr 0xfff
	v_mul_f32_e32 v1, 0x4f7ffffe, v1
	v_cvt_u32_f32_e32 v1, v1
	s_delay_alu instid0(VALU_DEP_1) | instskip(NEXT) | instid1(VALU_DEP_1)
	v_readfirstlane_b32 s2, v1
	s_mul_i32 s3, s3, s2
	s_delay_alu instid0(SALU_CYCLE_1) | instskip(NEXT) | instid1(SALU_CYCLE_1)
	s_mul_hi_u32 s3, s2, s3
	s_add_i32 s2, s2, s3
	s_delay_alu instid0(SALU_CYCLE_1) | instskip(NEXT) | instid1(SALU_CYCLE_1)
	s_mul_hi_u32 s2, s44, s2
	s_mul_i32 s3, s2, s26
	s_add_i32 s12, s2, 1
	s_sub_i32 s3, s44, s3
	s_delay_alu instid0(SALU_CYCLE_1)
	s_sub_i32 s13, s3, s26
	s_cmp_ge_u32 s3, s26
	s_cselect_b32 s2, s12, s2
	s_cselect_b32 s3, s13, s3
	s_add_i32 s12, s2, 1
	s_cmp_ge_u32 s3, s26
	s_cselect_b32 s64, s12, s2
.LBB209_13:
	s_clause 0x5
	s_load_b64 s[62:63], s[0:1], 0xe0
	s_load_b128 s[40:43], s[0:1], 0xd0
	s_load_b64 s[60:61], s[0:1], 0x2a0
	s_load_b128 s[36:39], s[0:1], 0x290
	;; [unrolled: 2-line block ×3, first 2 shown]
	v_cmp_lt_u64_e64 s2, s[64:65], s[24:25]
	s_delay_alu instid0(VALU_DEP_1)
	s_and_b32 vcc_lo, exec_lo, s2
	s_cbranch_vccnz .LBB209_15
; %bb.14:
	v_cvt_f32_u32_e32 v1, s24
	s_sub_i32 s3, 0, s24
	s_delay_alu instid0(VALU_DEP_1) | instskip(SKIP_2) | instid1(VALU_DEP_1)
	v_rcp_iflag_f32_e32 v1, v1
	s_waitcnt_depctr 0xfff
	v_mul_f32_e32 v1, 0x4f7ffffe, v1
	v_cvt_u32_f32_e32 v1, v1
	s_delay_alu instid0(VALU_DEP_1) | instskip(NEXT) | instid1(VALU_DEP_1)
	v_readfirstlane_b32 s2, v1
	s_mul_i32 s3, s3, s2
	s_delay_alu instid0(SALU_CYCLE_1) | instskip(NEXT) | instid1(SALU_CYCLE_1)
	s_mul_hi_u32 s3, s2, s3
	s_add_i32 s2, s2, s3
	s_delay_alu instid0(SALU_CYCLE_1) | instskip(NEXT) | instid1(SALU_CYCLE_1)
	s_mul_hi_u32 s2, s64, s2
	s_mul_i32 s3, s2, s24
	s_add_i32 s12, s2, 1
	s_sub_i32 s3, s64, s3
	s_delay_alu instid0(SALU_CYCLE_1)
	s_sub_i32 s13, s3, s24
	s_cmp_ge_u32 s3, s24
	s_cselect_b32 s2, s12, s2
	s_cselect_b32 s3, s13, s3
	s_add_i32 s12, s2, 1
	s_cmp_ge_u32 s3, s24
	s_cselect_b32 s56, s12, s2
.LBB209_15:
	s_clause 0x1
	s_load_b128 s[12:15], s[0:1], 0x518
	s_load_b64 s[66:67], s[0:1], 0x0
	s_lshl_b64 s[2:3], s[44:45], 1
	v_mov_b32_e32 v1, 0
	s_mov_b32 s53, 0
	s_waitcnt lgkmcnt(0)
	s_add_u32 s2, s12, s2
	s_addc_u32 s3, s13, s3
	global_load_u16 v1, v1, s[2:3]
	v_cmp_ne_u32_e64 s2, 0, v0
	v_cmp_eq_u32_e64 s3, 0, v0
	s_waitcnt vmcnt(0)
	v_readfirstlane_b32 s45, v1
	s_delay_alu instid0(VALU_DEP_2)
	s_and_saveexec_b32 s47, s3
	s_cbranch_execz .LBB209_31
; %bb.16:
	s_load_b64 s[12:13], s[0:1], 0x528
	s_lshl_b64 s[68:69], s[52:53], 2
	s_mov_b32 s51, 0
	s_add_u32 s16, s14, s68
	s_addc_u32 s17, s15, s69
	s_mov_b32 s52, 0
	s_waitcnt lgkmcnt(0)
	s_add_u32 s18, s12, s68
	s_addc_u32 s19, s13, s69
	s_cmp_lt_u32 s35, 4
	s_cbranch_scc1 .LBB209_28
; %bb.17:
	s_mov_b32 s57, 0
.LBB209_18:                             ; =>This Inner Loop Header: Depth=1
	s_add_u32 s16, s14, s68
	s_addc_u32 s17, s15, s69
	s_add_u32 s70, s12, s68
	s_load_b128 s[16:19], s[16:17], 0x0
	s_addc_u32 s71, s13, s69
	s_cmp_ge_u32 s57, s72
	s_cbranch_scc0 .LBB209_25
; %bb.19:                               ;   in Loop: Header=BB209_18 Depth=1
	s_add_i32 s73, s57, 1
	s_delay_alu instid0(SALU_CYCLE_1)
	s_cmp_ge_u32 s73, s72
	s_cbranch_scc0 .LBB209_26
.LBB209_20:                             ;   in Loop: Header=BB209_18 Depth=1
	s_add_i32 s73, s73, 1
	s_delay_alu instid0(SALU_CYCLE_1)
	s_cmp_ge_u32 s73, s72
	s_cbranch_scc0 .LBB209_27
.LBB209_21:                             ;   in Loop: Header=BB209_18 Depth=1
	s_add_i32 s73, s73, 1
	s_delay_alu instid0(SALU_CYCLE_1)
	s_cmp_ge_u32 s73, s72
	s_cbranch_scc1 .LBB209_23
.LBB209_22:                             ;   in Loop: Header=BB209_18 Depth=1
	s_load_b32 s70, s[70:71], 0xc
	s_waitcnt lgkmcnt(0)
	s_add_i32 s53, s53, s19
	s_add_i32 s51, s70, s51
.LBB209_23:                             ;   in Loop: Header=BB209_18 Depth=1
	s_waitcnt lgkmcnt(0)
	s_add_i32 s16, s16, s52
	s_delay_alu instid0(SALU_CYCLE_1) | instskip(NEXT) | instid1(SALU_CYCLE_1)
	s_add_i32 s16, s16, s17
	s_add_i32 s16, s16, s18
	s_delay_alu instid0(SALU_CYCLE_1)
	s_add_i32 s52, s16, s19
	s_add_u32 s14, s14, 16
	s_addc_u32 s15, s15, 0
	s_add_u32 s12, s12, 16
	s_addc_u32 s13, s13, 0
	s_add_i32 s71, s73, 4
	s_add_u32 s18, s12, s68
	s_addc_u32 s19, s13, s69
	s_add_u32 s16, s14, s68
	s_addc_u32 s17, s15, s69
	s_add_i32 s70, s73, 1
	s_cmp_ge_u32 s71, s35
	s_cbranch_scc1 .LBB209_29
; %bb.24:                               ;   in Loop: Header=BB209_18 Depth=1
	s_mov_b32 s57, s70
	s_branch .LBB209_18
.LBB209_25:                             ;   in Loop: Header=BB209_18 Depth=1
	s_load_b32 s73, s[70:71], 0x0
	s_waitcnt lgkmcnt(0)
	s_add_i32 s53, s16, s53
	s_add_i32 s51, s73, s51
	s_add_i32 s73, s57, 1
	s_delay_alu instid0(SALU_CYCLE_1)
	s_cmp_ge_u32 s73, s72
	s_cbranch_scc1 .LBB209_20
.LBB209_26:                             ;   in Loop: Header=BB209_18 Depth=1
	s_load_b32 s74, s[70:71], 0x4
	s_waitcnt lgkmcnt(0)
	s_add_i32 s53, s53, s17
	s_add_i32 s51, s74, s51
	;; [unrolled: 1-line block ×3, first 2 shown]
	s_delay_alu instid0(SALU_CYCLE_1)
	s_cmp_ge_u32 s73, s72
	s_cbranch_scc1 .LBB209_21
.LBB209_27:                             ;   in Loop: Header=BB209_18 Depth=1
	s_load_b32 s74, s[70:71], 0x8
	s_waitcnt lgkmcnt(0)
	s_add_i32 s53, s53, s18
	s_add_i32 s51, s74, s51
	;; [unrolled: 1-line block ×3, first 2 shown]
	s_delay_alu instid0(SALU_CYCLE_1)
	s_cmp_ge_u32 s73, s72
	s_cbranch_scc0 .LBB209_22
	s_branch .LBB209_23
.LBB209_28:
	s_mov_b32 s12, 0
	s_delay_alu instid0(SALU_CYCLE_1)
	s_cmp_ge_u32 s12, s35
	s_cbranch_scc0 .LBB209_52
	s_branch .LBB209_30
.LBB209_29:
	s_add_i32 s12, s57, 4
	s_delay_alu instid0(SALU_CYCLE_1)
	s_cmp_ge_u32 s12, s35
	s_cbranch_scc0 .LBB209_52
.LBB209_30:
	v_dual_mov_b32 v1, s51 :: v_dual_mov_b32 v2, s52
	v_dual_mov_b32 v3, s53 :: v_dual_mov_b32 v4, 0
	ds_store_b96 v4, v[1:3] offset:1056
.LBB209_31:
	s_or_b32 exec_lo, exec_lo, s47
	s_clause 0x1
	s_load_b128 s[12:15], s[0:1], 0x1b8
	s_load_b128 s[16:19], s[0:1], 0x360
	s_cmp_eq_u32 s34, 0
	s_waitcnt lgkmcnt(0)
	s_barrier
	buffer_gl0_inv
	s_cbranch_scc1 .LBB209_54
; %bb.32:
	s_mul_i32 s27, s64, s27
	s_mul_hi_u32 s35, s64, s26
	s_mul_i32 s26, s64, s26
	s_add_i32 s35, s35, s27
	s_sub_u32 s26, s44, s26
	s_subb_u32 s35, 0, s35
	s_mul_i32 s27, s26, s55
	s_mul_hi_u32 s47, s26, s54
	s_mul_i32 s35, s35, s54
	s_add_i32 s27, s47, s27
	s_mul_i32 s21, s50, s21
	s_add_i32 s27, s27, s35
	s_mul_hi_u32 s35, s50, s20
	s_mul_i32 s20, s50, s20
	s_add_i32 s35, s35, s21
	s_sub_u32 s20, s58, s20
	s_subb_u32 s35, s59, s35
	s_mul_i32 s21, s20, s39
	s_mul_hi_u32 s39, s20, s38
	s_mul_i32 s35, s35, s38
	s_add_i32 s21, s39, s21
	s_mul_i32 s37, s50, s37
	s_mul_hi_u32 s39, s50, s36
	s_add_i32 s21, s21, s35
	s_mul_i32 s23, s58, s23
	s_mul_hi_u32 s35, s58, s22
	s_mul_i32 s22, s58, s22
	s_add_i32 s37, s39, s37
	s_add_i32 s35, s35, s23
	s_sub_u32 s22, s44, s22
	s_subb_u32 s35, 0, s35
	s_mul_i32 s23, s22, s61
	s_mul_hi_u32 s39, s22, s60
	s_mul_i32 s35, s35, s60
	s_add_i32 s23, s39, s23
	s_mul_i32 s9, s46, s9
	s_add_i32 s23, s23, s35
	s_mul_hi_u32 s35, s46, s8
	s_mul_i32 s8, s46, s8
	s_add_i32 s35, s35, s9
	s_sub_u32 s8, s48, s8
	s_subb_u32 s35, s49, s35
	s_mul_i32 s9, s8, s43
	s_mul_hi_u32 s39, s8, s42
	s_mul_i32 s35, s35, s42
	s_add_i32 s9, s39, s9
	s_mul_i32 s39, s46, s41
	s_mul_hi_u32 s41, s46, s40
	s_add_i32 s9, s9, s35
	s_mul_i32 s11, s48, s11
	s_mul_hi_u32 s35, s48, s10
	s_mul_i32 s10, s48, s10
	s_add_i32 s41, s41, s39
	s_add_i32 s35, s35, s11
	s_sub_u32 s10, s44, s10
	s_subb_u32 s35, 0, s35
	s_mul_i32 s11, s10, s63
	s_mul_hi_u32 s39, s10, s62
	s_mul_i32 s35, s35, s62
	s_add_i32 s11, s39, s11
	s_mul_i32 s25, s56, s25
	s_add_i32 s11, s11, s35
	s_mul_hi_u32 s35, s56, s24
	s_mul_i32 s24, s56, s24
	s_add_i32 s35, s35, s25
	s_sub_u32 s24, s64, s24
	s_subb_u32 s35, s65, s35
	s_mul_i32 s25, s24, s31
	s_mul_hi_u32 s31, s24, s30
	s_mul_i32 s40, s46, s40
	s_add_i32 s25, s31, s25
	s_mul_i32 s35, s35, s30
	s_mul_i32 s29, s56, s29
	s_mul_hi_u32 s31, s56, s28
	s_lshl_b64 s[40:41], s[40:41], 1
	s_mul_i32 s8, s8, s42
	s_add_i32 s25, s25, s35
	s_add_i32 s29, s31, s29
	s_add_u32 s31, s66, s40
	s_addc_u32 s35, s67, s41
	s_lshl_b64 s[8:9], s[8:9], 1
	s_mul_i32 s10, s10, s62
	s_add_u32 s31, s31, s8
	s_addc_u32 s35, s35, s9
	s_lshl_b64 s[8:9], s[10:11], 1
	s_mul_i32 s36, s50, s36
	;; [unrolled: 4-line block ×3, first 2 shown]
	s_add_u32 s14, s14, s8
	v_dual_mov_b32 v5, 0 :: v_dual_add_nc_u32 v10, -1, v0
	s_addc_u32 s15, s15, s9
	s_lshl_b64 s[8:9], s[20:21], 1
	s_mul_i32 s22, s22, s60
	s_add_u32 s14, s14, s8
	s_addc_u32 s15, s15, s9
	s_lshl_b64 s[8:9], s[22:23], 1
	s_mul_i32 s28, s56, s28
	ds_load_b96 v[1:3], v5 offset:1056
	s_add_u32 s14, s14, s8
	s_addc_u32 s15, s15, s9
	s_lshl_b64 s[8:9], s[28:29], 3
	s_mul_i32 s24, s24, s30
	s_add_u32 s18, s18, s8
	s_addc_u32 s19, s19, s9
	s_lshl_b64 s[8:9], s[24:25], 3
	s_mul_i32 s26, s26, s54
	s_add_u32 s18, s18, s8
	s_addc_u32 s19, s19, s9
	s_lshl_b64 s[8:9], s[26:27], 3
	v_cmp_o_f16_e64 s20, s45, s45
	s_add_u32 s18, s18, s8
	s_sext_i32_i16 s8, s45
	s_addc_u32 s19, s19, s9
	s_and_b32 s9, 0xffff, s45
	s_cmp_gt_i32 s8, -1
	s_mov_b32 s8, 0x8000
	s_load_b32 s21, s[0:1], 0x1b0
	s_cselect_b32 s8, s8, 0xffff
	s_waitcnt lgkmcnt(0)
	v_dual_mov_b32 v14, 0x8000 :: v_dual_add_nc_u32 v1, v1, v2
	s_xor_b32 s8, s8, s9
	s_and_b32 s9, s20, exec_lo
	s_cselect_b32 s20, s8, 0xffff
	s_load_b64 s[8:9], s[0:1], 0x508
	v_lshrrev_b32_e32 v4, 5, v0
	v_mad_u64_u32 v[6:7], null, s72, s33, v[0:1]
	v_lshlrev_b32_e32 v2, 3, v0
	v_lshrrev_b32_e32 v11, 5, v10
	s_delay_alu instid0(VALU_DEP_4) | instskip(SKIP_4) | instid1(VALU_DEP_4)
	v_add_lshl_u32 v8, v4, v0, 2
	v_lshrrev_b32_e32 v4, 2, v0
	v_mbcnt_lo_u32_b32 v9, -1, 0
	v_cmp_gt_u32_e64 s0, 32, v0
	v_add_lshl_u32 v10, v11, v10, 2
                                        ; implicit-def: $vgpr15
	v_add_lshl_u32 v0, v4, v2, 2
	s_delay_alu instid0(VALU_DEP_4)
	v_dual_mov_b32 v4, v6 :: v_dual_and_b32 v11, 15, v9
	v_bfe_i32 v12, v9, 4, 1
	v_add_nc_u32_e32 v13, -1, v9
	s_bitcmp1_b32 s21, 0
	s_cselect_b32 s1, -1, 0
	s_branch .LBB209_35
.LBB209_33:                             ;   in Loop: Header=BB209_35 Depth=1
	s_or_b32 exec_lo, exec_lo, s21
	v_add_nc_u32_e32 v1, v2, v1
.LBB209_34:                             ;   in Loop: Header=BB209_35 Depth=1
	v_add_nc_u32_e32 v3, v16, v3
	v_add_nc_u32_e32 v4, 0x100, v4
	s_add_i32 s34, s34, -1
	s_delay_alu instid0(SALU_CYCLE_1)
	s_cmp_lg_u32 s34, 0
	s_cbranch_scc0 .LBB209_54
.LBB209_35:                             ; =>This Inner Loop Header: Depth=1
	v_mov_b32_e32 v2, v5
	v_mov_b32_e32 v6, v5
	s_mov_b32 s21, exec_lo
	v_cmpx_gt_u64_e64 s[4:5], v[4:5]
	s_cbranch_execz .LBB209_37
; %bb.36:                               ;   in Loop: Header=BB209_35 Depth=1
	v_mad_u64_u32 v[6:7], null, v4, s12, 0
	s_delay_alu instid0(VALU_DEP_1) | instskip(NEXT) | instid1(VALU_DEP_1)
	v_mov_b32_e32 v2, v7
	v_mad_u64_u32 v[15:16], null, v4, s13, v[2:3]
	s_delay_alu instid0(VALU_DEP_1) | instskip(NEXT) | instid1(VALU_DEP_1)
	v_mov_b32_e32 v7, v15
	v_lshlrev_b64 v[6:7], 1, v[6:7]
	s_delay_alu instid0(VALU_DEP_1) | instskip(NEXT) | instid1(VALU_DEP_2)
	v_add_co_u32 v6, vcc_lo, s10, v6
	v_add_co_ci_u32_e32 v7, vcc_lo, s11, v7, vcc_lo
	global_load_u16 v15, v[6:7], off
	s_waitcnt vmcnt(0)
	v_and_b32_e32 v2, 0xffff, v15
	v_cmp_lt_i16_e32 vcc_lo, -1, v15
	v_cndmask_b32_e32 v6, 0xffff, v14, vcc_lo
	v_cmp_o_f16_e32 vcc_lo, v15, v15
	s_delay_alu instid0(VALU_DEP_2) | instskip(NEXT) | instid1(VALU_DEP_1)
	v_xor_b32_e32 v2, v6, v2
	v_cndmask_b32_e32 v6, 0xffff, v2, vcc_lo
	s_delay_alu instid0(VALU_DEP_1) | instskip(SKIP_4) | instid1(VALU_DEP_2)
	v_cmp_lt_u32_e32 vcc_lo, s20, v6
	v_cndmask_b32_e64 v2, 0, 1, vcc_lo
	v_cmp_gt_u32_e32 vcc_lo, s20, v6
	v_cndmask_b32_e64 v7, 0, 1, vcc_lo
	v_cmp_eq_u32_e32 vcc_lo, s20, v6
	v_cndmask_b32_e64 v2, v7, v2, s1
	v_cndmask_b32_e64 v6, 0, 1, vcc_lo
	s_delay_alu instid0(VALU_DEP_2)
	v_and_b32_e32 v2, 1, v2
.LBB209_37:                             ;   in Loop: Header=BB209_35 Depth=1
	s_or_b32 exec_lo, exec_lo, s21
	ds_store_b32 v8, v2
	s_waitcnt lgkmcnt(0)
	s_waitcnt_vscnt null, 0x0
	s_barrier
	buffer_gl0_inv
	s_and_saveexec_b32 s21, s0
	s_cbranch_execz .LBB209_39
; %bb.38:                               ;   in Loop: Header=BB209_35 Depth=1
	ds_load_2addr_b32 v[16:17], v0 offset1:1
	ds_load_2addr_b32 v[18:19], v0 offset0:2 offset1:3
	ds_load_2addr_b32 v[20:21], v0 offset0:4 offset1:5
	;; [unrolled: 1-line block ×3, first 2 shown]
	v_cmp_ne_u32_e32 vcc_lo, 0, v11
	; wave barrier
	s_waitcnt lgkmcnt(3)
	v_add_nc_u32_e32 v7, v17, v16
	s_waitcnt lgkmcnt(2)
	s_delay_alu instid0(VALU_DEP_1) | instskip(SKIP_1) | instid1(VALU_DEP_1)
	v_add3_u32 v7, v7, v18, v19
	s_waitcnt lgkmcnt(1)
	v_add3_u32 v7, v7, v20, v21
	s_waitcnt lgkmcnt(0)
	s_delay_alu instid0(VALU_DEP_1) | instskip(NEXT) | instid1(VALU_DEP_1)
	v_add3_u32 v7, v7, v22, v23
	v_mov_b32_dpp v17, v7 row_shr:1 row_mask:0xf bank_mask:0xf
	s_delay_alu instid0(VALU_DEP_1) | instskip(SKIP_1) | instid1(VALU_DEP_2)
	v_cndmask_b32_e32 v17, 0, v17, vcc_lo
	v_cmp_lt_u32_e32 vcc_lo, 1, v11
	v_add_nc_u32_e32 v7, v17, v7
	s_delay_alu instid0(VALU_DEP_1) | instskip(NEXT) | instid1(VALU_DEP_1)
	v_mov_b32_dpp v17, v7 row_shr:2 row_mask:0xf bank_mask:0xf
	v_cndmask_b32_e32 v17, 0, v17, vcc_lo
	v_cmp_lt_u32_e32 vcc_lo, 3, v11
	s_delay_alu instid0(VALU_DEP_2) | instskip(NEXT) | instid1(VALU_DEP_1)
	v_add_nc_u32_e32 v7, v7, v17
	v_mov_b32_dpp v17, v7 row_shr:4 row_mask:0xf bank_mask:0xf
	s_delay_alu instid0(VALU_DEP_1) | instskip(SKIP_1) | instid1(VALU_DEP_2)
	v_cndmask_b32_e32 v17, 0, v17, vcc_lo
	v_cmp_lt_u32_e32 vcc_lo, 7, v11
	v_add_nc_u32_e32 v7, v7, v17
	s_delay_alu instid0(VALU_DEP_1) | instskip(NEXT) | instid1(VALU_DEP_1)
	v_mov_b32_dpp v17, v7 row_shr:8 row_mask:0xf bank_mask:0xf
	v_cndmask_b32_e32 v17, 0, v17, vcc_lo
	v_cmp_gt_i32_e32 vcc_lo, 0, v13
	s_delay_alu instid0(VALU_DEP_2)
	v_add_nc_u32_e32 v7, v7, v17
	v_cndmask_b32_e32 v18, v13, v9, vcc_lo
	ds_swizzle_b32 v17, v7 offset:swizzle(BROADCAST,32,15)
	v_lshlrev_b32_e32 v18, 2, v18
	s_waitcnt lgkmcnt(0)
	v_and_b32_e32 v17, v12, v17
	s_delay_alu instid0(VALU_DEP_1) | instskip(SKIP_3) | instid1(VALU_DEP_1)
	v_add_nc_u32_e32 v7, v7, v17
	ds_bpermute_b32 v7, v18, v7
	s_waitcnt lgkmcnt(0)
	v_add_nc_u32_e32 v7, v7, v16
	v_cndmask_b32_e64 v7, v7, v2, s3
	ds_store_b32 v0, v7
	; wave barrier
	ds_load_2addr_b32 v[16:17], v0 offset0:1 offset1:2
	ds_load_2addr_b32 v[18:19], v0 offset0:3 offset1:4
	;; [unrolled: 1-line block ×3, first 2 shown]
	ds_load_b32 v22, v0 offset:28
	s_waitcnt lgkmcnt(3)
	v_add_nc_u32_e32 v7, v16, v7
	s_delay_alu instid0(VALU_DEP_1) | instskip(SKIP_1) | instid1(VALU_DEP_1)
	v_add_nc_u32_e32 v16, v17, v7
	s_waitcnt lgkmcnt(2)
	v_add_nc_u32_e32 v17, v18, v16
	s_delay_alu instid0(VALU_DEP_1) | instskip(SKIP_1) | instid1(VALU_DEP_1)
	v_add_nc_u32_e32 v18, v19, v17
	;; [unrolled: 4-line block ×3, first 2 shown]
	s_waitcnt lgkmcnt(0)
	v_add_nc_u32_e32 v21, v22, v20
	ds_store_2addr_b32 v0, v7, v16 offset0:1 offset1:2
	ds_store_2addr_b32 v0, v17, v18 offset0:3 offset1:4
	;; [unrolled: 1-line block ×3, first 2 shown]
	ds_store_b32 v0, v21 offset:28
.LBB209_39:                             ;   in Loop: Header=BB209_35 Depth=1
	s_or_b32 exec_lo, exec_lo, s21
	v_mov_b32_e32 v7, 0
	s_waitcnt lgkmcnt(0)
	s_barrier
	buffer_gl0_inv
	s_and_saveexec_b32 s21, s2
	s_cbranch_execz .LBB209_41
; %bb.40:                               ;   in Loop: Header=BB209_35 Depth=1
	ds_load_b32 v7, v10
.LBB209_41:                             ;   in Loop: Header=BB209_35 Depth=1
	s_or_b32 exec_lo, exec_lo, s21
	ds_load_b32 v16, v5 offset:1048
	s_mov_b32 s21, exec_lo
	s_waitcnt lgkmcnt(0)
	s_barrier
	buffer_gl0_inv
	v_cmpx_ne_u32_e32 0, v2
	s_cbranch_execz .LBB209_43
; %bb.42:                               ;   in Loop: Header=BB209_35 Depth=1
	v_add_nc_u32_e32 v23, v7, v3
	s_delay_alu instid0(VALU_DEP_1) | instskip(NEXT) | instid1(VALU_DEP_1)
	v_mad_u64_u32 v[17:18], null, v23, s16, 0
	v_mov_b32_e32 v2, v18
	v_mad_u64_u32 v[19:20], null, v23, s8, 0
	s_delay_alu instid0(VALU_DEP_1) | instskip(NEXT) | instid1(VALU_DEP_3)
	v_mov_b32_e32 v7, v20
	v_mad_u64_u32 v[20:21], null, v23, s17, v[2:3]
	s_delay_alu instid0(VALU_DEP_2) | instskip(NEXT) | instid1(VALU_DEP_2)
	v_mad_u64_u32 v[21:22], null, v23, s9, v[7:8]
	v_mov_b32_e32 v18, v20
	s_delay_alu instid0(VALU_DEP_2) | instskip(NEXT) | instid1(VALU_DEP_2)
	v_mov_b32_e32 v20, v21
	v_lshlrev_b64 v[17:18], 1, v[17:18]
	s_delay_alu instid0(VALU_DEP_2) | instskip(NEXT) | instid1(VALU_DEP_2)
	v_lshlrev_b64 v[19:20], 3, v[19:20]
	v_add_co_u32 v17, vcc_lo, s14, v17
	s_delay_alu instid0(VALU_DEP_3) | instskip(NEXT) | instid1(VALU_DEP_3)
	v_add_co_ci_u32_e32 v18, vcc_lo, s15, v18, vcc_lo
	v_add_co_u32 v19, vcc_lo, s18, v19
	s_delay_alu instid0(VALU_DEP_4)
	v_add_co_ci_u32_e32 v20, vcc_lo, s19, v20, vcc_lo
	global_store_b16 v[17:18], v15, off
	global_store_b64 v[19:20], v[4:5], off
.LBB209_43:                             ;   in Loop: Header=BB209_35 Depth=1
	s_or_b32 exec_lo, exec_lo, s21
	v_mov_b32_e32 v2, v5
	s_delay_alu instid0(VALU_DEP_1)
	v_cmp_le_u64_e32 vcc_lo, s[6:7], v[1:2]
	s_cbranch_vccnz .LBB209_34
; %bb.44:                               ;   in Loop: Header=BB209_35 Depth=1
	ds_store_b32 v8, v6
	s_waitcnt lgkmcnt(0)
	s_waitcnt_vscnt null, 0x0
	s_barrier
	buffer_gl0_inv
	s_and_saveexec_b32 s21, s0
	s_cbranch_execz .LBB209_46
; %bb.45:                               ;   in Loop: Header=BB209_35 Depth=1
	ds_load_2addr_b32 v[17:18], v0 offset1:1
	ds_load_2addr_b32 v[19:20], v0 offset0:2 offset1:3
	ds_load_2addr_b32 v[21:22], v0 offset0:4 offset1:5
	;; [unrolled: 1-line block ×3, first 2 shown]
	v_cmp_ne_u32_e32 vcc_lo, 0, v11
	; wave barrier
	s_waitcnt lgkmcnt(3)
	v_add_nc_u32_e32 v2, v18, v17
	s_waitcnt lgkmcnt(2)
	s_delay_alu instid0(VALU_DEP_1) | instskip(SKIP_1) | instid1(VALU_DEP_1)
	v_add3_u32 v2, v2, v19, v20
	s_waitcnt lgkmcnt(1)
	v_add3_u32 v2, v2, v21, v22
	s_waitcnt lgkmcnt(0)
	s_delay_alu instid0(VALU_DEP_1) | instskip(NEXT) | instid1(VALU_DEP_1)
	v_add3_u32 v2, v2, v23, v24
	v_mov_b32_dpp v7, v2 row_shr:1 row_mask:0xf bank_mask:0xf
	s_delay_alu instid0(VALU_DEP_1) | instskip(SKIP_1) | instid1(VALU_DEP_2)
	v_cndmask_b32_e32 v7, 0, v7, vcc_lo
	v_cmp_lt_u32_e32 vcc_lo, 1, v11
	v_add_nc_u32_e32 v2, v7, v2
	s_delay_alu instid0(VALU_DEP_1) | instskip(NEXT) | instid1(VALU_DEP_1)
	v_mov_b32_dpp v7, v2 row_shr:2 row_mask:0xf bank_mask:0xf
	v_cndmask_b32_e32 v7, 0, v7, vcc_lo
	v_cmp_lt_u32_e32 vcc_lo, 3, v11
	s_delay_alu instid0(VALU_DEP_2) | instskip(NEXT) | instid1(VALU_DEP_1)
	v_add_nc_u32_e32 v2, v2, v7
	v_mov_b32_dpp v7, v2 row_shr:4 row_mask:0xf bank_mask:0xf
	s_delay_alu instid0(VALU_DEP_1) | instskip(SKIP_1) | instid1(VALU_DEP_2)
	v_cndmask_b32_e32 v7, 0, v7, vcc_lo
	v_cmp_lt_u32_e32 vcc_lo, 7, v11
	v_add_nc_u32_e32 v2, v2, v7
	s_delay_alu instid0(VALU_DEP_1) | instskip(NEXT) | instid1(VALU_DEP_1)
	v_mov_b32_dpp v7, v2 row_shr:8 row_mask:0xf bank_mask:0xf
	v_cndmask_b32_e32 v7, 0, v7, vcc_lo
	v_cmp_gt_i32_e32 vcc_lo, 0, v13
	v_cndmask_b32_e32 v18, v13, v9, vcc_lo
	s_delay_alu instid0(VALU_DEP_1) | instskip(NEXT) | instid1(VALU_DEP_4)
	v_lshlrev_b32_e32 v18, 2, v18
	v_add_nc_u32_e32 v2, v2, v7
	ds_swizzle_b32 v7, v2 offset:swizzle(BROADCAST,32,15)
	s_waitcnt lgkmcnt(0)
	v_and_b32_e32 v7, v12, v7
	s_delay_alu instid0(VALU_DEP_1) | instskip(SKIP_3) | instid1(VALU_DEP_1)
	v_add_nc_u32_e32 v2, v2, v7
	ds_bpermute_b32 v2, v18, v2
	s_waitcnt lgkmcnt(0)
	v_add_nc_u32_e32 v2, v2, v17
	v_cndmask_b32_e64 v2, v2, v6, s3
	ds_store_b32 v0, v2
	; wave barrier
	ds_load_2addr_b32 v[17:18], v0 offset0:1 offset1:2
	ds_load_2addr_b32 v[19:20], v0 offset0:3 offset1:4
	;; [unrolled: 1-line block ×3, first 2 shown]
	ds_load_b32 v7, v0 offset:28
	s_waitcnt lgkmcnt(3)
	v_add_nc_u32_e32 v2, v17, v2
	s_delay_alu instid0(VALU_DEP_1) | instskip(SKIP_1) | instid1(VALU_DEP_1)
	v_add_nc_u32_e32 v17, v18, v2
	s_waitcnt lgkmcnt(2)
	v_add_nc_u32_e32 v18, v19, v17
	s_delay_alu instid0(VALU_DEP_1) | instskip(SKIP_1) | instid1(VALU_DEP_1)
	v_add_nc_u32_e32 v19, v20, v18
	;; [unrolled: 4-line block ×3, first 2 shown]
	s_waitcnt lgkmcnt(0)
	v_add_nc_u32_e32 v7, v7, v21
	ds_store_2addr_b32 v0, v2, v17 offset0:1 offset1:2
	ds_store_2addr_b32 v0, v18, v19 offset0:3 offset1:4
	;; [unrolled: 1-line block ×3, first 2 shown]
	ds_store_b32 v0, v7 offset:28
.LBB209_46:                             ;   in Loop: Header=BB209_35 Depth=1
	s_or_b32 exec_lo, exec_lo, s21
	v_mov_b32_e32 v7, 0
	s_waitcnt lgkmcnt(0)
	s_barrier
	buffer_gl0_inv
	s_and_saveexec_b32 s21, s2
	s_cbranch_execz .LBB209_48
; %bb.47:                               ;   in Loop: Header=BB209_35 Depth=1
	ds_load_b32 v7, v10
.LBB209_48:                             ;   in Loop: Header=BB209_35 Depth=1
	s_or_b32 exec_lo, exec_lo, s21
	ds_load_b32 v2, v5 offset:1048
	s_mov_b32 s21, exec_lo
	s_waitcnt lgkmcnt(0)
	s_barrier
	buffer_gl0_inv
	v_cmpx_ne_u32_e32 0, v6
	s_cbranch_execz .LBB209_33
; %bb.49:                               ;   in Loop: Header=BB209_35 Depth=1
	v_dual_mov_b32 v7, v5 :: v_dual_add_nc_u32 v6, v7, v1
	s_delay_alu instid0(VALU_DEP_1)
	v_cmp_gt_u64_e32 vcc_lo, s[6:7], v[6:7]
	s_and_b32 exec_lo, exec_lo, vcc_lo
	s_cbranch_execz .LBB209_33
; %bb.50:                               ;   in Loop: Header=BB209_35 Depth=1
	v_mad_u64_u32 v[17:18], null, v6, s16, 0
	v_mad_u64_u32 v[19:20], null, v6, s8, 0
	s_delay_alu instid0(VALU_DEP_1) | instskip(NEXT) | instid1(VALU_DEP_1)
	v_dual_mov_b32 v7, v18 :: v_dual_mov_b32 v18, v20
	v_mad_u64_u32 v[20:21], null, v6, s17, v[7:8]
	s_delay_alu instid0(VALU_DEP_2) | instskip(NEXT) | instid1(VALU_DEP_2)
	v_mad_u64_u32 v[21:22], null, v6, s9, v[18:19]
	v_mov_b32_e32 v18, v20
	s_delay_alu instid0(VALU_DEP_2) | instskip(NEXT) | instid1(VALU_DEP_2)
	v_mov_b32_e32 v20, v21
	v_lshlrev_b64 v[6:7], 1, v[17:18]
	s_delay_alu instid0(VALU_DEP_2) | instskip(NEXT) | instid1(VALU_DEP_2)
	v_lshlrev_b64 v[17:18], 3, v[19:20]
	v_add_co_u32 v6, vcc_lo, s14, v6
	s_delay_alu instid0(VALU_DEP_3) | instskip(NEXT) | instid1(VALU_DEP_3)
	v_add_co_ci_u32_e32 v7, vcc_lo, s15, v7, vcc_lo
	v_add_co_u32 v17, vcc_lo, s18, v17
	s_delay_alu instid0(VALU_DEP_4)
	v_add_co_ci_u32_e32 v18, vcc_lo, s19, v18, vcc_lo
	global_store_b16 v[6:7], v15, off
	global_store_b64 v[17:18], v[4:5], off
	s_branch .LBB209_33
	.p2align	6
.LBB209_51:                             ;   in Loop: Header=BB209_52 Depth=1
	s_add_u32 s16, s16, 4
	s_addc_u32 s17, s17, 0
	s_waitcnt lgkmcnt(0)
	s_add_i32 s52, s13, s52
	s_add_u32 s18, s18, 4
	s_addc_u32 s19, s19, 0
	s_add_i32 s12, s12, 1
	s_delay_alu instid0(SALU_CYCLE_1)
	s_cmp_lt_u32 s12, s35
	s_cbranch_scc0 .LBB209_30
.LBB209_52:                             ; =>This Inner Loop Header: Depth=1
	s_load_b32 s13, s[16:17], 0x0
	s_cmp_ge_u32 s12, s72
	s_cbranch_scc1 .LBB209_51
; %bb.53:                               ;   in Loop: Header=BB209_52 Depth=1
	s_load_b32 s14, s[18:19], 0x0
	s_waitcnt lgkmcnt(0)
	s_add_i32 s53, s13, s53
	s_add_i32 s51, s14, s51
	s_branch .LBB209_51
.LBB209_54:
	s_nop 0
	s_sendmsg sendmsg(MSG_DEALLOC_VGPRS)
	s_endpgm
	.section	.rodata,"a",@progbits
	.p2align	6, 0x0
	.amdhsa_kernel _ZN2at6native6mbtopk10gatherTopKIN3c104HalfEmLi3EEEvNS_4cuda6detail10TensorInfoIKT_T0_EESA_SA_bjSA_NS7_IS8_SA_EESA_NS7_IlSA_EESA_jjPS8_PjSF_j
		.amdhsa_group_segment_fixed_size 1068
		.amdhsa_private_segment_fixed_size 0
		.amdhsa_kernarg_size 1592
		.amdhsa_user_sgpr_count 13
		.amdhsa_user_sgpr_dispatch_ptr 0
		.amdhsa_user_sgpr_queue_ptr 0
		.amdhsa_user_sgpr_kernarg_segment_ptr 1
		.amdhsa_user_sgpr_dispatch_id 0
		.amdhsa_user_sgpr_private_segment_size 0
		.amdhsa_wavefront_size32 1
		.amdhsa_uses_dynamic_stack 0
		.amdhsa_enable_private_segment 0
		.amdhsa_system_sgpr_workgroup_id_x 1
		.amdhsa_system_sgpr_workgroup_id_y 1
		.amdhsa_system_sgpr_workgroup_id_z 1
		.amdhsa_system_sgpr_workgroup_info 0
		.amdhsa_system_vgpr_workitem_id 0
		.amdhsa_next_free_vgpr 25
		.amdhsa_next_free_sgpr 75
		.amdhsa_reserve_vcc 1
		.amdhsa_float_round_mode_32 0
		.amdhsa_float_round_mode_16_64 0
		.amdhsa_float_denorm_mode_32 3
		.amdhsa_float_denorm_mode_16_64 3
		.amdhsa_dx10_clamp 1
		.amdhsa_ieee_mode 1
		.amdhsa_fp16_overflow 0
		.amdhsa_workgroup_processor_mode 1
		.amdhsa_memory_ordered 1
		.amdhsa_forward_progress 0
		.amdhsa_shared_vgpr_count 0
		.amdhsa_exception_fp_ieee_invalid_op 0
		.amdhsa_exception_fp_denorm_src 0
		.amdhsa_exception_fp_ieee_div_zero 0
		.amdhsa_exception_fp_ieee_overflow 0
		.amdhsa_exception_fp_ieee_underflow 0
		.amdhsa_exception_fp_ieee_inexact 0
		.amdhsa_exception_int_div_zero 0
	.end_amdhsa_kernel
	.section	.text._ZN2at6native6mbtopk10gatherTopKIN3c104HalfEmLi3EEEvNS_4cuda6detail10TensorInfoIKT_T0_EESA_SA_bjSA_NS7_IS8_SA_EESA_NS7_IlSA_EESA_jjPS8_PjSF_j,"axG",@progbits,_ZN2at6native6mbtopk10gatherTopKIN3c104HalfEmLi3EEEvNS_4cuda6detail10TensorInfoIKT_T0_EESA_SA_bjSA_NS7_IS8_SA_EESA_NS7_IlSA_EESA_jjPS8_PjSF_j,comdat
.Lfunc_end209:
	.size	_ZN2at6native6mbtopk10gatherTopKIN3c104HalfEmLi3EEEvNS_4cuda6detail10TensorInfoIKT_T0_EESA_SA_bjSA_NS7_IS8_SA_EESA_NS7_IlSA_EESA_jjPS8_PjSF_j, .Lfunc_end209-_ZN2at6native6mbtopk10gatherTopKIN3c104HalfEmLi3EEEvNS_4cuda6detail10TensorInfoIKT_T0_EESA_SA_bjSA_NS7_IS8_SA_EESA_NS7_IlSA_EESA_jjPS8_PjSF_j
                                        ; -- End function
	.section	.AMDGPU.csdata,"",@progbits
; Kernel info:
; codeLenInByte = 3992
; NumSgprs: 77
; NumVgprs: 25
; ScratchSize: 0
; MemoryBound: 0
; FloatMode: 240
; IeeeMode: 1
; LDSByteSize: 1068 bytes/workgroup (compile time only)
; SGPRBlocks: 9
; VGPRBlocks: 3
; NumSGPRsForWavesPerEU: 77
; NumVGPRsForWavesPerEU: 25
; Occupancy: 16
; WaveLimiterHint : 1
; COMPUTE_PGM_RSRC2:SCRATCH_EN: 0
; COMPUTE_PGM_RSRC2:USER_SGPR: 13
; COMPUTE_PGM_RSRC2:TRAP_HANDLER: 0
; COMPUTE_PGM_RSRC2:TGID_X_EN: 1
; COMPUTE_PGM_RSRC2:TGID_Y_EN: 1
; COMPUTE_PGM_RSRC2:TGID_Z_EN: 1
; COMPUTE_PGM_RSRC2:TIDIG_COMP_CNT: 0
	.section	.text._ZN2at6native6sbtopk10gatherTopKIN3c104HalfEmLi3ELb0EEEvNS_4cuda6detail10TensorInfoIKT_T0_EESA_SA_bSA_SA_NS7_IS8_SA_EESA_NS7_IlSA_EESA_PS8_,"axG",@progbits,_ZN2at6native6sbtopk10gatherTopKIN3c104HalfEmLi3ELb0EEEvNS_4cuda6detail10TensorInfoIKT_T0_EESA_SA_bSA_SA_NS7_IS8_SA_EESA_NS7_IlSA_EESA_PS8_,comdat
	.protected	_ZN2at6native6sbtopk10gatherTopKIN3c104HalfEmLi3ELb0EEEvNS_4cuda6detail10TensorInfoIKT_T0_EESA_SA_bSA_SA_NS7_IS8_SA_EESA_NS7_IlSA_EESA_PS8_ ; -- Begin function _ZN2at6native6sbtopk10gatherTopKIN3c104HalfEmLi3ELb0EEEvNS_4cuda6detail10TensorInfoIKT_T0_EESA_SA_bSA_SA_NS7_IS8_SA_EESA_NS7_IlSA_EESA_PS8_
	.globl	_ZN2at6native6sbtopk10gatherTopKIN3c104HalfEmLi3ELb0EEEvNS_4cuda6detail10TensorInfoIKT_T0_EESA_SA_bSA_SA_NS7_IS8_SA_EESA_NS7_IlSA_EESA_PS8_
	.p2align	8
	.type	_ZN2at6native6sbtopk10gatherTopKIN3c104HalfEmLi3ELb0EEEvNS_4cuda6detail10TensorInfoIKT_T0_EESA_SA_bSA_SA_NS7_IS8_SA_EESA_NS7_IlSA_EESA_PS8_,@function
_ZN2at6native6sbtopk10gatherTopKIN3c104HalfEmLi3ELb0EEEvNS_4cuda6detail10TensorInfoIKT_T0_EESA_SA_bSA_SA_NS7_IS8_SA_EESA_NS7_IlSA_EESA_PS8_: ; @_ZN2at6native6sbtopk10gatherTopKIN3c104HalfEmLi3ELb0EEEvNS_4cuda6detail10TensorInfoIKT_T0_EESA_SA_bSA_SA_NS7_IS8_SA_EESA_NS7_IlSA_EESA_PS8_
; %bb.0:
	s_clause 0x1
	s_load_b64 s[22:23], s[0:1], 0x520
	s_load_b128 s[28:31], s[0:1], 0x1b8
	s_add_u32 s20, s0, 0x520
	s_addc_u32 s21, s1, 0
	s_mov_b32 s35, 0
	s_waitcnt lgkmcnt(0)
	s_mul_i32 s2, s23, s15
	s_delay_alu instid0(SALU_CYCLE_1) | instskip(NEXT) | instid1(SALU_CYCLE_1)
	s_add_i32 s2, s2, s14
	s_mul_i32 s2, s2, s22
	s_delay_alu instid0(SALU_CYCLE_1) | instskip(NEXT) | instid1(SALU_CYCLE_1)
	s_add_i32 s34, s2, s13
	v_cmp_ge_u64_e64 s2, s[34:35], s[28:29]
	s_delay_alu instid0(VALU_DEP_1)
	s_and_b32 vcc_lo, exec_lo, s2
	s_cbranch_vccnz .LBB210_549
; %bb.1:
	s_load_b128 s[8:11], s[0:1], 0x10
	s_mov_b64 s[2:3], 0
	s_mov_b64 s[6:7], 0
	s_waitcnt lgkmcnt(0)
	v_cmp_lt_u64_e64 s4, s[34:35], s[10:11]
	s_delay_alu instid0(VALU_DEP_1)
	s_and_b32 vcc_lo, exec_lo, s4
	s_cbranch_vccnz .LBB210_3
; %bb.2:
	v_cvt_f32_u32_e32 v1, s10
	s_sub_i32 s4, 0, s10
	s_mov_b32 s7, 0
	s_delay_alu instid0(VALU_DEP_1) | instskip(SKIP_2) | instid1(VALU_DEP_1)
	v_rcp_iflag_f32_e32 v1, v1
	s_waitcnt_depctr 0xfff
	v_mul_f32_e32 v1, 0x4f7ffffe, v1
	v_cvt_u32_f32_e32 v1, v1
	s_delay_alu instid0(VALU_DEP_1) | instskip(NEXT) | instid1(VALU_DEP_1)
	v_readfirstlane_b32 s3, v1
	s_mul_i32 s4, s4, s3
	s_delay_alu instid0(SALU_CYCLE_1) | instskip(NEXT) | instid1(SALU_CYCLE_1)
	s_mul_hi_u32 s4, s3, s4
	s_add_i32 s3, s3, s4
	s_delay_alu instid0(SALU_CYCLE_1) | instskip(NEXT) | instid1(SALU_CYCLE_1)
	s_mul_hi_u32 s3, s34, s3
	s_mul_i32 s4, s3, s10
	s_add_i32 s5, s3, 1
	s_sub_i32 s4, s34, s4
	s_delay_alu instid0(SALU_CYCLE_1)
	s_sub_i32 s6, s4, s10
	s_cmp_ge_u32 s4, s10
	s_cselect_b32 s3, s5, s3
	s_cselect_b32 s4, s6, s4
	s_add_i32 s5, s3, 1
	s_cmp_ge_u32 s4, s10
	s_cselect_b32 s6, s5, s3
.LBB210_3:
	s_load_b128 s[40:43], s[0:1], 0x1d8
	v_cmp_lt_u64_e64 s3, s[6:7], s[8:9]
	s_delay_alu instid0(VALU_DEP_1)
	s_and_b32 vcc_lo, exec_lo, s3
	s_cbranch_vccnz .LBB210_5
; %bb.4:
	v_cvt_f32_u32_e32 v1, s8
	s_sub_i32 s3, 0, s8
	s_delay_alu instid0(VALU_DEP_1) | instskip(SKIP_2) | instid1(VALU_DEP_1)
	v_rcp_iflag_f32_e32 v1, v1
	s_waitcnt_depctr 0xfff
	v_mul_f32_e32 v1, 0x4f7ffffe, v1
	v_cvt_u32_f32_e32 v1, v1
	s_delay_alu instid0(VALU_DEP_1) | instskip(NEXT) | instid1(VALU_DEP_1)
	v_readfirstlane_b32 s2, v1
	s_mul_i32 s3, s3, s2
	s_delay_alu instid0(SALU_CYCLE_1) | instskip(NEXT) | instid1(SALU_CYCLE_1)
	s_mul_hi_u32 s3, s2, s3
	s_add_i32 s2, s2, s3
	s_delay_alu instid0(SALU_CYCLE_1) | instskip(NEXT) | instid1(SALU_CYCLE_1)
	s_mul_hi_u32 s2, s6, s2
	s_mul_i32 s3, s2, s8
	s_add_i32 s4, s2, 1
	s_sub_i32 s3, s6, s3
	s_delay_alu instid0(SALU_CYCLE_1)
	s_sub_i32 s5, s3, s8
	s_cmp_ge_u32 s3, s8
	s_cselect_b32 s2, s4, s2
	s_cselect_b32 s3, s5, s3
	s_add_i32 s4, s2, 1
	s_cmp_ge_u32 s3, s8
	s_cselect_b32 s2, s4, s2
.LBB210_5:
	s_waitcnt lgkmcnt(0)
	v_cmp_lt_u64_e64 s3, s[34:35], s[42:43]
	s_mov_b64 s[28:29], 0
	s_mov_b64 s[56:57], 0
	s_delay_alu instid0(VALU_DEP_1)
	s_and_b32 vcc_lo, exec_lo, s3
	s_cbranch_vccnz .LBB210_7
; %bb.6:
	v_cvt_f32_u32_e32 v1, s42
	s_sub_i32 s4, 0, s42
	s_mov_b32 s57, 0
	s_delay_alu instid0(VALU_DEP_1) | instskip(SKIP_2) | instid1(VALU_DEP_1)
	v_rcp_iflag_f32_e32 v1, v1
	s_waitcnt_depctr 0xfff
	v_mul_f32_e32 v1, 0x4f7ffffe, v1
	v_cvt_u32_f32_e32 v1, v1
	s_delay_alu instid0(VALU_DEP_1) | instskip(NEXT) | instid1(VALU_DEP_1)
	v_readfirstlane_b32 s3, v1
	s_mul_i32 s4, s4, s3
	s_delay_alu instid0(SALU_CYCLE_1) | instskip(NEXT) | instid1(SALU_CYCLE_1)
	s_mul_hi_u32 s4, s3, s4
	s_add_i32 s3, s3, s4
	s_delay_alu instid0(SALU_CYCLE_1) | instskip(NEXT) | instid1(SALU_CYCLE_1)
	s_mul_hi_u32 s3, s34, s3
	s_mul_i32 s4, s3, s42
	s_add_i32 s5, s3, 1
	s_sub_i32 s4, s34, s4
	s_delay_alu instid0(SALU_CYCLE_1)
	s_sub_i32 s12, s4, s42
	s_cmp_ge_u32 s4, s42
	s_cselect_b32 s3, s5, s3
	s_cselect_b32 s4, s12, s4
	s_add_i32 s5, s3, 1
	s_cmp_ge_u32 s4, s42
	s_cselect_b32 s56, s5, s3
.LBB210_7:
	s_load_b128 s[44:47], s[0:1], 0x380
	v_cmp_lt_u64_e64 s3, s[56:57], s[40:41]
	s_delay_alu instid0(VALU_DEP_1)
	s_and_b32 vcc_lo, exec_lo, s3
	s_cbranch_vccnz .LBB210_9
; %bb.8:
	v_cvt_f32_u32_e32 v1, s40
	s_sub_i32 s4, 0, s40
	s_delay_alu instid0(VALU_DEP_1) | instskip(SKIP_2) | instid1(VALU_DEP_1)
	v_rcp_iflag_f32_e32 v1, v1
	s_waitcnt_depctr 0xfff
	v_mul_f32_e32 v1, 0x4f7ffffe, v1
	v_cvt_u32_f32_e32 v1, v1
	s_delay_alu instid0(VALU_DEP_1) | instskip(NEXT) | instid1(VALU_DEP_1)
	v_readfirstlane_b32 s3, v1
	s_mul_i32 s4, s4, s3
	s_delay_alu instid0(SALU_CYCLE_1) | instskip(NEXT) | instid1(SALU_CYCLE_1)
	s_mul_hi_u32 s4, s3, s4
	s_add_i32 s3, s3, s4
	s_delay_alu instid0(SALU_CYCLE_1) | instskip(NEXT) | instid1(SALU_CYCLE_1)
	s_mul_hi_u32 s3, s56, s3
	s_mul_i32 s4, s3, s40
	s_add_i32 s5, s3, 1
	s_sub_i32 s4, s56, s4
	s_delay_alu instid0(SALU_CYCLE_1)
	s_sub_i32 s12, s4, s40
	s_cmp_ge_u32 s4, s40
	s_cselect_b32 s3, s5, s3
	s_cselect_b32 s4, s12, s4
	s_add_i32 s5, s3, 1
	s_cmp_ge_u32 s4, s40
	s_cselect_b32 s28, s5, s3
.LBB210_9:
	s_clause 0x1
	s_load_b64 s[14:15], s[0:1], 0xe0
	s_load_b128 s[16:19], s[0:1], 0xd0
	s_waitcnt lgkmcnt(0)
	v_cmp_lt_u64_e64 s3, s[34:35], s[46:47]
	s_mov_b64 s[58:59], 0
	s_mov_b64 s[64:65], 0
	s_delay_alu instid0(VALU_DEP_1)
	s_and_b32 vcc_lo, exec_lo, s3
	s_cbranch_vccnz .LBB210_11
; %bb.10:
	v_cvt_f32_u32_e32 v1, s46
	s_sub_i32 s4, 0, s46
	s_mov_b32 s65, 0
	s_delay_alu instid0(VALU_DEP_1) | instskip(SKIP_2) | instid1(VALU_DEP_1)
	v_rcp_iflag_f32_e32 v1, v1
	s_waitcnt_depctr 0xfff
	v_mul_f32_e32 v1, 0x4f7ffffe, v1
	v_cvt_u32_f32_e32 v1, v1
	s_delay_alu instid0(VALU_DEP_1) | instskip(NEXT) | instid1(VALU_DEP_1)
	v_readfirstlane_b32 s3, v1
	s_mul_i32 s4, s4, s3
	s_delay_alu instid0(SALU_CYCLE_1) | instskip(NEXT) | instid1(SALU_CYCLE_1)
	s_mul_hi_u32 s4, s3, s4
	s_add_i32 s3, s3, s4
	s_delay_alu instid0(SALU_CYCLE_1) | instskip(NEXT) | instid1(SALU_CYCLE_1)
	s_mul_hi_u32 s3, s34, s3
	s_mul_i32 s4, s3, s46
	s_add_i32 s5, s3, 1
	s_sub_i32 s4, s34, s4
	s_delay_alu instid0(SALU_CYCLE_1)
	s_sub_i32 s12, s4, s46
	s_cmp_ge_u32 s4, s46
	s_cselect_b32 s3, s5, s3
	s_cselect_b32 s4, s12, s4
	s_add_i32 s5, s3, 1
	s_cmp_ge_u32 s4, s46
	s_cselect_b32 s64, s5, s3
.LBB210_11:
	s_load_b64 s[24:25], s[0:1], 0x0
	v_cmp_lt_u64_e64 s3, s[64:65], s[44:45]
	s_delay_alu instid0(VALU_DEP_1)
	s_and_b32 vcc_lo, exec_lo, s3
	s_cbranch_vccnz .LBB210_13
; %bb.12:
	v_cvt_f32_u32_e32 v1, s44
	s_sub_i32 s4, 0, s44
	s_delay_alu instid0(VALU_DEP_1) | instskip(SKIP_2) | instid1(VALU_DEP_1)
	v_rcp_iflag_f32_e32 v1, v1
	s_waitcnt_depctr 0xfff
	v_mul_f32_e32 v1, 0x4f7ffffe, v1
	v_cvt_u32_f32_e32 v1, v1
	s_delay_alu instid0(VALU_DEP_1) | instskip(NEXT) | instid1(VALU_DEP_1)
	v_readfirstlane_b32 s3, v1
	s_mul_i32 s4, s4, s3
	s_delay_alu instid0(SALU_CYCLE_1) | instskip(NEXT) | instid1(SALU_CYCLE_1)
	s_mul_hi_u32 s4, s3, s4
	s_add_i32 s3, s3, s4
	s_delay_alu instid0(SALU_CYCLE_1) | instskip(NEXT) | instid1(SALU_CYCLE_1)
	s_mul_hi_u32 s3, s64, s3
	s_mul_i32 s4, s3, s44
	s_add_i32 s5, s3, 1
	s_sub_i32 s4, s64, s4
	s_delay_alu instid0(SALU_CYCLE_1)
	s_sub_i32 s12, s4, s44
	s_cmp_ge_u32 s4, s44
	s_cselect_b32 s3, s5, s3
	s_cselect_b32 s4, s12, s4
	s_add_i32 s5, s3, 1
	s_cmp_ge_u32 s4, s44
	s_cselect_b32 s58, s5, s3
.LBB210_13:
	s_clause 0x1
	s_load_b64 s[4:5], s[0:1], 0x370
	s_load_b128 s[36:39], s[0:1], 0x1a0
                                        ; implicit-def: $vgpr37 : SGPR spill to VGPR lane
	s_mov_b32 s71, 0
	s_waitcnt lgkmcnt(0)
	v_writelane_b32 v37, s4, 0
	v_writelane_b32 v37, s5, 1
	v_cmp_eq_u32_e64 s5, 0, v0
	s_delay_alu instid0(VALU_DEP_1)
	s_and_saveexec_b32 s3, s5
	s_cbranch_execz .LBB210_15
; %bb.14:
	v_dual_mov_b32 v1, 0 :: v_dual_mov_b32 v4, s37
	s_delay_alu instid0(VALU_DEP_1)
	v_dual_mov_b32 v3, s36 :: v_dual_mov_b32 v2, v1
	ds_store_b32 v1, v1 offset:5144
	ds_store_b128 v1, v[1:4] offset:5120
.LBB210_15:
	s_or_b32 exec_lo, exec_lo, s3
	s_mul_i32 s3, s2, s9
	s_mul_hi_u32 s4, s2, s8
	s_mul_i32 s8, s2, s8
	s_add_i32 s4, s4, s3
	s_sub_u32 s8, s6, s8
	s_subb_u32 s4, s7, s4
	s_mul_i32 s3, s8, s19
	s_mul_hi_u32 s9, s8, s18
	s_mul_i32 s4, s4, s18
	s_add_i32 s3, s9, s3
	s_mul_i32 s9, s2, s17
	s_mul_hi_u32 s12, s2, s16
	s_add_i32 s7, s3, s4
	s_add_i32 s3, s12, s9
	s_mul_i32 s4, s6, s11
	s_mul_hi_u32 s9, s6, s10
	s_mul_i32 s6, s6, s10
	s_add_i32 s9, s9, s4
	s_sub_u32 s4, s34, s6
	s_mul_i32 s6, s8, s18
	s_mul_i32 s8, s4, s15
	s_mul_hi_u32 s11, s4, s14
	s_subb_u32 s9, 0, s9
	s_mul_i32 s2, s2, s16
	s_add_i32 s8, s11, s8
	s_mul_i32 s9, s9, s14
	s_load_b32 s10, s[0:1], 0x1b0
	s_lshl_b64 s[2:3], s[2:3], 1
	s_add_i32 s9, s8, s9
	s_add_u32 s11, s24, s2
	v_mad_u64_u32 v[1:2], null, v0, s30, 0
	s_addc_u32 s12, s25, s3
	s_lshl_b64 s[2:3], s[6:7], 1
	s_waitcnt lgkmcnt(0)
	s_barrier
	buffer_gl0_inv
	s_load_b32 s7, s[20:21], 0xc
	v_mad_u64_u32 v[3:4], null, v0, s31, v[2:3]
	s_mul_i32 s8, s4, s14
	v_mbcnt_lo_u32_b32 v23, -1, 0
	s_add_u32 s4, s11, s2
	s_addc_u32 s6, s12, s3
	s_lshl_b64 s[2:3], s[8:9], 1
	v_cmp_gt_u32_e32 vcc_lo, 32, v0
	s_add_u32 s29, s4, s2
	s_addc_u32 s33, s6, s3
	v_dual_mov_b32 v2, v3 :: v_dual_mov_b32 v13, 0
	v_cmp_gt_i32_e64 s4, 4, v23
	s_bitcmp1_b32 s10, 0
	v_lshrrev_b32_e32 v4, 3, v0
	s_cselect_b32 s3, -1, 0
	v_lshlrev_b64 v[2:3], 1, v[1:2]
	s_xor_b32 s59, s3, -1
	s_and_b32 s84, vcc_lo, s4
	s_waitcnt lgkmcnt(0)
	s_and_b32 s35, s7, 0xffff
	s_bfe_u32 s8, s7, 0xb0005
	s_add_u32 s86, s35, -1
	s_addc_u32 s87, 0, -1
	s_add_u32 s88, s86, s36
	s_addc_u32 s27, s87, s37
	s_cmp_lt_u32 s13, s22
	v_add_co_u32 v10, vcc_lo, s29, v2
	s_cselect_b32 s9, 12, 18
	v_dual_mov_b32 v1, v13 :: v_dual_lshlrev_b32 v14, 2, v0
	v_add_co_ci_u32_e32 v11, vcc_lo, s33, v3, vcc_lo
	v_lshlrev_b64 v[2:3], v23, -1
	v_dual_mov_b32 v16, s38 :: v_dual_lshlrev_b32 v25, 1, v0
	s_add_u32 s72, s20, s9
	s_addc_u32 s73, s21, 0
	s_add_i32 s9, s8, -1
	s_bfe_u32 s89, s35, 0x30005
	s_cmp_gt_u32 s9, 6
	v_cmp_lt_u64_e64 s85, 0x600, s[36:37]
	v_cmp_gt_u64_e64 s4, s[36:37], v[0:1]
	v_cmp_eq_u32_e64 s2, 0, v23
	v_dual_mov_b32 v15, v13 :: v_dual_and_b32 v24, 0x7c, v4
	v_cmp_gt_u32_e64 s6, 2, v0
	v_dual_mov_b32 v17, s39 :: v_dual_add_nc_u32 v26, 0xc00, v25
	v_not_b32_e32 v22, v2
	s_cselect_b32 s90, -1, 0
	s_and_b32 s91, s8, 0x7f8
	v_cmp_gt_u16_e64 s92, s7, 31
	v_dual_mov_b32 v32, 0 :: v_dual_lshlrev_b32 v27, 3, v0
	v_lshl_or_b32 v28, v23, 3, 0xc00
	v_dual_mov_b32 v29, 0x8000 :: v_dual_mov_b32 v30, 0
	v_mov_b32_e32 v31, 0
	s_cmp_lg_u32 s89, 0
	s_mov_b32 s95, 14
	s_cselect_b32 s93, -1, 0
	s_lshl_b32 s94, s35, 1
	s_movk_i32 s97, 0x3c00
	s_mov_b32 s96, 0
	s_mov_b32 s99, 0
                                        ; implicit-def: $sgpr98
                                        ; implicit-def: $sgpr102
                                        ; implicit-def: $sgpr101
                                        ; implicit-def: $sgpr103
                                        ; implicit-def: $sgpr100
                                        ; implicit-def: $sgpr104
                                        ; implicit-def: $sgpr66
                                        ; implicit-def: $vcc_hi
                                        ; implicit-def: $sgpr67
                                        ; implicit-def: $sgpr68
	s_branch .LBB210_18
.LBB210_16:                             ;   in Loop: Header=BB210_18 Depth=1
	s_or_b32 exec_lo, exec_lo, s10
	v_dual_mov_b32 v30, v9 :: v_dual_mov_b32 v31, v8
	v_dual_mov_b32 v17, v3 :: v_dual_mov_b32 v16, v2
	v_mov_b32_e32 v32, v6
	s_and_not1_b32 s10, s68, exec_lo
	s_and_b32 s9, s9, exec_lo
	s_and_not1_b32 s67, s67, exec_lo
	s_or_b32 s68, s10, s9
	s_and_not1_b32 vcc_hi, vcc_hi, exec_lo
	s_and_not1_b32 s66, s66, exec_lo
	s_and_not1_b32 s104, s104, exec_lo
	s_or_not1_b32 s8, s8, exec_lo
.LBB210_17:                             ;   in Loop: Header=BB210_18 Depth=1
	s_or_b32 exec_lo, exec_lo, s7
	s_delay_alu instid0(SALU_CYCLE_1) | instskip(NEXT) | instid1(SALU_CYCLE_1)
	s_and_b32 s7, exec_lo, s8
	s_or_b32 s96, s7, s96
	s_and_not1_b32 s7, s100, exec_lo
	s_and_b32 s8, s68, exec_lo
	s_and_not1_b32 s9, s103, exec_lo
	s_or_b32 s100, s7, s8
	s_and_b32 s7, s67, exec_lo
	s_and_not1_b32 s8, s101, exec_lo
	s_and_b32 s10, vcc_hi, exec_lo
	s_or_b32 s103, s9, s7
	s_or_b32 s101, s8, s10
	s_and_not1_b32 s7, s102, exec_lo
	s_and_b32 s8, s66, exec_lo
	s_and_not1_b32 s9, s98, exec_lo
	s_and_b32 s10, s104, exec_lo
	s_or_b32 s102, s7, s8
	s_or_b32 s98, s9, s10
	s_and_not1_b32 exec_lo, exec_lo, s96
	s_cbranch_execz .LBB210_487
.LBB210_18:                             ; =>This Loop Header: Depth=1
                                        ;     Child Loop BB210_23 Depth 2
                                        ;     Child Loop BB210_41 Depth 2
	;; [unrolled: 1-line block ×24, first 2 shown]
	ds_load_b128 v[2:5], v13 offset:5120
	s_waitcnt lgkmcnt(0)
	v_readfirstlane_b32 s75, v3
	v_readfirstlane_b32 s74, v2
	s_delay_alu instid0(VALU_DEP_1)
	s_cmp_lg_u64 s[74:75], 0
	s_cbranch_scc1 .LBB210_48
; %bb.19:                               ;   in Loop: Header=BB210_18 Depth=1
	s_and_b32 vcc_lo, exec_lo, s85
	s_cbranch_vccz .LBB210_31
; %bb.20:                               ;   in Loop: Header=BB210_18 Depth=1
	v_cmp_gt_u64_e32 vcc_lo, 0x601, v[4:5]
	s_mov_b32 s9, 0
	s_mov_b32 s7, 0
	s_cbranch_vccz .LBB210_32
; %bb.21:                               ;   in Loop: Header=BB210_18 Depth=1
	global_load_u16 v2, v13, s[72:73]
	global_load_u16 v5, v[10:11], off
	s_mov_b32 s10, 0
	s_waitcnt vmcnt(1)
	v_dual_mov_b32 v3, v1 :: v_dual_and_b32 v4, 0xffff, v2
	v_mov_b32_e32 v2, v0
	s_branch .LBB210_23
.LBB210_22:                             ;   in Loop: Header=BB210_23 Depth=2
	s_or_b32 exec_lo, exec_lo, s8
	v_mov_b32_e32 v5, v6
	s_and_not1_b32 exec_lo, exec_lo, s10
	s_cbranch_execz .LBB210_33
.LBB210_23:                             ;   Parent Loop BB210_18 Depth=1
                                        ; =>  This Inner Loop Header: Depth=2
	s_delay_alu instid0(VALU_DEP_1) | instskip(NEXT) | instid1(VALU_DEP_3)
	v_add_co_u32 v2, vcc_lo, v2, v4
	v_add_co_ci_u32_e32 v3, vcc_lo, 0, v3, vcc_lo
	s_waitcnt lgkmcnt(0)
	v_dual_mov_b32 v7, 0 :: v_dual_mov_b32 v6, 0
	s_mov_b32 s8, exec_lo
	s_delay_alu instid0(VALU_DEP_2)
	v_cmp_le_u64_e32 vcc_lo, s[36:37], v[2:3]
	v_cmpx_gt_u64_e64 s[36:37], v[2:3]
	s_cbranch_execz .LBB210_25
; %bb.24:                               ;   in Loop: Header=BB210_23 Depth=2
	v_mul_lo_u32 v6, v3, s30
	v_mul_lo_u32 v12, v2, s31
	v_mad_u64_u32 v[8:9], null, v2, s30, 0
	s_delay_alu instid0(VALU_DEP_1) | instskip(NEXT) | instid1(VALU_DEP_1)
	v_add3_u32 v9, v9, v12, v6
	v_lshlrev_b64 v[8:9], 1, v[8:9]
	s_delay_alu instid0(VALU_DEP_1) | instskip(NEXT) | instid1(VALU_DEP_1)
	v_add_co_u32 v8, s7, s29, v8
	v_add_co_ci_u32_e64 v9, s7, s33, v9, s7
	global_load_u16 v6, v[8:9], off
.LBB210_25:                             ;   in Loop: Header=BB210_23 Depth=2
	s_or_b32 exec_lo, exec_lo, s8
	s_waitcnt vmcnt(0)
	v_cmp_lt_i16_e64 s7, -1, v5
	v_and_b32_e32 v8, 0xffff, v5
	s_delay_alu instid0(VALU_DEP_2) | instskip(SKIP_1) | instid1(VALU_DEP_2)
	v_cndmask_b32_e64 v9, 0xffff, v29, s7
	v_cmp_o_f16_e64 s7, v5, v5
	v_xor_b32_e32 v8, v9, v8
	s_delay_alu instid0(VALU_DEP_1) | instskip(NEXT) | instid1(VALU_DEP_1)
	v_cndmask_b32_e64 v8, 0xffff, v8, s7
	v_and_b32_e32 v8, v8, v30
	s_delay_alu instid0(VALU_DEP_1) | instskip(NEXT) | instid1(VALU_DEP_1)
	v_cmp_eq_u32_e64 s7, v8, v31
	s_cmp_lg_u32 s7, 0
	s_cselect_b32 s8, -1, 0
	s_delay_alu instid0(SALU_CYCLE_1) | instskip(NEXT) | instid1(SALU_CYCLE_1)
	s_and_b32 s8, s2, s8
	s_and_saveexec_b32 s11, s8
	s_cbranch_execz .LBB210_29
; %bb.26:                               ;   in Loop: Header=BB210_23 Depth=2
	s_mov_b32 s14, exec_lo
	s_bcnt1_i32_b32 s12, s7
	v_mbcnt_lo_u32_b32 v7, s14, 0
	s_mov_b32 s13, exec_lo
                                        ; implicit-def: $vgpr8
	s_delay_alu instid0(VALU_DEP_1)
	v_cmpx_eq_u32_e32 0, v7
	s_cbranch_execz .LBB210_28
; %bb.27:                               ;   in Loop: Header=BB210_23 Depth=2
	s_bcnt1_i32_b32 s8, s14
	s_delay_alu instid0(SALU_CYCLE_1) | instskip(NEXT) | instid1(SALU_CYCLE_1)
	s_mul_i32 s8, s12, s8
	v_mov_b32_e32 v8, s8
	ds_add_rtn_u32 v8, v13, v8 offset:5144
.LBB210_28:                             ;   in Loop: Header=BB210_23 Depth=2
	s_or_b32 exec_lo, exec_lo, s13
	s_waitcnt lgkmcnt(0)
	v_readfirstlane_b32 s8, v8
	s_delay_alu instid0(VALU_DEP_1)
	v_mad_u32_u24 v7, s12, v7, s8
.LBB210_29:                             ;   in Loop: Header=BB210_23 Depth=2
	s_or_b32 exec_lo, exec_lo, s11
	ds_bpermute_b32 v7, v13, v7
	s_and_b32 s8, exec_lo, vcc_lo
	s_delay_alu instid0(SALU_CYCLE_1)
	s_or_b32 s10, s8, s10
	s_and_saveexec_b32 s8, s7
	s_cbranch_execz .LBB210_22
; %bb.30:                               ;   in Loop: Header=BB210_23 Depth=2
	v_and_b32_e32 v8, s7, v22
	s_delay_alu instid0(VALU_DEP_1) | instskip(NEXT) | instid1(VALU_DEP_1)
	v_bcnt_u32_b32 v8, v8, 0
	v_lshlrev_b32_e32 v8, 1, v8
	s_waitcnt lgkmcnt(0)
	s_delay_alu instid0(VALU_DEP_1)
	v_lshl_add_u32 v7, v7, 1, v8
	ds_store_b16 v7, v5
	s_branch .LBB210_22
.LBB210_31:                             ;   in Loop: Header=BB210_18 Depth=1
	s_mov_b32 s7, 0
                                        ; implicit-def: $sgpr74_sgpr75
	s_cbranch_execnz .LBB210_36
	s_branch .LBB210_46
.LBB210_32:                             ;   in Loop: Header=BB210_18 Depth=1
	s_mov_b64 s[74:75], 0
	s_and_b32 vcc_lo, exec_lo, s9
	s_cbranch_vccnz .LBB210_36
	s_branch .LBB210_46
.LBB210_33:                             ;   in Loop: Header=BB210_18 Depth=1
	s_or_b32 exec_lo, exec_lo, s10
	s_waitcnt lgkmcnt(0)
	s_barrier
	buffer_gl0_inv
	s_and_saveexec_b32 s7, s5
	s_cbranch_execz .LBB210_35
; %bb.34:                               ;   in Loop: Header=BB210_18 Depth=1
	ds_load_b32 v2, v13 offset:5144
	s_waitcnt lgkmcnt(0)
	v_ashrrev_i32_e32 v3, 31, v2
	ds_store_b64 v13, v[2:3] offset:5120
.LBB210_35:                             ;   in Loop: Header=BB210_18 Depth=1
	s_or_b32 exec_lo, exec_lo, s7
	s_waitcnt lgkmcnt(0)
	s_mov_b32 s7, -1
	s_barrier
	s_mov_b64 s[74:75], 0
	s_and_b32 vcc_lo, exec_lo, s9
	s_cbranch_vccz .LBB210_46
.LBB210_36:                             ;   in Loop: Header=BB210_18 Depth=1
	v_mov_b32_e32 v4, 0
	s_and_saveexec_b32 s7, s4
	s_cbranch_execz .LBB210_38
; %bb.37:                               ;   in Loop: Header=BB210_18 Depth=1
	global_load_u16 v4, v[10:11], off
.LBB210_38:                             ;   in Loop: Header=BB210_18 Depth=1
	s_or_b32 exec_lo, exec_lo, s7
	s_and_saveexec_b32 s8, s4
	s_cbranch_execz .LBB210_43
; %bb.39:                               ;   in Loop: Header=BB210_18 Depth=1
	global_load_u16 v2, v13, s[72:73]
	s_mov_b32 s9, 0
	s_waitcnt vmcnt(0)
	v_dual_mov_b32 v6, v25 :: v_dual_and_b32 v5, 0xffff, v2
	v_dual_mov_b32 v3, v1 :: v_dual_mov_b32 v2, v0
	s_delay_alu instid0(VALU_DEP_2)
	v_lshlrev_b32_e32 v7, 1, v5
	s_set_inst_prefetch_distance 0x1
	s_branch .LBB210_41
	.p2align	6
.LBB210_40:                             ;   in Loop: Header=BB210_41 Depth=2
	s_or_b32 exec_lo, exec_lo, s10
	ds_store_b16 v6, v4
	v_add_nc_u32_e32 v6, v6, v7
	s_waitcnt vmcnt(0)
	v_mov_b32_e32 v4, v8
	s_and_b32 s7, exec_lo, vcc_lo
	s_delay_alu instid0(SALU_CYCLE_1) | instskip(NEXT) | instid1(SALU_CYCLE_1)
	s_or_b32 s9, s7, s9
	s_and_not1_b32 exec_lo, exec_lo, s9
	s_cbranch_execz .LBB210_43
.LBB210_41:                             ;   Parent Loop BB210_18 Depth=1
                                        ; =>  This Inner Loop Header: Depth=2
	s_delay_alu instid0(VALU_DEP_2) | instskip(SKIP_3) | instid1(VALU_DEP_2)
	v_add_co_u32 v2, vcc_lo, v2, v5
	v_add_co_ci_u32_e32 v3, vcc_lo, 0, v3, vcc_lo
	v_mov_b32_e32 v8, 0
	s_mov_b32 s10, exec_lo
	v_cmp_le_u64_e32 vcc_lo, s[36:37], v[2:3]
	v_cmpx_gt_u64_e64 s[36:37], v[2:3]
	s_cbranch_execz .LBB210_40
; %bb.42:                               ;   in Loop: Header=BB210_41 Depth=2
	v_mul_lo_u32 v12, v3, s30
	v_mul_lo_u32 v18, v2, s31
	v_mad_u64_u32 v[8:9], null, v2, s30, 0
	s_delay_alu instid0(VALU_DEP_1) | instskip(NEXT) | instid1(VALU_DEP_1)
	v_add3_u32 v9, v9, v18, v12
	v_lshlrev_b64 v[8:9], 1, v[8:9]
	s_delay_alu instid0(VALU_DEP_1) | instskip(NEXT) | instid1(VALU_DEP_1)
	v_add_co_u32 v8, s7, s29, v8
	v_add_co_ci_u32_e64 v9, s7, s33, v9, s7
	global_load_u16 v8, v[8:9], off
	s_branch .LBB210_40
.LBB210_43:                             ;   in Loop: Header=BB210_18 Depth=1
	s_set_inst_prefetch_distance 0x2
	s_or_b32 exec_lo, exec_lo, s8
	s_waitcnt vmcnt(0) lgkmcnt(0)
	s_barrier
	buffer_gl0_inv
	s_and_saveexec_b32 s7, s5
	s_cbranch_execz .LBB210_45
; %bb.44:                               ;   in Loop: Header=BB210_18 Depth=1
	v_dual_mov_b32 v2, s36 :: v_dual_mov_b32 v3, s37
	ds_store_b64 v13, v[2:3] offset:5120
.LBB210_45:                             ;   in Loop: Header=BB210_18 Depth=1
	s_or_b32 exec_lo, exec_lo, s7
	s_mov_b32 s7, -1
	s_waitcnt lgkmcnt(0)
	s_barrier
                                        ; implicit-def: $sgpr74_sgpr75
.LBB210_46:                             ;   in Loop: Header=BB210_18 Depth=1
	s_and_b32 vcc_lo, exec_lo, s7
	s_cbranch_vccz .LBB210_48
; %bb.47:                               ;   in Loop: Header=BB210_18 Depth=1
	buffer_gl0_inv
	ds_load_b64 v[2:3], v13 offset:5120
	s_waitcnt lgkmcnt(0)
	v_readfirstlane_b32 s74, v2
.LBB210_48:                             ;   in Loop: Header=BB210_18 Depth=1
	s_delay_alu instid0(VALU_DEP_1)
	s_cmp_lt_i32 s74, 1
	s_cbranch_scc0 .LBB210_63
; %bb.49:                               ;   in Loop: Header=BB210_18 Depth=1
	global_load_u16 v33, v13, s[72:73]
	s_mov_b32 s8, s71
	s_mov_b32 s9, s37
	s_waitcnt vmcnt(0)
	v_readfirstlane_b32 s7, v33
	s_delay_alu instid0(VALU_DEP_1) | instskip(NEXT) | instid1(SALU_CYCLE_1)
	s_and_b32 s7, 0xffff, s7
	s_lshl_b32 s25, s7, 2
	s_cmp_lg_u64 s[8:9], 0
	s_cbranch_scc0 .LBB210_83
; %bb.50:                               ;   in Loop: Header=BB210_18 Depth=1
	v_cvt_f32_u32_e32 v2, s25
	s_sub_u32 s9, 0, s25
	s_subb_u32 s10, 0, 0
	s_delay_alu instid0(VALU_DEP_1) | instskip(NEXT) | instid1(VALU_DEP_1)
	v_fmac_f32_e64 v2, 0, 0x4f800000
	v_rcp_f32_e32 v2, v2
	s_waitcnt_depctr 0xfff
	v_mul_f32_e32 v2, 0x5f7ffffc, v2
	s_delay_alu instid0(VALU_DEP_1) | instskip(NEXT) | instid1(VALU_DEP_1)
	v_mul_f32_e32 v3, 0x2f800000, v2
	v_trunc_f32_e32 v3, v3
	s_delay_alu instid0(VALU_DEP_1) | instskip(SKIP_1) | instid1(VALU_DEP_2)
	v_fmac_f32_e32 v2, 0xcf800000, v3
	v_cvt_u32_f32_e32 v3, v3
	v_cvt_u32_f32_e32 v2, v2
	s_delay_alu instid0(VALU_DEP_2) | instskip(NEXT) | instid1(VALU_DEP_2)
	v_readfirstlane_b32 s7, v3
	v_readfirstlane_b32 s8, v2
	s_delay_alu instid0(VALU_DEP_2) | instskip(NEXT) | instid1(VALU_DEP_1)
	s_mul_i32 s11, s9, s7
	s_mul_hi_u32 s13, s9, s8
	s_mul_i32 s12, s10, s8
	s_add_i32 s11, s13, s11
	s_mul_i32 s14, s9, s8
	s_add_i32 s11, s11, s12
	s_mul_hi_u32 s13, s8, s14
	s_mul_hi_u32 s15, s7, s14
	s_mul_i32 s12, s7, s14
	s_mul_hi_u32 s14, s8, s11
	s_mul_i32 s8, s8, s11
	s_mul_hi_u32 s16, s7, s11
	s_add_u32 s8, s13, s8
	s_addc_u32 s13, 0, s14
	s_add_u32 s8, s8, s12
	s_mul_i32 s11, s7, s11
	s_addc_u32 s8, s13, s15
	s_addc_u32 s12, s16, 0
	s_add_u32 s8, s8, s11
	s_addc_u32 s11, 0, s12
	v_add_co_u32 v2, s8, v2, s8
	s_delay_alu instid0(VALU_DEP_1) | instskip(SKIP_1) | instid1(VALU_DEP_1)
	s_cmp_lg_u32 s8, 0
	s_addc_u32 s7, s7, s11
	v_readfirstlane_b32 s8, v2
	s_mul_i32 s11, s9, s7
	s_delay_alu instid0(VALU_DEP_1)
	s_mul_hi_u32 s12, s9, s8
	s_mul_i32 s10, s10, s8
	s_add_i32 s11, s12, s11
	s_mul_i32 s9, s9, s8
	s_add_i32 s11, s11, s10
	s_mul_hi_u32 s12, s7, s9
	s_mul_i32 s13, s7, s9
	s_mul_hi_u32 s9, s8, s9
	s_mul_hi_u32 s14, s8, s11
	s_mul_i32 s8, s8, s11
	s_mul_hi_u32 s10, s7, s11
	s_add_u32 s8, s9, s8
	s_addc_u32 s9, 0, s14
	s_add_u32 s8, s8, s13
	s_mul_i32 s11, s7, s11
	s_addc_u32 s8, s9, s12
	s_addc_u32 s9, s10, 0
	s_add_u32 s8, s8, s11
	s_addc_u32 s9, 0, s9
	v_add_co_u32 v2, s8, v2, s8
	s_delay_alu instid0(VALU_DEP_1) | instskip(SKIP_1) | instid1(VALU_DEP_1)
	s_cmp_lg_u32 s8, 0
	s_addc_u32 s7, s7, s9
	v_readfirstlane_b32 s8, v2
	s_mul_i32 s10, s36, s7
	s_mul_hi_u32 s9, s36, s7
	s_mul_hi_u32 s11, s37, s7
	s_mul_i32 s7, s37, s7
	s_mul_hi_u32 s12, s36, s8
	s_mul_hi_u32 s13, s37, s8
	s_mul_i32 s8, s37, s8
	s_add_u32 s10, s12, s10
	s_addc_u32 s9, 0, s9
	s_add_u32 s8, s10, s8
	s_addc_u32 s8, s9, s13
	s_addc_u32 s9, s11, 0
	s_add_u32 s7, s8, s7
	s_addc_u32 s8, 0, s9
	s_mul_hi_u32 s9, s25, s7
	s_mul_i32 s7, s25, s7
	s_mul_i32 s8, s25, s8
	v_sub_co_u32 v2, s7, s36, s7
	s_add_i32 s9, s9, s8
	s_cmp_lg_u32 s7, 0
	s_delay_alu instid0(VALU_DEP_1) | instskip(SKIP_2) | instid1(VALU_DEP_1)
	v_sub_co_u32 v3, s7, v2, s25
	s_subb_u32 s8, s37, s9
	s_cmp_lg_u32 s7, 0
	v_cmp_le_u32_e32 vcc_lo, s25, v3
	v_sub_co_u32 v4, s7, v3, s25
	s_subb_u32 s9, s8, 0
	s_cmp_lg_u32 s7, 0
	v_cndmask_b32_e64 v5, 0, -1, vcc_lo
	s_subb_u32 s7, s9, 0
	s_cmp_eq_u32 s9, 0
	v_mov_b32_e32 v7, s7
	s_cselect_b32 vcc_lo, -1, 0
	s_cmp_eq_u32 s8, 0
	v_cndmask_b32_e32 v5, -1, v5, vcc_lo
	v_cmp_le_u32_e32 vcc_lo, s25, v2
	s_cselect_b32 s7, -1, 0
	v_cndmask_b32_e64 v6, 0, -1, vcc_lo
	s_delay_alu instid0(VALU_DEP_3) | instskip(NEXT) | instid1(VALU_DEP_2)
	v_cmp_ne_u32_e32 vcc_lo, 0, v5
	v_cndmask_b32_e64 v5, -1, v6, s7
	v_cndmask_b32_e32 v6, s9, v7, vcc_lo
	v_cndmask_b32_e32 v4, v3, v4, vcc_lo
	s_delay_alu instid0(VALU_DEP_3) | instskip(NEXT) | instid1(VALU_DEP_3)
	v_cmp_ne_u32_e32 vcc_lo, 0, v5
	v_cndmask_b32_e32 v3, s8, v6, vcc_lo
	s_delay_alu instid0(VALU_DEP_3)
	v_cndmask_b32_e32 v2, v2, v4, vcc_lo
	s_cbranch_execnz .LBB210_52
.LBB210_51:                             ;   in Loop: Header=BB210_18 Depth=1
	v_cvt_f32_u32_e32 v2, s25
	s_sub_i32 s7, 0, s25
	s_delay_alu instid0(VALU_DEP_1) | instskip(SKIP_2) | instid1(VALU_DEP_1)
	v_rcp_iflag_f32_e32 v2, v2
	s_waitcnt_depctr 0xfff
	v_mul_f32_e32 v2, 0x4f7ffffe, v2
	v_cvt_u32_f32_e32 v2, v2
	s_delay_alu instid0(VALU_DEP_1) | instskip(NEXT) | instid1(VALU_DEP_1)
	v_mul_lo_u32 v3, s7, v2
	v_mul_hi_u32 v3, v2, v3
	s_delay_alu instid0(VALU_DEP_1) | instskip(NEXT) | instid1(VALU_DEP_1)
	v_add_nc_u32_e32 v2, v2, v3
	v_mul_hi_u32 v2, s36, v2
	s_delay_alu instid0(VALU_DEP_1) | instskip(NEXT) | instid1(VALU_DEP_1)
	v_mul_lo_u32 v2, v2, s25
	v_sub_nc_u32_e32 v2, s36, v2
	s_delay_alu instid0(VALU_DEP_1) | instskip(SKIP_1) | instid1(VALU_DEP_2)
	v_subrev_nc_u32_e32 v3, s25, v2
	v_cmp_le_u32_e32 vcc_lo, s25, v2
	v_cndmask_b32_e32 v2, v2, v3, vcc_lo
	s_delay_alu instid0(VALU_DEP_1) | instskip(SKIP_1) | instid1(VALU_DEP_2)
	v_subrev_nc_u32_e32 v3, s25, v2
	v_cmp_le_u32_e32 vcc_lo, s25, v2
	v_cndmask_b32_e32 v12, v2, v3, vcc_lo
	s_delay_alu instid0(VALU_DEP_1)
	v_dual_mov_b32 v2, v12 :: v_dual_mov_b32 v3, v13
.LBB210_52:                             ;   in Loop: Header=BB210_18 Depth=1
	s_delay_alu instid0(VALU_DEP_1) | instskip(NEXT) | instid1(VALU_DEP_2)
	v_sub_co_u32 v18, vcc_lo, s36, v2
	v_sub_co_ci_u32_e32 v19, vcc_lo, s37, v3, vcc_lo
	v_mov_b32_e32 v2, 0
	v_mov_b32_e32 v3, 0
	s_mov_b64 s[76:77], 0
	s_mov_b32 s26, exec_lo
	s_delay_alu instid0(VALU_DEP_1)
	v_dual_mov_b32 v5, v3 :: v_dual_mov_b32 v4, v2
	v_dual_mov_b32 v7, v3 :: v_dual_mov_b32 v6, v2
	;; [unrolled: 1-line block ×3, first 2 shown]
	v_cmpx_gt_u64_e64 v[18:19], v[14:15]
	s_cbranch_execz .LBB210_56
; %bb.53:                               ;   in Loop: Header=BB210_18 Depth=1
	v_dual_mov_b32 v21, v15 :: v_dual_mov_b32 v20, v14
	s_and_b32 s61, s95, 0xfe
	s_mov_b32 s60, 0
	s_mov_b64 s[78:79], 0
	s_mov_b64 s[80:81], 0
	;; [unrolled: 1-line block ×3, first 2 shown]
.LBB210_54:                             ;   Parent Loop BB210_18 Depth=1
                                        ; =>  This Inner Loop Header: Depth=2
	v_mul_lo_u32 v4, v21, s30
	v_mul_lo_u32 v5, v20, s31
	v_mad_u64_u32 v[2:3], null, v20, s30, 0
	s_lshl_b64 s[8:9], s[30:31], 1
	s_delay_alu instid0(VALU_DEP_1) | instskip(NEXT) | instid1(VALU_DEP_1)
	v_add3_u32 v3, v3, v5, v4
	v_lshlrev_b64 v[2:3], 1, v[2:3]
	s_delay_alu instid0(VALU_DEP_1) | instskip(NEXT) | instid1(VALU_DEP_2)
	v_add_co_u32 v2, vcc_lo, s29, v2
	v_add_co_ci_u32_e32 v3, vcc_lo, s33, v3, vcc_lo
	s_delay_alu instid0(VALU_DEP_2) | instskip(NEXT) | instid1(VALU_DEP_2)
	v_add_co_u32 v4, vcc_lo, v2, s8
	v_add_co_ci_u32_e32 v5, vcc_lo, s9, v3, vcc_lo
	s_clause 0x1
	global_load_u16 v6, v[2:3], off
	global_load_u16 v7, v[4:5], off
	v_add_co_u32 v2, vcc_lo, v4, s8
	v_add_co_ci_u32_e32 v3, vcc_lo, s9, v5, vcc_lo
	s_delay_alu instid0(VALU_DEP_2) | instskip(NEXT) | instid1(VALU_DEP_2)
	v_add_co_u32 v4, vcc_lo, v2, s8
	v_add_co_ci_u32_e32 v5, vcc_lo, s9, v3, vcc_lo
	global_load_u16 v2, v[2:3], off
	global_load_u16 v3, v[4:5], off
	v_add_co_u32 v20, vcc_lo, v20, s25
	v_add_co_ci_u32_e32 v21, vcc_lo, 0, v21, vcc_lo
	s_delay_alu instid0(VALU_DEP_1)
	v_cmp_ge_u64_e32 vcc_lo, v[20:21], v[18:19]
	s_waitcnt vmcnt(3)
	v_cmp_lt_i16_e64 s7, -1, v6
	v_and_b32_e32 v4, 0xffff, v6
	v_cmp_o_f16_e64 s8, v6, v6
	s_waitcnt vmcnt(2)
	v_cmp_lt_i16_e64 s9, -1, v7
	v_and_b32_e32 v6, 0xffff, v7
	v_cndmask_b32_e64 v5, 0xffff, v29, s7
	v_cmp_o_f16_e64 s7, v7, v7
	s_delay_alu instid0(VALU_DEP_4) | instskip(NEXT) | instid1(VALU_DEP_3)
	v_cndmask_b32_e64 v7, 0xffff, v29, s9
	v_xor_b32_e32 v4, v5, v4
	s_waitcnt vmcnt(1)
	v_cmp_lt_i16_e64 s9, -1, v2
	v_and_b32_e32 v5, 0xffff, v2
	v_cmp_o_f16_e64 s10, v2, v2
	v_xor_b32_e32 v2, v7, v6
	v_cndmask_b32_e64 v4, 0xffff, v4, s8
	v_cndmask_b32_e64 v6, 0xffff, v29, s9
	s_waitcnt vmcnt(0)
	v_cmp_lt_i16_e64 s9, -1, v3
	v_and_b32_e32 v7, 0xffff, v3
	v_cmp_o_f16_e64 s8, v3, v3
	v_cndmask_b32_e64 v2, 0xffff, v2, s7
	v_xor_b32_e32 v3, v6, v5
	v_cndmask_b32_e64 v5, 0xffff, v29, s9
	v_and_b32_e32 v6, v4, v30
	v_bfe_u32 v4, v4, s61, 2
	s_delay_alu instid0(VALU_DEP_4) | instskip(NEXT) | instid1(VALU_DEP_4)
	v_cndmask_b32_e64 v3, 0xffff, v3, s10
	v_xor_b32_e32 v5, v5, v7
	s_delay_alu instid0(VALU_DEP_4)
	v_cmp_eq_u32_e64 s7, v6, v31
	v_and_b32_e32 v6, v2, v30
	v_bfe_u32 v2, v2, s61, 2
	v_cmp_eq_u32_e64 s9, 0, v4
	v_cmp_eq_u32_e64 s10, 1, v4
	;; [unrolled: 1-line block ×4, first 2 shown]
	v_cndmask_b32_e64 v4, 0xffff, v5, s8
	v_and_b32_e32 v5, v3, v30
	v_cmp_eq_u32_e64 s8, v6, v31
	v_bfe_u32 v3, v3, s61, 2
	v_cmp_eq_u32_e64 s13, 0, v2
	s_and_b32 s16, s7, s9
	v_cmp_eq_u32_e64 s9, 1, v2
	v_cmp_eq_u32_e64 s14, 2, v2
	v_cmp_eq_u32_e64 s15, 3, v2
	v_cndmask_b32_e64 v2, 0, 1, s16
	v_cmp_eq_u32_e64 s16, v5, v31
	v_and_b32_e32 v5, v4, v30
	v_bfe_u32 v4, v4, s61, 2
	v_cmp_eq_u32_e64 s17, 0, v3
	s_and_b32 s21, s8, s13
	v_cmp_ne_u32_e64 s20, 0, v2
	v_cndmask_b32_e64 v2, 0, 1, s21
	v_cmp_eq_u32_e64 s21, v5, v31
	v_cmp_eq_u32_e64 s22, 0, v4
	s_and_b32 s62, s16, s17
	s_bcnt1_i32_b32 s63, s20
	v_cmp_ne_u32_e64 s20, 0, v2
	v_cndmask_b32_e64 v2, 0, 1, s62
	s_and_b32 s22, s21, s22
	v_cmp_eq_u32_e64 s13, 1, v3
	v_cmp_eq_u32_e64 s18, 2, v3
	;; [unrolled: 1-line block ×3, first 2 shown]
	v_cndmask_b32_e64 v3, 0, 1, s22
	s_bcnt1_i32_b32 s22, s20
	v_cmp_ne_u32_e64 s20, 0, v2
	s_add_i32 s62, s22, s63
	v_cmp_eq_u32_e64 s17, 1, v4
	v_cmp_ne_u32_e64 s22, 0, v3
	v_cmp_eq_u32_e64 s23, 2, v4
	s_bcnt1_i32_b32 s20, s20
	v_cmp_eq_u32_e64 s24, 3, v4
	s_add_i32 s20, s62, s20
	s_bcnt1_i32_b32 s22, s22
	s_delay_alu instid0(SALU_CYCLE_1) | instskip(NEXT) | instid1(SALU_CYCLE_1)
	s_add_i32 s20, s20, s22
	s_add_u32 s82, s82, s20
	s_addc_u32 s83, s83, 0
	s_and_b32 s10, s7, s10
	s_and_b32 s9, s8, s9
	s_and_b32 s13, s16, s13
	v_cndmask_b32_e64 v2, 0, 1, s10
	v_cndmask_b32_e64 v3, 0, 1, s9
	s_and_b32 s17, s21, s17
	v_cndmask_b32_e64 v4, 0, 1, s13
	v_cndmask_b32_e64 v5, 0, 1, s17
	v_cmp_ne_u32_e64 s9, 0, v2
	v_cmp_ne_u32_e64 s10, 0, v3
	s_delay_alu instid0(VALU_DEP_4) | instskip(NEXT) | instid1(VALU_DEP_4)
	v_cmp_ne_u32_e64 s13, 0, v4
	v_cmp_ne_u32_e64 s17, 0, v5
	s_delay_alu instid0(VALU_DEP_4) | instskip(NEXT) | instid1(VALU_DEP_3)
	s_bcnt1_i32_b32 s9, s9
	s_bcnt1_i32_b32 s10, s10
	s_delay_alu instid0(VALU_DEP_2) | instskip(SKIP_3) | instid1(SALU_CYCLE_1)
	s_bcnt1_i32_b32 s13, s13
	s_add_i32 s9, s10, s9
	s_bcnt1_i32_b32 s17, s17
	s_add_i32 s9, s9, s13
	s_add_i32 s9, s9, s17
	s_delay_alu instid0(SALU_CYCLE_1)
	s_add_u32 s80, s80, s9
	s_addc_u32 s81, s81, 0
	s_and_b32 s9, s7, s11
	s_and_b32 s10, s8, s14
	;; [unrolled: 1-line block ×3, first 2 shown]
	v_cndmask_b32_e64 v2, 0, 1, s9
	v_cndmask_b32_e64 v3, 0, 1, s10
	s_and_b32 s13, s21, s23
	v_cndmask_b32_e64 v4, 0, 1, s11
	v_cndmask_b32_e64 v5, 0, 1, s13
	v_cmp_ne_u32_e64 s9, 0, v2
	v_cmp_ne_u32_e64 s10, 0, v3
	s_delay_alu instid0(VALU_DEP_4) | instskip(NEXT) | instid1(VALU_DEP_4)
	v_cmp_ne_u32_e64 s11, 0, v4
	v_cmp_ne_u32_e64 s13, 0, v5
	s_delay_alu instid0(VALU_DEP_4) | instskip(NEXT) | instid1(VALU_DEP_3)
	s_bcnt1_i32_b32 s9, s9
	s_bcnt1_i32_b32 s10, s10
	s_delay_alu instid0(VALU_DEP_2) | instskip(SKIP_3) | instid1(SALU_CYCLE_1)
	s_bcnt1_i32_b32 s11, s11
	s_add_i32 s9, s10, s9
	s_bcnt1_i32_b32 s13, s13
	s_add_i32 s9, s9, s11
	s_add_i32 s9, s9, s13
	s_delay_alu instid0(SALU_CYCLE_1)
	s_add_u32 s78, s78, s9
	s_addc_u32 s79, s79, 0
	s_and_b32 s7, s7, s12
	s_and_b32 s8, s8, s15
	;; [unrolled: 1-line block ×3, first 2 shown]
	v_cndmask_b32_e64 v2, 0, 1, s7
	v_cndmask_b32_e64 v3, 0, 1, s8
	s_and_b32 s10, s21, s24
	v_cndmask_b32_e64 v4, 0, 1, s9
	v_cndmask_b32_e64 v5, 0, 1, s10
	v_cmp_ne_u32_e64 s7, 0, v2
	v_cmp_ne_u32_e64 s8, 0, v3
	v_mov_b32_e32 v2, s82
	v_cmp_ne_u32_e64 s9, 0, v4
	v_cmp_ne_u32_e64 s10, 0, v5
	s_bcnt1_i32_b32 s7, s7
	s_bcnt1_i32_b32 s8, s8
	v_mov_b32_e32 v4, s80
	s_bcnt1_i32_b32 s9, s9
	s_add_i32 s7, s8, s7
	s_bcnt1_i32_b32 s8, s10
	s_add_i32 s7, s7, s9
	v_mov_b32_e32 v6, s78
	s_add_i32 s7, s7, s8
	v_mov_b32_e32 v3, s83
	s_add_u32 s76, s76, s7
	s_addc_u32 s77, s77, 0
	v_dual_mov_b32 v8, s76 :: v_dual_mov_b32 v5, s81
	v_mov_b32_e32 v7, s79
	v_mov_b32_e32 v9, s77
	s_or_b32 s60, vcc_lo, s60
	s_delay_alu instid0(SALU_CYCLE_1)
	s_and_not1_b32 exec_lo, exec_lo, s60
	s_cbranch_execnz .LBB210_54
; %bb.55:                               ;   in Loop: Header=BB210_18 Depth=1
	s_or_b32 exec_lo, exec_lo, s60
.LBB210_56:                             ;   in Loop: Header=BB210_18 Depth=1
	s_delay_alu instid0(SALU_CYCLE_1) | instskip(SKIP_3) | instid1(VALU_DEP_2)
	s_or_b32 exec_lo, exec_lo, s26
	v_add_co_u32 v18, vcc_lo, v18, v0
	v_add_co_ci_u32_e32 v19, vcc_lo, 0, v19, vcc_lo
	v_dual_mov_b32 v21, 0 :: v_dual_and_b32 v12, 0xffff, v33
	v_cmp_gt_u64_e32 vcc_lo, s[36:37], v[18:19]
	s_and_saveexec_b32 s8, vcc_lo
	s_cbranch_execz .LBB210_58
; %bb.57:                               ;   in Loop: Header=BB210_18 Depth=1
	v_mul_lo_u32 v33, v19, s30
	v_mul_lo_u32 v34, v18, s31
	v_mad_u64_u32 v[20:21], null, v18, s30, 0
	s_delay_alu instid0(VALU_DEP_1) | instskip(NEXT) | instid1(VALU_DEP_1)
	v_add3_u32 v21, v21, v34, v33
	v_lshlrev_b64 v[20:21], 1, v[20:21]
	s_delay_alu instid0(VALU_DEP_1) | instskip(NEXT) | instid1(VALU_DEP_1)
	v_add_co_u32 v20, s7, s29, v20
	v_add_co_ci_u32_e64 v21, s7, s33, v21, s7
	global_load_u16 v21, v[20:21], off
.LBB210_58:                             ;   in Loop: Header=BB210_18 Depth=1
	s_or_b32 exec_lo, exec_lo, s8
	s_and_saveexec_b32 s11, vcc_lo
	s_cbranch_execz .LBB210_65
; %bb.59:                               ;   in Loop: Header=BB210_18 Depth=1
	s_and_b32 s13, s95, 0xfe
	s_mov_b32 s12, 0
	s_branch .LBB210_61
.LBB210_60:                             ;   in Loop: Header=BB210_61 Depth=2
	s_or_b32 exec_lo, exec_lo, s8
	s_waitcnt vmcnt(0)
	v_cmp_lt_i16_e64 s7, -1, v21
	v_and_b32_e32 v33, 0xffff, v21
	s_and_b32 s8, exec_lo, vcc_lo
	s_delay_alu instid0(SALU_CYCLE_1) | instskip(NEXT) | instid1(VALU_DEP_2)
	s_or_b32 s12, s8, s12
	v_cndmask_b32_e64 v34, 0xffff, v29, s7
	v_cmp_o_f16_e64 s7, v21, v21
	s_delay_alu instid0(VALU_DEP_2) | instskip(NEXT) | instid1(VALU_DEP_1)
	v_xor_b32_e32 v33, v34, v33
	v_cndmask_b32_e64 v21, 0xffff, v33, s7
	s_delay_alu instid0(VALU_DEP_1) | instskip(SKIP_1) | instid1(VALU_DEP_2)
	v_and_b32_e32 v33, v21, v30
	v_bfe_u32 v21, v21, s13, 2
	v_cmp_eq_u32_e32 vcc_lo, v33, v31
	s_delay_alu instid0(VALU_DEP_2) | instskip(SKIP_3) | instid1(VALU_DEP_4)
	v_cmp_eq_u32_e64 s7, 0, v21
	v_cmp_eq_u32_e64 s8, 1, v21
	;; [unrolled: 1-line block ×4, first 2 shown]
	s_and_b32 s7, vcc_lo, s7
	s_delay_alu instid0(SALU_CYCLE_1) | instskip(SKIP_1) | instid1(SALU_CYCLE_1)
	v_cndmask_b32_e64 v21, 0, 1, s7
	s_and_b32 s7, vcc_lo, s8
	v_cndmask_b32_e64 v33, 0, 1, s7
	s_and_b32 s7, vcc_lo, s9
	s_delay_alu instid0(SALU_CYCLE_1)
	v_cndmask_b32_e64 v34, 0, 1, s7
	s_and_b32 s7, vcc_lo, s10
	v_cmp_ne_u32_e32 vcc_lo, 0, v21
	v_cndmask_b32_e64 v35, 0, 1, s7
	v_cmp_ne_u32_e64 s7, 0, v33
	v_cmp_ne_u32_e64 s8, 0, v34
	v_mov_b32_e32 v21, v20
	s_bcnt1_i32_b32 s10, vcc_lo
	v_cmp_ne_u32_e64 s9, 0, v35
	v_add_co_u32 v2, vcc_lo, v2, s10
	s_bcnt1_i32_b32 s7, s7
	v_add_co_ci_u32_e32 v3, vcc_lo, 0, v3, vcc_lo
	v_add_co_u32 v4, vcc_lo, v4, s7
	s_bcnt1_i32_b32 s8, s8
	v_add_co_ci_u32_e32 v5, vcc_lo, 0, v5, vcc_lo
	;; [unrolled: 3-line block ×3, first 2 shown]
	v_add_co_u32 v8, vcc_lo, v8, s7
	v_add_co_ci_u32_e32 v9, vcc_lo, 0, v9, vcc_lo
	s_and_not1_b32 exec_lo, exec_lo, s12
	s_cbranch_execz .LBB210_64
.LBB210_61:                             ;   Parent Loop BB210_18 Depth=1
                                        ; =>  This Inner Loop Header: Depth=2
	v_add_co_u32 v18, vcc_lo, v18, v12
	v_add_co_ci_u32_e32 v19, vcc_lo, 0, v19, vcc_lo
	v_mov_b32_e32 v20, 0
	s_mov_b32 s8, exec_lo
	s_delay_alu instid0(VALU_DEP_2)
	v_cmp_le_u64_e32 vcc_lo, s[36:37], v[18:19]
	v_cmpx_gt_u64_e64 s[36:37], v[18:19]
	s_cbranch_execz .LBB210_60
; %bb.62:                               ;   in Loop: Header=BB210_61 Depth=2
	v_mul_lo_u32 v20, v19, s30
	v_mul_lo_u32 v35, v18, s31
	v_mad_u64_u32 v[33:34], null, v18, s30, 0
	s_delay_alu instid0(VALU_DEP_1) | instskip(NEXT) | instid1(VALU_DEP_1)
	v_add3_u32 v34, v34, v35, v20
	v_lshlrev_b64 v[33:34], 1, v[33:34]
	s_delay_alu instid0(VALU_DEP_1) | instskip(NEXT) | instid1(VALU_DEP_1)
	v_add_co_u32 v33, s7, s29, v33
	v_add_co_ci_u32_e64 v34, s7, s33, v34, s7
	global_load_u16 v20, v[33:34], off
	s_branch .LBB210_60
.LBB210_63:                             ;   in Loop: Header=BB210_18 Depth=1
                                        ; implicit-def: $vgpr8_vgpr9
                                        ; implicit-def: $vgpr4_vgpr5
	s_cbranch_execnz .LBB210_66
	s_branch .LBB210_75
.LBB210_64:                             ;   in Loop: Header=BB210_18 Depth=1
	s_or_b32 exec_lo, exec_lo, s12
.LBB210_65:                             ;   in Loop: Header=BB210_18 Depth=1
	s_delay_alu instid0(SALU_CYCLE_1)
	s_or_b32 exec_lo, exec_lo, s11
	s_branch .LBB210_75
.LBB210_66:                             ;   in Loop: Header=BB210_18 Depth=1
	global_load_u16 v8, v13, s[72:73]
	s_mov_b64 s[76:77], 0
	s_mov_b32 s61, exec_lo
	s_waitcnt vmcnt(0)
	v_readfirstlane_b32 s7, v8
	v_and_b32_e32 v20, 0xffff, v8
	s_delay_alu instid0(VALU_DEP_2) | instskip(NEXT) | instid1(SALU_CYCLE_1)
	s_and_b32 s7, 0xffff, s7
	s_lshl_b32 s60, s7, 2
	s_delay_alu instid0(SALU_CYCLE_1) | instskip(SKIP_1) | instid1(VALU_DEP_1)
	v_cvt_f32_u32_e32 v2, s60
	s_sub_i32 s8, 0, s60
	v_rcp_iflag_f32_e32 v2, v2
	s_waitcnt_depctr 0xfff
	v_mul_f32_e32 v2, 0x4f7ffffe, v2
	s_delay_alu instid0(VALU_DEP_1) | instskip(NEXT) | instid1(VALU_DEP_1)
	v_cvt_u32_f32_e32 v2, v2
	v_readfirstlane_b32 s7, v2
	v_mov_b32_e32 v2, 0
	v_mov_b32_e32 v3, 0
	s_delay_alu instid0(VALU_DEP_3) | instskip(NEXT) | instid1(VALU_DEP_1)
	s_mul_i32 s8, s8, s7
	v_dual_mov_b32 v5, v3 :: v_dual_mov_b32 v4, v2
	s_mul_hi_u32 s8, s7, s8
	v_dual_mov_b32 v7, v3 :: v_dual_mov_b32 v6, v2
	s_add_i32 s7, s7, s8
	v_dual_mov_b32 v9, v3 :: v_dual_mov_b32 v8, v2
	s_mul_hi_u32 s7, s74, s7
	s_delay_alu instid0(SALU_CYCLE_1) | instskip(NEXT) | instid1(SALU_CYCLE_1)
	s_mul_i32 s7, s7, s60
	s_sub_i32 s7, s74, s7
	s_delay_alu instid0(SALU_CYCLE_1) | instskip(SKIP_2) | instid1(SALU_CYCLE_1)
	s_sub_i32 s8, s7, s60
	s_cmp_ge_u32 s7, s60
	s_cselect_b32 s7, s8, s7
	s_sub_i32 s8, s7, s60
	s_cmp_ge_u32 s7, s60
	s_cselect_b32 s7, s8, s7
	s_delay_alu instid0(SALU_CYCLE_1) | instskip(NEXT) | instid1(SALU_CYCLE_1)
	s_sub_i32 s70, s74, s7
	v_cmpx_gt_u32_e64 s70, v14
	s_cbranch_execz .LBB210_70
; %bb.67:                               ;   in Loop: Header=BB210_18 Depth=1
	v_dual_mov_b32 v21, v27 :: v_dual_lshlrev_b32 v12, 3, v20
	v_dual_mov_b32 v19, v15 :: v_dual_mov_b32 v18, v14
	s_and_b32 s62, s95, 0xfe
	s_mov_b32 s63, 0
	s_mov_b64 s[78:79], 0
	s_mov_b64 s[80:81], 0
	;; [unrolled: 1-line block ×3, first 2 shown]
.LBB210_68:                             ;   Parent Loop BB210_18 Depth=1
                                        ; =>  This Inner Loop Header: Depth=2
	ds_load_b64 v[2:3], v21
	v_add_co_u32 v18, vcc_lo, v18, s60
	v_add_co_ci_u32_e32 v19, vcc_lo, 0, v19, vcc_lo
	s_delay_alu instid0(VALU_DEP_1)
	v_cmp_le_u64_e32 vcc_lo, s[70:71], v[18:19]
	s_waitcnt lgkmcnt(0)
	v_lshrrev_b32_e32 v4, 16, v2
	v_cmp_lt_i16_e64 s7, -1, v2
	v_cmp_lt_i16_e64 s8, -1, v3
	v_lshrrev_b32_e32 v7, 16, v3
	v_and_b32_e32 v5, 0xffff, v2
	v_cmp_o_f16_e64 s10, v2, v2
	v_cndmask_b32_e64 v2, 0xffff, v29, s7
	v_cmp_lt_i16_e64 s7, -1, v4
	v_and_b32_e32 v6, 0xffff, v3
	v_cmp_o_f16_e64 s9, v3, v3
	v_cndmask_b32_e64 v3, 0xffff, v29, s8
	v_cmp_lt_i16_e64 s8, -1, v7
	v_xor_b32_e32 v2, v2, v5
	v_cndmask_b32_e64 v5, 0xffff, v29, s7
	v_cmp_o_f16_e64 s12, v4, v4
	v_xor_b32_e32 v3, v3, v6
	v_cndmask_b32_e64 v6, 0xffff, v29, s8
	v_cndmask_b32_e64 v2, 0xffff, v2, s10
	v_xor_b32_e32 v4, v5, v4
	v_cmp_o_f16_e64 s11, v7, v7
	v_cndmask_b32_e64 v3, 0xffff, v3, s9
	v_xor_b32_e32 v5, v6, v7
	v_and_b32_e32 v6, v2, v30
	v_cndmask_b32_e64 v4, 0xffff, v4, s12
	v_bfe_u32 v2, v2, s62, 2
	v_and_b32_e32 v7, v3, v30
	v_cndmask_b32_e64 v5, 0xffff, v5, s11
	v_cmp_eq_u32_e64 s7, v6, v31
	v_and_b32_e32 v6, v4, v30
	v_bfe_u32 v4, v4, s62, 2
	v_bfe_u32 v3, v3, s62, 2
	v_cmp_eq_u32_e64 s8, v7, v31
	v_and_b32_e32 v7, v5, v30
	v_bfe_u32 v5, v5, s62, 2
	v_cmp_eq_u32_e64 s9, 0, v2
	v_cmp_eq_u32_e64 s17, v6, v31
	;; [unrolled: 1-line block ×6, first 2 shown]
	s_and_b32 s25, s7, s9
	s_and_b32 s19, s17, s19
	v_cmp_eq_u32_e64 s11, 1, v2
	v_cmp_eq_u32_e64 s13, 2, v2
	;; [unrolled: 1-line block ×3, first 2 shown]
	s_and_b32 s26, s8, s10
	v_cmp_eq_u32_e64 s9, 1, v4
	v_cmp_eq_u32_e64 s21, 2, v4
	;; [unrolled: 1-line block ×3, first 2 shown]
	v_cndmask_b32_e64 v2, 0, 1, s25
	v_cndmask_b32_e64 v4, 0, 1, s19
	v_cmp_eq_u32_e64 s12, 1, v3
	v_cmp_eq_u32_e64 s14, 2, v3
	;; [unrolled: 1-line block ×3, first 2 shown]
	v_cndmask_b32_e64 v3, 0, 1, s26
	s_and_b32 s20, s18, s20
	v_cmp_eq_u32_e64 s10, 1, v5
	v_cmp_eq_u32_e64 s22, 2, v5
	v_cmp_eq_u32_e64 s24, 3, v5
	v_cndmask_b32_e64 v5, 0, 1, s20
	v_cmp_ne_u32_e64 s19, 0, v2
	v_cmp_ne_u32_e64 s25, 0, v4
	;; [unrolled: 1-line block ×3, first 2 shown]
	s_delay_alu instid0(VALU_DEP_4) | instskip(NEXT) | instid1(VALU_DEP_4)
	v_cmp_ne_u32_e64 s26, 0, v5
	s_bcnt1_i32_b32 s19, s19
	s_delay_alu instid0(VALU_DEP_3) | instskip(NEXT) | instid1(VALU_DEP_2)
	s_bcnt1_i32_b32 s25, s25
	s_bcnt1_i32_b32 s20, s20
	s_add_i32 s19, s25, s19
	s_bcnt1_i32_b32 s26, s26
	s_add_i32 s19, s19, s20
	s_delay_alu instid0(SALU_CYCLE_1) | instskip(NEXT) | instid1(SALU_CYCLE_1)
	s_add_i32 s19, s19, s26
	s_add_u32 s82, s82, s19
	s_addc_u32 s83, s83, 0
	s_and_b32 s11, s7, s11
	s_and_b32 s9, s17, s9
	;; [unrolled: 1-line block ×3, first 2 shown]
	v_cndmask_b32_e64 v2, 0, 1, s11
	v_cndmask_b32_e64 v3, 0, 1, s9
	s_and_b32 s10, s18, s10
	v_cndmask_b32_e64 v4, 0, 1, s12
	v_cndmask_b32_e64 v5, 0, 1, s10
	v_cmp_ne_u32_e64 s9, 0, v2
	v_cmp_ne_u32_e64 s10, 0, v3
	v_add_nc_u32_e32 v21, v21, v12
	v_cmp_ne_u32_e64 s11, 0, v4
	v_cmp_ne_u32_e64 s12, 0, v5
	s_bcnt1_i32_b32 s9, s9
	s_bcnt1_i32_b32 s10, s10
	s_delay_alu instid0(VALU_DEP_2) | instskip(SKIP_3) | instid1(SALU_CYCLE_1)
	s_bcnt1_i32_b32 s11, s11
	s_add_i32 s9, s10, s9
	s_bcnt1_i32_b32 s12, s12
	s_add_i32 s9, s9, s11
	s_add_i32 s9, s9, s12
	s_delay_alu instid0(SALU_CYCLE_1)
	s_add_u32 s80, s80, s9
	s_addc_u32 s81, s81, 0
	s_and_b32 s9, s7, s13
	s_and_b32 s10, s17, s21
	s_and_b32 s11, s8, s14
	v_cndmask_b32_e64 v2, 0, 1, s9
	v_cndmask_b32_e64 v3, 0, 1, s10
	s_and_b32 s12, s18, s22
	v_cndmask_b32_e64 v4, 0, 1, s11
	v_cndmask_b32_e64 v5, 0, 1, s12
	v_cmp_ne_u32_e64 s9, 0, v2
	v_cmp_ne_u32_e64 s10, 0, v3
	s_delay_alu instid0(VALU_DEP_4) | instskip(NEXT) | instid1(VALU_DEP_4)
	v_cmp_ne_u32_e64 s11, 0, v4
	v_cmp_ne_u32_e64 s12, 0, v5
	s_delay_alu instid0(VALU_DEP_4) | instskip(NEXT) | instid1(VALU_DEP_3)
	s_bcnt1_i32_b32 s9, s9
	s_bcnt1_i32_b32 s10, s10
	s_delay_alu instid0(VALU_DEP_2) | instskip(SKIP_3) | instid1(SALU_CYCLE_1)
	s_bcnt1_i32_b32 s11, s11
	s_add_i32 s9, s10, s9
	s_bcnt1_i32_b32 s12, s12
	s_add_i32 s9, s9, s11
	s_add_i32 s9, s9, s12
	s_delay_alu instid0(SALU_CYCLE_1)
	s_add_u32 s78, s78, s9
	s_addc_u32 s79, s79, 0
	s_and_b32 s7, s7, s15
	s_and_b32 s9, s17, s23
	;; [unrolled: 1-line block ×3, first 2 shown]
	v_cndmask_b32_e64 v2, 0, 1, s7
	v_cndmask_b32_e64 v3, 0, 1, s9
	s_and_b32 s10, s18, s24
	v_cndmask_b32_e64 v4, 0, 1, s8
	v_cndmask_b32_e64 v5, 0, 1, s10
	v_cmp_ne_u32_e64 s7, 0, v2
	v_cmp_ne_u32_e64 s8, 0, v3
	v_mov_b32_e32 v2, s82
	v_cmp_ne_u32_e64 s9, 0, v4
	v_cmp_ne_u32_e64 s10, 0, v5
	s_bcnt1_i32_b32 s7, s7
	s_bcnt1_i32_b32 s8, s8
	v_mov_b32_e32 v4, s80
	s_bcnt1_i32_b32 s9, s9
	s_add_i32 s7, s8, s7
	s_bcnt1_i32_b32 s8, s10
	s_add_i32 s7, s7, s9
	v_mov_b32_e32 v6, s78
	s_add_i32 s7, s7, s8
	v_mov_b32_e32 v3, s83
	s_add_u32 s76, s76, s7
	s_addc_u32 s77, s77, 0
	v_dual_mov_b32 v8, s76 :: v_dual_mov_b32 v5, s81
	v_mov_b32_e32 v7, s79
	v_mov_b32_e32 v9, s77
	s_or_b32 s63, vcc_lo, s63
	s_delay_alu instid0(SALU_CYCLE_1)
	s_and_not1_b32 exec_lo, exec_lo, s63
	s_cbranch_execnz .LBB210_68
; %bb.69:                               ;   in Loop: Header=BB210_18 Depth=1
	s_or_b32 exec_lo, exec_lo, s63
.LBB210_70:                             ;   in Loop: Header=BB210_18 Depth=1
	s_delay_alu instid0(SALU_CYCLE_1) | instskip(SKIP_2) | instid1(VALU_DEP_1)
	s_or_b32 exec_lo, exec_lo, s61
	v_add_nc_u32_e32 v12, s70, v0
	s_mov_b32 s14, exec_lo
	v_cmpx_gt_u32_e64 s74, v12
	s_cbranch_execz .LBB210_74
; %bb.71:                               ;   in Loop: Header=BB210_18 Depth=1
	v_mov_b32_e32 v19, v13
	v_dual_mov_b32 v18, v12 :: v_dual_lshlrev_b32 v21, 1, v12
	v_lshlrev_b32_e32 v33, 1, v20
	s_mov_b32 s13, 0
	s_and_b32 s12, s74, 0x7fffffff
	s_and_b32 s16, s95, 0xfe
	s_mov_b32 s15, s13
.LBB210_72:                             ;   Parent Loop BB210_18 Depth=1
                                        ; =>  This Inner Loop Header: Depth=2
	ds_load_u16 v12, v21
	v_add_co_u32 v18, vcc_lo, v18, v20
	v_add_co_ci_u32_e32 v19, vcc_lo, 0, v19, vcc_lo
	v_add_nc_u32_e32 v21, v21, v33
	s_delay_alu instid0(VALU_DEP_2) | instskip(SKIP_3) | instid1(VALU_DEP_2)
	v_cmp_le_u64_e32 vcc_lo, s[12:13], v[18:19]
	s_waitcnt lgkmcnt(0)
	v_cmp_lt_i16_e64 s7, -1, v12
	v_and_b32_e32 v34, 0xffff, v12
	v_cndmask_b32_e64 v35, 0xffff, v29, s7
	v_cmp_o_f16_e64 s7, v12, v12
	s_delay_alu instid0(VALU_DEP_2) | instskip(NEXT) | instid1(VALU_DEP_1)
	v_xor_b32_e32 v34, v35, v34
	v_cndmask_b32_e64 v12, 0xffff, v34, s7
	s_delay_alu instid0(VALU_DEP_1) | instskip(SKIP_1) | instid1(VALU_DEP_2)
	v_and_b32_e32 v34, v12, v30
	v_bfe_u32 v12, v12, s16, 2
	v_cmp_eq_u32_e64 s7, v34, v31
	s_delay_alu instid0(VALU_DEP_2) | instskip(SKIP_3) | instid1(VALU_DEP_4)
	v_cmp_eq_u32_e64 s8, 0, v12
	v_cmp_eq_u32_e64 s9, 1, v12
	v_cmp_eq_u32_e64 s10, 2, v12
	v_cmp_eq_u32_e64 s11, 3, v12
	s_and_b32 s8, s7, s8
	s_delay_alu instid0(SALU_CYCLE_1) | instskip(SKIP_1) | instid1(SALU_CYCLE_1)
	v_cndmask_b32_e64 v12, 0, 1, s8
	s_and_b32 s8, s7, s9
	v_cndmask_b32_e64 v34, 0, 1, s8
	s_and_b32 s8, s7, s10
	s_and_b32 s7, s7, s11
	v_cndmask_b32_e64 v35, 0, 1, s8
	v_cndmask_b32_e64 v36, 0, 1, s7
	v_cmp_ne_u32_e64 s7, 0, v12
	v_cmp_ne_u32_e64 s8, 0, v34
	s_delay_alu instid0(VALU_DEP_4) | instskip(NEXT) | instid1(VALU_DEP_4)
	v_cmp_ne_u32_e64 s9, 0, v35
	v_cmp_ne_u32_e64 s10, 0, v36
	s_delay_alu instid0(VALU_DEP_4) | instskip(NEXT) | instid1(VALU_DEP_3)
	s_bcnt1_i32_b32 s7, s7
	s_bcnt1_i32_b32 s8, s8
	v_add_co_u32 v2, s7, v2, s7
	s_delay_alu instid0(VALU_DEP_1)
	v_add_co_ci_u32_e64 v3, s7, 0, v3, s7
	v_add_co_u32 v4, s7, v4, s8
	s_bcnt1_i32_b32 s9, s9
	v_add_co_ci_u32_e64 v5, s7, 0, v5, s7
	v_add_co_u32 v6, s7, v6, s9
	s_bcnt1_i32_b32 s10, s10
	v_add_co_ci_u32_e64 v7, s7, 0, v7, s7
	v_add_co_u32 v8, s7, v8, s10
	s_delay_alu instid0(VALU_DEP_1) | instskip(SKIP_1) | instid1(SALU_CYCLE_1)
	v_add_co_ci_u32_e64 v9, s7, 0, v9, s7
	s_or_b32 s15, vcc_lo, s15
	s_and_not1_b32 exec_lo, exec_lo, s15
	s_cbranch_execnz .LBB210_72
; %bb.73:                               ;   in Loop: Header=BB210_18 Depth=1
	s_or_b32 exec_lo, exec_lo, s15
.LBB210_74:                             ;   in Loop: Header=BB210_18 Depth=1
	s_delay_alu instid0(SALU_CYCLE_1)
	s_or_b32 exec_lo, exec_lo, s14
.LBB210_75:                             ;   in Loop: Header=BB210_18 Depth=1
	s_lshl_b32 s7, s99, 7
	s_and_saveexec_b32 s8, s2
	s_cbranch_execz .LBB210_77
; %bb.76:                               ;   in Loop: Header=BB210_18 Depth=1
	v_or_b32_e32 v12, s7, v24
	s_delay_alu instid0(VALU_DEP_1)
	v_lshlrev_b32_e32 v12, 3, v12
	ds_store_b128 v12, v[2:5] offset:3072
	ds_store_b128 v12, v[6:9] offset:3088
.LBB210_77:                             ;   in Loop: Header=BB210_18 Depth=1
	s_or_b32 exec_lo, exec_lo, s8
	s_waitcnt vmcnt(0) lgkmcnt(0)
	s_barrier
	buffer_gl0_inv
	s_and_saveexec_b32 s8, s84
	s_cbranch_execz .LBB210_88
; %bb.78:                               ;   in Loop: Header=BB210_18 Depth=1
	v_mov_b32_e32 v2, 0
	v_mov_b32_e32 v3, 0
	s_and_not1_b32 vcc_lo, exec_lo, s92
	s_cbranch_vccnz .LBB210_87
; %bb.79:                               ;   in Loop: Header=BB210_18 Depth=1
	v_mov_b32_e32 v2, 0
	v_mov_b32_e32 v3, 0
	s_and_not1_b32 vcc_lo, exec_lo, s90
	s_cbranch_vccnz .LBB210_84
; %bb.80:                               ;   in Loop: Header=BB210_18 Depth=1
	v_lshl_add_u32 v4, s99, 10, v28
	s_mov_b32 s9, 0
	s_set_inst_prefetch_distance 0x1
	.p2align	6
.LBB210_81:                             ;   Parent Loop BB210_18 Depth=1
                                        ; =>  This Inner Loop Header: Depth=2
	ds_load_2addr_b64 v[5:8], v4 offset1:4
	ds_load_2addr_b64 v[18:21], v4 offset0:8 offset1:12
	ds_load_2addr_b64 v[33:36], v4 offset0:16 offset1:20
	s_add_i32 s9, s9, 8
	s_delay_alu instid0(SALU_CYCLE_1) | instskip(SKIP_3) | instid1(VALU_DEP_2)
	s_cmp_eq_u32 s91, s9
	s_waitcnt lgkmcnt(2)
	v_add_co_u32 v2, vcc_lo, v5, v2
	v_add_co_ci_u32_e32 v3, vcc_lo, v6, v3, vcc_lo
	v_add_co_u32 v2, vcc_lo, v7, v2
	s_delay_alu instid0(VALU_DEP_2)
	v_add_co_ci_u32_e32 v3, vcc_lo, v8, v3, vcc_lo
	ds_load_2addr_b64 v[5:8], v4 offset0:24 offset1:28
	s_waitcnt lgkmcnt(2)
	v_add_co_u32 v2, vcc_lo, v18, v2
	v_add_co_ci_u32_e32 v3, vcc_lo, v19, v3, vcc_lo
	v_add_nc_u32_e32 v4, 0x100, v4
	s_delay_alu instid0(VALU_DEP_3) | instskip(NEXT) | instid1(VALU_DEP_3)
	v_add_co_u32 v2, vcc_lo, v20, v2
	v_add_co_ci_u32_e32 v3, vcc_lo, v21, v3, vcc_lo
	s_waitcnt lgkmcnt(1)
	s_delay_alu instid0(VALU_DEP_2) | instskip(NEXT) | instid1(VALU_DEP_2)
	v_add_co_u32 v2, vcc_lo, v33, v2
	v_add_co_ci_u32_e32 v3, vcc_lo, v34, v3, vcc_lo
	s_delay_alu instid0(VALU_DEP_2) | instskip(NEXT) | instid1(VALU_DEP_2)
	v_add_co_u32 v2, vcc_lo, v35, v2
	v_add_co_ci_u32_e32 v3, vcc_lo, v36, v3, vcc_lo
	s_waitcnt lgkmcnt(0)
	s_delay_alu instid0(VALU_DEP_2) | instskip(NEXT) | instid1(VALU_DEP_2)
	v_add_co_u32 v2, vcc_lo, v5, v2
	v_add_co_ci_u32_e32 v3, vcc_lo, v6, v3, vcc_lo
	s_delay_alu instid0(VALU_DEP_2) | instskip(NEXT) | instid1(VALU_DEP_2)
	v_add_co_u32 v2, vcc_lo, v7, v2
	v_add_co_ci_u32_e32 v3, vcc_lo, v8, v3, vcc_lo
	s_cbranch_scc0 .LBB210_81
; %bb.82:                               ;   in Loop: Header=BB210_18 Depth=1
	s_set_inst_prefetch_distance 0x2
	s_mov_b32 s9, s91
	s_and_not1_b32 vcc_lo, exec_lo, s93
	s_cbranch_vccz .LBB210_85
	s_branch .LBB210_87
.LBB210_83:                             ;   in Loop: Header=BB210_18 Depth=1
                                        ; implicit-def: $vgpr2_vgpr3
	s_branch .LBB210_51
.LBB210_84:                             ;   in Loop: Header=BB210_18 Depth=1
	s_mov_b32 s9, 0
	s_and_not1_b32 vcc_lo, exec_lo, s93
	s_cbranch_vccnz .LBB210_87
.LBB210_85:                             ;   in Loop: Header=BB210_18 Depth=1
	s_lshl_b32 s10, s99, 10
	s_lshl_b32 s9, s9, 5
	s_delay_alu instid0(SALU_CYCLE_1)
	v_add3_u32 v4, s10, s9, v28
	s_mov_b32 s9, s89
.LBB210_86:                             ;   Parent Loop BB210_18 Depth=1
                                        ; =>  This Inner Loop Header: Depth=2
	ds_load_b64 v[5:6], v4
	v_add_nc_u32_e32 v4, 32, v4
	s_add_i32 s9, s9, -1
	s_delay_alu instid0(SALU_CYCLE_1)
	s_cmp_lg_u32 s9, 0
	s_waitcnt lgkmcnt(0)
	v_add_co_u32 v2, vcc_lo, v5, v2
	v_add_co_ci_u32_e32 v3, vcc_lo, v6, v3, vcc_lo
	s_cbranch_scc1 .LBB210_86
.LBB210_87:                             ;   in Loop: Header=BB210_18 Depth=1
	v_add_lshl_u32 v4, s7, v23, 3
	ds_store_b64 v4, v[2:3] offset:3072
.LBB210_88:                             ;   in Loop: Header=BB210_18 Depth=1
	s_or_b32 exec_lo, exec_lo, s8
	s_lshl_b32 s7, s7, 3
	s_waitcnt lgkmcnt(0)
	v_mov_b32_e32 v6, s7
	s_barrier
	buffer_gl0_inv
	s_and_b32 s22, s95, 0xfe
	v_cmp_eq_u64_e64 s7, 1, v[16:17]
	ds_load_b128 v[2:5], v6 offset:3072
	ds_load_b128 v[6:9], v6 offset:3088
	s_lshl_b32 s20, 3, s22
	s_and_not1_b32 vcc_lo, exec_lo, s59
	s_not_b32 s21, s20
	s_waitcnt lgkmcnt(1)
	v_readfirstlane_b32 s11, v3
	v_readfirstlane_b32 s10, v2
	v_readfirstlane_b32 s13, v5
	v_readfirstlane_b32 s12, v4
	s_waitcnt lgkmcnt(0)
	v_readfirstlane_b32 s15, v7
	v_readfirstlane_b32 s14, v6
	;; [unrolled: 1-line block ×4, first 2 shown]
	s_cbranch_vccnz .LBB210_104
; %bb.89:                               ;   in Loop: Header=BB210_18 Depth=1
	s_cmp_eq_u64 s[10:11], 1
	v_dual_mov_b32 v8, v31 :: v_dual_mov_b32 v9, v30
	v_mov_b32_e32 v6, v32
	s_cselect_b32 s8, -1, 0
                                        ; implicit-def: $sgpr23
                                        ; implicit-def: $sgpr70
                                        ; implicit-def: $sgpr69
	s_delay_alu instid0(SALU_CYCLE_1)
	s_and_b32 s60, s8, s7
	s_mov_b32 s8, -1
	s_and_saveexec_b32 s24, s60
	s_cbranch_execz .LBB210_123
; %bb.90:                               ;   in Loop: Header=BB210_18 Depth=1
	ds_load_b64 v[2:3], v13 offset:5120
	s_waitcnt lgkmcnt(0)
	s_barrier
	buffer_gl0_inv
	v_readfirstlane_b32 s18, v2
	v_readfirstlane_b32 s19, v3
	s_and_saveexec_b32 s8, s6
	s_cbranch_execz .LBB210_92
; %bb.91:                               ;   in Loop: Header=BB210_18 Depth=1
	ds_store_b16 v26, v13
.LBB210_92:                             ;   in Loop: Header=BB210_18 Depth=1
	s_or_b32 exec_lo, exec_lo, s8
	v_and_b32_e32 v8, s21, v31
	v_or_b32_e32 v9, s20, v30
	s_cmp_eq_u64 s[18:19], 0
	s_waitcnt lgkmcnt(0)
	s_barrier
	buffer_gl0_inv
	s_cbranch_scc1 .LBB210_106
; %bb.93:                               ;   in Loop: Header=BB210_18 Depth=1
	s_add_u32 s23, s86, s18
	s_addc_u32 s9, s87, s19
	s_mov_b32 s8, s71
	s_delay_alu instid0(SALU_CYCLE_1)
	s_cmp_lg_u64 s[8:9], 0
	s_cbranch_scc0 .LBB210_150
; %bb.94:                               ;   in Loop: Header=BB210_18 Depth=1
	v_cvt_f32_u32_e32 v2, s35
	s_sub_u32 s26, 0, s35
	s_subb_u32 s48, 0, 0
	s_delay_alu instid0(VALU_DEP_1) | instskip(NEXT) | instid1(VALU_DEP_1)
	v_fmac_f32_e64 v2, 0, 0x4f800000
	v_rcp_f32_e32 v2, v2
	s_waitcnt_depctr 0xfff
	v_mul_f32_e32 v2, 0x5f7ffffc, v2
	s_delay_alu instid0(VALU_DEP_1) | instskip(NEXT) | instid1(VALU_DEP_1)
	v_mul_f32_e32 v3, 0x2f800000, v2
	v_trunc_f32_e32 v3, v3
	s_delay_alu instid0(VALU_DEP_1) | instskip(SKIP_1) | instid1(VALU_DEP_2)
	v_fmac_f32_e32 v2, 0xcf800000, v3
	v_cvt_u32_f32_e32 v3, v3
	v_cvt_u32_f32_e32 v2, v2
	s_delay_alu instid0(VALU_DEP_2) | instskip(NEXT) | instid1(VALU_DEP_2)
	v_readfirstlane_b32 s8, v3
	v_readfirstlane_b32 s25, v2
	s_delay_alu instid0(VALU_DEP_2) | instskip(NEXT) | instid1(VALU_DEP_1)
	s_mul_i32 s49, s26, s8
	s_mul_hi_u32 s51, s26, s25
	s_mul_i32 s50, s48, s25
	s_add_i32 s49, s51, s49
	s_mul_i32 s52, s26, s25
	s_add_i32 s49, s49, s50
	s_mul_hi_u32 s51, s25, s52
	s_mul_hi_u32 s53, s8, s52
	s_mul_i32 s50, s8, s52
	s_mul_hi_u32 s52, s25, s49
	s_mul_i32 s25, s25, s49
	s_mul_hi_u32 s54, s8, s49
	s_add_u32 s25, s51, s25
	s_addc_u32 s51, 0, s52
	s_add_u32 s25, s25, s50
	s_mul_i32 s49, s8, s49
	s_addc_u32 s25, s51, s53
	s_addc_u32 s50, s54, 0
	s_add_u32 s25, s25, s49
	s_addc_u32 s49, 0, s50
	v_add_co_u32 v2, s25, v2, s25
	s_delay_alu instid0(VALU_DEP_1) | instskip(SKIP_1) | instid1(VALU_DEP_1)
	s_cmp_lg_u32 s25, 0
	s_addc_u32 s8, s8, s49
	v_readfirstlane_b32 s25, v2
	s_mul_i32 s49, s26, s8
	s_delay_alu instid0(VALU_DEP_1)
	s_mul_hi_u32 s50, s26, s25
	s_mul_i32 s48, s48, s25
	s_add_i32 s49, s50, s49
	s_mul_i32 s26, s26, s25
	s_add_i32 s49, s49, s48
	s_mul_hi_u32 s50, s8, s26
	s_mul_i32 s51, s8, s26
	s_mul_hi_u32 s26, s25, s26
	s_mul_hi_u32 s52, s25, s49
	s_mul_i32 s25, s25, s49
	s_mul_hi_u32 s48, s8, s49
	s_add_u32 s25, s26, s25
	s_addc_u32 s26, 0, s52
	s_add_u32 s25, s25, s51
	s_mul_i32 s49, s8, s49
	s_addc_u32 s25, s26, s50
	s_addc_u32 s26, s48, 0
	s_add_u32 s25, s25, s49
	s_addc_u32 s26, 0, s26
	v_add_co_u32 v2, s25, v2, s25
	s_delay_alu instid0(VALU_DEP_1) | instskip(SKIP_1) | instid1(VALU_DEP_1)
	s_cmp_lg_u32 s25, 0
	s_addc_u32 s8, s8, s26
	v_readfirstlane_b32 s25, v2
	s_mul_i32 s48, s23, s8
	s_mul_hi_u32 s26, s23, s8
	s_mul_hi_u32 s49, s9, s8
	s_mul_i32 s8, s9, s8
	s_mul_hi_u32 s50, s23, s25
	s_mul_hi_u32 s51, s9, s25
	s_mul_i32 s25, s9, s25
	s_add_u32 s48, s50, s48
	s_addc_u32 s26, 0, s26
	s_add_u32 s25, s48, s25
	s_addc_u32 s25, s26, s51
	s_addc_u32 s26, s49, 0
	s_add_u32 s8, s25, s8
	s_addc_u32 s25, 0, s26
	s_mul_hi_u32 s26, s35, s8
	s_mul_i32 s8, s35, s8
	s_mul_i32 s25, s35, s25
	v_sub_co_u32 v2, s8, s23, s8
	s_add_i32 s26, s26, s25
	s_cmp_lg_u32 s8, 0
	s_delay_alu instid0(VALU_DEP_1) | instskip(SKIP_2) | instid1(VALU_DEP_1)
	v_sub_co_u32 v3, s8, v2, s35
	s_subb_u32 s25, s9, s26
	s_cmp_lg_u32 s8, 0
	v_cmp_le_u32_e32 vcc_lo, s35, v3
	v_sub_co_u32 v4, s8, v3, s35
	s_subb_u32 s26, s25, 0
	s_cmp_lg_u32 s8, 0
	v_cndmask_b32_e64 v5, 0, -1, vcc_lo
	s_subb_u32 s8, s26, 0
	s_cmp_eq_u32 s26, 0
	v_mov_b32_e32 v7, s8
	s_cselect_b32 vcc_lo, -1, 0
	s_cmp_eq_u32 s25, 0
	v_cndmask_b32_e32 v5, -1, v5, vcc_lo
	v_cmp_le_u32_e32 vcc_lo, s35, v2
	s_cselect_b32 s8, -1, 0
	v_cndmask_b32_e64 v6, 0, -1, vcc_lo
	s_delay_alu instid0(VALU_DEP_3) | instskip(NEXT) | instid1(VALU_DEP_2)
	v_cmp_ne_u32_e32 vcc_lo, 0, v5
	v_cndmask_b32_e64 v5, -1, v6, s8
	v_cndmask_b32_e32 v6, s26, v7, vcc_lo
	v_cndmask_b32_e32 v4, v3, v4, vcc_lo
	s_delay_alu instid0(VALU_DEP_3) | instskip(NEXT) | instid1(VALU_DEP_3)
	v_cmp_ne_u32_e32 vcc_lo, 0, v5
	v_cndmask_b32_e32 v3, s25, v6, vcc_lo
	s_delay_alu instid0(VALU_DEP_3)
	v_cndmask_b32_e32 v2, v2, v4, vcc_lo
	s_cbranch_execnz .LBB210_96
.LBB210_95:                             ;   in Loop: Header=BB210_18 Depth=1
	v_cvt_f32_u32_e32 v2, s35
	s_sub_i32 s8, 0, s35
	s_delay_alu instid0(VALU_DEP_1) | instskip(SKIP_2) | instid1(VALU_DEP_1)
	v_rcp_iflag_f32_e32 v2, v2
	s_waitcnt_depctr 0xfff
	v_mul_f32_e32 v2, 0x4f7ffffe, v2
	v_cvt_u32_f32_e32 v2, v2
	s_delay_alu instid0(VALU_DEP_1) | instskip(NEXT) | instid1(VALU_DEP_1)
	v_mul_lo_u32 v3, s8, v2
	v_mul_hi_u32 v3, v2, v3
	s_delay_alu instid0(VALU_DEP_1) | instskip(NEXT) | instid1(VALU_DEP_1)
	v_add_nc_u32_e32 v2, v2, v3
	v_mul_hi_u32 v2, s23, v2
	s_delay_alu instid0(VALU_DEP_1) | instskip(NEXT) | instid1(VALU_DEP_1)
	v_mul_lo_u32 v2, v2, s35
	v_sub_nc_u32_e32 v2, s23, v2
	s_delay_alu instid0(VALU_DEP_1) | instskip(SKIP_1) | instid1(VALU_DEP_2)
	v_subrev_nc_u32_e32 v3, s35, v2
	v_cmp_le_u32_e32 vcc_lo, s35, v2
	v_cndmask_b32_e32 v2, v2, v3, vcc_lo
	s_delay_alu instid0(VALU_DEP_1) | instskip(SKIP_1) | instid1(VALU_DEP_2)
	v_subrev_nc_u32_e32 v3, s35, v2
	v_cmp_le_u32_e32 vcc_lo, s35, v2
	v_cndmask_b32_e32 v12, v2, v3, vcc_lo
	s_delay_alu instid0(VALU_DEP_1)
	v_dual_mov_b32 v2, v12 :: v_dual_mov_b32 v3, v13
.LBB210_96:                             ;   in Loop: Header=BB210_18 Depth=1
	s_delay_alu instid0(VALU_DEP_1) | instskip(NEXT) | instid1(VALU_DEP_2)
	v_sub_co_u32 v2, vcc_lo, s23, v2
	v_sub_co_ci_u32_e32 v3, vcc_lo, s9, v3, vcc_lo
	s_mov_b32 s8, 0
	s_mov_b32 s9, exec_lo
                                        ; implicit-def: $vgpr6
	s_delay_alu instid0(VALU_DEP_1)
	v_cmpx_gt_u64_e64 v[2:3], v[0:1]
	s_cbranch_execz .LBB210_108
; %bb.97:                               ;   in Loop: Header=BB210_18 Depth=1
	v_mov_b32_e32 v6, v25
	v_dual_mov_b32 v5, v1 :: v_dual_mov_b32 v4, v0
	s_mov_b32 s23, 0
                                        ; implicit-def: $sgpr25
	s_set_inst_prefetch_distance 0x1
	s_branch .LBB210_99
	.p2align	6
.LBB210_98:                             ;   in Loop: Header=BB210_99 Depth=2
	s_or_b32 exec_lo, exec_lo, s8
	s_waitcnt lgkmcnt(0)
	s_barrier
	buffer_gl0_inv
	ds_load_b32 v7, v13 offset:3072
	v_add_co_u32 v4, vcc_lo, v4, s35
	v_add_co_ci_u32_e32 v5, vcc_lo, 0, v5, vcc_lo
	v_add_nc_u32_e32 v6, s94, v6
	s_waitcnt lgkmcnt(0)
	s_barrier
	s_delay_alu instid0(VALU_DEP_2) | instskip(SKIP_2) | instid1(VALU_DEP_1)
	v_cmp_ge_u64_e32 vcc_lo, v[4:5], v[2:3]
	buffer_gl0_inv
	v_cmp_neq_f16_e64 s8, 0, v7
	s_or_b32 s26, vcc_lo, s8
	s_delay_alu instid0(SALU_CYCLE_1) | instskip(NEXT) | instid1(SALU_CYCLE_1)
	s_and_b32 s26, exec_lo, s26
	s_or_b32 s23, s26, s23
	s_and_not1_b32 s25, s25, exec_lo
	s_and_b32 s8, s8, exec_lo
	s_delay_alu instid0(SALU_CYCLE_1)
	s_or_b32 s25, s25, s8
	s_and_not1_b32 exec_lo, exec_lo, s23
	s_cbranch_execz .LBB210_107
.LBB210_99:                             ;   Parent Loop BB210_18 Depth=1
                                        ; =>  This Inner Loop Header: Depth=2
	s_delay_alu instid0(VALU_DEP_1)
	v_cmp_gt_u64_e32 vcc_lo, s[18:19], v[4:5]
	v_mov_b32_e32 v7, 0
	s_and_saveexec_b32 s8, vcc_lo
	s_cbranch_execz .LBB210_101
; %bb.100:                              ;   in Loop: Header=BB210_99 Depth=2
	ds_load_u16 v7, v6
.LBB210_101:                            ;   in Loop: Header=BB210_99 Depth=2
	s_or_b32 exec_lo, exec_lo, s8
	s_and_saveexec_b32 s8, vcc_lo
	s_cbranch_execz .LBB210_98
; %bb.102:                              ;   in Loop: Header=BB210_99 Depth=2
	s_waitcnt lgkmcnt(0)
	v_cmp_lt_i16_e32 vcc_lo, -1, v7
	v_and_b32_e32 v12, 0xffff, v7
	v_cndmask_b32_e32 v18, 0xffff, v29, vcc_lo
	v_cmp_o_f16_e32 vcc_lo, v7, v7
	s_delay_alu instid0(VALU_DEP_2) | instskip(NEXT) | instid1(VALU_DEP_1)
	v_xor_b32_e32 v12, v18, v12
	v_cndmask_b32_e32 v12, 0xffff, v12, vcc_lo
	s_delay_alu instid0(VALU_DEP_1) | instskip(NEXT) | instid1(VALU_DEP_1)
	v_and_b32_e32 v12, v12, v9
	v_cmp_eq_u32_e32 vcc_lo, v12, v8
	s_and_b32 exec_lo, exec_lo, vcc_lo
	s_cbranch_execz .LBB210_98
; %bb.103:                              ;   in Loop: Header=BB210_99 Depth=2
	v_perm_b32 v7, v7, s97, 0x5040100
	ds_store_b32 v13, v7 offset:3072
	s_branch .LBB210_98
.LBB210_104:                            ;   in Loop: Header=BB210_18 Depth=1
	s_mov_b32 s25, 0
	s_mov_b32 s24, 0
                                        ; implicit-def: $sgpr69
                                        ; implicit-def: $sgpr70
                                        ; implicit-def: $sgpr23
                                        ; implicit-def: $vgpr7
                                        ; implicit-def: $vgpr2_vgpr3
                                        ; implicit-def: $vgpr8
                                        ; implicit-def: $vgpr9
                                        ; implicit-def: $vgpr6
	s_cbranch_execnz .LBB210_287
.LBB210_105:                            ;   in Loop: Header=BB210_18 Depth=1
	s_mov_b32 s18, s23
	s_mov_b32 s19, s23
	s_and_saveexec_b32 s7, s25
	s_cbranch_execnz .LBB210_483
	s_branch .LBB210_484
.LBB210_106:                            ;   in Loop: Header=BB210_18 Depth=1
	s_mov_b32 s23, -1
	s_mov_b32 s8, 0
                                        ; implicit-def: $sgpr69
                                        ; implicit-def: $vgpr6
	s_mov_b32 s70, s23
	s_cbranch_execnz .LBB210_109
	s_branch .LBB210_122
.LBB210_107:                            ;   in Loop: Header=BB210_18 Depth=1
	s_set_inst_prefetch_distance 0x2
	s_or_b32 exec_lo, exec_lo, s23
	v_lshrrev_b32_e32 v6, 16, v7
	s_and_b32 s8, s25, exec_lo
.LBB210_108:                            ;   in Loop: Header=BB210_18 Depth=1
	s_or_b32 exec_lo, exec_lo, s9
	s_mov_b32 s69, -1
	s_mov_b32 s23, 0
	s_delay_alu instid0(SALU_CYCLE_1)
	s_mov_b32 s70, s23
	s_branch .LBB210_122
.LBB210_109:                            ;   in Loop: Header=BB210_18 Depth=1
	s_mov_b32 s26, s71
	s_delay_alu instid0(SALU_CYCLE_1)
	s_cmp_lg_u64 s[26:27], 0
	s_cbranch_scc0 .LBB210_151
; %bb.110:                              ;   in Loop: Header=BB210_18 Depth=1
	v_cvt_f32_u32_e32 v2, s35
	s_sub_u32 s18, 0, s35
	s_subb_u32 s19, 0, 0
	s_delay_alu instid0(VALU_DEP_1) | instskip(NEXT) | instid1(VALU_DEP_1)
	v_fmac_f32_e64 v2, 0, 0x4f800000
	v_rcp_f32_e32 v2, v2
	s_waitcnt_depctr 0xfff
	v_mul_f32_e32 v2, 0x5f7ffffc, v2
	s_delay_alu instid0(VALU_DEP_1) | instskip(NEXT) | instid1(VALU_DEP_1)
	v_mul_f32_e32 v3, 0x2f800000, v2
	v_trunc_f32_e32 v3, v3
	s_delay_alu instid0(VALU_DEP_1) | instskip(SKIP_1) | instid1(VALU_DEP_2)
	v_fmac_f32_e32 v2, 0xcf800000, v3
	v_cvt_u32_f32_e32 v3, v3
	v_cvt_u32_f32_e32 v2, v2
	s_delay_alu instid0(VALU_DEP_2) | instskip(NEXT) | instid1(VALU_DEP_2)
	v_readfirstlane_b32 s8, v3
	v_readfirstlane_b32 s9, v2
	s_delay_alu instid0(VALU_DEP_2) | instskip(NEXT) | instid1(VALU_DEP_1)
	s_mul_i32 s23, s18, s8
	s_mul_hi_u32 s26, s18, s9
	s_mul_i32 s25, s19, s9
	s_add_i32 s23, s26, s23
	s_mul_i32 s48, s18, s9
	s_add_i32 s23, s23, s25
	s_mul_hi_u32 s26, s9, s48
	s_mul_hi_u32 s49, s8, s48
	s_mul_i32 s25, s8, s48
	s_mul_hi_u32 s48, s9, s23
	s_mul_i32 s9, s9, s23
	s_mul_hi_u32 s50, s8, s23
	s_add_u32 s9, s26, s9
	s_addc_u32 s26, 0, s48
	s_add_u32 s9, s9, s25
	s_mul_i32 s23, s8, s23
	s_addc_u32 s9, s26, s49
	s_addc_u32 s25, s50, 0
	s_add_u32 s9, s9, s23
	s_addc_u32 s23, 0, s25
	v_add_co_u32 v2, s9, v2, s9
	s_delay_alu instid0(VALU_DEP_1) | instskip(SKIP_1) | instid1(VALU_DEP_1)
	s_cmp_lg_u32 s9, 0
	s_addc_u32 s8, s8, s23
	v_readfirstlane_b32 s9, v2
	s_mul_i32 s23, s18, s8
	s_delay_alu instid0(VALU_DEP_1)
	s_mul_hi_u32 s25, s18, s9
	s_mul_i32 s19, s19, s9
	s_add_i32 s23, s25, s23
	s_mul_i32 s18, s18, s9
	s_add_i32 s23, s23, s19
	s_mul_hi_u32 s25, s8, s18
	s_mul_i32 s26, s8, s18
	s_mul_hi_u32 s18, s9, s18
	s_mul_hi_u32 s48, s9, s23
	s_mul_i32 s9, s9, s23
	s_mul_hi_u32 s19, s8, s23
	s_add_u32 s9, s18, s9
	s_addc_u32 s18, 0, s48
	s_add_u32 s9, s9, s26
	s_mul_i32 s23, s8, s23
	s_addc_u32 s9, s18, s25
	s_addc_u32 s18, s19, 0
	s_add_u32 s9, s9, s23
	s_addc_u32 s18, 0, s18
	v_add_co_u32 v2, s9, v2, s9
	s_delay_alu instid0(VALU_DEP_1) | instskip(SKIP_1) | instid1(VALU_DEP_1)
	s_cmp_lg_u32 s9, 0
	s_addc_u32 s8, s8, s18
	v_readfirstlane_b32 s9, v2
	s_mul_i32 s19, s88, s8
	s_mul_hi_u32 s18, s88, s8
	s_mul_hi_u32 s23, s27, s8
	s_mul_i32 s8, s27, s8
	s_mul_hi_u32 s25, s88, s9
	s_mul_hi_u32 s26, s27, s9
	s_mul_i32 s9, s27, s9
	s_add_u32 s19, s25, s19
	s_addc_u32 s18, 0, s18
	s_add_u32 s9, s19, s9
	s_addc_u32 s9, s18, s26
	s_addc_u32 s18, s23, 0
	s_add_u32 s8, s9, s8
	s_addc_u32 s9, 0, s18
	s_mul_hi_u32 s18, s35, s8
	s_mul_i32 s8, s35, s8
	s_mul_i32 s9, s35, s9
	v_sub_co_u32 v2, s8, s88, s8
	s_add_i32 s18, s18, s9
	s_cmp_lg_u32 s8, 0
	s_delay_alu instid0(VALU_DEP_1) | instskip(SKIP_2) | instid1(VALU_DEP_1)
	v_sub_co_u32 v3, s8, v2, s35
	s_subb_u32 s9, s27, s18
	s_cmp_lg_u32 s8, 0
	v_cmp_le_u32_e32 vcc_lo, s35, v3
	v_sub_co_u32 v4, s8, v3, s35
	s_subb_u32 s18, s9, 0
	s_cmp_lg_u32 s8, 0
	v_cndmask_b32_e64 v5, 0, -1, vcc_lo
	s_subb_u32 s8, s18, 0
	s_cmp_eq_u32 s18, 0
	v_mov_b32_e32 v7, s8
	s_cselect_b32 vcc_lo, -1, 0
	s_cmp_eq_u32 s9, 0
	v_cndmask_b32_e32 v5, -1, v5, vcc_lo
	v_cmp_le_u32_e32 vcc_lo, s35, v2
	s_cselect_b32 s8, -1, 0
	v_cndmask_b32_e64 v6, 0, -1, vcc_lo
	s_delay_alu instid0(VALU_DEP_3) | instskip(NEXT) | instid1(VALU_DEP_2)
	v_cmp_ne_u32_e32 vcc_lo, 0, v5
	v_cndmask_b32_e64 v5, -1, v6, s8
	v_cndmask_b32_e32 v6, s18, v7, vcc_lo
	v_cndmask_b32_e32 v4, v3, v4, vcc_lo
	s_delay_alu instid0(VALU_DEP_3) | instskip(NEXT) | instid1(VALU_DEP_3)
	v_cmp_ne_u32_e32 vcc_lo, 0, v5
	v_cndmask_b32_e32 v3, s9, v6, vcc_lo
	s_delay_alu instid0(VALU_DEP_3)
	v_cndmask_b32_e32 v2, v2, v4, vcc_lo
	s_cbranch_execnz .LBB210_112
.LBB210_111:                            ;   in Loop: Header=BB210_18 Depth=1
	v_cvt_f32_u32_e32 v2, s35
	s_sub_i32 s8, 0, s35
	s_delay_alu instid0(VALU_DEP_1) | instskip(SKIP_2) | instid1(VALU_DEP_1)
	v_rcp_iflag_f32_e32 v2, v2
	s_waitcnt_depctr 0xfff
	v_mul_f32_e32 v2, 0x4f7ffffe, v2
	v_cvt_u32_f32_e32 v2, v2
	s_delay_alu instid0(VALU_DEP_1) | instskip(NEXT) | instid1(VALU_DEP_1)
	v_mul_lo_u32 v3, s8, v2
	v_mul_hi_u32 v3, v2, v3
	s_delay_alu instid0(VALU_DEP_1) | instskip(NEXT) | instid1(VALU_DEP_1)
	v_add_nc_u32_e32 v2, v2, v3
	v_mul_hi_u32 v2, s88, v2
	s_delay_alu instid0(VALU_DEP_1) | instskip(NEXT) | instid1(VALU_DEP_1)
	v_mul_lo_u32 v2, v2, s35
	v_sub_nc_u32_e32 v2, s88, v2
	s_delay_alu instid0(VALU_DEP_1) | instskip(SKIP_1) | instid1(VALU_DEP_2)
	v_subrev_nc_u32_e32 v3, s35, v2
	v_cmp_le_u32_e32 vcc_lo, s35, v2
	v_cndmask_b32_e32 v2, v2, v3, vcc_lo
	s_delay_alu instid0(VALU_DEP_1) | instskip(SKIP_1) | instid1(VALU_DEP_2)
	v_subrev_nc_u32_e32 v3, s35, v2
	v_cmp_le_u32_e32 vcc_lo, s35, v2
	v_cndmask_b32_e32 v12, v2, v3, vcc_lo
	s_delay_alu instid0(VALU_DEP_1)
	v_dual_mov_b32 v2, v12 :: v_dual_mov_b32 v3, v13
.LBB210_112:                            ;   in Loop: Header=BB210_18 Depth=1
	s_delay_alu instid0(VALU_DEP_1) | instskip(NEXT) | instid1(VALU_DEP_2)
	v_sub_co_u32 v2, vcc_lo, s88, v2
	v_sub_co_ci_u32_e32 v3, vcc_lo, s27, v3, vcc_lo
	s_mov_b32 s8, 0
	s_mov_b32 s9, exec_lo
                                        ; implicit-def: $vgpr6
	s_delay_alu instid0(VALU_DEP_1)
	v_cmpx_gt_u64_e64 v[2:3], v[0:1]
	s_cbranch_execz .LBB210_121
; %bb.113:                              ;   in Loop: Header=BB210_18 Depth=1
	v_dual_mov_b32 v5, v1 :: v_dual_mov_b32 v4, v0
	s_mov_b32 s18, 0
                                        ; implicit-def: $sgpr19
	s_branch .LBB210_115
.LBB210_114:                            ;   in Loop: Header=BB210_115 Depth=2
	s_or_b32 exec_lo, exec_lo, s8
	s_waitcnt vmcnt(0) lgkmcnt(0)
	s_barrier
	buffer_gl0_inv
	ds_load_b32 v6, v13 offset:3072
	v_add_co_u32 v4, vcc_lo, v4, s35
	v_add_co_ci_u32_e32 v5, vcc_lo, 0, v5, vcc_lo
	s_waitcnt lgkmcnt(0)
	s_barrier
	buffer_gl0_inv
	v_cmp_ge_u64_e32 vcc_lo, v[4:5], v[2:3]
	v_cmp_neq_f16_e64 s8, 0, v6
	s_delay_alu instid0(VALU_DEP_1) | instskip(NEXT) | instid1(SALU_CYCLE_1)
	s_or_b32 s23, vcc_lo, s8
	s_and_b32 s23, exec_lo, s23
	s_delay_alu instid0(SALU_CYCLE_1) | instskip(SKIP_2) | instid1(SALU_CYCLE_1)
	s_or_b32 s18, s23, s18
	s_and_not1_b32 s19, s19, exec_lo
	s_and_b32 s8, s8, exec_lo
	s_or_b32 s19, s19, s8
	s_and_not1_b32 exec_lo, exec_lo, s18
	s_cbranch_execz .LBB210_120
.LBB210_115:                            ;   Parent Loop BB210_18 Depth=1
                                        ; =>  This Inner Loop Header: Depth=2
	s_delay_alu instid0(VALU_DEP_1)
	v_cmp_gt_u64_e32 vcc_lo, s[36:37], v[4:5]
	v_mov_b32_e32 v6, 0
	s_and_saveexec_b32 s23, vcc_lo
	s_cbranch_execz .LBB210_117
; %bb.116:                              ;   in Loop: Header=BB210_115 Depth=2
	v_mul_lo_u32 v12, v5, s30
	v_mul_lo_u32 v18, v4, s31
	v_mad_u64_u32 v[6:7], null, v4, s30, 0
	s_delay_alu instid0(VALU_DEP_1) | instskip(NEXT) | instid1(VALU_DEP_1)
	v_add3_u32 v7, v7, v18, v12
	v_lshlrev_b64 v[6:7], 1, v[6:7]
	s_delay_alu instid0(VALU_DEP_1) | instskip(NEXT) | instid1(VALU_DEP_1)
	v_add_co_u32 v6, s8, s29, v6
	v_add_co_ci_u32_e64 v7, s8, s33, v7, s8
	global_load_u16 v6, v[6:7], off
.LBB210_117:                            ;   in Loop: Header=BB210_115 Depth=2
	s_or_b32 exec_lo, exec_lo, s23
	s_and_saveexec_b32 s8, vcc_lo
	s_cbranch_execz .LBB210_114
; %bb.118:                              ;   in Loop: Header=BB210_115 Depth=2
	s_waitcnt vmcnt(0)
	v_cmp_lt_i16_e32 vcc_lo, -1, v6
	v_dual_cndmask_b32 v12, 0xffff, v29 :: v_dual_and_b32 v7, 0xffff, v6
	v_cmp_o_f16_e32 vcc_lo, v6, v6
	s_delay_alu instid0(VALU_DEP_2) | instskip(NEXT) | instid1(VALU_DEP_1)
	v_xor_b32_e32 v7, v12, v7
	v_cndmask_b32_e32 v7, 0xffff, v7, vcc_lo
	s_delay_alu instid0(VALU_DEP_1) | instskip(NEXT) | instid1(VALU_DEP_1)
	v_and_b32_e32 v7, v7, v9
	v_cmp_eq_u32_e32 vcc_lo, v7, v8
	s_and_b32 exec_lo, exec_lo, vcc_lo
	s_cbranch_execz .LBB210_114
; %bb.119:                              ;   in Loop: Header=BB210_115 Depth=2
	v_perm_b32 v6, v6, s97, 0x5040100
	ds_store_b32 v13, v6 offset:3072
	s_branch .LBB210_114
.LBB210_120:                            ;   in Loop: Header=BB210_18 Depth=1
	s_or_b32 exec_lo, exec_lo, s18
	v_lshrrev_b32_e32 v6, 16, v6
	s_and_b32 s8, s19, exec_lo
.LBB210_121:                            ;   in Loop: Header=BB210_18 Depth=1
	s_or_b32 exec_lo, exec_lo, s9
	s_mov_b32 s70, -1
	s_mov_b32 s23, 0
	s_mov_b32 s69, 0
.LBB210_122:                            ;   in Loop: Header=BB210_18 Depth=1
	s_or_not1_b32 s8, s8, exec_lo
.LBB210_123:                            ;   in Loop: Header=BB210_18 Depth=1
	s_or_b32 exec_lo, exec_lo, s24
	s_mov_b32 s74, 0
	s_mov_b32 s25, 0
	;; [unrolled: 1-line block ×3, first 2 shown]
                                        ; implicit-def: $vgpr7
                                        ; implicit-def: $vgpr2_vgpr3
	s_and_saveexec_b32 s75, s8
	s_cbranch_execz .LBB210_286
; %bb.124:                              ;   in Loop: Header=BB210_18 Depth=1
	v_dual_mov_b32 v2, 1 :: v_dual_mov_b32 v7, 1
	v_mov_b32_e32 v3, 0
	s_xor_b32 s9, s60, -1
	s_delay_alu instid0(SALU_CYCLE_1)
	s_and_saveexec_b32 s8, s9
	s_cbranch_execz .LBB210_134
; %bb.125:                              ;   in Loop: Header=BB210_18 Depth=1
	s_mov_b32 s18, exec_lo
                                        ; implicit-def: $sgpr19
                                        ; implicit-def: $sgpr9
	v_cmpx_ge_u64_e64 s[10:11], v[16:17]
	s_xor_b32 s18, exec_lo, s18
	s_cbranch_execz .LBB210_131
; %bb.126:                              ;   in Loop: Header=BB210_18 Depth=1
	ds_load_b64 v[2:3], v13 offset:5120
	s_waitcnt lgkmcnt(0)
	v_cmp_ne_u64_e32 vcc_lo, 0, v[2:3]
	s_cbranch_vccnz .LBB210_130
; %bb.127:                              ;   in Loop: Header=BB210_18 Depth=1
	s_and_saveexec_b32 s9, s5
	s_cbranch_execz .LBB210_129
; %bb.128:                              ;   in Loop: Header=BB210_18 Depth=1
	v_dual_mov_b32 v2, s10 :: v_dual_mov_b32 v3, s11
	ds_store_b64 v13, v[2:3] offset:5128
.LBB210_129:                            ;   in Loop: Header=BB210_18 Depth=1
	s_or_b32 exec_lo, exec_lo, s9
	s_waitcnt lgkmcnt(0)
	s_barrier
	buffer_gl0_inv
.LBB210_130:                            ;   in Loop: Header=BB210_18 Depth=1
	v_and_b32_e32 v8, s21, v8
	v_or_b32_e32 v9, s20, v9
	s_mov_b32 s9, 0
	s_mov_b32 s19, 8
.LBB210_131:                            ;   in Loop: Header=BB210_18 Depth=1
	s_or_saveexec_b32 s18, s18
	v_dual_mov_b32 v7, s19 :: v_dual_mov_b32 v2, v16
	v_mov_b32_e32 v3, v17
	s_xor_b32 exec_lo, exec_lo, s18
; %bb.132:                              ;   in Loop: Header=BB210_18 Depth=1
	v_sub_co_u32 v2, vcc_lo, v16, s10
	v_subrev_co_ci_u32_e32 v3, vcc_lo, s11, v17, vcc_lo
	v_mov_b32_e32 v7, 0
	s_or_b32 s9, s9, exec_lo
; %bb.133:                              ;   in Loop: Header=BB210_18 Depth=1
	s_or_b32 exec_lo, exec_lo, s18
	s_delay_alu instid0(SALU_CYCLE_1)
	s_and_b32 s24, s9, exec_lo
.LBB210_134:                            ;   in Loop: Header=BB210_18 Depth=1
	s_or_b32 exec_lo, exec_lo, s8
	s_mov_b32 s25, -1
                                        ; implicit-def: $sgpr9
                                        ; implicit-def: $sgpr18
                                        ; implicit-def: $sgpr19
	s_and_saveexec_b32 s8, s24
	s_delay_alu instid0(SALU_CYCLE_1)
	s_xor_b32 s24, exec_lo, s8
	s_cbranch_execz .LBB210_283
; %bb.135:                              ;   in Loop: Header=BB210_18 Depth=1
	v_cmp_eq_u64_e32 vcc_lo, 1, v[2:3]
	s_cmp_eq_u64 s[12:13], 1
                                        ; implicit-def: $sgpr25
                                        ; implicit-def: $sgpr77
                                        ; implicit-def: $sgpr76
	s_cselect_b32 s8, -1, 0
	s_delay_alu instid0(SALU_CYCLE_1)
	s_and_b32 s60, s8, vcc_lo
	s_mov_b32 s8, -1
	s_and_saveexec_b32 s61, s60
	s_cbranch_execz .LBB210_169
; %bb.136:                              ;   in Loop: Header=BB210_18 Depth=1
	ds_load_b64 v[4:5], v13 offset:5120
	s_waitcnt lgkmcnt(0)
	s_barrier
	buffer_gl0_inv
	v_readfirstlane_b32 s18, v4
	v_readfirstlane_b32 s19, v5
	s_and_saveexec_b32 s8, s6
	s_cbranch_execz .LBB210_138
; %bb.137:                              ;   in Loop: Header=BB210_18 Depth=1
	ds_store_b16 v26, v13
.LBB210_138:                            ;   in Loop: Header=BB210_18 Depth=1
	s_or_b32 exec_lo, exec_lo, s8
	s_lshl_b32 s8, 1, s22
	v_or_b32_e32 v9, s20, v9
	v_and_or_b32 v8, v8, s21, s8
	s_cmp_eq_u64 s[18:19], 0
	s_waitcnt lgkmcnt(0)
	s_barrier
	buffer_gl0_inv
	s_cbranch_scc1 .LBB210_152
; %bb.139:                              ;   in Loop: Header=BB210_18 Depth=1
	s_add_u32 s25, s86, s18
	s_addc_u32 s9, s87, s19
	s_mov_b32 s8, s71
	s_delay_alu instid0(SALU_CYCLE_1)
	s_cmp_lg_u64 s[8:9], 0
	s_cbranch_scc0 .LBB210_196
; %bb.140:                              ;   in Loop: Header=BB210_18 Depth=1
	v_cvt_f32_u32_e32 v4, s35
	s_sub_u32 s62, 0, s35
	s_subb_u32 s63, 0, 0
	s_delay_alu instid0(VALU_DEP_1) | instskip(NEXT) | instid1(VALU_DEP_1)
	v_fmac_f32_e64 v4, 0, 0x4f800000
	v_rcp_f32_e32 v4, v4
	s_waitcnt_depctr 0xfff
	v_mul_f32_e32 v4, 0x5f7ffffc, v4
	s_delay_alu instid0(VALU_DEP_1) | instskip(NEXT) | instid1(VALU_DEP_1)
	v_mul_f32_e32 v5, 0x2f800000, v4
	v_trunc_f32_e32 v5, v5
	s_delay_alu instid0(VALU_DEP_1) | instskip(SKIP_1) | instid1(VALU_DEP_2)
	v_fmac_f32_e32 v4, 0xcf800000, v5
	v_cvt_u32_f32_e32 v5, v5
	v_cvt_u32_f32_e32 v4, v4
	s_delay_alu instid0(VALU_DEP_2) | instskip(NEXT) | instid1(VALU_DEP_2)
	v_readfirstlane_b32 s8, v5
	v_readfirstlane_b32 s26, v4
	s_delay_alu instid0(VALU_DEP_2) | instskip(NEXT) | instid1(VALU_DEP_1)
	s_mul_i32 s76, s62, s8
	s_mul_hi_u32 s78, s62, s26
	s_mul_i32 s77, s63, s26
	s_add_i32 s76, s78, s76
	s_mul_i32 s79, s62, s26
	s_add_i32 s76, s76, s77
	s_mul_hi_u32 s78, s26, s79
	s_mul_hi_u32 s80, s8, s79
	s_mul_i32 s77, s8, s79
	s_mul_hi_u32 s79, s26, s76
	s_mul_i32 s26, s26, s76
	s_mul_hi_u32 s81, s8, s76
	s_add_u32 s26, s78, s26
	s_addc_u32 s78, 0, s79
	s_add_u32 s26, s26, s77
	s_mul_i32 s76, s8, s76
	s_addc_u32 s26, s78, s80
	s_addc_u32 s77, s81, 0
	s_add_u32 s26, s26, s76
	s_addc_u32 s76, 0, s77
	v_add_co_u32 v4, s26, v4, s26
	s_delay_alu instid0(VALU_DEP_1) | instskip(SKIP_1) | instid1(VALU_DEP_1)
	s_cmp_lg_u32 s26, 0
	s_addc_u32 s8, s8, s76
	v_readfirstlane_b32 s26, v4
	s_mul_i32 s76, s62, s8
	s_delay_alu instid0(VALU_DEP_1)
	s_mul_hi_u32 s77, s62, s26
	s_mul_i32 s63, s63, s26
	s_add_i32 s76, s77, s76
	s_mul_i32 s62, s62, s26
	s_add_i32 s76, s76, s63
	s_mul_hi_u32 s77, s8, s62
	s_mul_i32 s78, s8, s62
	s_mul_hi_u32 s62, s26, s62
	s_mul_hi_u32 s79, s26, s76
	s_mul_i32 s26, s26, s76
	s_mul_hi_u32 s63, s8, s76
	s_add_u32 s26, s62, s26
	s_addc_u32 s62, 0, s79
	s_add_u32 s26, s26, s78
	s_mul_i32 s76, s8, s76
	s_addc_u32 s26, s62, s77
	s_addc_u32 s62, s63, 0
	s_add_u32 s26, s26, s76
	s_addc_u32 s62, 0, s62
	v_add_co_u32 v4, s26, v4, s26
	s_delay_alu instid0(VALU_DEP_1) | instskip(SKIP_1) | instid1(VALU_DEP_1)
	s_cmp_lg_u32 s26, 0
	s_addc_u32 s8, s8, s62
	v_readfirstlane_b32 s26, v4
	s_mul_i32 s63, s25, s8
	s_mul_hi_u32 s62, s25, s8
	s_mul_hi_u32 s76, s9, s8
	s_mul_i32 s8, s9, s8
	s_mul_hi_u32 s77, s25, s26
	s_mul_hi_u32 s78, s9, s26
	s_mul_i32 s26, s9, s26
	s_add_u32 s63, s77, s63
	s_addc_u32 s62, 0, s62
	s_add_u32 s26, s63, s26
	s_addc_u32 s26, s62, s78
	s_addc_u32 s62, s76, 0
	s_add_u32 s8, s26, s8
	s_addc_u32 s26, 0, s62
	s_mul_hi_u32 s62, s35, s8
	s_mul_i32 s8, s35, s8
	s_mul_i32 s26, s35, s26
	v_sub_co_u32 v4, s8, s25, s8
	s_add_i32 s62, s62, s26
	s_cmp_lg_u32 s8, 0
	s_delay_alu instid0(VALU_DEP_1) | instskip(SKIP_3) | instid1(VALU_DEP_2)
	v_sub_co_u32 v5, s8, v4, s35
	s_subb_u32 s26, s9, s62
	s_cmp_lg_u32 s8, 0
	v_cmp_le_u32_e32 vcc_lo, s35, v4
	v_cmp_le_u32_e64 s8, s35, v5
	v_sub_co_u32 v6, s62, v5, s35
	s_subb_u32 s63, s26, 0
	s_cmp_lg_u32 s62, 0
	s_delay_alu instid0(VALU_DEP_2)
	v_cndmask_b32_e64 v7, 0, -1, s8
	s_subb_u32 s62, s63, 0
	s_cmp_eq_u32 s63, 0
	v_mov_b32_e32 v18, s62
	v_cndmask_b32_e64 v12, 0, -1, vcc_lo
	s_cselect_b32 vcc_lo, -1, 0
	s_cmp_eq_u32 s26, 0
	v_cndmask_b32_e32 v7, -1, v7, vcc_lo
	s_cselect_b32 vcc_lo, -1, 0
	v_cndmask_b32_e32 v12, -1, v12, vcc_lo
	s_delay_alu instid0(VALU_DEP_2) | instskip(NEXT) | instid1(VALU_DEP_2)
	v_cmp_ne_u32_e32 vcc_lo, 0, v7
	v_cmp_ne_u32_e64 s8, 0, v12
	v_cndmask_b32_e32 v7, s63, v18, vcc_lo
	v_cndmask_b32_e32 v6, v5, v6, vcc_lo
	s_delay_alu instid0(VALU_DEP_2) | instskip(NEXT) | instid1(VALU_DEP_2)
	v_cndmask_b32_e64 v5, s26, v7, s8
	v_cndmask_b32_e64 v4, v4, v6, s8
	s_cbranch_execnz .LBB210_142
.LBB210_141:                            ;   in Loop: Header=BB210_18 Depth=1
	v_cvt_f32_u32_e32 v4, s35
	s_sub_i32 s8, 0, s35
	s_delay_alu instid0(VALU_DEP_1) | instskip(SKIP_2) | instid1(VALU_DEP_1)
	v_rcp_iflag_f32_e32 v4, v4
	s_waitcnt_depctr 0xfff
	v_mul_f32_e32 v4, 0x4f7ffffe, v4
	v_cvt_u32_f32_e32 v4, v4
	s_delay_alu instid0(VALU_DEP_1) | instskip(NEXT) | instid1(VALU_DEP_1)
	v_mul_lo_u32 v5, s8, v4
	v_mul_hi_u32 v5, v4, v5
	s_delay_alu instid0(VALU_DEP_1) | instskip(NEXT) | instid1(VALU_DEP_1)
	v_add_nc_u32_e32 v4, v4, v5
	v_mul_hi_u32 v4, s25, v4
	s_delay_alu instid0(VALU_DEP_1) | instskip(NEXT) | instid1(VALU_DEP_1)
	v_mul_lo_u32 v4, v4, s35
	v_sub_nc_u32_e32 v4, s25, v4
	s_delay_alu instid0(VALU_DEP_1) | instskip(SKIP_1) | instid1(VALU_DEP_2)
	v_subrev_nc_u32_e32 v5, s35, v4
	v_cmp_le_u32_e32 vcc_lo, s35, v4
	v_cndmask_b32_e32 v4, v4, v5, vcc_lo
	s_delay_alu instid0(VALU_DEP_1) | instskip(SKIP_1) | instid1(VALU_DEP_2)
	v_subrev_nc_u32_e32 v5, s35, v4
	v_cmp_le_u32_e32 vcc_lo, s35, v4
	v_cndmask_b32_e32 v12, v4, v5, vcc_lo
	s_delay_alu instid0(VALU_DEP_1)
	v_dual_mov_b32 v4, v12 :: v_dual_mov_b32 v5, v13
.LBB210_142:                            ;   in Loop: Header=BB210_18 Depth=1
	s_delay_alu instid0(VALU_DEP_1) | instskip(NEXT) | instid1(VALU_DEP_2)
	v_sub_co_u32 v4, vcc_lo, s25, v4
	v_sub_co_ci_u32_e32 v5, vcc_lo, s9, v5, vcc_lo
	s_mov_b32 s8, 0
	s_mov_b32 s9, exec_lo
                                        ; implicit-def: $vgpr6
	s_delay_alu instid0(VALU_DEP_1)
	v_cmpx_gt_u64_e64 v[4:5], v[0:1]
	s_cbranch_execz .LBB210_154
; %bb.143:                              ;   in Loop: Header=BB210_18 Depth=1
	v_mov_b32_e32 v12, v25
	v_dual_mov_b32 v7, v1 :: v_dual_mov_b32 v6, v0
	s_mov_b32 s25, 0
                                        ; implicit-def: $sgpr26
	s_set_inst_prefetch_distance 0x1
	s_branch .LBB210_145
	.p2align	6
.LBB210_144:                            ;   in Loop: Header=BB210_145 Depth=2
	s_or_b32 exec_lo, exec_lo, s8
	s_waitcnt lgkmcnt(0)
	s_barrier
	buffer_gl0_inv
	ds_load_b32 v18, v13 offset:3072
	v_add_co_u32 v6, vcc_lo, v6, s35
	v_add_co_ci_u32_e32 v7, vcc_lo, 0, v7, vcc_lo
	v_add_nc_u32_e32 v12, s94, v12
	s_waitcnt lgkmcnt(0)
	s_barrier
	s_delay_alu instid0(VALU_DEP_2) | instskip(SKIP_2) | instid1(VALU_DEP_1)
	v_cmp_ge_u64_e32 vcc_lo, v[6:7], v[4:5]
	buffer_gl0_inv
	v_cmp_neq_f16_e64 s8, 0, v18
	s_or_b32 s62, vcc_lo, s8
	s_delay_alu instid0(SALU_CYCLE_1) | instskip(NEXT) | instid1(SALU_CYCLE_1)
	s_and_b32 s62, exec_lo, s62
	s_or_b32 s25, s62, s25
	s_and_not1_b32 s26, s26, exec_lo
	s_and_b32 s8, s8, exec_lo
	s_delay_alu instid0(SALU_CYCLE_1)
	s_or_b32 s26, s26, s8
	s_and_not1_b32 exec_lo, exec_lo, s25
	s_cbranch_execz .LBB210_153
.LBB210_145:                            ;   Parent Loop BB210_18 Depth=1
                                        ; =>  This Inner Loop Header: Depth=2
	s_delay_alu instid0(VALU_DEP_1)
	v_cmp_gt_u64_e32 vcc_lo, s[18:19], v[6:7]
	v_mov_b32_e32 v18, 0
	s_and_saveexec_b32 s8, vcc_lo
	s_cbranch_execz .LBB210_147
; %bb.146:                              ;   in Loop: Header=BB210_145 Depth=2
	ds_load_u16 v18, v12
.LBB210_147:                            ;   in Loop: Header=BB210_145 Depth=2
	s_or_b32 exec_lo, exec_lo, s8
	s_and_saveexec_b32 s8, vcc_lo
	s_cbranch_execz .LBB210_144
; %bb.148:                              ;   in Loop: Header=BB210_145 Depth=2
	s_waitcnt lgkmcnt(0)
	v_cmp_lt_i16_e32 vcc_lo, -1, v18
	v_dual_cndmask_b32 v20, 0xffff, v29 :: v_dual_and_b32 v19, 0xffff, v18
	v_cmp_o_f16_e32 vcc_lo, v18, v18
	s_delay_alu instid0(VALU_DEP_2) | instskip(NEXT) | instid1(VALU_DEP_1)
	v_xor_b32_e32 v19, v20, v19
	v_cndmask_b32_e32 v19, 0xffff, v19, vcc_lo
	s_delay_alu instid0(VALU_DEP_1) | instskip(NEXT) | instid1(VALU_DEP_1)
	v_and_b32_e32 v19, v19, v9
	v_cmp_eq_u32_e32 vcc_lo, v19, v8
	s_and_b32 exec_lo, exec_lo, vcc_lo
	s_cbranch_execz .LBB210_144
; %bb.149:                              ;   in Loop: Header=BB210_145 Depth=2
	v_perm_b32 v18, v18, s97, 0x5040100
	ds_store_b32 v13, v18 offset:3072
	s_branch .LBB210_144
.LBB210_150:                            ;   in Loop: Header=BB210_18 Depth=1
                                        ; implicit-def: $vgpr2_vgpr3
	s_branch .LBB210_95
.LBB210_151:                            ;   in Loop: Header=BB210_18 Depth=1
                                        ; implicit-def: $vgpr2_vgpr3
	s_branch .LBB210_111
.LBB210_152:                            ;   in Loop: Header=BB210_18 Depth=1
	s_mov_b32 s25, -1
	s_mov_b32 s8, 0
                                        ; implicit-def: $sgpr76
                                        ; implicit-def: $vgpr6
	s_mov_b32 s77, s25
	s_cbranch_execnz .LBB210_155
	s_branch .LBB210_168
.LBB210_153:                            ;   in Loop: Header=BB210_18 Depth=1
	s_set_inst_prefetch_distance 0x2
	s_or_b32 exec_lo, exec_lo, s25
	v_lshrrev_b32_e32 v6, 16, v18
	s_and_b32 s8, s26, exec_lo
.LBB210_154:                            ;   in Loop: Header=BB210_18 Depth=1
	s_or_b32 exec_lo, exec_lo, s9
	s_mov_b32 s76, -1
	s_mov_b32 s25, 0
	s_delay_alu instid0(SALU_CYCLE_1)
	s_mov_b32 s77, s25
	s_branch .LBB210_168
.LBB210_155:                            ;   in Loop: Header=BB210_18 Depth=1
	s_mov_b32 s26, s71
	s_delay_alu instid0(SALU_CYCLE_1)
	s_cmp_lg_u64 s[26:27], 0
	s_cbranch_scc0 .LBB210_197
; %bb.156:                              ;   in Loop: Header=BB210_18 Depth=1
	v_cvt_f32_u32_e32 v4, s35
	s_sub_u32 s18, 0, s35
	s_subb_u32 s19, 0, 0
	s_delay_alu instid0(VALU_DEP_1) | instskip(NEXT) | instid1(VALU_DEP_1)
	v_fmac_f32_e64 v4, 0, 0x4f800000
	v_rcp_f32_e32 v4, v4
	s_waitcnt_depctr 0xfff
	v_mul_f32_e32 v4, 0x5f7ffffc, v4
	s_delay_alu instid0(VALU_DEP_1) | instskip(NEXT) | instid1(VALU_DEP_1)
	v_mul_f32_e32 v5, 0x2f800000, v4
	v_trunc_f32_e32 v5, v5
	s_delay_alu instid0(VALU_DEP_1) | instskip(SKIP_1) | instid1(VALU_DEP_2)
	v_fmac_f32_e32 v4, 0xcf800000, v5
	v_cvt_u32_f32_e32 v5, v5
	v_cvt_u32_f32_e32 v4, v4
	s_delay_alu instid0(VALU_DEP_2) | instskip(NEXT) | instid1(VALU_DEP_2)
	v_readfirstlane_b32 s8, v5
	v_readfirstlane_b32 s9, v4
	s_delay_alu instid0(VALU_DEP_2) | instskip(NEXT) | instid1(VALU_DEP_1)
	s_mul_i32 s25, s18, s8
	s_mul_hi_u32 s62, s18, s9
	s_mul_i32 s26, s19, s9
	s_add_i32 s25, s62, s25
	s_mul_i32 s63, s18, s9
	s_add_i32 s25, s25, s26
	s_mul_hi_u32 s62, s9, s63
	s_mul_hi_u32 s76, s8, s63
	s_mul_i32 s26, s8, s63
	s_mul_hi_u32 s63, s9, s25
	s_mul_i32 s9, s9, s25
	s_mul_hi_u32 s77, s8, s25
	s_add_u32 s9, s62, s9
	s_addc_u32 s62, 0, s63
	s_add_u32 s9, s9, s26
	s_mul_i32 s25, s8, s25
	s_addc_u32 s9, s62, s76
	s_addc_u32 s26, s77, 0
	s_add_u32 s9, s9, s25
	s_addc_u32 s25, 0, s26
	v_add_co_u32 v4, s9, v4, s9
	s_delay_alu instid0(VALU_DEP_1) | instskip(SKIP_1) | instid1(VALU_DEP_1)
	s_cmp_lg_u32 s9, 0
	s_addc_u32 s8, s8, s25
	v_readfirstlane_b32 s9, v4
	s_mul_i32 s25, s18, s8
	s_delay_alu instid0(VALU_DEP_1)
	s_mul_hi_u32 s26, s18, s9
	s_mul_i32 s19, s19, s9
	s_add_i32 s25, s26, s25
	s_mul_i32 s18, s18, s9
	s_add_i32 s25, s25, s19
	s_mul_hi_u32 s26, s8, s18
	s_mul_i32 s62, s8, s18
	s_mul_hi_u32 s18, s9, s18
	s_mul_hi_u32 s63, s9, s25
	s_mul_i32 s9, s9, s25
	s_mul_hi_u32 s19, s8, s25
	s_add_u32 s9, s18, s9
	s_addc_u32 s18, 0, s63
	s_add_u32 s9, s9, s62
	s_mul_i32 s25, s8, s25
	s_addc_u32 s9, s18, s26
	s_addc_u32 s18, s19, 0
	s_add_u32 s9, s9, s25
	s_addc_u32 s18, 0, s18
	v_add_co_u32 v4, s9, v4, s9
	s_delay_alu instid0(VALU_DEP_1) | instskip(SKIP_1) | instid1(VALU_DEP_1)
	s_cmp_lg_u32 s9, 0
	s_addc_u32 s8, s8, s18
	v_readfirstlane_b32 s9, v4
	s_mul_i32 s19, s88, s8
	s_mul_hi_u32 s18, s88, s8
	s_mul_hi_u32 s25, s27, s8
	s_mul_i32 s8, s27, s8
	s_mul_hi_u32 s26, s88, s9
	s_mul_hi_u32 s62, s27, s9
	s_mul_i32 s9, s27, s9
	s_add_u32 s19, s26, s19
	s_addc_u32 s18, 0, s18
	s_add_u32 s9, s19, s9
	s_addc_u32 s9, s18, s62
	s_addc_u32 s18, s25, 0
	s_add_u32 s8, s9, s8
	s_addc_u32 s9, 0, s18
	s_mul_hi_u32 s18, s35, s8
	s_mul_i32 s8, s35, s8
	s_mul_i32 s9, s35, s9
	v_sub_co_u32 v4, s8, s88, s8
	s_add_i32 s18, s18, s9
	s_cmp_lg_u32 s8, 0
	s_delay_alu instid0(VALU_DEP_1) | instskip(SKIP_3) | instid1(VALU_DEP_2)
	v_sub_co_u32 v5, s8, v4, s35
	s_subb_u32 s9, s27, s18
	s_cmp_lg_u32 s8, 0
	v_cmp_le_u32_e32 vcc_lo, s35, v4
	v_cmp_le_u32_e64 s8, s35, v5
	v_sub_co_u32 v6, s18, v5, s35
	s_subb_u32 s19, s9, 0
	s_cmp_lg_u32 s18, 0
	s_delay_alu instid0(VALU_DEP_2)
	v_cndmask_b32_e64 v7, 0, -1, s8
	s_subb_u32 s18, s19, 0
	s_cmp_eq_u32 s19, 0
	v_mov_b32_e32 v18, s18
	v_cndmask_b32_e64 v12, 0, -1, vcc_lo
	s_cselect_b32 vcc_lo, -1, 0
	s_cmp_eq_u32 s9, 0
	v_cndmask_b32_e32 v7, -1, v7, vcc_lo
	s_cselect_b32 vcc_lo, -1, 0
	v_cndmask_b32_e32 v12, -1, v12, vcc_lo
	s_delay_alu instid0(VALU_DEP_2) | instskip(NEXT) | instid1(VALU_DEP_2)
	v_cmp_ne_u32_e32 vcc_lo, 0, v7
	v_cmp_ne_u32_e64 s8, 0, v12
	v_cndmask_b32_e32 v7, s19, v18, vcc_lo
	v_cndmask_b32_e32 v6, v5, v6, vcc_lo
	s_delay_alu instid0(VALU_DEP_2) | instskip(NEXT) | instid1(VALU_DEP_2)
	v_cndmask_b32_e64 v5, s9, v7, s8
	v_cndmask_b32_e64 v4, v4, v6, s8
	s_cbranch_execnz .LBB210_158
.LBB210_157:                            ;   in Loop: Header=BB210_18 Depth=1
	v_cvt_f32_u32_e32 v4, s35
	s_sub_i32 s8, 0, s35
	s_delay_alu instid0(VALU_DEP_1) | instskip(SKIP_2) | instid1(VALU_DEP_1)
	v_rcp_iflag_f32_e32 v4, v4
	s_waitcnt_depctr 0xfff
	v_mul_f32_e32 v4, 0x4f7ffffe, v4
	v_cvt_u32_f32_e32 v4, v4
	s_delay_alu instid0(VALU_DEP_1) | instskip(NEXT) | instid1(VALU_DEP_1)
	v_mul_lo_u32 v5, s8, v4
	v_mul_hi_u32 v5, v4, v5
	s_delay_alu instid0(VALU_DEP_1) | instskip(NEXT) | instid1(VALU_DEP_1)
	v_add_nc_u32_e32 v4, v4, v5
	v_mul_hi_u32 v4, s88, v4
	s_delay_alu instid0(VALU_DEP_1) | instskip(NEXT) | instid1(VALU_DEP_1)
	v_mul_lo_u32 v4, v4, s35
	v_sub_nc_u32_e32 v4, s88, v4
	s_delay_alu instid0(VALU_DEP_1) | instskip(SKIP_1) | instid1(VALU_DEP_2)
	v_subrev_nc_u32_e32 v5, s35, v4
	v_cmp_le_u32_e32 vcc_lo, s35, v4
	v_cndmask_b32_e32 v4, v4, v5, vcc_lo
	s_delay_alu instid0(VALU_DEP_1) | instskip(SKIP_1) | instid1(VALU_DEP_2)
	v_subrev_nc_u32_e32 v5, s35, v4
	v_cmp_le_u32_e32 vcc_lo, s35, v4
	v_cndmask_b32_e32 v12, v4, v5, vcc_lo
	s_delay_alu instid0(VALU_DEP_1)
	v_dual_mov_b32 v4, v12 :: v_dual_mov_b32 v5, v13
.LBB210_158:                            ;   in Loop: Header=BB210_18 Depth=1
	s_delay_alu instid0(VALU_DEP_1) | instskip(NEXT) | instid1(VALU_DEP_2)
	v_sub_co_u32 v4, vcc_lo, s88, v4
	v_sub_co_ci_u32_e32 v5, vcc_lo, s27, v5, vcc_lo
	s_mov_b32 s8, 0
	s_mov_b32 s9, exec_lo
                                        ; implicit-def: $vgpr6
	s_delay_alu instid0(VALU_DEP_1)
	v_cmpx_gt_u64_e64 v[4:5], v[0:1]
	s_cbranch_execz .LBB210_167
; %bb.159:                              ;   in Loop: Header=BB210_18 Depth=1
	v_dual_mov_b32 v7, v1 :: v_dual_mov_b32 v6, v0
	s_mov_b32 s18, 0
                                        ; implicit-def: $sgpr19
	s_branch .LBB210_161
.LBB210_160:                            ;   in Loop: Header=BB210_161 Depth=2
	s_or_b32 exec_lo, exec_lo, s8
	s_waitcnt vmcnt(0) lgkmcnt(0)
	s_barrier
	buffer_gl0_inv
	ds_load_b32 v12, v13 offset:3072
	v_add_co_u32 v6, vcc_lo, v6, s35
	v_add_co_ci_u32_e32 v7, vcc_lo, 0, v7, vcc_lo
	s_waitcnt lgkmcnt(0)
	s_barrier
	buffer_gl0_inv
	v_cmp_ge_u64_e32 vcc_lo, v[6:7], v[4:5]
	v_cmp_neq_f16_e64 s8, 0, v12
	s_delay_alu instid0(VALU_DEP_1) | instskip(NEXT) | instid1(SALU_CYCLE_1)
	s_or_b32 s25, vcc_lo, s8
	s_and_b32 s25, exec_lo, s25
	s_delay_alu instid0(SALU_CYCLE_1) | instskip(SKIP_2) | instid1(SALU_CYCLE_1)
	s_or_b32 s18, s25, s18
	s_and_not1_b32 s19, s19, exec_lo
	s_and_b32 s8, s8, exec_lo
	s_or_b32 s19, s19, s8
	s_and_not1_b32 exec_lo, exec_lo, s18
	s_cbranch_execz .LBB210_166
.LBB210_161:                            ;   Parent Loop BB210_18 Depth=1
                                        ; =>  This Inner Loop Header: Depth=2
	s_delay_alu instid0(VALU_DEP_1)
	v_cmp_gt_u64_e32 vcc_lo, s[36:37], v[6:7]
	v_mov_b32_e32 v12, 0
	s_and_saveexec_b32 s25, vcc_lo
	s_cbranch_execz .LBB210_163
; %bb.162:                              ;   in Loop: Header=BB210_161 Depth=2
	v_mul_lo_u32 v12, v7, s30
	v_mul_lo_u32 v20, v6, s31
	v_mad_u64_u32 v[18:19], null, v6, s30, 0
	s_delay_alu instid0(VALU_DEP_1) | instskip(NEXT) | instid1(VALU_DEP_1)
	v_add3_u32 v19, v19, v20, v12
	v_lshlrev_b64 v[18:19], 1, v[18:19]
	s_delay_alu instid0(VALU_DEP_1) | instskip(NEXT) | instid1(VALU_DEP_1)
	v_add_co_u32 v18, s8, s29, v18
	v_add_co_ci_u32_e64 v19, s8, s33, v19, s8
	global_load_u16 v12, v[18:19], off
.LBB210_163:                            ;   in Loop: Header=BB210_161 Depth=2
	s_or_b32 exec_lo, exec_lo, s25
	s_and_saveexec_b32 s8, vcc_lo
	s_cbranch_execz .LBB210_160
; %bb.164:                              ;   in Loop: Header=BB210_161 Depth=2
	s_waitcnt vmcnt(0)
	v_cmp_lt_i16_e32 vcc_lo, -1, v12
	v_dual_cndmask_b32 v19, 0xffff, v29 :: v_dual_and_b32 v18, 0xffff, v12
	v_cmp_o_f16_e32 vcc_lo, v12, v12
	s_delay_alu instid0(VALU_DEP_2) | instskip(NEXT) | instid1(VALU_DEP_1)
	v_xor_b32_e32 v18, v19, v18
	v_cndmask_b32_e32 v18, 0xffff, v18, vcc_lo
	s_delay_alu instid0(VALU_DEP_1) | instskip(NEXT) | instid1(VALU_DEP_1)
	v_and_b32_e32 v18, v18, v9
	v_cmp_eq_u32_e32 vcc_lo, v18, v8
	s_and_b32 exec_lo, exec_lo, vcc_lo
	s_cbranch_execz .LBB210_160
; %bb.165:                              ;   in Loop: Header=BB210_161 Depth=2
	v_perm_b32 v12, v12, s97, 0x5040100
	ds_store_b32 v13, v12 offset:3072
	s_branch .LBB210_160
.LBB210_166:                            ;   in Loop: Header=BB210_18 Depth=1
	s_or_b32 exec_lo, exec_lo, s18
	v_lshrrev_b32_e32 v6, 16, v12
	s_and_b32 s8, s19, exec_lo
.LBB210_167:                            ;   in Loop: Header=BB210_18 Depth=1
	s_or_b32 exec_lo, exec_lo, s9
	s_mov_b32 s77, -1
	s_mov_b32 s25, 0
	s_mov_b32 s76, 0
.LBB210_168:                            ;   in Loop: Header=BB210_18 Depth=1
	s_or_not1_b32 s8, s8, exec_lo
.LBB210_169:                            ;   in Loop: Header=BB210_18 Depth=1
	s_or_b32 exec_lo, exec_lo, s61
	s_mov_b32 s26, 0
                                        ; implicit-def: $vgpr7
	s_and_saveexec_b32 s78, s8
	s_cbranch_execz .LBB210_282
; %bb.170:                              ;   in Loop: Header=BB210_18 Depth=1
	v_dual_mov_b32 v4, 1 :: v_dual_mov_b32 v7, 1
	v_mov_b32_e32 v5, 0
	s_xor_b32 s9, s60, -1
	s_delay_alu instid0(SALU_CYCLE_1)
	s_and_saveexec_b32 s8, s9
	s_cbranch_execz .LBB210_180
; %bb.171:                              ;   in Loop: Header=BB210_18 Depth=1
	s_mov_b32 s18, exec_lo
                                        ; implicit-def: $sgpr19
                                        ; implicit-def: $sgpr9
	v_cmpx_ge_u64_e64 s[12:13], v[2:3]
	s_xor_b32 s18, exec_lo, s18
	s_cbranch_execz .LBB210_177
; %bb.172:                              ;   in Loop: Header=BB210_18 Depth=1
	ds_load_b64 v[4:5], v13 offset:5120
	s_waitcnt lgkmcnt(0)
	v_cmp_ne_u64_e32 vcc_lo, 0, v[4:5]
	s_cbranch_vccnz .LBB210_176
; %bb.173:                              ;   in Loop: Header=BB210_18 Depth=1
	s_and_saveexec_b32 s9, s5
	s_cbranch_execz .LBB210_175
; %bb.174:                              ;   in Loop: Header=BB210_18 Depth=1
	v_dual_mov_b32 v4, s12 :: v_dual_mov_b32 v5, s13
	ds_store_b64 v13, v[4:5] offset:5128
.LBB210_175:                            ;   in Loop: Header=BB210_18 Depth=1
	s_or_b32 exec_lo, exec_lo, s9
	s_waitcnt lgkmcnt(0)
	s_barrier
	buffer_gl0_inv
.LBB210_176:                            ;   in Loop: Header=BB210_18 Depth=1
	s_lshl_b32 s9, 1, s22
	v_or_b32_e32 v9, s20, v9
	v_and_or_b32 v8, v8, s21, s9
	s_mov_b32 s9, 0
	s_mov_b32 s19, 8
.LBB210_177:                            ;   in Loop: Header=BB210_18 Depth=1
	s_or_saveexec_b32 s18, s18
	v_mov_b32_e32 v7, s19
	s_xor_b32 exec_lo, exec_lo, s18
; %bb.178:                              ;   in Loop: Header=BB210_18 Depth=1
	v_sub_co_u32 v2, vcc_lo, v2, s12
	v_subrev_co_ci_u32_e32 v3, vcc_lo, s13, v3, vcc_lo
	v_mov_b32_e32 v7, 0
	s_or_b32 s9, s9, exec_lo
; %bb.179:                              ;   in Loop: Header=BB210_18 Depth=1
	s_or_b32 exec_lo, exec_lo, s18
	s_delay_alu instid0(VALU_DEP_2)
	v_dual_mov_b32 v5, v3 :: v_dual_mov_b32 v4, v2
	s_and_b32 s26, s9, exec_lo
.LBB210_180:                            ;   in Loop: Header=BB210_18 Depth=1
	s_or_b32 exec_lo, exec_lo, s8
	s_mov_b32 s8, -1
                                        ; implicit-def: $sgpr9
                                        ; implicit-def: $sgpr18
                                        ; implicit-def: $sgpr19
	s_and_saveexec_b32 s79, s26
	s_cbranch_execz .LBB210_281
; %bb.181:                              ;   in Loop: Header=BB210_18 Depth=1
	v_cmp_eq_u64_e32 vcc_lo, 1, v[4:5]
	s_cmp_eq_u64 s[14:15], 1
                                        ; implicit-def: $sgpr80
                                        ; implicit-def: $sgpr82
                                        ; implicit-def: $sgpr81
	s_cselect_b32 s8, -1, 0
	s_delay_alu instid0(SALU_CYCLE_1)
	s_and_b32 s60, s8, vcc_lo
	s_mov_b32 s8, -1
	s_and_saveexec_b32 s61, s60
	s_cbranch_execz .LBB210_215
; %bb.182:                              ;   in Loop: Header=BB210_18 Depth=1
	ds_load_b64 v[2:3], v13 offset:5120
	s_waitcnt lgkmcnt(0)
	s_barrier
	buffer_gl0_inv
	v_readfirstlane_b32 s18, v2
	v_readfirstlane_b32 s19, v3
	s_and_saveexec_b32 s8, s6
	s_cbranch_execz .LBB210_184
; %bb.183:                              ;   in Loop: Header=BB210_18 Depth=1
	ds_store_b16 v26, v13
.LBB210_184:                            ;   in Loop: Header=BB210_18 Depth=1
	s_or_b32 exec_lo, exec_lo, s8
	s_lshl_b32 s8, 2, s22
	v_or_b32_e32 v9, s20, v9
	v_and_or_b32 v8, v8, s21, s8
	s_cmp_eq_u64 s[18:19], 0
	s_waitcnt lgkmcnt(0)
	s_barrier
	buffer_gl0_inv
	s_cbranch_scc1 .LBB210_198
; %bb.185:                              ;   in Loop: Header=BB210_18 Depth=1
	s_add_u32 s26, s86, s18
	s_addc_u32 s9, s87, s19
	s_mov_b32 s8, s71
	s_delay_alu instid0(SALU_CYCLE_1)
	s_cmp_lg_u64 s[8:9], 0
	s_cbranch_scc0 .LBB210_233
; %bb.186:                              ;   in Loop: Header=BB210_18 Depth=1
	v_cvt_f32_u32_e32 v2, s35
	s_sub_u32 s63, 0, s35
	s_subb_u32 s80, 0, 0
	s_delay_alu instid0(VALU_DEP_1) | instskip(NEXT) | instid1(VALU_DEP_1)
	v_fmac_f32_e64 v2, 0, 0x4f800000
	v_rcp_f32_e32 v2, v2
	s_waitcnt_depctr 0xfff
	v_mul_f32_e32 v2, 0x5f7ffffc, v2
	s_delay_alu instid0(VALU_DEP_1) | instskip(NEXT) | instid1(VALU_DEP_1)
	v_mul_f32_e32 v3, 0x2f800000, v2
	v_trunc_f32_e32 v3, v3
	s_delay_alu instid0(VALU_DEP_1) | instskip(SKIP_1) | instid1(VALU_DEP_2)
	v_fmac_f32_e32 v2, 0xcf800000, v3
	v_cvt_u32_f32_e32 v3, v3
	v_cvt_u32_f32_e32 v2, v2
	s_delay_alu instid0(VALU_DEP_2) | instskip(NEXT) | instid1(VALU_DEP_2)
	v_readfirstlane_b32 s8, v3
	v_readfirstlane_b32 s62, v2
	s_delay_alu instid0(VALU_DEP_2) | instskip(NEXT) | instid1(VALU_DEP_1)
	s_mul_i32 s81, s63, s8
	s_mul_hi_u32 s83, s63, s62
	s_mul_i32 s82, s80, s62
	s_add_i32 s81, s83, s81
	s_mul_i32 vcc_lo, s63, s62
	s_add_i32 s81, s81, s82
	s_mul_hi_u32 s83, s62, vcc_lo
	s_mul_hi_u32 s50, s62, s81
	s_mul_i32 s62, s62, s81
	s_mul_i32 s49, s8, vcc_lo
	s_add_u32 s62, s83, s62
	s_mul_hi_u32 s48, s8, vcc_lo
	s_addc_u32 s50, 0, s50
	s_mul_hi_u32 s51, s8, s81
	s_add_u32 s49, s62, s49
	s_mul_i32 s81, s8, s81
	s_addc_u32 s48, s50, s48
	s_addc_u32 s49, s51, 0
	s_add_u32 s48, s48, s81
	s_addc_u32 s49, 0, s49
	v_add_co_u32 v2, s48, v2, s48
	s_delay_alu instid0(VALU_DEP_1) | instskip(SKIP_1) | instid1(VALU_DEP_1)
	s_cmp_lg_u32 s48, 0
	s_addc_u32 s8, s8, s49
	v_readfirstlane_b32 s48, v2
	s_mul_i32 s49, s63, s8
	s_delay_alu instid0(VALU_DEP_1)
	s_mul_hi_u32 s50, s63, s48
	s_mul_i32 s80, s80, s48
	s_add_i32 s49, s50, s49
	s_mul_i32 s63, s63, s48
	s_add_i32 s49, s49, s80
	s_mul_hi_u32 s62, s48, s63
	s_mul_hi_u32 s80, s48, s49
	s_mul_i32 s48, s48, s49
	s_mul_i32 s51, s8, s63
	s_add_u32 s48, s62, s48
	s_mul_hi_u32 s50, s8, s63
	s_addc_u32 s62, 0, s80
	s_mul_hi_u32 s63, s8, s49
	s_add_u32 s48, s48, s51
	s_mul_i32 s49, s8, s49
	s_addc_u32 s48, s62, s50
	s_addc_u32 s50, s63, 0
	s_add_u32 s48, s48, s49
	s_addc_u32 s49, 0, s50
	v_add_co_u32 v2, s48, v2, s48
	s_delay_alu instid0(VALU_DEP_1) | instskip(SKIP_1) | instid1(VALU_DEP_1)
	s_cmp_lg_u32 s48, 0
	s_addc_u32 s8, s8, s49
	v_readfirstlane_b32 s48, v2
	s_mul_i32 s50, s26, s8
	s_mul_hi_u32 s49, s26, s8
	s_mul_hi_u32 s51, s9, s8
	s_mul_i32 s8, s9, s8
	s_mul_hi_u32 s62, s26, s48
	s_mul_hi_u32 s63, s9, s48
	s_mul_i32 s48, s9, s48
	s_add_u32 s50, s62, s50
	s_addc_u32 s49, 0, s49
	s_add_u32 s48, s50, s48
	s_addc_u32 s48, s49, s63
	s_addc_u32 s49, s51, 0
	s_add_u32 s8, s48, s8
	s_addc_u32 s48, 0, s49
	s_mul_hi_u32 s49, s35, s8
	s_mul_i32 s8, s35, s8
	s_mul_i32 s48, s35, s48
	v_sub_co_u32 v2, s8, s26, s8
	s_add_i32 s49, s49, s48
	s_cmp_lg_u32 s8, 0
	s_delay_alu instid0(VALU_DEP_1) | instskip(SKIP_3) | instid1(VALU_DEP_2)
	v_sub_co_u32 v3, s8, v2, s35
	s_subb_u32 s48, s9, s49
	s_cmp_lg_u32 s8, 0
	v_cmp_le_u32_e32 vcc_lo, s35, v2
	v_cmp_le_u32_e64 s8, s35, v3
	v_sub_co_u32 v6, s49, v3, s35
	s_subb_u32 s50, s48, 0
	s_cmp_lg_u32 s49, 0
	s_delay_alu instid0(VALU_DEP_2)
	v_cndmask_b32_e64 v7, 0, -1, s8
	s_subb_u32 s49, s50, 0
	s_cmp_eq_u32 s50, 0
	v_mov_b32_e32 v18, s49
	v_cndmask_b32_e64 v12, 0, -1, vcc_lo
	s_cselect_b32 vcc_lo, -1, 0
	s_cmp_eq_u32 s48, 0
	v_cndmask_b32_e32 v7, -1, v7, vcc_lo
	s_cselect_b32 vcc_lo, -1, 0
	v_cndmask_b32_e32 v12, -1, v12, vcc_lo
	s_delay_alu instid0(VALU_DEP_2) | instskip(NEXT) | instid1(VALU_DEP_2)
	v_cmp_ne_u32_e32 vcc_lo, 0, v7
	v_cmp_ne_u32_e64 s8, 0, v12
	v_cndmask_b32_e32 v7, s50, v18, vcc_lo
	v_cndmask_b32_e32 v6, v3, v6, vcc_lo
	s_delay_alu instid0(VALU_DEP_2) | instskip(NEXT) | instid1(VALU_DEP_2)
	v_cndmask_b32_e64 v3, s48, v7, s8
	v_cndmask_b32_e64 v2, v2, v6, s8
	s_cbranch_execnz .LBB210_188
.LBB210_187:                            ;   in Loop: Header=BB210_18 Depth=1
	v_cvt_f32_u32_e32 v2, s35
	s_sub_i32 s8, 0, s35
	s_delay_alu instid0(VALU_DEP_1) | instskip(SKIP_2) | instid1(VALU_DEP_1)
	v_rcp_iflag_f32_e32 v2, v2
	s_waitcnt_depctr 0xfff
	v_mul_f32_e32 v2, 0x4f7ffffe, v2
	v_cvt_u32_f32_e32 v2, v2
	s_delay_alu instid0(VALU_DEP_1) | instskip(NEXT) | instid1(VALU_DEP_1)
	v_mul_lo_u32 v3, s8, v2
	v_mul_hi_u32 v3, v2, v3
	s_delay_alu instid0(VALU_DEP_1) | instskip(NEXT) | instid1(VALU_DEP_1)
	v_add_nc_u32_e32 v2, v2, v3
	v_mul_hi_u32 v2, s26, v2
	s_delay_alu instid0(VALU_DEP_1) | instskip(NEXT) | instid1(VALU_DEP_1)
	v_mul_lo_u32 v2, v2, s35
	v_sub_nc_u32_e32 v2, s26, v2
	s_delay_alu instid0(VALU_DEP_1) | instskip(SKIP_1) | instid1(VALU_DEP_2)
	v_subrev_nc_u32_e32 v3, s35, v2
	v_cmp_le_u32_e32 vcc_lo, s35, v2
	v_cndmask_b32_e32 v2, v2, v3, vcc_lo
	s_delay_alu instid0(VALU_DEP_1) | instskip(SKIP_1) | instid1(VALU_DEP_2)
	v_subrev_nc_u32_e32 v3, s35, v2
	v_cmp_le_u32_e32 vcc_lo, s35, v2
	v_cndmask_b32_e32 v12, v2, v3, vcc_lo
	s_delay_alu instid0(VALU_DEP_1)
	v_dual_mov_b32 v2, v12 :: v_dual_mov_b32 v3, v13
.LBB210_188:                            ;   in Loop: Header=BB210_18 Depth=1
	s_delay_alu instid0(VALU_DEP_1) | instskip(NEXT) | instid1(VALU_DEP_2)
	v_sub_co_u32 v2, vcc_lo, s26, v2
	v_sub_co_ci_u32_e32 v3, vcc_lo, s9, v3, vcc_lo
	s_mov_b32 s8, 0
	s_mov_b32 s9, exec_lo
                                        ; implicit-def: $vgpr6
	s_delay_alu instid0(VALU_DEP_1)
	v_cmpx_gt_u64_e64 v[2:3], v[0:1]
	s_cbranch_execz .LBB210_200
; %bb.189:                              ;   in Loop: Header=BB210_18 Depth=1
	v_mov_b32_e32 v12, v25
	v_dual_mov_b32 v7, v1 :: v_dual_mov_b32 v6, v0
	s_mov_b32 s26, 0
                                        ; implicit-def: $sgpr62
	s_set_inst_prefetch_distance 0x1
	s_branch .LBB210_191
	.p2align	6
.LBB210_190:                            ;   in Loop: Header=BB210_191 Depth=2
	s_or_b32 exec_lo, exec_lo, s8
	s_waitcnt lgkmcnt(0)
	s_barrier
	buffer_gl0_inv
	ds_load_b32 v18, v13 offset:3072
	v_add_co_u32 v6, vcc_lo, v6, s35
	v_add_co_ci_u32_e32 v7, vcc_lo, 0, v7, vcc_lo
	v_add_nc_u32_e32 v12, s94, v12
	s_waitcnt lgkmcnt(0)
	s_barrier
	s_delay_alu instid0(VALU_DEP_2) | instskip(SKIP_2) | instid1(VALU_DEP_1)
	v_cmp_ge_u64_e32 vcc_lo, v[6:7], v[2:3]
	buffer_gl0_inv
	v_cmp_neq_f16_e64 s8, 0, v18
	s_or_b32 s48, vcc_lo, s8
	s_delay_alu instid0(SALU_CYCLE_1) | instskip(NEXT) | instid1(SALU_CYCLE_1)
	s_and_b32 s48, exec_lo, s48
	s_or_b32 s26, s48, s26
	s_and_not1_b32 s48, s62, exec_lo
	s_and_b32 s8, s8, exec_lo
	s_delay_alu instid0(SALU_CYCLE_1)
	s_or_b32 s62, s48, s8
	s_and_not1_b32 exec_lo, exec_lo, s26
	s_cbranch_execz .LBB210_199
.LBB210_191:                            ;   Parent Loop BB210_18 Depth=1
                                        ; =>  This Inner Loop Header: Depth=2
	s_delay_alu instid0(VALU_DEP_1)
	v_cmp_gt_u64_e32 vcc_lo, s[18:19], v[6:7]
	v_mov_b32_e32 v18, 0
	s_and_saveexec_b32 s8, vcc_lo
	s_cbranch_execz .LBB210_193
; %bb.192:                              ;   in Loop: Header=BB210_191 Depth=2
	ds_load_u16 v18, v12
.LBB210_193:                            ;   in Loop: Header=BB210_191 Depth=2
	s_or_b32 exec_lo, exec_lo, s8
	s_and_saveexec_b32 s8, vcc_lo
	s_cbranch_execz .LBB210_190
; %bb.194:                              ;   in Loop: Header=BB210_191 Depth=2
	s_waitcnt lgkmcnt(0)
	v_cmp_lt_i16_e32 vcc_lo, -1, v18
	v_dual_cndmask_b32 v20, 0xffff, v29 :: v_dual_and_b32 v19, 0xffff, v18
	v_cmp_o_f16_e32 vcc_lo, v18, v18
	s_delay_alu instid0(VALU_DEP_2) | instskip(NEXT) | instid1(VALU_DEP_1)
	v_xor_b32_e32 v19, v20, v19
	v_cndmask_b32_e32 v19, 0xffff, v19, vcc_lo
	s_delay_alu instid0(VALU_DEP_1) | instskip(NEXT) | instid1(VALU_DEP_1)
	v_and_b32_e32 v19, v19, v9
	v_cmp_eq_u32_e32 vcc_lo, v19, v8
	s_and_b32 exec_lo, exec_lo, vcc_lo
	s_cbranch_execz .LBB210_190
; %bb.195:                              ;   in Loop: Header=BB210_191 Depth=2
	v_perm_b32 v18, v18, s97, 0x5040100
	ds_store_b32 v13, v18 offset:3072
	s_branch .LBB210_190
.LBB210_196:                            ;   in Loop: Header=BB210_18 Depth=1
                                        ; implicit-def: $vgpr4_vgpr5
	s_branch .LBB210_141
.LBB210_197:                            ;   in Loop: Header=BB210_18 Depth=1
                                        ; implicit-def: $vgpr4_vgpr5
	s_branch .LBB210_157
.LBB210_198:                            ;   in Loop: Header=BB210_18 Depth=1
	s_mov_b32 s80, -1
	s_mov_b32 s8, 0
                                        ; implicit-def: $sgpr81
                                        ; implicit-def: $vgpr6
	s_mov_b32 s82, s80
	s_cbranch_execnz .LBB210_201
	s_branch .LBB210_214
.LBB210_199:                            ;   in Loop: Header=BB210_18 Depth=1
	s_set_inst_prefetch_distance 0x2
	s_or_b32 exec_lo, exec_lo, s26
	v_lshrrev_b32_e32 v6, 16, v18
	s_and_b32 s8, s62, exec_lo
.LBB210_200:                            ;   in Loop: Header=BB210_18 Depth=1
	s_or_b32 exec_lo, exec_lo, s9
	s_mov_b32 s81, -1
	s_mov_b32 s80, 0
	s_delay_alu instid0(SALU_CYCLE_1)
	s_mov_b32 s82, s80
	s_branch .LBB210_214
.LBB210_201:                            ;   in Loop: Header=BB210_18 Depth=1
	s_mov_b32 s26, s71
	s_delay_alu instid0(SALU_CYCLE_1)
	s_cmp_lg_u64 s[26:27], 0
	s_cbranch_scc0 .LBB210_234
; %bb.202:                              ;   in Loop: Header=BB210_18 Depth=1
	v_cvt_f32_u32_e32 v2, s35
	s_sub_u32 s18, 0, s35
	s_subb_u32 s19, 0, 0
	s_delay_alu instid0(VALU_DEP_1) | instskip(NEXT) | instid1(VALU_DEP_1)
	v_fmac_f32_e64 v2, 0, 0x4f800000
	v_rcp_f32_e32 v2, v2
	s_waitcnt_depctr 0xfff
	v_mul_f32_e32 v2, 0x5f7ffffc, v2
	s_delay_alu instid0(VALU_DEP_1) | instskip(NEXT) | instid1(VALU_DEP_1)
	v_mul_f32_e32 v3, 0x2f800000, v2
	v_trunc_f32_e32 v3, v3
	s_delay_alu instid0(VALU_DEP_1) | instskip(SKIP_1) | instid1(VALU_DEP_2)
	v_fmac_f32_e32 v2, 0xcf800000, v3
	v_cvt_u32_f32_e32 v3, v3
	v_cvt_u32_f32_e32 v2, v2
	s_delay_alu instid0(VALU_DEP_2) | instskip(NEXT) | instid1(VALU_DEP_2)
	v_readfirstlane_b32 s8, v3
	v_readfirstlane_b32 s9, v2
	s_delay_alu instid0(VALU_DEP_2) | instskip(NEXT) | instid1(VALU_DEP_1)
	s_mul_i32 s26, s18, s8
	s_mul_hi_u32 s49, s18, s9
	s_mul_i32 s48, s19, s9
	s_add_i32 s26, s49, s26
	s_mul_i32 s50, s18, s9
	s_add_i32 s26, s26, s48
	s_mul_hi_u32 s49, s9, s50
	s_mul_hi_u32 s51, s8, s50
	s_mul_i32 s48, s8, s50
	s_mul_hi_u32 s50, s9, s26
	s_mul_i32 s9, s9, s26
	s_mul_hi_u32 s62, s8, s26
	s_add_u32 s9, s49, s9
	s_addc_u32 s49, 0, s50
	s_add_u32 s9, s9, s48
	s_mul_i32 s26, s8, s26
	s_addc_u32 s9, s49, s51
	s_addc_u32 s48, s62, 0
	s_add_u32 s9, s9, s26
	s_addc_u32 s26, 0, s48
	v_add_co_u32 v2, s9, v2, s9
	s_delay_alu instid0(VALU_DEP_1) | instskip(SKIP_1) | instid1(VALU_DEP_1)
	s_cmp_lg_u32 s9, 0
	s_addc_u32 s8, s8, s26
	v_readfirstlane_b32 s9, v2
	s_mul_i32 s26, s18, s8
	s_delay_alu instid0(VALU_DEP_1)
	s_mul_hi_u32 s48, s18, s9
	s_mul_i32 s19, s19, s9
	s_add_i32 s26, s48, s26
	s_mul_i32 s18, s18, s9
	s_add_i32 s26, s26, s19
	s_mul_hi_u32 s48, s8, s18
	s_mul_i32 s49, s8, s18
	s_mul_hi_u32 s18, s9, s18
	s_mul_hi_u32 s50, s9, s26
	s_mul_i32 s9, s9, s26
	s_mul_hi_u32 s19, s8, s26
	s_add_u32 s9, s18, s9
	s_addc_u32 s18, 0, s50
	s_add_u32 s9, s9, s49
	s_mul_i32 s26, s8, s26
	s_addc_u32 s9, s18, s48
	s_addc_u32 s18, s19, 0
	s_add_u32 s9, s9, s26
	s_addc_u32 s18, 0, s18
	v_add_co_u32 v2, s9, v2, s9
	s_delay_alu instid0(VALU_DEP_1) | instskip(SKIP_1) | instid1(VALU_DEP_1)
	s_cmp_lg_u32 s9, 0
	s_addc_u32 s8, s8, s18
	v_readfirstlane_b32 s9, v2
	s_mul_i32 s19, s88, s8
	s_mul_hi_u32 s18, s88, s8
	s_mul_hi_u32 s26, s27, s8
	s_mul_i32 s8, s27, s8
	s_mul_hi_u32 s48, s88, s9
	s_mul_hi_u32 s49, s27, s9
	s_mul_i32 s9, s27, s9
	s_add_u32 s19, s48, s19
	s_addc_u32 s18, 0, s18
	s_add_u32 s9, s19, s9
	s_addc_u32 s9, s18, s49
	s_addc_u32 s18, s26, 0
	s_add_u32 s8, s9, s8
	s_addc_u32 s9, 0, s18
	s_mul_hi_u32 s18, s35, s8
	s_mul_i32 s8, s35, s8
	s_mul_i32 s9, s35, s9
	v_sub_co_u32 v2, s8, s88, s8
	s_add_i32 s18, s18, s9
	s_cmp_lg_u32 s8, 0
	s_delay_alu instid0(VALU_DEP_1) | instskip(SKIP_3) | instid1(VALU_DEP_2)
	v_sub_co_u32 v3, s8, v2, s35
	s_subb_u32 s9, s27, s18
	s_cmp_lg_u32 s8, 0
	v_cmp_le_u32_e32 vcc_lo, s35, v2
	v_cmp_le_u32_e64 s8, s35, v3
	v_sub_co_u32 v6, s18, v3, s35
	s_subb_u32 s19, s9, 0
	s_cmp_lg_u32 s18, 0
	s_delay_alu instid0(VALU_DEP_2)
	v_cndmask_b32_e64 v7, 0, -1, s8
	s_subb_u32 s18, s19, 0
	s_cmp_eq_u32 s19, 0
	v_mov_b32_e32 v18, s18
	v_cndmask_b32_e64 v12, 0, -1, vcc_lo
	s_cselect_b32 vcc_lo, -1, 0
	s_cmp_eq_u32 s9, 0
	v_cndmask_b32_e32 v7, -1, v7, vcc_lo
	s_cselect_b32 vcc_lo, -1, 0
	v_cndmask_b32_e32 v12, -1, v12, vcc_lo
	s_delay_alu instid0(VALU_DEP_2) | instskip(NEXT) | instid1(VALU_DEP_2)
	v_cmp_ne_u32_e32 vcc_lo, 0, v7
	v_cmp_ne_u32_e64 s8, 0, v12
	v_cndmask_b32_e32 v7, s19, v18, vcc_lo
	v_cndmask_b32_e32 v6, v3, v6, vcc_lo
	s_delay_alu instid0(VALU_DEP_2) | instskip(NEXT) | instid1(VALU_DEP_2)
	v_cndmask_b32_e64 v3, s9, v7, s8
	v_cndmask_b32_e64 v2, v2, v6, s8
	s_cbranch_execnz .LBB210_204
.LBB210_203:                            ;   in Loop: Header=BB210_18 Depth=1
	v_cvt_f32_u32_e32 v2, s35
	s_sub_i32 s8, 0, s35
	s_delay_alu instid0(VALU_DEP_1) | instskip(SKIP_2) | instid1(VALU_DEP_1)
	v_rcp_iflag_f32_e32 v2, v2
	s_waitcnt_depctr 0xfff
	v_mul_f32_e32 v2, 0x4f7ffffe, v2
	v_cvt_u32_f32_e32 v2, v2
	s_delay_alu instid0(VALU_DEP_1) | instskip(NEXT) | instid1(VALU_DEP_1)
	v_mul_lo_u32 v3, s8, v2
	v_mul_hi_u32 v3, v2, v3
	s_delay_alu instid0(VALU_DEP_1) | instskip(NEXT) | instid1(VALU_DEP_1)
	v_add_nc_u32_e32 v2, v2, v3
	v_mul_hi_u32 v2, s88, v2
	s_delay_alu instid0(VALU_DEP_1) | instskip(NEXT) | instid1(VALU_DEP_1)
	v_mul_lo_u32 v2, v2, s35
	v_sub_nc_u32_e32 v2, s88, v2
	s_delay_alu instid0(VALU_DEP_1) | instskip(SKIP_1) | instid1(VALU_DEP_2)
	v_subrev_nc_u32_e32 v3, s35, v2
	v_cmp_le_u32_e32 vcc_lo, s35, v2
	v_cndmask_b32_e32 v2, v2, v3, vcc_lo
	s_delay_alu instid0(VALU_DEP_1) | instskip(SKIP_1) | instid1(VALU_DEP_2)
	v_subrev_nc_u32_e32 v3, s35, v2
	v_cmp_le_u32_e32 vcc_lo, s35, v2
	v_cndmask_b32_e32 v12, v2, v3, vcc_lo
	s_delay_alu instid0(VALU_DEP_1)
	v_dual_mov_b32 v2, v12 :: v_dual_mov_b32 v3, v13
.LBB210_204:                            ;   in Loop: Header=BB210_18 Depth=1
	s_delay_alu instid0(VALU_DEP_1) | instskip(NEXT) | instid1(VALU_DEP_2)
	v_sub_co_u32 v2, vcc_lo, s88, v2
	v_sub_co_ci_u32_e32 v3, vcc_lo, s27, v3, vcc_lo
	s_mov_b32 s8, 0
	s_mov_b32 s9, exec_lo
                                        ; implicit-def: $vgpr6
	s_delay_alu instid0(VALU_DEP_1)
	v_cmpx_gt_u64_e64 v[2:3], v[0:1]
	s_cbranch_execz .LBB210_213
; %bb.205:                              ;   in Loop: Header=BB210_18 Depth=1
	v_dual_mov_b32 v7, v1 :: v_dual_mov_b32 v6, v0
	s_mov_b32 s18, 0
                                        ; implicit-def: $sgpr19
	s_branch .LBB210_207
.LBB210_206:                            ;   in Loop: Header=BB210_207 Depth=2
	s_or_b32 exec_lo, exec_lo, s8
	s_waitcnt vmcnt(0) lgkmcnt(0)
	s_barrier
	buffer_gl0_inv
	ds_load_b32 v12, v13 offset:3072
	v_add_co_u32 v6, vcc_lo, v6, s35
	v_add_co_ci_u32_e32 v7, vcc_lo, 0, v7, vcc_lo
	s_waitcnt lgkmcnt(0)
	s_barrier
	buffer_gl0_inv
	v_cmp_ge_u64_e32 vcc_lo, v[6:7], v[2:3]
	v_cmp_neq_f16_e64 s8, 0, v12
	s_delay_alu instid0(VALU_DEP_1) | instskip(NEXT) | instid1(SALU_CYCLE_1)
	s_or_b32 s26, vcc_lo, s8
	s_and_b32 s26, exec_lo, s26
	s_delay_alu instid0(SALU_CYCLE_1) | instskip(SKIP_2) | instid1(SALU_CYCLE_1)
	s_or_b32 s18, s26, s18
	s_and_not1_b32 s19, s19, exec_lo
	s_and_b32 s8, s8, exec_lo
	s_or_b32 s19, s19, s8
	s_and_not1_b32 exec_lo, exec_lo, s18
	s_cbranch_execz .LBB210_212
.LBB210_207:                            ;   Parent Loop BB210_18 Depth=1
                                        ; =>  This Inner Loop Header: Depth=2
	s_delay_alu instid0(VALU_DEP_1)
	v_cmp_gt_u64_e32 vcc_lo, s[36:37], v[6:7]
	v_mov_b32_e32 v12, 0
	s_and_saveexec_b32 s26, vcc_lo
	s_cbranch_execz .LBB210_209
; %bb.208:                              ;   in Loop: Header=BB210_207 Depth=2
	v_mul_lo_u32 v12, v7, s30
	v_mul_lo_u32 v20, v6, s31
	v_mad_u64_u32 v[18:19], null, v6, s30, 0
	s_delay_alu instid0(VALU_DEP_1) | instskip(NEXT) | instid1(VALU_DEP_1)
	v_add3_u32 v19, v19, v20, v12
	v_lshlrev_b64 v[18:19], 1, v[18:19]
	s_delay_alu instid0(VALU_DEP_1) | instskip(NEXT) | instid1(VALU_DEP_1)
	v_add_co_u32 v18, s8, s29, v18
	v_add_co_ci_u32_e64 v19, s8, s33, v19, s8
	global_load_u16 v12, v[18:19], off
.LBB210_209:                            ;   in Loop: Header=BB210_207 Depth=2
	s_or_b32 exec_lo, exec_lo, s26
	s_and_saveexec_b32 s8, vcc_lo
	s_cbranch_execz .LBB210_206
; %bb.210:                              ;   in Loop: Header=BB210_207 Depth=2
	s_waitcnt vmcnt(0)
	v_cmp_lt_i16_e32 vcc_lo, -1, v12
	v_dual_cndmask_b32 v19, 0xffff, v29 :: v_dual_and_b32 v18, 0xffff, v12
	v_cmp_o_f16_e32 vcc_lo, v12, v12
	s_delay_alu instid0(VALU_DEP_2) | instskip(NEXT) | instid1(VALU_DEP_1)
	v_xor_b32_e32 v18, v19, v18
	v_cndmask_b32_e32 v18, 0xffff, v18, vcc_lo
	s_delay_alu instid0(VALU_DEP_1) | instskip(NEXT) | instid1(VALU_DEP_1)
	v_and_b32_e32 v18, v18, v9
	v_cmp_eq_u32_e32 vcc_lo, v18, v8
	s_and_b32 exec_lo, exec_lo, vcc_lo
	s_cbranch_execz .LBB210_206
; %bb.211:                              ;   in Loop: Header=BB210_207 Depth=2
	v_perm_b32 v12, v12, s97, 0x5040100
	ds_store_b32 v13, v12 offset:3072
	s_branch .LBB210_206
.LBB210_212:                            ;   in Loop: Header=BB210_18 Depth=1
	s_or_b32 exec_lo, exec_lo, s18
	v_lshrrev_b32_e32 v6, 16, v12
	s_and_b32 s8, s19, exec_lo
.LBB210_213:                            ;   in Loop: Header=BB210_18 Depth=1
	s_or_b32 exec_lo, exec_lo, s9
	s_mov_b32 s82, -1
	s_mov_b32 s80, 0
	s_mov_b32 s81, 0
.LBB210_214:                            ;   in Loop: Header=BB210_18 Depth=1
	s_or_not1_b32 s8, s8, exec_lo
.LBB210_215:                            ;   in Loop: Header=BB210_18 Depth=1
	s_or_b32 exec_lo, exec_lo, s61
	s_mov_b32 s26, 0
                                        ; implicit-def: $vgpr7
	s_and_saveexec_b32 s83, s8
	s_cbranch_execz .LBB210_280
; %bb.216:                              ;   in Loop: Header=BB210_18 Depth=1
	v_dual_mov_b32 v2, 1 :: v_dual_mov_b32 v7, 1
	v_mov_b32_e32 v3, 0
	s_xor_b32 s9, s60, -1
	s_delay_alu instid0(SALU_CYCLE_1)
	s_and_saveexec_b32 s8, s9
	s_cbranch_execz .LBB210_226
; %bb.217:                              ;   in Loop: Header=BB210_18 Depth=1
	s_mov_b32 s18, exec_lo
                                        ; implicit-def: $sgpr19
                                        ; implicit-def: $sgpr9
	v_cmpx_ge_u64_e64 s[14:15], v[4:5]
	s_xor_b32 s18, exec_lo, s18
	s_cbranch_execz .LBB210_223
; %bb.218:                              ;   in Loop: Header=BB210_18 Depth=1
	ds_load_b64 v[2:3], v13 offset:5120
	s_waitcnt lgkmcnt(0)
	v_cmp_ne_u64_e32 vcc_lo, 0, v[2:3]
	s_cbranch_vccnz .LBB210_222
; %bb.219:                              ;   in Loop: Header=BB210_18 Depth=1
	s_and_saveexec_b32 s9, s5
	s_cbranch_execz .LBB210_221
; %bb.220:                              ;   in Loop: Header=BB210_18 Depth=1
	v_dual_mov_b32 v2, s14 :: v_dual_mov_b32 v3, s15
	ds_store_b64 v13, v[2:3] offset:5128
.LBB210_221:                            ;   in Loop: Header=BB210_18 Depth=1
	s_or_b32 exec_lo, exec_lo, s9
	s_waitcnt lgkmcnt(0)
	s_barrier
	buffer_gl0_inv
.LBB210_222:                            ;   in Loop: Header=BB210_18 Depth=1
	s_lshl_b32 s9, 2, s22
	v_or_b32_e32 v9, s20, v9
	v_and_or_b32 v8, v8, s21, s9
	s_mov_b32 s9, 0
	s_mov_b32 s19, 8
.LBB210_223:                            ;   in Loop: Header=BB210_18 Depth=1
	s_or_saveexec_b32 s18, s18
	v_mov_b32_e32 v7, s19
	s_xor_b32 exec_lo, exec_lo, s18
; %bb.224:                              ;   in Loop: Header=BB210_18 Depth=1
	v_sub_co_u32 v4, vcc_lo, v4, s14
	v_subrev_co_ci_u32_e32 v5, vcc_lo, s15, v5, vcc_lo
	v_mov_b32_e32 v7, 0
	s_or_b32 s9, s9, exec_lo
; %bb.225:                              ;   in Loop: Header=BB210_18 Depth=1
	s_or_b32 exec_lo, exec_lo, s18
	s_delay_alu instid0(VALU_DEP_2)
	v_dual_mov_b32 v2, v4 :: v_dual_mov_b32 v3, v5
	s_and_b32 s26, s9, exec_lo
.LBB210_226:                            ;   in Loop: Header=BB210_18 Depth=1
	s_or_b32 exec_lo, exec_lo, s8
	s_mov_b32 s19, -1
                                        ; implicit-def: $sgpr8
                                        ; implicit-def: $sgpr18
                                        ; implicit-def: $sgpr9
	s_and_saveexec_b32 s60, s26
	s_cbranch_execz .LBB210_279
; %bb.227:                              ;   in Loop: Header=BB210_18 Depth=1
	v_cmp_eq_u64_e32 vcc_lo, 1, v[2:3]
	s_cmp_eq_u64 s[16:17], 1
	s_mov_b32 s26, -1
	s_cselect_b32 s8, -1, 0
                                        ; implicit-def: $sgpr18
                                        ; implicit-def: $sgpr9
	s_delay_alu instid0(SALU_CYCLE_1) | instskip(NEXT) | instid1(SALU_CYCLE_1)
	s_and_b32 s61, s8, vcc_lo
                                        ; implicit-def: $sgpr8
	s_and_saveexec_b32 s62, s61
	s_cbranch_execz .LBB210_266
; %bb.228:                              ;   in Loop: Header=BB210_18 Depth=1
	ds_load_b64 v[4:5], v13 offset:5120
	s_waitcnt lgkmcnt(0)
	s_barrier
	buffer_gl0_inv
	v_readfirstlane_b32 s18, v4
	v_readfirstlane_b32 s19, v5
	s_and_saveexec_b32 s8, s6
	s_cbranch_execz .LBB210_230
; %bb.229:                              ;   in Loop: Header=BB210_18 Depth=1
	ds_store_b16 v26, v13
.LBB210_230:                            ;   in Loop: Header=BB210_18 Depth=1
	s_or_b32 exec_lo, exec_lo, s8
	v_or_b32_e32 v8, s20, v8
	v_or_b32_e32 v9, s20, v9
	s_cmp_eq_u64 s[18:19], 0
	s_waitcnt lgkmcnt(0)
	s_barrier
	buffer_gl0_inv
	s_cbranch_scc1 .LBB210_235
; %bb.231:                              ;   in Loop: Header=BB210_18 Depth=1
	s_add_u32 s26, s86, s18
	s_addc_u32 s9, s87, s19
	s_mov_b32 s8, s71
	s_delay_alu instid0(SALU_CYCLE_1)
	s_cmp_lg_u64 s[8:9], 0
	s_cbranch_scc0 .LBB210_236
; %bb.232:                              ;   in Loop: Header=BB210_18 Depth=1
	v_cvt_f32_u32_e32 v4, s35
	s_sub_u32 s49, 0, s35
	s_subb_u32 s50, 0, 0
	s_delay_alu instid0(VALU_DEP_1) | instskip(NEXT) | instid1(VALU_DEP_1)
	v_fmac_f32_e64 v4, 0, 0x4f800000
	v_rcp_f32_e32 v4, v4
	s_waitcnt_depctr 0xfff
	v_mul_f32_e32 v4, 0x5f7ffffc, v4
	s_delay_alu instid0(VALU_DEP_1) | instskip(NEXT) | instid1(VALU_DEP_1)
	v_mul_f32_e32 v5, 0x2f800000, v4
	v_trunc_f32_e32 v5, v5
	s_delay_alu instid0(VALU_DEP_1) | instskip(SKIP_1) | instid1(VALU_DEP_2)
	v_fmac_f32_e32 v4, 0xcf800000, v5
	v_cvt_u32_f32_e32 v5, v5
	v_cvt_u32_f32_e32 v4, v4
	s_delay_alu instid0(VALU_DEP_2) | instskip(NEXT) | instid1(VALU_DEP_2)
	v_readfirstlane_b32 s8, v5
	v_readfirstlane_b32 s48, v4
	s_delay_alu instid0(VALU_DEP_2) | instskip(NEXT) | instid1(VALU_DEP_1)
	s_mul_i32 s51, s49, s8
	s_mul_hi_u32 vcc_lo, s49, s48
	s_mul_i32 s63, s50, s48
	s_add_i32 s51, vcc_lo, s51
	s_mul_i32 s52, s49, s48
	s_add_i32 s51, s51, s63
	s_mul_hi_u32 s53, s48, s52
	s_mul_hi_u32 s55, s48, s51
	s_mul_i32 s48, s48, s51
	s_mul_hi_u32 s54, s8, s52
	s_mul_i32 s52, s8, s52
	s_add_u32 s48, s53, s48
	s_addc_u32 s53, 0, s55
	s_mul_hi_u32 s63, s8, s51
	s_add_u32 s48, s48, s52
	s_mul_i32 s51, s8, s51
	s_addc_u32 s48, s53, s54
	s_addc_u32 s52, s63, 0
	s_add_u32 s48, s48, s51
	s_addc_u32 s51, 0, s52
	v_add_co_u32 v4, s48, v4, s48
	s_delay_alu instid0(VALU_DEP_1) | instskip(SKIP_1) | instid1(VALU_DEP_1)
	s_cmp_lg_u32 s48, 0
	s_addc_u32 s8, s8, s51
	v_readfirstlane_b32 s48, v4
	s_mul_i32 s51, s49, s8
	s_delay_alu instid0(VALU_DEP_1)
	s_mul_hi_u32 s52, s49, s48
	s_mul_i32 s50, s50, s48
	s_add_i32 s51, s52, s51
	s_mul_i32 s49, s49, s48
	s_add_i32 s51, s51, s50
	s_mul_hi_u32 s52, s8, s49
	s_mul_i32 s53, s8, s49
	s_mul_hi_u32 s49, s48, s49
	s_mul_hi_u32 s54, s48, s51
	s_mul_i32 s48, s48, s51
	s_mul_hi_u32 s50, s8, s51
	s_add_u32 s48, s49, s48
	s_addc_u32 s49, 0, s54
	s_add_u32 s48, s48, s53
	s_mul_i32 s51, s8, s51
	s_addc_u32 s48, s49, s52
	s_addc_u32 s49, s50, 0
	s_add_u32 s48, s48, s51
	s_addc_u32 s49, 0, s49
	v_add_co_u32 v4, s48, v4, s48
	s_delay_alu instid0(VALU_DEP_1) | instskip(SKIP_1) | instid1(VALU_DEP_1)
	s_cmp_lg_u32 s48, 0
	s_addc_u32 s8, s8, s49
	v_readfirstlane_b32 s48, v4
	s_mul_i32 s50, s26, s8
	s_mul_hi_u32 s49, s26, s8
	s_mul_hi_u32 s51, s9, s8
	s_mul_i32 s8, s9, s8
	s_mul_hi_u32 s52, s26, s48
	s_mul_hi_u32 s53, s9, s48
	s_mul_i32 s48, s9, s48
	s_add_u32 s50, s52, s50
	s_addc_u32 s49, 0, s49
	s_add_u32 s48, s50, s48
	s_addc_u32 s48, s49, s53
	s_addc_u32 s49, s51, 0
	s_add_u32 s8, s48, s8
	s_addc_u32 s48, 0, s49
	s_mul_hi_u32 s49, s35, s8
	s_mul_i32 s8, s35, s8
	s_mul_i32 s48, s35, s48
	v_sub_co_u32 v4, s8, s26, s8
	s_add_i32 s49, s49, s48
	s_cmp_lg_u32 s8, 0
	s_delay_alu instid0(VALU_DEP_1) | instskip(SKIP_3) | instid1(VALU_DEP_2)
	v_sub_co_u32 v5, s8, v4, s35
	s_subb_u32 s48, s9, s49
	s_cmp_lg_u32 s8, 0
	v_cmp_le_u32_e32 vcc_lo, s35, v4
	v_cmp_le_u32_e64 s8, s35, v5
	v_sub_co_u32 v6, s49, v5, s35
	s_subb_u32 s50, s48, 0
	s_cmp_lg_u32 s49, 0
	s_delay_alu instid0(VALU_DEP_2)
	v_cndmask_b32_e64 v7, 0, -1, s8
	s_subb_u32 s49, s50, 0
	s_cmp_eq_u32 s50, 0
	v_mov_b32_e32 v18, s49
	v_cndmask_b32_e64 v12, 0, -1, vcc_lo
	s_cselect_b32 vcc_lo, -1, 0
	s_cmp_eq_u32 s48, 0
	v_cndmask_b32_e32 v7, -1, v7, vcc_lo
	s_cselect_b32 vcc_lo, -1, 0
	v_cndmask_b32_e32 v12, -1, v12, vcc_lo
	s_delay_alu instid0(VALU_DEP_2) | instskip(NEXT) | instid1(VALU_DEP_2)
	v_cmp_ne_u32_e32 vcc_lo, 0, v7
	v_cmp_ne_u32_e64 s8, 0, v12
	v_cndmask_b32_e32 v7, s50, v18, vcc_lo
	v_cndmask_b32_e32 v6, v5, v6, vcc_lo
	s_delay_alu instid0(VALU_DEP_2) | instskip(NEXT) | instid1(VALU_DEP_2)
	v_cndmask_b32_e64 v5, s48, v7, s8
	v_cndmask_b32_e64 v4, v4, v6, s8
	s_mov_b32 s8, 0
	s_branch .LBB210_237
.LBB210_233:                            ;   in Loop: Header=BB210_18 Depth=1
                                        ; implicit-def: $vgpr2_vgpr3
	s_branch .LBB210_187
.LBB210_234:                            ;   in Loop: Header=BB210_18 Depth=1
                                        ; implicit-def: $vgpr2_vgpr3
	s_branch .LBB210_203
.LBB210_235:                            ;   in Loop: Header=BB210_18 Depth=1
	s_mov_b32 s8, -1
	s_mov_b32 s26, 0
                                        ; implicit-def: $sgpr9
                                        ; implicit-def: $vgpr6
	s_branch .LBB210_249
.LBB210_236:                            ;   in Loop: Header=BB210_18 Depth=1
	s_mov_b32 s8, -1
                                        ; implicit-def: $vgpr4_vgpr5
.LBB210_237:                            ;   in Loop: Header=BB210_18 Depth=1
	s_delay_alu instid0(SALU_CYCLE_1)
	s_and_not1_b32 vcc_lo, exec_lo, s8
	s_cbranch_vccnz .LBB210_239
; %bb.238:                              ;   in Loop: Header=BB210_18 Depth=1
	v_cvt_f32_u32_e32 v4, s35
	s_sub_i32 s8, 0, s35
	s_delay_alu instid0(VALU_DEP_1) | instskip(SKIP_2) | instid1(VALU_DEP_1)
	v_rcp_iflag_f32_e32 v4, v4
	s_waitcnt_depctr 0xfff
	v_mul_f32_e32 v4, 0x4f7ffffe, v4
	v_cvt_u32_f32_e32 v4, v4
	s_delay_alu instid0(VALU_DEP_1) | instskip(NEXT) | instid1(VALU_DEP_1)
	v_mul_lo_u32 v5, s8, v4
	v_mul_hi_u32 v5, v4, v5
	s_delay_alu instid0(VALU_DEP_1) | instskip(NEXT) | instid1(VALU_DEP_1)
	v_add_nc_u32_e32 v4, v4, v5
	v_mul_hi_u32 v4, s26, v4
	s_delay_alu instid0(VALU_DEP_1) | instskip(NEXT) | instid1(VALU_DEP_1)
	v_mul_lo_u32 v4, v4, s35
	v_sub_nc_u32_e32 v4, s26, v4
	s_delay_alu instid0(VALU_DEP_1) | instskip(SKIP_1) | instid1(VALU_DEP_2)
	v_subrev_nc_u32_e32 v5, s35, v4
	v_cmp_le_u32_e32 vcc_lo, s35, v4
	v_cndmask_b32_e32 v4, v4, v5, vcc_lo
	s_delay_alu instid0(VALU_DEP_1) | instskip(SKIP_1) | instid1(VALU_DEP_2)
	v_subrev_nc_u32_e32 v5, s35, v4
	v_cmp_le_u32_e32 vcc_lo, s35, v4
	v_cndmask_b32_e32 v12, v4, v5, vcc_lo
	s_delay_alu instid0(VALU_DEP_1)
	v_dual_mov_b32 v4, v12 :: v_dual_mov_b32 v5, v13
.LBB210_239:                            ;   in Loop: Header=BB210_18 Depth=1
	s_delay_alu instid0(VALU_DEP_1) | instskip(NEXT) | instid1(VALU_DEP_2)
	v_sub_co_u32 v4, vcc_lo, s26, v4
	v_sub_co_ci_u32_e32 v5, vcc_lo, s9, v5, vcc_lo
	s_mov_b32 s26, 0
	s_mov_b32 s9, exec_lo
                                        ; implicit-def: $vgpr6
	s_delay_alu instid0(VALU_DEP_1)
	v_cmpx_gt_u64_e64 v[4:5], v[0:1]
	s_cbranch_execz .LBB210_248
; %bb.240:                              ;   in Loop: Header=BB210_18 Depth=1
	v_mov_b32_e32 v12, v25
	v_dual_mov_b32 v7, v1 :: v_dual_mov_b32 v6, v0
                                        ; implicit-def: $sgpr63
	s_set_inst_prefetch_distance 0x1
	s_branch .LBB210_242
	.p2align	6
.LBB210_241:                            ;   in Loop: Header=BB210_242 Depth=2
	s_or_b32 exec_lo, exec_lo, s8
	s_waitcnt lgkmcnt(0)
	s_barrier
	buffer_gl0_inv
	ds_load_b32 v18, v13 offset:3072
	v_add_co_u32 v6, vcc_lo, v6, s35
	v_add_co_ci_u32_e32 v7, vcc_lo, 0, v7, vcc_lo
	v_add_nc_u32_e32 v12, s94, v12
	s_waitcnt lgkmcnt(0)
	s_barrier
	s_delay_alu instid0(VALU_DEP_2) | instskip(SKIP_2) | instid1(VALU_DEP_1)
	v_cmp_ge_u64_e32 vcc_lo, v[6:7], v[4:5]
	buffer_gl0_inv
	v_cmp_neq_f16_e64 s8, 0, v18
	s_or_b32 s48, vcc_lo, s8
	s_delay_alu instid0(SALU_CYCLE_1) | instskip(NEXT) | instid1(SALU_CYCLE_1)
	s_and_b32 s48, exec_lo, s48
	s_or_b32 s26, s48, s26
	s_and_not1_b32 s48, s63, exec_lo
	s_and_b32 s8, s8, exec_lo
	s_delay_alu instid0(SALU_CYCLE_1)
	s_or_b32 s63, s48, s8
	s_and_not1_b32 exec_lo, exec_lo, s26
	s_cbranch_execz .LBB210_247
.LBB210_242:                            ;   Parent Loop BB210_18 Depth=1
                                        ; =>  This Inner Loop Header: Depth=2
	s_delay_alu instid0(VALU_DEP_1)
	v_cmp_gt_u64_e32 vcc_lo, s[18:19], v[6:7]
	v_mov_b32_e32 v18, 0
	s_and_saveexec_b32 s8, vcc_lo
	s_cbranch_execz .LBB210_244
; %bb.243:                              ;   in Loop: Header=BB210_242 Depth=2
	ds_load_u16 v18, v12
.LBB210_244:                            ;   in Loop: Header=BB210_242 Depth=2
	s_or_b32 exec_lo, exec_lo, s8
	s_and_saveexec_b32 s8, vcc_lo
	s_cbranch_execz .LBB210_241
; %bb.245:                              ;   in Loop: Header=BB210_242 Depth=2
	s_waitcnt lgkmcnt(0)
	v_cmp_lt_i16_e32 vcc_lo, -1, v18
	v_dual_cndmask_b32 v20, 0xffff, v29 :: v_dual_and_b32 v19, 0xffff, v18
	v_cmp_o_f16_e32 vcc_lo, v18, v18
	s_delay_alu instid0(VALU_DEP_2) | instskip(NEXT) | instid1(VALU_DEP_1)
	v_xor_b32_e32 v19, v20, v19
	v_cndmask_b32_e32 v19, 0xffff, v19, vcc_lo
	s_delay_alu instid0(VALU_DEP_1) | instskip(NEXT) | instid1(VALU_DEP_1)
	v_and_b32_e32 v19, v19, v9
	v_cmp_eq_u32_e32 vcc_lo, v19, v8
	s_and_b32 exec_lo, exec_lo, vcc_lo
	s_cbranch_execz .LBB210_241
; %bb.246:                              ;   in Loop: Header=BB210_242 Depth=2
	v_perm_b32 v18, v18, s97, 0x5040100
	ds_store_b32 v13, v18 offset:3072
	s_branch .LBB210_241
.LBB210_247:                            ;   in Loop: Header=BB210_18 Depth=1
	s_set_inst_prefetch_distance 0x2
	s_or_b32 exec_lo, exec_lo, s26
	v_lshrrev_b32_e32 v6, 16, v18
	s_and_b32 s26, s63, exec_lo
.LBB210_248:                            ;   in Loop: Header=BB210_18 Depth=1
	s_or_b32 exec_lo, exec_lo, s9
	s_mov_b32 s9, -1
	s_mov_b32 s8, 0
.LBB210_249:                            ;   in Loop: Header=BB210_18 Depth=1
	s_delay_alu instid0(SALU_CYCLE_1)
	s_and_b32 vcc_lo, exec_lo, s8
	s_mov_b32 s18, s8
	s_cbranch_vccz .LBB210_265
; %bb.250:                              ;   in Loop: Header=BB210_18 Depth=1
	s_mov_b32 s26, s71
	s_delay_alu instid0(SALU_CYCLE_1)
	s_cmp_lg_u64 s[26:27], 0
	s_cbranch_scc0 .LBB210_252
; %bb.251:                              ;   in Loop: Header=BB210_18 Depth=1
	v_cvt_f32_u32_e32 v4, s35
	s_sub_u32 s18, 0, s35
	s_subb_u32 s19, 0, 0
	s_delay_alu instid0(VALU_DEP_1) | instskip(NEXT) | instid1(VALU_DEP_1)
	v_fmac_f32_e64 v4, 0, 0x4f800000
	v_rcp_f32_e32 v4, v4
	s_waitcnt_depctr 0xfff
	v_mul_f32_e32 v4, 0x5f7ffffc, v4
	s_delay_alu instid0(VALU_DEP_1) | instskip(NEXT) | instid1(VALU_DEP_1)
	v_mul_f32_e32 v5, 0x2f800000, v4
	v_trunc_f32_e32 v5, v5
	s_delay_alu instid0(VALU_DEP_1) | instskip(SKIP_1) | instid1(VALU_DEP_2)
	v_fmac_f32_e32 v4, 0xcf800000, v5
	v_cvt_u32_f32_e32 v5, v5
	v_cvt_u32_f32_e32 v4, v4
	s_delay_alu instid0(VALU_DEP_2) | instskip(NEXT) | instid1(VALU_DEP_2)
	v_readfirstlane_b32 s8, v5
	v_readfirstlane_b32 s9, v4
	s_delay_alu instid0(VALU_DEP_2) | instskip(NEXT) | instid1(VALU_DEP_1)
	s_mul_i32 s26, s18, s8
	s_mul_hi_u32 s49, s18, s9
	s_mul_i32 s48, s19, s9
	s_add_i32 s26, s49, s26
	s_mul_i32 s50, s18, s9
	s_add_i32 s26, s26, s48
	s_mul_hi_u32 s49, s9, s50
	s_mul_hi_u32 s51, s8, s50
	s_mul_i32 s48, s8, s50
	s_mul_hi_u32 s50, s9, s26
	s_mul_i32 s9, s9, s26
	s_mul_hi_u32 s52, s8, s26
	s_add_u32 s9, s49, s9
	s_addc_u32 s49, 0, s50
	s_add_u32 s9, s9, s48
	s_mul_i32 s26, s8, s26
	s_addc_u32 s9, s49, s51
	s_addc_u32 s48, s52, 0
	s_add_u32 s9, s9, s26
	s_addc_u32 s26, 0, s48
	v_add_co_u32 v4, s9, v4, s9
	s_delay_alu instid0(VALU_DEP_1) | instskip(SKIP_1) | instid1(VALU_DEP_1)
	s_cmp_lg_u32 s9, 0
	s_addc_u32 s8, s8, s26
	v_readfirstlane_b32 s9, v4
	s_mul_i32 s26, s18, s8
	s_delay_alu instid0(VALU_DEP_1)
	s_mul_hi_u32 s48, s18, s9
	s_mul_i32 s19, s19, s9
	s_add_i32 s26, s48, s26
	s_mul_i32 s18, s18, s9
	s_add_i32 s26, s26, s19
	s_mul_hi_u32 s48, s8, s18
	s_mul_i32 s49, s8, s18
	s_mul_hi_u32 s18, s9, s18
	s_mul_hi_u32 s50, s9, s26
	s_mul_i32 s9, s9, s26
	s_mul_hi_u32 s19, s8, s26
	s_add_u32 s9, s18, s9
	s_addc_u32 s18, 0, s50
	s_add_u32 s9, s9, s49
	s_mul_i32 s26, s8, s26
	s_addc_u32 s9, s18, s48
	s_addc_u32 s18, s19, 0
	s_add_u32 s9, s9, s26
	s_addc_u32 s18, 0, s18
	v_add_co_u32 v4, s9, v4, s9
	s_delay_alu instid0(VALU_DEP_1) | instskip(SKIP_1) | instid1(VALU_DEP_1)
	s_cmp_lg_u32 s9, 0
	s_addc_u32 s8, s8, s18
	v_readfirstlane_b32 s9, v4
	s_mul_i32 s19, s88, s8
	s_mul_hi_u32 s18, s88, s8
	s_mul_hi_u32 s26, s27, s8
	s_mul_i32 s8, s27, s8
	s_mul_hi_u32 s48, s88, s9
	s_mul_hi_u32 s49, s27, s9
	s_mul_i32 s9, s27, s9
	s_add_u32 s19, s48, s19
	s_addc_u32 s18, 0, s18
	s_add_u32 s9, s19, s9
	s_addc_u32 s9, s18, s49
	s_addc_u32 s18, s26, 0
	s_add_u32 s8, s9, s8
	s_addc_u32 s9, 0, s18
	s_mul_hi_u32 s18, s35, s8
	s_mul_i32 s8, s35, s8
	s_mul_i32 s9, s35, s9
	v_sub_co_u32 v4, s8, s88, s8
	s_add_i32 s18, s18, s9
	s_cmp_lg_u32 s8, 0
	s_delay_alu instid0(VALU_DEP_1) | instskip(SKIP_3) | instid1(VALU_DEP_2)
	v_sub_co_u32 v5, s8, v4, s35
	s_subb_u32 s9, s27, s18
	s_cmp_lg_u32 s8, 0
	v_cmp_le_u32_e32 vcc_lo, s35, v4
	v_cmp_le_u32_e64 s8, s35, v5
	v_sub_co_u32 v6, s18, v5, s35
	s_subb_u32 s19, s9, 0
	s_cmp_lg_u32 s18, 0
	s_delay_alu instid0(VALU_DEP_2)
	v_cndmask_b32_e64 v7, 0, -1, s8
	s_subb_u32 s18, s19, 0
	s_cmp_eq_u32 s19, 0
	v_mov_b32_e32 v18, s18
	v_cndmask_b32_e64 v12, 0, -1, vcc_lo
	s_cselect_b32 vcc_lo, -1, 0
	s_cmp_eq_u32 s9, 0
	v_cndmask_b32_e32 v7, -1, v7, vcc_lo
	s_cselect_b32 vcc_lo, -1, 0
	v_cndmask_b32_e32 v12, -1, v12, vcc_lo
	s_delay_alu instid0(VALU_DEP_2) | instskip(NEXT) | instid1(VALU_DEP_2)
	v_cmp_ne_u32_e32 vcc_lo, 0, v7
	v_cmp_ne_u32_e64 s8, 0, v12
	v_cndmask_b32_e32 v7, s19, v18, vcc_lo
	v_cndmask_b32_e32 v6, v5, v6, vcc_lo
	s_delay_alu instid0(VALU_DEP_2) | instskip(NEXT) | instid1(VALU_DEP_2)
	v_cndmask_b32_e64 v5, s9, v7, s8
	v_cndmask_b32_e64 v4, v4, v6, s8
	s_mov_b32 s8, 0
	s_branch .LBB210_253
.LBB210_252:                            ;   in Loop: Header=BB210_18 Depth=1
	s_mov_b32 s8, -1
                                        ; implicit-def: $vgpr4_vgpr5
.LBB210_253:                            ;   in Loop: Header=BB210_18 Depth=1
	s_delay_alu instid0(SALU_CYCLE_1)
	s_and_not1_b32 vcc_lo, exec_lo, s8
	s_cbranch_vccnz .LBB210_255
; %bb.254:                              ;   in Loop: Header=BB210_18 Depth=1
	v_cvt_f32_u32_e32 v4, s35
	s_sub_i32 s8, 0, s35
	s_delay_alu instid0(VALU_DEP_1) | instskip(SKIP_2) | instid1(VALU_DEP_1)
	v_rcp_iflag_f32_e32 v4, v4
	s_waitcnt_depctr 0xfff
	v_mul_f32_e32 v4, 0x4f7ffffe, v4
	v_cvt_u32_f32_e32 v4, v4
	s_delay_alu instid0(VALU_DEP_1) | instskip(NEXT) | instid1(VALU_DEP_1)
	v_mul_lo_u32 v5, s8, v4
	v_mul_hi_u32 v5, v4, v5
	s_delay_alu instid0(VALU_DEP_1) | instskip(NEXT) | instid1(VALU_DEP_1)
	v_add_nc_u32_e32 v4, v4, v5
	v_mul_hi_u32 v4, s88, v4
	s_delay_alu instid0(VALU_DEP_1) | instskip(NEXT) | instid1(VALU_DEP_1)
	v_mul_lo_u32 v4, v4, s35
	v_sub_nc_u32_e32 v4, s88, v4
	s_delay_alu instid0(VALU_DEP_1) | instskip(SKIP_1) | instid1(VALU_DEP_2)
	v_subrev_nc_u32_e32 v5, s35, v4
	v_cmp_le_u32_e32 vcc_lo, s35, v4
	v_cndmask_b32_e32 v4, v4, v5, vcc_lo
	s_delay_alu instid0(VALU_DEP_1) | instskip(SKIP_1) | instid1(VALU_DEP_2)
	v_subrev_nc_u32_e32 v5, s35, v4
	v_cmp_le_u32_e32 vcc_lo, s35, v4
	v_cndmask_b32_e32 v12, v4, v5, vcc_lo
	s_delay_alu instid0(VALU_DEP_1)
	v_dual_mov_b32 v4, v12 :: v_dual_mov_b32 v5, v13
.LBB210_255:                            ;   in Loop: Header=BB210_18 Depth=1
	s_delay_alu instid0(VALU_DEP_1) | instskip(NEXT) | instid1(VALU_DEP_2)
	v_sub_co_u32 v4, vcc_lo, s88, v4
	v_sub_co_ci_u32_e32 v5, vcc_lo, s27, v5, vcc_lo
	s_mov_b32 s26, 0
	s_mov_b32 s9, exec_lo
                                        ; implicit-def: $vgpr6
	s_delay_alu instid0(VALU_DEP_1)
	v_cmpx_gt_u64_e64 v[4:5], v[0:1]
	s_cbranch_execz .LBB210_264
; %bb.256:                              ;   in Loop: Header=BB210_18 Depth=1
	v_dual_mov_b32 v7, v1 :: v_dual_mov_b32 v6, v0
	s_mov_b32 s18, 0
                                        ; implicit-def: $sgpr19
	s_branch .LBB210_258
.LBB210_257:                            ;   in Loop: Header=BB210_258 Depth=2
	s_or_b32 exec_lo, exec_lo, s8
	s_waitcnt vmcnt(0) lgkmcnt(0)
	s_barrier
	buffer_gl0_inv
	ds_load_b32 v12, v13 offset:3072
	v_add_co_u32 v6, vcc_lo, v6, s35
	v_add_co_ci_u32_e32 v7, vcc_lo, 0, v7, vcc_lo
	s_waitcnt lgkmcnt(0)
	s_barrier
	buffer_gl0_inv
	v_cmp_ge_u64_e32 vcc_lo, v[6:7], v[4:5]
	v_cmp_neq_f16_e64 s8, 0, v12
	s_delay_alu instid0(VALU_DEP_1) | instskip(NEXT) | instid1(SALU_CYCLE_1)
	s_or_b32 s26, vcc_lo, s8
	s_and_b32 s26, exec_lo, s26
	s_delay_alu instid0(SALU_CYCLE_1) | instskip(SKIP_2) | instid1(SALU_CYCLE_1)
	s_or_b32 s18, s26, s18
	s_and_not1_b32 s19, s19, exec_lo
	s_and_b32 s8, s8, exec_lo
	s_or_b32 s19, s19, s8
	s_and_not1_b32 exec_lo, exec_lo, s18
	s_cbranch_execz .LBB210_263
.LBB210_258:                            ;   Parent Loop BB210_18 Depth=1
                                        ; =>  This Inner Loop Header: Depth=2
	s_delay_alu instid0(VALU_DEP_1)
	v_cmp_gt_u64_e32 vcc_lo, s[36:37], v[6:7]
	v_mov_b32_e32 v12, 0
	s_and_saveexec_b32 s26, vcc_lo
	s_cbranch_execz .LBB210_260
; %bb.259:                              ;   in Loop: Header=BB210_258 Depth=2
	v_mul_lo_u32 v12, v7, s30
	v_mul_lo_u32 v20, v6, s31
	v_mad_u64_u32 v[18:19], null, v6, s30, 0
	s_delay_alu instid0(VALU_DEP_1) | instskip(NEXT) | instid1(VALU_DEP_1)
	v_add3_u32 v19, v19, v20, v12
	v_lshlrev_b64 v[18:19], 1, v[18:19]
	s_delay_alu instid0(VALU_DEP_1) | instskip(NEXT) | instid1(VALU_DEP_1)
	v_add_co_u32 v18, s8, s29, v18
	v_add_co_ci_u32_e64 v19, s8, s33, v19, s8
	global_load_u16 v12, v[18:19], off
.LBB210_260:                            ;   in Loop: Header=BB210_258 Depth=2
	s_or_b32 exec_lo, exec_lo, s26
	s_and_saveexec_b32 s8, vcc_lo
	s_cbranch_execz .LBB210_257
; %bb.261:                              ;   in Loop: Header=BB210_258 Depth=2
	s_waitcnt vmcnt(0)
	v_cmp_lt_i16_e32 vcc_lo, -1, v12
	v_dual_cndmask_b32 v19, 0xffff, v29 :: v_dual_and_b32 v18, 0xffff, v12
	v_cmp_o_f16_e32 vcc_lo, v12, v12
	s_delay_alu instid0(VALU_DEP_2) | instskip(NEXT) | instid1(VALU_DEP_1)
	v_xor_b32_e32 v18, v19, v18
	v_cndmask_b32_e32 v18, 0xffff, v18, vcc_lo
	s_delay_alu instid0(VALU_DEP_1) | instskip(NEXT) | instid1(VALU_DEP_1)
	v_and_b32_e32 v18, v18, v9
	v_cmp_eq_u32_e32 vcc_lo, v18, v8
	s_and_b32 exec_lo, exec_lo, vcc_lo
	s_cbranch_execz .LBB210_257
; %bb.262:                              ;   in Loop: Header=BB210_258 Depth=2
	v_perm_b32 v12, v12, s97, 0x5040100
	ds_store_b32 v13, v12 offset:3072
	s_branch .LBB210_257
.LBB210_263:                            ;   in Loop: Header=BB210_18 Depth=1
	s_or_b32 exec_lo, exec_lo, s18
	v_lshrrev_b32_e32 v6, 16, v12
	s_and_b32 s26, s19, exec_lo
.LBB210_264:                            ;   in Loop: Header=BB210_18 Depth=1
	s_or_b32 exec_lo, exec_lo, s9
	s_mov_b32 s18, -1
	s_mov_b32 s8, 0
	s_mov_b32 s9, 0
.LBB210_265:                            ;   in Loop: Header=BB210_18 Depth=1
	s_or_not1_b32 s26, s26, exec_lo
.LBB210_266:                            ;   in Loop: Header=BB210_18 Depth=1
	s_or_b32 exec_lo, exec_lo, s62
	s_mov_b32 s62, 0
                                        ; implicit-def: $vgpr7
                                        ; implicit-def: $vgpr4_vgpr5
	s_and_saveexec_b32 s19, s26
	s_cbranch_execz .LBB210_278
; %bb.267:                              ;   in Loop: Header=BB210_18 Depth=1
	v_dual_mov_b32 v4, 1 :: v_dual_mov_b32 v7, 1
	v_mov_b32_e32 v5, 0
	s_xor_b32 s48, s61, -1
	s_delay_alu instid0(SALU_CYCLE_1)
	s_and_saveexec_b32 s26, s48
	s_cbranch_execz .LBB210_277
; %bb.268:                              ;   in Loop: Header=BB210_18 Depth=1
                                        ; implicit-def: $sgpr62
	s_mov_b32 s48, exec_lo
	v_cmpx_ge_u64_e64 s[16:17], v[2:3]
	s_xor_b32 s61, exec_lo, s48
	s_cbranch_execz .LBB210_274
; %bb.269:                              ;   in Loop: Header=BB210_18 Depth=1
	ds_load_b64 v[4:5], v13 offset:5120
	s_waitcnt lgkmcnt(0)
	v_cmp_ne_u64_e32 vcc_lo, 0, v[4:5]
	s_cbranch_vccnz .LBB210_273
; %bb.270:                              ;   in Loop: Header=BB210_18 Depth=1
	s_and_saveexec_b32 s62, s5
	s_cbranch_execz .LBB210_272
; %bb.271:                              ;   in Loop: Header=BB210_18 Depth=1
	v_dual_mov_b32 v4, s16 :: v_dual_mov_b32 v5, s17
	ds_store_b64 v13, v[4:5] offset:5128
.LBB210_272:                            ;   in Loop: Header=BB210_18 Depth=1
	s_or_b32 exec_lo, exec_lo, s62
	s_waitcnt lgkmcnt(0)
	s_barrier
	buffer_gl0_inv
.LBB210_273:                            ;   in Loop: Header=BB210_18 Depth=1
	v_or_b32_e32 v8, s20, v8
	v_or_b32_e32 v9, s20, v9
	s_mov_b32 s62, 8
.LBB210_274:                            ;   in Loop: Header=BB210_18 Depth=1
	s_or_saveexec_b32 s61, s61
	v_mov_b32_e32 v7, s62
	s_xor_b32 exec_lo, exec_lo, s61
; %bb.275:                              ;   in Loop: Header=BB210_18 Depth=1
	v_sub_co_u32 v2, vcc_lo, v2, s16
	v_subrev_co_ci_u32_e32 v3, vcc_lo, s17, v3, vcc_lo
	v_mov_b32_e32 v7, 8
; %bb.276:                              ;   in Loop: Header=BB210_18 Depth=1
	s_or_b32 exec_lo, exec_lo, s61
	s_delay_alu instid0(VALU_DEP_2)
	v_dual_mov_b32 v5, v3 :: v_dual_mov_b32 v4, v2
.LBB210_277:                            ;   in Loop: Header=BB210_18 Depth=1
	s_or_b32 exec_lo, exec_lo, s26
	s_delay_alu instid0(SALU_CYCLE_1)
	s_mov_b32 s62, exec_lo
.LBB210_278:                            ;   in Loop: Header=BB210_18 Depth=1
	s_or_b32 exec_lo, exec_lo, s19
	s_delay_alu instid0(VALU_DEP_1)
	v_dual_mov_b32 v2, v4 :: v_dual_mov_b32 v3, v5
	s_or_not1_b32 s19, s62, exec_lo
.LBB210_279:                            ;   in Loop: Header=BB210_18 Depth=1
	s_or_b32 exec_lo, exec_lo, s60
	s_delay_alu instid0(SALU_CYCLE_1)
	s_and_not1_b32 s26, s80, exec_lo
	s_and_b32 s8, s8, exec_lo
	v_dual_mov_b32 v5, v3 :: v_dual_mov_b32 v4, v2
	s_or_b32 s80, s26, s8
	s_and_not1_b32 s8, s82, exec_lo
	s_and_b32 s18, s18, exec_lo
	s_and_not1_b32 s26, s81, exec_lo
	s_and_b32 s9, s9, exec_lo
	s_or_b32 s82, s8, s18
	s_or_b32 s81, s26, s9
	s_and_b32 s26, s19, exec_lo
.LBB210_280:                            ;   in Loop: Header=BB210_18 Depth=1
	s_or_b32 exec_lo, exec_lo, s83
	s_delay_alu instid0(SALU_CYCLE_1)
	s_and_b32 s19, s80, exec_lo
	s_and_b32 s18, s82, exec_lo
	s_and_b32 s9, s81, exec_lo
	s_or_not1_b32 s8, s26, exec_lo
.LBB210_281:                            ;   in Loop: Header=BB210_18 Depth=1
	s_or_b32 exec_lo, exec_lo, s79
	s_delay_alu instid0(SALU_CYCLE_1)
	s_and_not1_b32 s25, s25, exec_lo
	s_and_b32 s19, s19, exec_lo
	v_dual_mov_b32 v2, v4 :: v_dual_mov_b32 v3, v5
	s_or_b32 s25, s25, s19
	s_and_not1_b32 s19, s77, exec_lo
	s_and_b32 s18, s18, exec_lo
	s_and_not1_b32 s26, s76, exec_lo
	s_and_b32 s9, s9, exec_lo
	s_or_b32 s77, s19, s18
	s_or_b32 s76, s26, s9
	s_and_b32 s26, s8, exec_lo
.LBB210_282:                            ;   in Loop: Header=BB210_18 Depth=1
	s_or_b32 exec_lo, exec_lo, s78
	s_delay_alu instid0(SALU_CYCLE_1)
	s_and_b32 s19, s25, exec_lo
	s_and_b32 s18, s77, exec_lo
	;; [unrolled: 1-line block ×3, first 2 shown]
	s_or_not1_b32 s25, s26, exec_lo
.LBB210_283:                            ;   in Loop: Header=BB210_18 Depth=1
	s_or_b32 exec_lo, exec_lo, s24
	s_mov_b32 s8, 0
	s_mov_b32 s24, 0
	s_and_saveexec_b32 s26, s25
	s_delay_alu instid0(SALU_CYCLE_1)
	s_xor_b32 s25, exec_lo, s26
; %bb.284:                              ;   in Loop: Header=BB210_18 Depth=1
	v_cmp_ne_u32_e32 vcc_lo, 8, v7
	v_cmp_eq_u32_e64 s8, 8, v7
	s_and_not1_b32 s19, s19, exec_lo
	s_and_not1_b32 s18, s18, exec_lo
	;; [unrolled: 1-line block ×3, first 2 shown]
	s_and_b32 s24, vcc_lo, exec_lo
	s_and_b32 s8, s8, exec_lo
; %bb.285:                              ;   in Loop: Header=BB210_18 Depth=1
	s_or_b32 exec_lo, exec_lo, s25
	s_delay_alu instid0(SALU_CYCLE_1)
	s_and_not1_b32 s23, s23, exec_lo
	s_and_b32 s19, s19, exec_lo
	s_and_b32 s18, s18, exec_lo
	s_or_b32 s23, s23, s19
	s_and_not1_b32 s19, s70, exec_lo
	s_and_not1_b32 s25, s69, exec_lo
	s_and_b32 s9, s9, exec_lo
	s_or_b32 s70, s19, s18
	s_or_b32 s69, s25, s9
	s_and_b32 s24, s24, exec_lo
	s_and_b32 s25, s8, exec_lo
.LBB210_286:                            ;   in Loop: Header=BB210_18 Depth=1
	s_or_b32 exec_lo, exec_lo, s75
	s_delay_alu instid0(SALU_CYCLE_1)
	s_and_b32 vcc_lo, exec_lo, s74
	s_cbranch_vccz .LBB210_105
.LBB210_287:                            ;   in Loop: Header=BB210_18 Depth=1
	s_cmp_eq_u64 s[16:17], 1
                                        ; implicit-def: $sgpr18
                                        ; implicit-def: $sgpr19
                                        ; implicit-def: $sgpr23
	s_cselect_b32 s8, -1, 0
	s_delay_alu instid0(SALU_CYCLE_1)
	s_and_b32 s60, s8, s7
	s_mov_b32 s7, -1
	s_and_saveexec_b32 s61, s60
	s_cbranch_execz .LBB210_319
; %bb.288:                              ;   in Loop: Header=BB210_18 Depth=1
	ds_load_b64 v[2:3], v13 offset:5120
	s_waitcnt lgkmcnt(0)
	s_barrier
	buffer_gl0_inv
	v_readfirstlane_b32 s8, v2
	v_readfirstlane_b32 s9, v3
	s_and_saveexec_b32 s7, s6
	s_cbranch_execz .LBB210_290
; %bb.289:                              ;   in Loop: Header=BB210_18 Depth=1
	ds_store_b16 v26, v13
.LBB210_290:                            ;   in Loop: Header=BB210_18 Depth=1
	s_or_b32 exec_lo, exec_lo, s7
	v_or_b32_e32 v31, s20, v31
	v_or_b32_e32 v30, s20, v30
	s_cmp_eq_u64 s[8:9], 0
	s_waitcnt lgkmcnt(0)
	s_barrier
	buffer_gl0_inv
	s_cbranch_scc1 .LBB210_302
; %bb.291:                              ;   in Loop: Header=BB210_18 Depth=1
	s_add_u32 s23, s86, s8
	s_addc_u32 s19, s87, s9
	s_mov_b32 s18, s71
	s_delay_alu instid0(SALU_CYCLE_1)
	s_cmp_lg_u64 s[18:19], 0
	s_cbranch_scc0 .LBB210_346
; %bb.292:                              ;   in Loop: Header=BB210_18 Depth=1
	v_cvt_f32_u32_e32 v2, s35
	s_sub_u32 s26, 0, s35
	s_subb_u32 s62, 0, 0
	s_delay_alu instid0(VALU_DEP_1) | instskip(NEXT) | instid1(VALU_DEP_1)
	v_fmac_f32_e64 v2, 0, 0x4f800000
	v_rcp_f32_e32 v2, v2
	s_waitcnt_depctr 0xfff
	v_mul_f32_e32 v2, 0x5f7ffffc, v2
	s_delay_alu instid0(VALU_DEP_1) | instskip(NEXT) | instid1(VALU_DEP_1)
	v_mul_f32_e32 v3, 0x2f800000, v2
	v_trunc_f32_e32 v3, v3
	s_delay_alu instid0(VALU_DEP_1) | instskip(SKIP_1) | instid1(VALU_DEP_2)
	v_fmac_f32_e32 v2, 0xcf800000, v3
	v_cvt_u32_f32_e32 v3, v3
	v_cvt_u32_f32_e32 v2, v2
	s_delay_alu instid0(VALU_DEP_2) | instskip(NEXT) | instid1(VALU_DEP_2)
	v_readfirstlane_b32 s7, v3
	v_readfirstlane_b32 s18, v2
	s_delay_alu instid0(VALU_DEP_2) | instskip(NEXT) | instid1(VALU_DEP_1)
	s_mul_i32 s63, s26, s7
	s_mul_hi_u32 s70, s26, s18
	s_mul_i32 s69, s62, s18
	s_add_i32 s63, s70, s63
	s_mul_i32 s74, s26, s18
	s_add_i32 s63, s63, s69
	s_mul_hi_u32 s70, s18, s74
	s_mul_hi_u32 s75, s7, s74
	s_mul_i32 s69, s7, s74
	s_mul_hi_u32 s74, s18, s63
	s_mul_i32 s18, s18, s63
	s_mul_hi_u32 s76, s7, s63
	s_add_u32 s18, s70, s18
	s_addc_u32 s70, 0, s74
	s_add_u32 s18, s18, s69
	s_mul_i32 s63, s7, s63
	s_addc_u32 s18, s70, s75
	s_addc_u32 s69, s76, 0
	s_add_u32 s18, s18, s63
	s_addc_u32 s63, 0, s69
	v_add_co_u32 v2, s18, v2, s18
	s_delay_alu instid0(VALU_DEP_1) | instskip(SKIP_1) | instid1(VALU_DEP_1)
	s_cmp_lg_u32 s18, 0
	s_addc_u32 s7, s7, s63
	v_readfirstlane_b32 s18, v2
	s_mul_i32 s63, s26, s7
	s_delay_alu instid0(VALU_DEP_1)
	s_mul_hi_u32 s69, s26, s18
	s_mul_i32 s62, s62, s18
	s_add_i32 s63, s69, s63
	s_mul_i32 s26, s26, s18
	s_add_i32 s63, s63, s62
	s_mul_hi_u32 s69, s7, s26
	s_mul_i32 s70, s7, s26
	s_mul_hi_u32 s26, s18, s26
	s_mul_hi_u32 s74, s18, s63
	s_mul_i32 s18, s18, s63
	s_mul_hi_u32 s62, s7, s63
	s_add_u32 s18, s26, s18
	s_addc_u32 s26, 0, s74
	s_add_u32 s18, s18, s70
	s_mul_i32 s63, s7, s63
	s_addc_u32 s18, s26, s69
	s_addc_u32 s26, s62, 0
	s_add_u32 s18, s18, s63
	s_addc_u32 s26, 0, s26
	v_add_co_u32 v2, s18, v2, s18
	s_delay_alu instid0(VALU_DEP_1) | instskip(SKIP_1) | instid1(VALU_DEP_1)
	s_cmp_lg_u32 s18, 0
	s_addc_u32 s7, s7, s26
	v_readfirstlane_b32 s18, v2
	s_mul_i32 s62, s23, s7
	s_mul_hi_u32 s26, s23, s7
	s_mul_hi_u32 s63, s19, s7
	s_mul_i32 s7, s19, s7
	s_mul_hi_u32 s69, s23, s18
	s_mul_hi_u32 s70, s19, s18
	s_mul_i32 s18, s19, s18
	s_add_u32 s62, s69, s62
	s_addc_u32 s26, 0, s26
	s_add_u32 s18, s62, s18
	s_addc_u32 s18, s26, s70
	s_addc_u32 s26, s63, 0
	s_add_u32 s7, s18, s7
	s_addc_u32 s18, 0, s26
	s_mul_hi_u32 s26, s35, s7
	s_mul_i32 s7, s35, s7
	s_mul_i32 s18, s35, s18
	v_sub_co_u32 v2, s7, s23, s7
	s_add_i32 s26, s26, s18
	s_cmp_lg_u32 s7, 0
	s_delay_alu instid0(VALU_DEP_1) | instskip(SKIP_3) | instid1(VALU_DEP_2)
	v_sub_co_u32 v3, s7, v2, s35
	s_subb_u32 s18, s19, s26
	s_cmp_lg_u32 s7, 0
	v_cmp_le_u32_e32 vcc_lo, s35, v2
	v_cmp_le_u32_e64 s7, s35, v3
	v_sub_co_u32 v4, s26, v3, s35
	s_subb_u32 s62, s18, 0
	s_cmp_lg_u32 s26, 0
	s_delay_alu instid0(VALU_DEP_2)
	v_cndmask_b32_e64 v5, 0, -1, s7
	s_subb_u32 s26, s62, 0
	s_cmp_eq_u32 s62, 0
	v_mov_b32_e32 v7, s26
	v_cndmask_b32_e64 v6, 0, -1, vcc_lo
	s_cselect_b32 vcc_lo, -1, 0
	s_cmp_eq_u32 s18, 0
	v_cndmask_b32_e32 v5, -1, v5, vcc_lo
	s_cselect_b32 vcc_lo, -1, 0
	v_cndmask_b32_e32 v6, -1, v6, vcc_lo
	s_delay_alu instid0(VALU_DEP_2) | instskip(NEXT) | instid1(VALU_DEP_2)
	v_cmp_ne_u32_e32 vcc_lo, 0, v5
	v_cmp_ne_u32_e64 s7, 0, v6
	v_cndmask_b32_e32 v5, s62, v7, vcc_lo
	v_cndmask_b32_e32 v4, v3, v4, vcc_lo
	s_delay_alu instid0(VALU_DEP_2) | instskip(NEXT) | instid1(VALU_DEP_2)
	v_cndmask_b32_e64 v3, s18, v5, s7
	v_cndmask_b32_e64 v2, v2, v4, s7
	s_cbranch_execnz .LBB210_294
.LBB210_293:                            ;   in Loop: Header=BB210_18 Depth=1
	v_cvt_f32_u32_e32 v2, s35
	s_sub_i32 s7, 0, s35
	s_delay_alu instid0(VALU_DEP_1) | instskip(SKIP_2) | instid1(VALU_DEP_1)
	v_rcp_iflag_f32_e32 v2, v2
	s_waitcnt_depctr 0xfff
	v_mul_f32_e32 v2, 0x4f7ffffe, v2
	v_cvt_u32_f32_e32 v2, v2
	s_delay_alu instid0(VALU_DEP_1) | instskip(NEXT) | instid1(VALU_DEP_1)
	v_mul_lo_u32 v3, s7, v2
	v_mul_hi_u32 v3, v2, v3
	s_delay_alu instid0(VALU_DEP_1) | instskip(NEXT) | instid1(VALU_DEP_1)
	v_add_nc_u32_e32 v2, v2, v3
	v_mul_hi_u32 v2, s23, v2
	s_delay_alu instid0(VALU_DEP_1) | instskip(NEXT) | instid1(VALU_DEP_1)
	v_mul_lo_u32 v2, v2, s35
	v_sub_nc_u32_e32 v2, s23, v2
	s_delay_alu instid0(VALU_DEP_1) | instskip(SKIP_1) | instid1(VALU_DEP_2)
	v_subrev_nc_u32_e32 v3, s35, v2
	v_cmp_le_u32_e32 vcc_lo, s35, v2
	v_cndmask_b32_e32 v2, v2, v3, vcc_lo
	s_delay_alu instid0(VALU_DEP_1) | instskip(SKIP_1) | instid1(VALU_DEP_2)
	v_subrev_nc_u32_e32 v3, s35, v2
	v_cmp_le_u32_e32 vcc_lo, s35, v2
	v_cndmask_b32_e32 v12, v2, v3, vcc_lo
	s_delay_alu instid0(VALU_DEP_1)
	v_dual_mov_b32 v2, v12 :: v_dual_mov_b32 v3, v13
.LBB210_294:                            ;   in Loop: Header=BB210_18 Depth=1
	s_delay_alu instid0(VALU_DEP_1) | instskip(NEXT) | instid1(VALU_DEP_2)
	v_sub_co_u32 v2, vcc_lo, s23, v2
	v_sub_co_ci_u32_e32 v3, vcc_lo, s19, v3, vcc_lo
	s_mov_b32 s7, 0
	s_mov_b32 s18, exec_lo
                                        ; implicit-def: $vgpr32
	s_delay_alu instid0(VALU_DEP_1)
	v_cmpx_gt_u64_e64 v[2:3], v[0:1]
	s_cbranch_execz .LBB210_304
; %bb.295:                              ;   in Loop: Header=BB210_18 Depth=1
	v_mov_b32_e32 v6, v25
	v_dual_mov_b32 v5, v1 :: v_dual_mov_b32 v4, v0
	s_mov_b32 s19, 0
                                        ; implicit-def: $sgpr23
	s_set_inst_prefetch_distance 0x1
	s_branch .LBB210_297
	.p2align	6
.LBB210_296:                            ;   in Loop: Header=BB210_297 Depth=2
	s_or_b32 exec_lo, exec_lo, s7
	s_waitcnt lgkmcnt(0)
	s_barrier
	buffer_gl0_inv
	ds_load_b32 v7, v13 offset:3072
	v_add_co_u32 v4, vcc_lo, v4, s35
	v_add_co_ci_u32_e32 v5, vcc_lo, 0, v5, vcc_lo
	v_add_nc_u32_e32 v6, s94, v6
	s_waitcnt lgkmcnt(0)
	s_barrier
	s_delay_alu instid0(VALU_DEP_2) | instskip(SKIP_2) | instid1(VALU_DEP_1)
	v_cmp_ge_u64_e32 vcc_lo, v[4:5], v[2:3]
	buffer_gl0_inv
	v_cmp_neq_f16_e64 s7, 0, v7
	s_or_b32 s26, vcc_lo, s7
	s_delay_alu instid0(SALU_CYCLE_1) | instskip(NEXT) | instid1(SALU_CYCLE_1)
	s_and_b32 s26, exec_lo, s26
	s_or_b32 s19, s26, s19
	s_and_not1_b32 s23, s23, exec_lo
	s_and_b32 s7, s7, exec_lo
	s_delay_alu instid0(SALU_CYCLE_1)
	s_or_b32 s23, s23, s7
	s_and_not1_b32 exec_lo, exec_lo, s19
	s_cbranch_execz .LBB210_303
.LBB210_297:                            ;   Parent Loop BB210_18 Depth=1
                                        ; =>  This Inner Loop Header: Depth=2
	s_delay_alu instid0(VALU_DEP_1)
	v_cmp_gt_u64_e32 vcc_lo, s[8:9], v[4:5]
	v_mov_b32_e32 v7, 0
	s_and_saveexec_b32 s7, vcc_lo
	s_cbranch_execz .LBB210_299
; %bb.298:                              ;   in Loop: Header=BB210_297 Depth=2
	ds_load_u16 v7, v6
.LBB210_299:                            ;   in Loop: Header=BB210_297 Depth=2
	s_or_b32 exec_lo, exec_lo, s7
	s_and_saveexec_b32 s7, vcc_lo
	s_cbranch_execz .LBB210_296
; %bb.300:                              ;   in Loop: Header=BB210_297 Depth=2
	s_waitcnt lgkmcnt(0)
	v_cmp_lt_i16_e32 vcc_lo, -1, v7
	v_dual_cndmask_b32 v9, 0xffff, v29 :: v_dual_and_b32 v8, 0xffff, v7
	v_cmp_o_f16_e32 vcc_lo, v7, v7
	s_delay_alu instid0(VALU_DEP_2) | instskip(NEXT) | instid1(VALU_DEP_1)
	v_xor_b32_e32 v8, v9, v8
	v_cndmask_b32_e32 v8, 0xffff, v8, vcc_lo
	s_delay_alu instid0(VALU_DEP_1) | instskip(NEXT) | instid1(VALU_DEP_1)
	v_and_b32_e32 v8, v8, v30
	v_cmp_eq_u32_e32 vcc_lo, v8, v31
	s_and_b32 exec_lo, exec_lo, vcc_lo
	s_cbranch_execz .LBB210_296
; %bb.301:                              ;   in Loop: Header=BB210_297 Depth=2
	v_perm_b32 v7, v7, s97, 0x5040100
	ds_store_b32 v13, v7 offset:3072
	s_branch .LBB210_296
.LBB210_302:                            ;   in Loop: Header=BB210_18 Depth=1
	s_mov_b32 s18, -1
	s_mov_b32 s7, 0
                                        ; implicit-def: $sgpr19
                                        ; implicit-def: $vgpr32
	s_mov_b32 s23, s18
	s_cbranch_execnz .LBB210_305
	s_branch .LBB210_318
.LBB210_303:                            ;   in Loop: Header=BB210_18 Depth=1
	s_set_inst_prefetch_distance 0x2
	s_or_b32 exec_lo, exec_lo, s19
	v_lshrrev_b32_e32 v32, 16, v7
	s_and_b32 s7, s23, exec_lo
.LBB210_304:                            ;   in Loop: Header=BB210_18 Depth=1
	s_or_b32 exec_lo, exec_lo, s18
	s_mov_b32 s18, 0
	s_mov_b32 s19, -1
	s_mov_b32 s23, s18
	s_branch .LBB210_318
.LBB210_305:                            ;   in Loop: Header=BB210_18 Depth=1
	s_mov_b32 s26, s71
	s_delay_alu instid0(SALU_CYCLE_1)
	s_cmp_lg_u64 s[26:27], 0
	s_cbranch_scc0 .LBB210_347
; %bb.306:                              ;   in Loop: Header=BB210_18 Depth=1
	v_cvt_f32_u32_e32 v2, s35
	s_sub_u32 s9, 0, s35
	s_subb_u32 s18, 0, 0
	s_delay_alu instid0(VALU_DEP_1) | instskip(NEXT) | instid1(VALU_DEP_1)
	v_fmac_f32_e64 v2, 0, 0x4f800000
	v_rcp_f32_e32 v2, v2
	s_waitcnt_depctr 0xfff
	v_mul_f32_e32 v2, 0x5f7ffffc, v2
	s_delay_alu instid0(VALU_DEP_1) | instskip(NEXT) | instid1(VALU_DEP_1)
	v_mul_f32_e32 v3, 0x2f800000, v2
	v_trunc_f32_e32 v3, v3
	s_delay_alu instid0(VALU_DEP_1) | instskip(SKIP_1) | instid1(VALU_DEP_2)
	v_fmac_f32_e32 v2, 0xcf800000, v3
	v_cvt_u32_f32_e32 v3, v3
	v_cvt_u32_f32_e32 v2, v2
	s_delay_alu instid0(VALU_DEP_2) | instskip(NEXT) | instid1(VALU_DEP_2)
	v_readfirstlane_b32 s7, v3
	v_readfirstlane_b32 s8, v2
	s_delay_alu instid0(VALU_DEP_2) | instskip(NEXT) | instid1(VALU_DEP_1)
	s_mul_i32 s19, s9, s7
	s_mul_hi_u32 s26, s9, s8
	s_mul_i32 s23, s18, s8
	s_add_i32 s19, s26, s19
	s_mul_i32 s62, s9, s8
	s_add_i32 s19, s19, s23
	s_mul_hi_u32 s26, s8, s62
	s_mul_hi_u32 s63, s7, s62
	s_mul_i32 s23, s7, s62
	s_mul_hi_u32 s62, s8, s19
	s_mul_i32 s8, s8, s19
	s_mul_hi_u32 s69, s7, s19
	s_add_u32 s8, s26, s8
	s_addc_u32 s26, 0, s62
	s_add_u32 s8, s8, s23
	s_mul_i32 s19, s7, s19
	s_addc_u32 s8, s26, s63
	s_addc_u32 s23, s69, 0
	s_add_u32 s8, s8, s19
	s_addc_u32 s19, 0, s23
	v_add_co_u32 v2, s8, v2, s8
	s_delay_alu instid0(VALU_DEP_1) | instskip(SKIP_1) | instid1(VALU_DEP_1)
	s_cmp_lg_u32 s8, 0
	s_addc_u32 s7, s7, s19
	v_readfirstlane_b32 s8, v2
	s_mul_i32 s19, s9, s7
	s_delay_alu instid0(VALU_DEP_1)
	s_mul_hi_u32 s23, s9, s8
	s_mul_i32 s18, s18, s8
	s_add_i32 s19, s23, s19
	s_mul_i32 s9, s9, s8
	s_add_i32 s19, s19, s18
	s_mul_hi_u32 s23, s7, s9
	s_mul_i32 s26, s7, s9
	s_mul_hi_u32 s9, s8, s9
	s_mul_hi_u32 s62, s8, s19
	s_mul_i32 s8, s8, s19
	s_mul_hi_u32 s18, s7, s19
	s_add_u32 s8, s9, s8
	s_addc_u32 s9, 0, s62
	s_add_u32 s8, s8, s26
	s_mul_i32 s19, s7, s19
	s_addc_u32 s8, s9, s23
	s_addc_u32 s9, s18, 0
	s_add_u32 s8, s8, s19
	s_addc_u32 s9, 0, s9
	v_add_co_u32 v2, s8, v2, s8
	s_delay_alu instid0(VALU_DEP_1) | instskip(SKIP_1) | instid1(VALU_DEP_1)
	s_cmp_lg_u32 s8, 0
	s_addc_u32 s7, s7, s9
	v_readfirstlane_b32 s8, v2
	s_mul_i32 s18, s88, s7
	s_mul_hi_u32 s9, s88, s7
	s_mul_hi_u32 s19, s27, s7
	s_mul_i32 s7, s27, s7
	s_mul_hi_u32 s23, s88, s8
	s_mul_hi_u32 s26, s27, s8
	s_mul_i32 s8, s27, s8
	s_add_u32 s18, s23, s18
	s_addc_u32 s9, 0, s9
	s_add_u32 s8, s18, s8
	s_addc_u32 s8, s9, s26
	s_addc_u32 s9, s19, 0
	s_add_u32 s7, s8, s7
	s_addc_u32 s8, 0, s9
	s_mul_hi_u32 s9, s35, s7
	s_mul_i32 s7, s35, s7
	s_mul_i32 s8, s35, s8
	v_sub_co_u32 v2, s7, s88, s7
	s_add_i32 s9, s9, s8
	s_cmp_lg_u32 s7, 0
	s_delay_alu instid0(VALU_DEP_1) | instskip(SKIP_2) | instid1(VALU_DEP_1)
	v_sub_co_u32 v3, s7, v2, s35
	s_subb_u32 s8, s27, s9
	s_cmp_lg_u32 s7, 0
	v_cmp_le_u32_e32 vcc_lo, s35, v3
	v_sub_co_u32 v4, s7, v3, s35
	s_subb_u32 s9, s8, 0
	s_cmp_lg_u32 s7, 0
	v_cndmask_b32_e64 v5, 0, -1, vcc_lo
	s_subb_u32 s7, s9, 0
	s_cmp_eq_u32 s9, 0
	v_mov_b32_e32 v7, s7
	s_cselect_b32 vcc_lo, -1, 0
	s_cmp_eq_u32 s8, 0
	v_cndmask_b32_e32 v5, -1, v5, vcc_lo
	v_cmp_le_u32_e32 vcc_lo, s35, v2
	s_cselect_b32 s7, -1, 0
	v_cndmask_b32_e64 v6, 0, -1, vcc_lo
	s_delay_alu instid0(VALU_DEP_3) | instskip(NEXT) | instid1(VALU_DEP_2)
	v_cmp_ne_u32_e32 vcc_lo, 0, v5
	v_cndmask_b32_e64 v5, -1, v6, s7
	v_cndmask_b32_e32 v6, s9, v7, vcc_lo
	v_cndmask_b32_e32 v4, v3, v4, vcc_lo
	s_delay_alu instid0(VALU_DEP_3) | instskip(NEXT) | instid1(VALU_DEP_3)
	v_cmp_ne_u32_e32 vcc_lo, 0, v5
	v_cndmask_b32_e32 v3, s8, v6, vcc_lo
	s_delay_alu instid0(VALU_DEP_3)
	v_cndmask_b32_e32 v2, v2, v4, vcc_lo
	s_cbranch_execnz .LBB210_308
.LBB210_307:                            ;   in Loop: Header=BB210_18 Depth=1
	v_cvt_f32_u32_e32 v2, s35
	s_sub_i32 s7, 0, s35
	s_delay_alu instid0(VALU_DEP_1) | instskip(SKIP_2) | instid1(VALU_DEP_1)
	v_rcp_iflag_f32_e32 v2, v2
	s_waitcnt_depctr 0xfff
	v_mul_f32_e32 v2, 0x4f7ffffe, v2
	v_cvt_u32_f32_e32 v2, v2
	s_delay_alu instid0(VALU_DEP_1) | instskip(NEXT) | instid1(VALU_DEP_1)
	v_mul_lo_u32 v3, s7, v2
	v_mul_hi_u32 v3, v2, v3
	s_delay_alu instid0(VALU_DEP_1) | instskip(NEXT) | instid1(VALU_DEP_1)
	v_add_nc_u32_e32 v2, v2, v3
	v_mul_hi_u32 v2, s88, v2
	s_delay_alu instid0(VALU_DEP_1) | instskip(NEXT) | instid1(VALU_DEP_1)
	v_mul_lo_u32 v2, v2, s35
	v_sub_nc_u32_e32 v2, s88, v2
	s_delay_alu instid0(VALU_DEP_1) | instskip(SKIP_1) | instid1(VALU_DEP_2)
	v_subrev_nc_u32_e32 v3, s35, v2
	v_cmp_le_u32_e32 vcc_lo, s35, v2
	v_cndmask_b32_e32 v2, v2, v3, vcc_lo
	s_delay_alu instid0(VALU_DEP_1) | instskip(SKIP_1) | instid1(VALU_DEP_2)
	v_subrev_nc_u32_e32 v3, s35, v2
	v_cmp_le_u32_e32 vcc_lo, s35, v2
	v_cndmask_b32_e32 v12, v2, v3, vcc_lo
	s_delay_alu instid0(VALU_DEP_1)
	v_dual_mov_b32 v2, v12 :: v_dual_mov_b32 v3, v13
.LBB210_308:                            ;   in Loop: Header=BB210_18 Depth=1
	s_delay_alu instid0(VALU_DEP_1) | instskip(NEXT) | instid1(VALU_DEP_2)
	v_sub_co_u32 v2, vcc_lo, s88, v2
	v_sub_co_ci_u32_e32 v3, vcc_lo, s27, v3, vcc_lo
	s_mov_b32 s7, 0
	s_mov_b32 s8, exec_lo
                                        ; implicit-def: $vgpr32
	s_delay_alu instid0(VALU_DEP_1)
	v_cmpx_gt_u64_e64 v[2:3], v[0:1]
	s_cbranch_execz .LBB210_317
; %bb.309:                              ;   in Loop: Header=BB210_18 Depth=1
	v_dual_mov_b32 v5, v1 :: v_dual_mov_b32 v4, v0
	s_mov_b32 s9, 0
                                        ; implicit-def: $sgpr18
	s_branch .LBB210_311
.LBB210_310:                            ;   in Loop: Header=BB210_311 Depth=2
	s_or_b32 exec_lo, exec_lo, s7
	s_waitcnt vmcnt(0) lgkmcnt(0)
	s_barrier
	buffer_gl0_inv
	ds_load_b32 v6, v13 offset:3072
	v_add_co_u32 v4, vcc_lo, v4, s35
	v_add_co_ci_u32_e32 v5, vcc_lo, 0, v5, vcc_lo
	s_waitcnt lgkmcnt(0)
	s_barrier
	buffer_gl0_inv
	v_cmp_ge_u64_e32 vcc_lo, v[4:5], v[2:3]
	v_cmp_neq_f16_e64 s7, 0, v6
	s_delay_alu instid0(VALU_DEP_1) | instskip(NEXT) | instid1(SALU_CYCLE_1)
	s_or_b32 s19, vcc_lo, s7
	s_and_b32 s19, exec_lo, s19
	s_delay_alu instid0(SALU_CYCLE_1) | instskip(SKIP_2) | instid1(SALU_CYCLE_1)
	s_or_b32 s9, s19, s9
	s_and_not1_b32 s18, s18, exec_lo
	s_and_b32 s7, s7, exec_lo
	s_or_b32 s18, s18, s7
	s_and_not1_b32 exec_lo, exec_lo, s9
	s_cbranch_execz .LBB210_316
.LBB210_311:                            ;   Parent Loop BB210_18 Depth=1
                                        ; =>  This Inner Loop Header: Depth=2
	s_delay_alu instid0(VALU_DEP_1)
	v_cmp_gt_u64_e32 vcc_lo, s[36:37], v[4:5]
	v_mov_b32_e32 v6, 0
	s_and_saveexec_b32 s19, vcc_lo
	s_cbranch_execz .LBB210_313
; %bb.312:                              ;   in Loop: Header=BB210_311 Depth=2
	v_mul_lo_u32 v8, v5, s30
	v_mul_lo_u32 v9, v4, s31
	v_mad_u64_u32 v[6:7], null, v4, s30, 0
	s_delay_alu instid0(VALU_DEP_1) | instskip(NEXT) | instid1(VALU_DEP_1)
	v_add3_u32 v7, v7, v9, v8
	v_lshlrev_b64 v[6:7], 1, v[6:7]
	s_delay_alu instid0(VALU_DEP_1) | instskip(NEXT) | instid1(VALU_DEP_1)
	v_add_co_u32 v6, s7, s29, v6
	v_add_co_ci_u32_e64 v7, s7, s33, v7, s7
	global_load_u16 v6, v[6:7], off
.LBB210_313:                            ;   in Loop: Header=BB210_311 Depth=2
	s_or_b32 exec_lo, exec_lo, s19
	s_and_saveexec_b32 s7, vcc_lo
	s_cbranch_execz .LBB210_310
; %bb.314:                              ;   in Loop: Header=BB210_311 Depth=2
	s_waitcnt vmcnt(0)
	v_cmp_lt_i16_e32 vcc_lo, -1, v6
	v_dual_cndmask_b32 v8, 0xffff, v29 :: v_dual_and_b32 v7, 0xffff, v6
	v_cmp_o_f16_e32 vcc_lo, v6, v6
	s_delay_alu instid0(VALU_DEP_2) | instskip(NEXT) | instid1(VALU_DEP_1)
	v_xor_b32_e32 v7, v8, v7
	v_cndmask_b32_e32 v7, 0xffff, v7, vcc_lo
	s_delay_alu instid0(VALU_DEP_1) | instskip(NEXT) | instid1(VALU_DEP_1)
	v_and_b32_e32 v7, v7, v30
	v_cmp_eq_u32_e32 vcc_lo, v7, v31
	s_and_b32 exec_lo, exec_lo, vcc_lo
	s_cbranch_execz .LBB210_310
; %bb.315:                              ;   in Loop: Header=BB210_311 Depth=2
	v_perm_b32 v6, v6, s97, 0x5040100
	ds_store_b32 v13, v6 offset:3072
	s_branch .LBB210_310
.LBB210_316:                            ;   in Loop: Header=BB210_18 Depth=1
	s_or_b32 exec_lo, exec_lo, s9
	v_lshrrev_b32_e32 v32, 16, v6
	s_and_b32 s7, s18, exec_lo
.LBB210_317:                            ;   in Loop: Header=BB210_18 Depth=1
	s_or_b32 exec_lo, exec_lo, s8
	s_mov_b32 s19, 0
	s_mov_b32 s18, -1
	s_mov_b32 s23, 0
.LBB210_318:                            ;   in Loop: Header=BB210_18 Depth=1
	s_or_not1_b32 s7, s7, exec_lo
.LBB210_319:                            ;   in Loop: Header=BB210_18 Depth=1
	s_or_b32 exec_lo, exec_lo, s61
                                        ; implicit-def: $vgpr7
                                        ; implicit-def: $vgpr2_vgpr3
                                        ; implicit-def: $vgpr8
                                        ; implicit-def: $vgpr9
                                        ; implicit-def: $vgpr6
	s_and_saveexec_b32 s69, s7
	s_cbranch_execz .LBB210_482
; %bb.320:                              ;   in Loop: Header=BB210_18 Depth=1
	v_dual_mov_b32 v2, 1 :: v_dual_mov_b32 v7, 1
	v_mov_b32_e32 v3, 0
	s_xor_b32 s8, s60, -1
	s_mov_b32 s26, 0
	s_and_saveexec_b32 s7, s8
	s_cbranch_execz .LBB210_330
; %bb.321:                              ;   in Loop: Header=BB210_18 Depth=1
	s_mov_b32 s9, exec_lo
                                        ; implicit-def: $sgpr26
                                        ; implicit-def: $sgpr8
	v_cmpx_ge_u64_e64 s[16:17], v[16:17]
	s_xor_b32 s9, exec_lo, s9
	s_cbranch_execz .LBB210_327
; %bb.322:                              ;   in Loop: Header=BB210_18 Depth=1
	ds_load_b64 v[2:3], v13 offset:5120
	s_waitcnt lgkmcnt(0)
	v_cmp_ne_u64_e32 vcc_lo, 0, v[2:3]
	s_cbranch_vccnz .LBB210_326
; %bb.323:                              ;   in Loop: Header=BB210_18 Depth=1
	s_and_saveexec_b32 s8, s5
	s_cbranch_execz .LBB210_325
; %bb.324:                              ;   in Loop: Header=BB210_18 Depth=1
	v_dual_mov_b32 v2, s16 :: v_dual_mov_b32 v3, s17
	ds_store_b64 v13, v[2:3] offset:5128
.LBB210_325:                            ;   in Loop: Header=BB210_18 Depth=1
	s_or_b32 exec_lo, exec_lo, s8
	s_waitcnt lgkmcnt(0)
	s_barrier
	buffer_gl0_inv
.LBB210_326:                            ;   in Loop: Header=BB210_18 Depth=1
	v_or_b32_e32 v31, s20, v31
	v_or_b32_e32 v30, s20, v30
	s_mov_b32 s8, 0
	s_mov_b32 s26, 5
.LBB210_327:                            ;   in Loop: Header=BB210_18 Depth=1
	s_or_saveexec_b32 s9, s9
	v_mov_b32_e32 v7, s26
	s_xor_b32 exec_lo, exec_lo, s9
; %bb.328:                              ;   in Loop: Header=BB210_18 Depth=1
	v_sub_co_u32 v16, vcc_lo, v16, s16
	v_subrev_co_ci_u32_e32 v17, vcc_lo, s17, v17, vcc_lo
	v_mov_b32_e32 v7, 0
	s_or_b32 s8, s8, exec_lo
; %bb.329:                              ;   in Loop: Header=BB210_18 Depth=1
	s_or_b32 exec_lo, exec_lo, s9
	s_delay_alu instid0(VALU_DEP_2)
	v_dual_mov_b32 v2, v16 :: v_dual_mov_b32 v3, v17
	s_and_b32 s26, s8, exec_lo
.LBB210_330:                            ;   in Loop: Header=BB210_18 Depth=1
	s_or_b32 exec_lo, exec_lo, s7
	s_mov_b32 s17, -1
                                        ; implicit-def: $sgpr8
                                        ; implicit-def: $sgpr9
                                        ; implicit-def: $sgpr16
	s_and_saveexec_b32 s7, s26
	s_delay_alu instid0(SALU_CYCLE_1)
	s_xor_b32 s70, exec_lo, s7
	s_cbranch_execz .LBB210_479
; %bb.331:                              ;   in Loop: Header=BB210_18 Depth=1
	v_cmp_eq_u64_e32 vcc_lo, 1, v[2:3]
	s_cmp_eq_u64 s[14:15], 1
                                        ; implicit-def: $sgpr16
                                        ; implicit-def: $sgpr17
                                        ; implicit-def: $sgpr74
	s_cselect_b32 s7, -1, 0
	s_delay_alu instid0(SALU_CYCLE_1)
	s_and_b32 s60, s7, vcc_lo
	s_mov_b32 s7, -1
	s_and_saveexec_b32 s61, s60
	s_cbranch_execz .LBB210_365
; %bb.332:                              ;   in Loop: Header=BB210_18 Depth=1
	ds_load_b64 v[4:5], v13 offset:5120
	s_waitcnt lgkmcnt(0)
	s_barrier
	buffer_gl0_inv
	v_readfirstlane_b32 s8, v4
	v_readfirstlane_b32 s9, v5
	s_and_saveexec_b32 s7, s6
	s_cbranch_execz .LBB210_334
; %bb.333:                              ;   in Loop: Header=BB210_18 Depth=1
	ds_store_b16 v26, v13
.LBB210_334:                            ;   in Loop: Header=BB210_18 Depth=1
	s_or_b32 exec_lo, exec_lo, s7
	s_lshl_b32 s7, 2, s22
	v_or_b32_e32 v30, s20, v30
	v_and_or_b32 v31, v31, s21, s7
	s_cmp_eq_u64 s[8:9], 0
	s_waitcnt lgkmcnt(0)
	s_barrier
	buffer_gl0_inv
	s_cbranch_scc1 .LBB210_348
; %bb.335:                              ;   in Loop: Header=BB210_18 Depth=1
	s_add_u32 s26, s86, s8
	s_addc_u32 s17, s87, s9
	s_mov_b32 s16, s71
	s_delay_alu instid0(SALU_CYCLE_1)
	s_cmp_lg_u64 s[16:17], 0
	s_cbranch_scc0 .LBB210_392
; %bb.336:                              ;   in Loop: Header=BB210_18 Depth=1
	v_cvt_f32_u32_e32 v4, s35
	s_sub_u32 s62, 0, s35
	s_subb_u32 s63, 0, 0
	s_delay_alu instid0(VALU_DEP_1) | instskip(NEXT) | instid1(VALU_DEP_1)
	v_fmac_f32_e64 v4, 0, 0x4f800000
	v_rcp_f32_e32 v4, v4
	s_waitcnt_depctr 0xfff
	v_mul_f32_e32 v4, 0x5f7ffffc, v4
	s_delay_alu instid0(VALU_DEP_1) | instskip(NEXT) | instid1(VALU_DEP_1)
	v_mul_f32_e32 v5, 0x2f800000, v4
	v_trunc_f32_e32 v5, v5
	s_delay_alu instid0(VALU_DEP_1) | instskip(SKIP_1) | instid1(VALU_DEP_2)
	v_fmac_f32_e32 v4, 0xcf800000, v5
	v_cvt_u32_f32_e32 v5, v5
	v_cvt_u32_f32_e32 v4, v4
	s_delay_alu instid0(VALU_DEP_2) | instskip(NEXT) | instid1(VALU_DEP_2)
	v_readfirstlane_b32 s7, v5
	v_readfirstlane_b32 s16, v4
	s_delay_alu instid0(VALU_DEP_2) | instskip(NEXT) | instid1(VALU_DEP_1)
	s_mul_i32 s74, s62, s7
	s_mul_hi_u32 s76, s62, s16
	s_mul_i32 s75, s63, s16
	s_add_i32 s74, s76, s74
	s_mul_i32 s77, s62, s16
	s_add_i32 s74, s74, s75
	s_mul_hi_u32 s76, s16, s77
	s_mul_hi_u32 s78, s7, s77
	s_mul_i32 s75, s7, s77
	s_mul_hi_u32 s77, s16, s74
	s_mul_i32 s16, s16, s74
	s_mul_hi_u32 s79, s7, s74
	s_add_u32 s16, s76, s16
	s_addc_u32 s76, 0, s77
	s_add_u32 s16, s16, s75
	s_mul_i32 s74, s7, s74
	s_addc_u32 s16, s76, s78
	s_addc_u32 s75, s79, 0
	s_add_u32 s16, s16, s74
	s_addc_u32 s74, 0, s75
	v_add_co_u32 v4, s16, v4, s16
	s_delay_alu instid0(VALU_DEP_1) | instskip(SKIP_1) | instid1(VALU_DEP_1)
	s_cmp_lg_u32 s16, 0
	s_addc_u32 s7, s7, s74
	v_readfirstlane_b32 s16, v4
	s_mul_i32 s74, s62, s7
	s_delay_alu instid0(VALU_DEP_1)
	s_mul_hi_u32 s75, s62, s16
	s_mul_i32 s63, s63, s16
	s_add_i32 s74, s75, s74
	s_mul_i32 s62, s62, s16
	s_add_i32 s74, s74, s63
	s_mul_hi_u32 s75, s7, s62
	s_mul_i32 s76, s7, s62
	s_mul_hi_u32 s62, s16, s62
	s_mul_hi_u32 s77, s16, s74
	s_mul_i32 s16, s16, s74
	s_mul_hi_u32 s63, s7, s74
	s_add_u32 s16, s62, s16
	s_addc_u32 s62, 0, s77
	s_add_u32 s16, s16, s76
	s_mul_i32 s74, s7, s74
	s_addc_u32 s16, s62, s75
	s_addc_u32 s62, s63, 0
	s_add_u32 s16, s16, s74
	s_addc_u32 s62, 0, s62
	v_add_co_u32 v4, s16, v4, s16
	s_delay_alu instid0(VALU_DEP_1) | instskip(SKIP_1) | instid1(VALU_DEP_1)
	s_cmp_lg_u32 s16, 0
	s_addc_u32 s7, s7, s62
	v_readfirstlane_b32 s16, v4
	s_mul_i32 s63, s26, s7
	s_mul_hi_u32 s62, s26, s7
	s_mul_hi_u32 s74, s17, s7
	s_mul_i32 s7, s17, s7
	s_mul_hi_u32 s75, s26, s16
	s_mul_hi_u32 s76, s17, s16
	s_mul_i32 s16, s17, s16
	s_add_u32 s63, s75, s63
	s_addc_u32 s62, 0, s62
	s_add_u32 s16, s63, s16
	s_addc_u32 s16, s62, s76
	s_addc_u32 s62, s74, 0
	s_add_u32 s7, s16, s7
	s_addc_u32 s16, 0, s62
	s_mul_hi_u32 s62, s35, s7
	s_mul_i32 s7, s35, s7
	s_mul_i32 s16, s35, s16
	v_sub_co_u32 v4, s7, s26, s7
	s_add_i32 s62, s62, s16
	s_cmp_lg_u32 s7, 0
	s_delay_alu instid0(VALU_DEP_1) | instskip(SKIP_3) | instid1(VALU_DEP_2)
	v_sub_co_u32 v5, s7, v4, s35
	s_subb_u32 s16, s17, s62
	s_cmp_lg_u32 s7, 0
	v_cmp_le_u32_e32 vcc_lo, s35, v4
	v_cmp_le_u32_e64 s7, s35, v5
	v_sub_co_u32 v6, s62, v5, s35
	s_subb_u32 s63, s16, 0
	s_cmp_lg_u32 s62, 0
	s_delay_alu instid0(VALU_DEP_2)
	v_cndmask_b32_e64 v7, 0, -1, s7
	s_subb_u32 s62, s63, 0
	s_cmp_eq_u32 s63, 0
	v_mov_b32_e32 v9, s62
	v_cndmask_b32_e64 v8, 0, -1, vcc_lo
	s_cselect_b32 vcc_lo, -1, 0
	s_cmp_eq_u32 s16, 0
	v_cndmask_b32_e32 v7, -1, v7, vcc_lo
	s_cselect_b32 vcc_lo, -1, 0
	v_cndmask_b32_e32 v8, -1, v8, vcc_lo
	s_delay_alu instid0(VALU_DEP_2) | instskip(NEXT) | instid1(VALU_DEP_2)
	v_cmp_ne_u32_e32 vcc_lo, 0, v7
	v_cmp_ne_u32_e64 s7, 0, v8
	v_cndmask_b32_e32 v7, s63, v9, vcc_lo
	v_cndmask_b32_e32 v6, v5, v6, vcc_lo
	s_delay_alu instid0(VALU_DEP_2) | instskip(NEXT) | instid1(VALU_DEP_2)
	v_cndmask_b32_e64 v5, s16, v7, s7
	v_cndmask_b32_e64 v4, v4, v6, s7
	s_cbranch_execnz .LBB210_338
.LBB210_337:                            ;   in Loop: Header=BB210_18 Depth=1
	v_cvt_f32_u32_e32 v4, s35
	s_sub_i32 s7, 0, s35
	s_delay_alu instid0(VALU_DEP_1) | instskip(SKIP_2) | instid1(VALU_DEP_1)
	v_rcp_iflag_f32_e32 v4, v4
	s_waitcnt_depctr 0xfff
	v_mul_f32_e32 v4, 0x4f7ffffe, v4
	v_cvt_u32_f32_e32 v4, v4
	s_delay_alu instid0(VALU_DEP_1) | instskip(NEXT) | instid1(VALU_DEP_1)
	v_mul_lo_u32 v5, s7, v4
	v_mul_hi_u32 v5, v4, v5
	s_delay_alu instid0(VALU_DEP_1) | instskip(NEXT) | instid1(VALU_DEP_1)
	v_add_nc_u32_e32 v4, v4, v5
	v_mul_hi_u32 v4, s26, v4
	s_delay_alu instid0(VALU_DEP_1) | instskip(NEXT) | instid1(VALU_DEP_1)
	v_mul_lo_u32 v4, v4, s35
	v_sub_nc_u32_e32 v4, s26, v4
	s_delay_alu instid0(VALU_DEP_1) | instskip(SKIP_1) | instid1(VALU_DEP_2)
	v_subrev_nc_u32_e32 v5, s35, v4
	v_cmp_le_u32_e32 vcc_lo, s35, v4
	v_cndmask_b32_e32 v4, v4, v5, vcc_lo
	s_delay_alu instid0(VALU_DEP_1) | instskip(SKIP_1) | instid1(VALU_DEP_2)
	v_subrev_nc_u32_e32 v5, s35, v4
	v_cmp_le_u32_e32 vcc_lo, s35, v4
	v_cndmask_b32_e32 v12, v4, v5, vcc_lo
	s_delay_alu instid0(VALU_DEP_1)
	v_dual_mov_b32 v4, v12 :: v_dual_mov_b32 v5, v13
.LBB210_338:                            ;   in Loop: Header=BB210_18 Depth=1
	s_delay_alu instid0(VALU_DEP_1) | instskip(NEXT) | instid1(VALU_DEP_2)
	v_sub_co_u32 v4, vcc_lo, s26, v4
	v_sub_co_ci_u32_e32 v5, vcc_lo, s17, v5, vcc_lo
	s_mov_b32 s7, 0
	s_mov_b32 s16, exec_lo
                                        ; implicit-def: $vgpr32
	s_delay_alu instid0(VALU_DEP_1)
	v_cmpx_gt_u64_e64 v[4:5], v[0:1]
	s_cbranch_execz .LBB210_350
; %bb.339:                              ;   in Loop: Header=BB210_18 Depth=1
	v_mov_b32_e32 v8, v25
	v_dual_mov_b32 v7, v1 :: v_dual_mov_b32 v6, v0
	s_mov_b32 s17, 0
                                        ; implicit-def: $sgpr26
	s_set_inst_prefetch_distance 0x1
	s_branch .LBB210_341
	.p2align	6
.LBB210_340:                            ;   in Loop: Header=BB210_341 Depth=2
	s_or_b32 exec_lo, exec_lo, s7
	s_waitcnt lgkmcnt(0)
	s_barrier
	buffer_gl0_inv
	ds_load_b32 v9, v13 offset:3072
	v_add_co_u32 v6, vcc_lo, v6, s35
	v_add_co_ci_u32_e32 v7, vcc_lo, 0, v7, vcc_lo
	v_add_nc_u32_e32 v8, s94, v8
	s_waitcnt lgkmcnt(0)
	s_barrier
	s_delay_alu instid0(VALU_DEP_2) | instskip(SKIP_2) | instid1(VALU_DEP_1)
	v_cmp_ge_u64_e32 vcc_lo, v[6:7], v[4:5]
	buffer_gl0_inv
	v_cmp_neq_f16_e64 s7, 0, v9
	s_or_b32 s62, vcc_lo, s7
	s_delay_alu instid0(SALU_CYCLE_1) | instskip(NEXT) | instid1(SALU_CYCLE_1)
	s_and_b32 s62, exec_lo, s62
	s_or_b32 s17, s62, s17
	s_and_not1_b32 s26, s26, exec_lo
	s_and_b32 s7, s7, exec_lo
	s_delay_alu instid0(SALU_CYCLE_1)
	s_or_b32 s26, s26, s7
	s_and_not1_b32 exec_lo, exec_lo, s17
	s_cbranch_execz .LBB210_349
.LBB210_341:                            ;   Parent Loop BB210_18 Depth=1
                                        ; =>  This Inner Loop Header: Depth=2
	s_delay_alu instid0(VALU_DEP_1)
	v_cmp_gt_u64_e32 vcc_lo, s[8:9], v[6:7]
	v_mov_b32_e32 v9, 0
	s_and_saveexec_b32 s7, vcc_lo
	s_cbranch_execz .LBB210_343
; %bb.342:                              ;   in Loop: Header=BB210_341 Depth=2
	ds_load_u16 v9, v8
.LBB210_343:                            ;   in Loop: Header=BB210_341 Depth=2
	s_or_b32 exec_lo, exec_lo, s7
	s_and_saveexec_b32 s7, vcc_lo
	s_cbranch_execz .LBB210_340
; %bb.344:                              ;   in Loop: Header=BB210_341 Depth=2
	s_waitcnt lgkmcnt(0)
	v_cmp_lt_i16_e32 vcc_lo, -1, v9
	v_and_b32_e32 v12, 0xffff, v9
	v_cndmask_b32_e32 v16, 0xffff, v29, vcc_lo
	v_cmp_o_f16_e32 vcc_lo, v9, v9
	s_delay_alu instid0(VALU_DEP_2) | instskip(NEXT) | instid1(VALU_DEP_1)
	v_xor_b32_e32 v12, v16, v12
	v_cndmask_b32_e32 v12, 0xffff, v12, vcc_lo
	s_delay_alu instid0(VALU_DEP_1) | instskip(NEXT) | instid1(VALU_DEP_1)
	v_and_b32_e32 v12, v12, v30
	v_cmp_eq_u32_e32 vcc_lo, v12, v31
	s_and_b32 exec_lo, exec_lo, vcc_lo
	s_cbranch_execz .LBB210_340
; %bb.345:                              ;   in Loop: Header=BB210_341 Depth=2
	v_perm_b32 v9, v9, s97, 0x5040100
	ds_store_b32 v13, v9 offset:3072
	s_branch .LBB210_340
.LBB210_346:                            ;   in Loop: Header=BB210_18 Depth=1
                                        ; implicit-def: $vgpr2_vgpr3
	s_branch .LBB210_293
.LBB210_347:                            ;   in Loop: Header=BB210_18 Depth=1
                                        ; implicit-def: $vgpr2_vgpr3
	s_branch .LBB210_307
.LBB210_348:                            ;   in Loop: Header=BB210_18 Depth=1
	s_mov_b32 s16, -1
	s_mov_b32 s7, 0
                                        ; implicit-def: $sgpr17
                                        ; implicit-def: $vgpr32
	s_mov_b32 s74, s16
	s_cbranch_execnz .LBB210_351
	s_branch .LBB210_364
.LBB210_349:                            ;   in Loop: Header=BB210_18 Depth=1
	s_set_inst_prefetch_distance 0x2
	s_or_b32 exec_lo, exec_lo, s17
	v_lshrrev_b32_e32 v32, 16, v9
	s_and_b32 s7, s26, exec_lo
.LBB210_350:                            ;   in Loop: Header=BB210_18 Depth=1
	s_or_b32 exec_lo, exec_lo, s16
	s_mov_b32 s16, 0
	s_mov_b32 s17, -1
	s_mov_b32 s74, s16
	s_branch .LBB210_364
.LBB210_351:                            ;   in Loop: Header=BB210_18 Depth=1
	s_mov_b32 s26, s71
	s_delay_alu instid0(SALU_CYCLE_1)
	s_cmp_lg_u64 s[26:27], 0
	s_cbranch_scc0 .LBB210_393
; %bb.352:                              ;   in Loop: Header=BB210_18 Depth=1
	v_cvt_f32_u32_e32 v4, s35
	s_sub_u32 s9, 0, s35
	s_subb_u32 s16, 0, 0
	s_delay_alu instid0(VALU_DEP_1) | instskip(NEXT) | instid1(VALU_DEP_1)
	v_fmac_f32_e64 v4, 0, 0x4f800000
	v_rcp_f32_e32 v4, v4
	s_waitcnt_depctr 0xfff
	v_mul_f32_e32 v4, 0x5f7ffffc, v4
	s_delay_alu instid0(VALU_DEP_1) | instskip(NEXT) | instid1(VALU_DEP_1)
	v_mul_f32_e32 v5, 0x2f800000, v4
	v_trunc_f32_e32 v5, v5
	s_delay_alu instid0(VALU_DEP_1) | instskip(SKIP_1) | instid1(VALU_DEP_2)
	v_fmac_f32_e32 v4, 0xcf800000, v5
	v_cvt_u32_f32_e32 v5, v5
	v_cvt_u32_f32_e32 v4, v4
	s_delay_alu instid0(VALU_DEP_2) | instskip(NEXT) | instid1(VALU_DEP_2)
	v_readfirstlane_b32 s7, v5
	v_readfirstlane_b32 s8, v4
	s_delay_alu instid0(VALU_DEP_2) | instskip(NEXT) | instid1(VALU_DEP_1)
	s_mul_i32 s17, s9, s7
	s_mul_hi_u32 s62, s9, s8
	s_mul_i32 s26, s16, s8
	s_add_i32 s17, s62, s17
	s_mul_i32 s63, s9, s8
	s_add_i32 s17, s17, s26
	s_mul_hi_u32 s62, s8, s63
	s_mul_hi_u32 s74, s7, s63
	s_mul_i32 s26, s7, s63
	s_mul_hi_u32 s63, s8, s17
	s_mul_i32 s8, s8, s17
	s_mul_hi_u32 s75, s7, s17
	s_add_u32 s8, s62, s8
	s_addc_u32 s62, 0, s63
	s_add_u32 s8, s8, s26
	s_mul_i32 s17, s7, s17
	s_addc_u32 s8, s62, s74
	s_addc_u32 s26, s75, 0
	s_add_u32 s8, s8, s17
	s_addc_u32 s17, 0, s26
	v_add_co_u32 v4, s8, v4, s8
	s_delay_alu instid0(VALU_DEP_1) | instskip(SKIP_1) | instid1(VALU_DEP_1)
	s_cmp_lg_u32 s8, 0
	s_addc_u32 s7, s7, s17
	v_readfirstlane_b32 s8, v4
	s_mul_i32 s17, s9, s7
	s_delay_alu instid0(VALU_DEP_1)
	s_mul_hi_u32 s26, s9, s8
	s_mul_i32 s16, s16, s8
	s_add_i32 s17, s26, s17
	s_mul_i32 s9, s9, s8
	s_add_i32 s17, s17, s16
	s_mul_hi_u32 s26, s7, s9
	s_mul_i32 s62, s7, s9
	s_mul_hi_u32 s9, s8, s9
	s_mul_hi_u32 s63, s8, s17
	s_mul_i32 s8, s8, s17
	s_mul_hi_u32 s16, s7, s17
	s_add_u32 s8, s9, s8
	s_addc_u32 s9, 0, s63
	s_add_u32 s8, s8, s62
	s_mul_i32 s17, s7, s17
	s_addc_u32 s8, s9, s26
	s_addc_u32 s9, s16, 0
	s_add_u32 s8, s8, s17
	s_addc_u32 s9, 0, s9
	v_add_co_u32 v4, s8, v4, s8
	s_delay_alu instid0(VALU_DEP_1) | instskip(SKIP_1) | instid1(VALU_DEP_1)
	s_cmp_lg_u32 s8, 0
	s_addc_u32 s7, s7, s9
	v_readfirstlane_b32 s8, v4
	s_mul_i32 s16, s88, s7
	s_mul_hi_u32 s9, s88, s7
	s_mul_hi_u32 s17, s27, s7
	s_mul_i32 s7, s27, s7
	s_mul_hi_u32 s26, s88, s8
	s_mul_hi_u32 s62, s27, s8
	s_mul_i32 s8, s27, s8
	s_add_u32 s16, s26, s16
	s_addc_u32 s9, 0, s9
	s_add_u32 s8, s16, s8
	s_addc_u32 s8, s9, s62
	s_addc_u32 s9, s17, 0
	s_add_u32 s7, s8, s7
	s_addc_u32 s8, 0, s9
	s_mul_hi_u32 s9, s35, s7
	s_mul_i32 s7, s35, s7
	s_mul_i32 s8, s35, s8
	v_sub_co_u32 v4, s7, s88, s7
	s_add_i32 s9, s9, s8
	s_cmp_lg_u32 s7, 0
	s_delay_alu instid0(VALU_DEP_1) | instskip(SKIP_2) | instid1(VALU_DEP_1)
	v_sub_co_u32 v5, s7, v4, s35
	s_subb_u32 s8, s27, s9
	s_cmp_lg_u32 s7, 0
	v_cmp_le_u32_e32 vcc_lo, s35, v5
	v_sub_co_u32 v6, s7, v5, s35
	s_subb_u32 s9, s8, 0
	s_cmp_lg_u32 s7, 0
	v_cndmask_b32_e64 v7, 0, -1, vcc_lo
	s_subb_u32 s7, s9, 0
	s_cmp_eq_u32 s9, 0
	v_mov_b32_e32 v9, s7
	s_cselect_b32 vcc_lo, -1, 0
	s_cmp_eq_u32 s8, 0
	v_cndmask_b32_e32 v7, -1, v7, vcc_lo
	v_cmp_le_u32_e32 vcc_lo, s35, v4
	s_cselect_b32 s7, -1, 0
	v_cndmask_b32_e64 v8, 0, -1, vcc_lo
	s_delay_alu instid0(VALU_DEP_3) | instskip(NEXT) | instid1(VALU_DEP_2)
	v_cmp_ne_u32_e32 vcc_lo, 0, v7
	v_cndmask_b32_e64 v7, -1, v8, s7
	v_cndmask_b32_e32 v8, s9, v9, vcc_lo
	v_cndmask_b32_e32 v6, v5, v6, vcc_lo
	s_delay_alu instid0(VALU_DEP_3) | instskip(NEXT) | instid1(VALU_DEP_3)
	v_cmp_ne_u32_e32 vcc_lo, 0, v7
	v_cndmask_b32_e32 v5, s8, v8, vcc_lo
	s_delay_alu instid0(VALU_DEP_3)
	v_cndmask_b32_e32 v4, v4, v6, vcc_lo
	s_cbranch_execnz .LBB210_354
.LBB210_353:                            ;   in Loop: Header=BB210_18 Depth=1
	v_cvt_f32_u32_e32 v4, s35
	s_sub_i32 s7, 0, s35
	s_delay_alu instid0(VALU_DEP_1) | instskip(SKIP_2) | instid1(VALU_DEP_1)
	v_rcp_iflag_f32_e32 v4, v4
	s_waitcnt_depctr 0xfff
	v_mul_f32_e32 v4, 0x4f7ffffe, v4
	v_cvt_u32_f32_e32 v4, v4
	s_delay_alu instid0(VALU_DEP_1) | instskip(NEXT) | instid1(VALU_DEP_1)
	v_mul_lo_u32 v5, s7, v4
	v_mul_hi_u32 v5, v4, v5
	s_delay_alu instid0(VALU_DEP_1) | instskip(NEXT) | instid1(VALU_DEP_1)
	v_add_nc_u32_e32 v4, v4, v5
	v_mul_hi_u32 v4, s88, v4
	s_delay_alu instid0(VALU_DEP_1) | instskip(NEXT) | instid1(VALU_DEP_1)
	v_mul_lo_u32 v4, v4, s35
	v_sub_nc_u32_e32 v4, s88, v4
	s_delay_alu instid0(VALU_DEP_1) | instskip(SKIP_1) | instid1(VALU_DEP_2)
	v_subrev_nc_u32_e32 v5, s35, v4
	v_cmp_le_u32_e32 vcc_lo, s35, v4
	v_cndmask_b32_e32 v4, v4, v5, vcc_lo
	s_delay_alu instid0(VALU_DEP_1) | instskip(SKIP_1) | instid1(VALU_DEP_2)
	v_subrev_nc_u32_e32 v5, s35, v4
	v_cmp_le_u32_e32 vcc_lo, s35, v4
	v_cndmask_b32_e32 v12, v4, v5, vcc_lo
	s_delay_alu instid0(VALU_DEP_1)
	v_dual_mov_b32 v4, v12 :: v_dual_mov_b32 v5, v13
.LBB210_354:                            ;   in Loop: Header=BB210_18 Depth=1
	s_delay_alu instid0(VALU_DEP_1) | instskip(NEXT) | instid1(VALU_DEP_2)
	v_sub_co_u32 v4, vcc_lo, s88, v4
	v_sub_co_ci_u32_e32 v5, vcc_lo, s27, v5, vcc_lo
	s_mov_b32 s7, 0
	s_mov_b32 s8, exec_lo
                                        ; implicit-def: $vgpr32
	s_delay_alu instid0(VALU_DEP_1)
	v_cmpx_gt_u64_e64 v[4:5], v[0:1]
	s_cbranch_execz .LBB210_363
; %bb.355:                              ;   in Loop: Header=BB210_18 Depth=1
	v_dual_mov_b32 v7, v1 :: v_dual_mov_b32 v6, v0
	s_mov_b32 s9, 0
                                        ; implicit-def: $sgpr16
	s_branch .LBB210_357
.LBB210_356:                            ;   in Loop: Header=BB210_357 Depth=2
	s_or_b32 exec_lo, exec_lo, s7
	s_waitcnt vmcnt(0) lgkmcnt(0)
	s_barrier
	buffer_gl0_inv
	ds_load_b32 v8, v13 offset:3072
	v_add_co_u32 v6, vcc_lo, v6, s35
	v_add_co_ci_u32_e32 v7, vcc_lo, 0, v7, vcc_lo
	s_waitcnt lgkmcnt(0)
	s_barrier
	buffer_gl0_inv
	v_cmp_ge_u64_e32 vcc_lo, v[6:7], v[4:5]
	v_cmp_neq_f16_e64 s7, 0, v8
	s_delay_alu instid0(VALU_DEP_1) | instskip(NEXT) | instid1(SALU_CYCLE_1)
	s_or_b32 s17, vcc_lo, s7
	s_and_b32 s17, exec_lo, s17
	s_delay_alu instid0(SALU_CYCLE_1) | instskip(SKIP_2) | instid1(SALU_CYCLE_1)
	s_or_b32 s9, s17, s9
	s_and_not1_b32 s16, s16, exec_lo
	s_and_b32 s7, s7, exec_lo
	s_or_b32 s16, s16, s7
	s_and_not1_b32 exec_lo, exec_lo, s9
	s_cbranch_execz .LBB210_362
.LBB210_357:                            ;   Parent Loop BB210_18 Depth=1
                                        ; =>  This Inner Loop Header: Depth=2
	s_delay_alu instid0(VALU_DEP_1)
	v_cmp_gt_u64_e32 vcc_lo, s[36:37], v[6:7]
	v_mov_b32_e32 v8, 0
	s_and_saveexec_b32 s17, vcc_lo
	s_cbranch_execz .LBB210_359
; %bb.358:                              ;   in Loop: Header=BB210_357 Depth=2
	v_mul_lo_u32 v12, v7, s30
	v_mul_lo_u32 v16, v6, s31
	v_mad_u64_u32 v[8:9], null, v6, s30, 0
	s_delay_alu instid0(VALU_DEP_1) | instskip(NEXT) | instid1(VALU_DEP_1)
	v_add3_u32 v9, v9, v16, v12
	v_lshlrev_b64 v[8:9], 1, v[8:9]
	s_delay_alu instid0(VALU_DEP_1) | instskip(NEXT) | instid1(VALU_DEP_1)
	v_add_co_u32 v8, s7, s29, v8
	v_add_co_ci_u32_e64 v9, s7, s33, v9, s7
	global_load_u16 v8, v[8:9], off
.LBB210_359:                            ;   in Loop: Header=BB210_357 Depth=2
	s_or_b32 exec_lo, exec_lo, s17
	s_and_saveexec_b32 s7, vcc_lo
	s_cbranch_execz .LBB210_356
; %bb.360:                              ;   in Loop: Header=BB210_357 Depth=2
	s_waitcnt vmcnt(0)
	v_cmp_lt_i16_e32 vcc_lo, -1, v8
	v_dual_cndmask_b32 v12, 0xffff, v29 :: v_dual_and_b32 v9, 0xffff, v8
	v_cmp_o_f16_e32 vcc_lo, v8, v8
	s_delay_alu instid0(VALU_DEP_2) | instskip(NEXT) | instid1(VALU_DEP_1)
	v_xor_b32_e32 v9, v12, v9
	v_cndmask_b32_e32 v9, 0xffff, v9, vcc_lo
	s_delay_alu instid0(VALU_DEP_1) | instskip(NEXT) | instid1(VALU_DEP_1)
	v_and_b32_e32 v9, v9, v30
	v_cmp_eq_u32_e32 vcc_lo, v9, v31
	s_and_b32 exec_lo, exec_lo, vcc_lo
	s_cbranch_execz .LBB210_356
; %bb.361:                              ;   in Loop: Header=BB210_357 Depth=2
	v_perm_b32 v8, v8, s97, 0x5040100
	ds_store_b32 v13, v8 offset:3072
	s_branch .LBB210_356
.LBB210_362:                            ;   in Loop: Header=BB210_18 Depth=1
	s_or_b32 exec_lo, exec_lo, s9
	v_lshrrev_b32_e32 v32, 16, v8
	s_and_b32 s7, s16, exec_lo
.LBB210_363:                            ;   in Loop: Header=BB210_18 Depth=1
	s_or_b32 exec_lo, exec_lo, s8
	s_mov_b32 s17, 0
	s_mov_b32 s16, -1
	s_mov_b32 s74, 0
.LBB210_364:                            ;   in Loop: Header=BB210_18 Depth=1
	s_or_not1_b32 s7, s7, exec_lo
.LBB210_365:                            ;   in Loop: Header=BB210_18 Depth=1
	s_or_b32 exec_lo, exec_lo, s61
	s_mov_b32 s26, 0
                                        ; implicit-def: $vgpr7
	s_and_saveexec_b32 s75, s7
	s_cbranch_execz .LBB210_478
; %bb.366:                              ;   in Loop: Header=BB210_18 Depth=1
	v_dual_mov_b32 v4, 1 :: v_dual_mov_b32 v7, 1
	v_mov_b32_e32 v5, 0
	s_xor_b32 s8, s60, -1
	s_delay_alu instid0(SALU_CYCLE_1)
	s_and_saveexec_b32 s7, s8
	s_cbranch_execz .LBB210_376
; %bb.367:                              ;   in Loop: Header=BB210_18 Depth=1
	s_mov_b32 s9, exec_lo
                                        ; implicit-def: $sgpr26
                                        ; implicit-def: $sgpr8
	v_cmpx_ge_u64_e64 s[14:15], v[2:3]
	s_xor_b32 s9, exec_lo, s9
	s_cbranch_execz .LBB210_373
; %bb.368:                              ;   in Loop: Header=BB210_18 Depth=1
	ds_load_b64 v[4:5], v13 offset:5120
	s_waitcnt lgkmcnt(0)
	v_cmp_ne_u64_e32 vcc_lo, 0, v[4:5]
	s_cbranch_vccnz .LBB210_372
; %bb.369:                              ;   in Loop: Header=BB210_18 Depth=1
	s_and_saveexec_b32 s8, s5
	s_cbranch_execz .LBB210_371
; %bb.370:                              ;   in Loop: Header=BB210_18 Depth=1
	v_dual_mov_b32 v4, s14 :: v_dual_mov_b32 v5, s15
	ds_store_b64 v13, v[4:5] offset:5128
.LBB210_371:                            ;   in Loop: Header=BB210_18 Depth=1
	s_or_b32 exec_lo, exec_lo, s8
	s_waitcnt lgkmcnt(0)
	s_barrier
	buffer_gl0_inv
.LBB210_372:                            ;   in Loop: Header=BB210_18 Depth=1
	s_lshl_b32 s8, 2, s22
	v_or_b32_e32 v30, s20, v30
	v_and_or_b32 v31, v31, s21, s8
	s_mov_b32 s8, 0
	s_mov_b32 s26, 5
.LBB210_373:                            ;   in Loop: Header=BB210_18 Depth=1
	s_or_saveexec_b32 s9, s9
	v_mov_b32_e32 v7, s26
	s_xor_b32 exec_lo, exec_lo, s9
; %bb.374:                              ;   in Loop: Header=BB210_18 Depth=1
	v_sub_co_u32 v2, vcc_lo, v2, s14
	v_subrev_co_ci_u32_e32 v3, vcc_lo, s15, v3, vcc_lo
	v_mov_b32_e32 v7, 0
	s_or_b32 s8, s8, exec_lo
; %bb.375:                              ;   in Loop: Header=BB210_18 Depth=1
	s_or_b32 exec_lo, exec_lo, s9
	s_delay_alu instid0(VALU_DEP_2)
	v_dual_mov_b32 v5, v3 :: v_dual_mov_b32 v4, v2
	s_and_b32 s26, s8, exec_lo
.LBB210_376:                            ;   in Loop: Header=BB210_18 Depth=1
	s_or_b32 exec_lo, exec_lo, s7
	s_mov_b32 s7, -1
                                        ; implicit-def: $sgpr8
                                        ; implicit-def: $sgpr9
                                        ; implicit-def: $sgpr14
	s_and_saveexec_b32 s76, s26
	s_cbranch_execz .LBB210_477
; %bb.377:                              ;   in Loop: Header=BB210_18 Depth=1
	v_cmp_eq_u64_e32 vcc_lo, 1, v[4:5]
	s_cmp_eq_u64 s[12:13], 1
                                        ; implicit-def: $sgpr14
                                        ; implicit-def: $sgpr15
                                        ; implicit-def: $sgpr77
	s_cselect_b32 s7, -1, 0
	s_delay_alu instid0(SALU_CYCLE_1)
	s_and_b32 s60, s7, vcc_lo
	s_mov_b32 s7, -1
	s_and_saveexec_b32 s61, s60
	s_cbranch_execz .LBB210_411
; %bb.378:                              ;   in Loop: Header=BB210_18 Depth=1
	ds_load_b64 v[2:3], v13 offset:5120
	s_waitcnt lgkmcnt(0)
	s_barrier
	buffer_gl0_inv
	v_readfirstlane_b32 s8, v2
	v_readfirstlane_b32 s9, v3
	s_and_saveexec_b32 s7, s6
	s_cbranch_execz .LBB210_380
; %bb.379:                              ;   in Loop: Header=BB210_18 Depth=1
	ds_store_b16 v26, v13
.LBB210_380:                            ;   in Loop: Header=BB210_18 Depth=1
	s_or_b32 exec_lo, exec_lo, s7
	s_lshl_b32 s7, 1, s22
	v_or_b32_e32 v30, s20, v30
	v_and_or_b32 v31, v31, s21, s7
	s_cmp_eq_u64 s[8:9], 0
	s_waitcnt lgkmcnt(0)
	s_barrier
	buffer_gl0_inv
	s_cbranch_scc1 .LBB210_394
; %bb.381:                              ;   in Loop: Header=BB210_18 Depth=1
	s_add_u32 s26, s86, s8
	s_addc_u32 s15, s87, s9
	s_mov_b32 s14, s71
	s_delay_alu instid0(SALU_CYCLE_1)
	s_cmp_lg_u64 s[14:15], 0
	s_cbranch_scc0 .LBB210_429
; %bb.382:                              ;   in Loop: Header=BB210_18 Depth=1
	v_cvt_f32_u32_e32 v2, s35
	s_sub_u32 s62, 0, s35
	s_subb_u32 s63, 0, 0
	s_delay_alu instid0(VALU_DEP_1) | instskip(NEXT) | instid1(VALU_DEP_1)
	v_fmac_f32_e64 v2, 0, 0x4f800000
	v_rcp_f32_e32 v2, v2
	s_waitcnt_depctr 0xfff
	v_mul_f32_e32 v2, 0x5f7ffffc, v2
	s_delay_alu instid0(VALU_DEP_1) | instskip(NEXT) | instid1(VALU_DEP_1)
	v_mul_f32_e32 v3, 0x2f800000, v2
	v_trunc_f32_e32 v3, v3
	s_delay_alu instid0(VALU_DEP_1) | instskip(SKIP_1) | instid1(VALU_DEP_2)
	v_fmac_f32_e32 v2, 0xcf800000, v3
	v_cvt_u32_f32_e32 v3, v3
	v_cvt_u32_f32_e32 v2, v2
	s_delay_alu instid0(VALU_DEP_2) | instskip(NEXT) | instid1(VALU_DEP_2)
	v_readfirstlane_b32 s7, v3
	v_readfirstlane_b32 s14, v2
	s_delay_alu instid0(VALU_DEP_2) | instskip(NEXT) | instid1(VALU_DEP_1)
	s_mul_i32 s77, s62, s7
	s_mul_hi_u32 s79, s62, s14
	s_mul_i32 s78, s63, s14
	s_add_i32 s77, s79, s77
	s_mul_i32 s80, s62, s14
	s_add_i32 s77, s77, s78
	s_mul_hi_u32 s79, s14, s80
	s_mul_hi_u32 s81, s7, s80
	s_mul_i32 s78, s7, s80
	s_mul_hi_u32 s80, s14, s77
	s_mul_i32 s14, s14, s77
	s_mul_hi_u32 s82, s7, s77
	s_add_u32 s14, s79, s14
	s_addc_u32 s79, 0, s80
	s_add_u32 s14, s14, s78
	s_mul_i32 s77, s7, s77
	s_addc_u32 s14, s79, s81
	s_addc_u32 s78, s82, 0
	s_add_u32 s14, s14, s77
	s_addc_u32 s77, 0, s78
	v_add_co_u32 v2, s14, v2, s14
	s_delay_alu instid0(VALU_DEP_1) | instskip(SKIP_1) | instid1(VALU_DEP_1)
	s_cmp_lg_u32 s14, 0
	s_addc_u32 s7, s7, s77
	v_readfirstlane_b32 s14, v2
	s_mul_i32 s77, s62, s7
	s_delay_alu instid0(VALU_DEP_1)
	s_mul_hi_u32 s78, s62, s14
	s_mul_i32 s63, s63, s14
	s_add_i32 s77, s78, s77
	s_mul_i32 s62, s62, s14
	s_add_i32 s77, s77, s63
	s_mul_hi_u32 s78, s7, s62
	s_mul_i32 s79, s7, s62
	s_mul_hi_u32 s62, s14, s62
	s_mul_hi_u32 s80, s14, s77
	s_mul_i32 s14, s14, s77
	s_mul_hi_u32 s63, s7, s77
	s_add_u32 s14, s62, s14
	s_addc_u32 s62, 0, s80
	s_add_u32 s14, s14, s79
	s_mul_i32 s77, s7, s77
	s_addc_u32 s14, s62, s78
	s_addc_u32 s62, s63, 0
	s_add_u32 s14, s14, s77
	s_addc_u32 s62, 0, s62
	v_add_co_u32 v2, s14, v2, s14
	s_delay_alu instid0(VALU_DEP_1) | instskip(SKIP_1) | instid1(VALU_DEP_1)
	s_cmp_lg_u32 s14, 0
	s_addc_u32 s7, s7, s62
	v_readfirstlane_b32 s14, v2
	s_mul_i32 s63, s26, s7
	s_mul_hi_u32 s62, s26, s7
	s_mul_hi_u32 s77, s15, s7
	s_mul_i32 s7, s15, s7
	s_mul_hi_u32 s78, s26, s14
	s_mul_hi_u32 s79, s15, s14
	s_mul_i32 s14, s15, s14
	s_add_u32 s63, s78, s63
	s_addc_u32 s62, 0, s62
	s_add_u32 s14, s63, s14
	s_addc_u32 s14, s62, s79
	s_addc_u32 s62, s77, 0
	s_add_u32 s7, s14, s7
	s_addc_u32 s14, 0, s62
	s_mul_hi_u32 s62, s35, s7
	s_mul_i32 s7, s35, s7
	s_mul_i32 s14, s35, s14
	v_sub_co_u32 v2, s7, s26, s7
	s_add_i32 s62, s62, s14
	s_cmp_lg_u32 s7, 0
	s_delay_alu instid0(VALU_DEP_1) | instskip(SKIP_3) | instid1(VALU_DEP_2)
	v_sub_co_u32 v3, s7, v2, s35
	s_subb_u32 s14, s15, s62
	s_cmp_lg_u32 s7, 0
	v_cmp_le_u32_e32 vcc_lo, s35, v2
	v_cmp_le_u32_e64 s7, s35, v3
	v_sub_co_u32 v6, s62, v3, s35
	s_subb_u32 s63, s14, 0
	s_cmp_lg_u32 s62, 0
	s_delay_alu instid0(VALU_DEP_2)
	v_cndmask_b32_e64 v7, 0, -1, s7
	s_subb_u32 s62, s63, 0
	s_cmp_eq_u32 s63, 0
	v_mov_b32_e32 v9, s62
	v_cndmask_b32_e64 v8, 0, -1, vcc_lo
	s_cselect_b32 vcc_lo, -1, 0
	s_cmp_eq_u32 s14, 0
	v_cndmask_b32_e32 v7, -1, v7, vcc_lo
	s_cselect_b32 vcc_lo, -1, 0
	v_cndmask_b32_e32 v8, -1, v8, vcc_lo
	s_delay_alu instid0(VALU_DEP_2) | instskip(NEXT) | instid1(VALU_DEP_2)
	v_cmp_ne_u32_e32 vcc_lo, 0, v7
	v_cmp_ne_u32_e64 s7, 0, v8
	v_cndmask_b32_e32 v7, s63, v9, vcc_lo
	v_cndmask_b32_e32 v6, v3, v6, vcc_lo
	s_delay_alu instid0(VALU_DEP_2) | instskip(NEXT) | instid1(VALU_DEP_2)
	v_cndmask_b32_e64 v3, s14, v7, s7
	v_cndmask_b32_e64 v2, v2, v6, s7
	s_cbranch_execnz .LBB210_384
.LBB210_383:                            ;   in Loop: Header=BB210_18 Depth=1
	v_cvt_f32_u32_e32 v2, s35
	s_sub_i32 s7, 0, s35
	s_delay_alu instid0(VALU_DEP_1) | instskip(SKIP_2) | instid1(VALU_DEP_1)
	v_rcp_iflag_f32_e32 v2, v2
	s_waitcnt_depctr 0xfff
	v_mul_f32_e32 v2, 0x4f7ffffe, v2
	v_cvt_u32_f32_e32 v2, v2
	s_delay_alu instid0(VALU_DEP_1) | instskip(NEXT) | instid1(VALU_DEP_1)
	v_mul_lo_u32 v3, s7, v2
	v_mul_hi_u32 v3, v2, v3
	s_delay_alu instid0(VALU_DEP_1) | instskip(NEXT) | instid1(VALU_DEP_1)
	v_add_nc_u32_e32 v2, v2, v3
	v_mul_hi_u32 v2, s26, v2
	s_delay_alu instid0(VALU_DEP_1) | instskip(NEXT) | instid1(VALU_DEP_1)
	v_mul_lo_u32 v2, v2, s35
	v_sub_nc_u32_e32 v2, s26, v2
	s_delay_alu instid0(VALU_DEP_1) | instskip(SKIP_1) | instid1(VALU_DEP_2)
	v_subrev_nc_u32_e32 v3, s35, v2
	v_cmp_le_u32_e32 vcc_lo, s35, v2
	v_cndmask_b32_e32 v2, v2, v3, vcc_lo
	s_delay_alu instid0(VALU_DEP_1) | instskip(SKIP_1) | instid1(VALU_DEP_2)
	v_subrev_nc_u32_e32 v3, s35, v2
	v_cmp_le_u32_e32 vcc_lo, s35, v2
	v_cndmask_b32_e32 v12, v2, v3, vcc_lo
	s_delay_alu instid0(VALU_DEP_1)
	v_dual_mov_b32 v2, v12 :: v_dual_mov_b32 v3, v13
.LBB210_384:                            ;   in Loop: Header=BB210_18 Depth=1
	s_delay_alu instid0(VALU_DEP_1) | instskip(NEXT) | instid1(VALU_DEP_2)
	v_sub_co_u32 v2, vcc_lo, s26, v2
	v_sub_co_ci_u32_e32 v3, vcc_lo, s15, v3, vcc_lo
	s_mov_b32 s7, 0
	s_mov_b32 s14, exec_lo
                                        ; implicit-def: $vgpr32
	s_delay_alu instid0(VALU_DEP_1)
	v_cmpx_gt_u64_e64 v[2:3], v[0:1]
	s_cbranch_execz .LBB210_396
; %bb.385:                              ;   in Loop: Header=BB210_18 Depth=1
	v_mov_b32_e32 v8, v25
	v_dual_mov_b32 v7, v1 :: v_dual_mov_b32 v6, v0
	s_mov_b32 s15, 0
                                        ; implicit-def: $sgpr26
	s_set_inst_prefetch_distance 0x1
	s_branch .LBB210_387
	.p2align	6
.LBB210_386:                            ;   in Loop: Header=BB210_387 Depth=2
	s_or_b32 exec_lo, exec_lo, s7
	s_waitcnt lgkmcnt(0)
	s_barrier
	buffer_gl0_inv
	ds_load_b32 v9, v13 offset:3072
	v_add_co_u32 v6, vcc_lo, v6, s35
	v_add_co_ci_u32_e32 v7, vcc_lo, 0, v7, vcc_lo
	v_add_nc_u32_e32 v8, s94, v8
	s_waitcnt lgkmcnt(0)
	s_barrier
	s_delay_alu instid0(VALU_DEP_2) | instskip(SKIP_2) | instid1(VALU_DEP_1)
	v_cmp_ge_u64_e32 vcc_lo, v[6:7], v[2:3]
	buffer_gl0_inv
	v_cmp_neq_f16_e64 s7, 0, v9
	s_or_b32 s62, vcc_lo, s7
	s_delay_alu instid0(SALU_CYCLE_1) | instskip(NEXT) | instid1(SALU_CYCLE_1)
	s_and_b32 s62, exec_lo, s62
	s_or_b32 s15, s62, s15
	s_and_not1_b32 s26, s26, exec_lo
	s_and_b32 s7, s7, exec_lo
	s_delay_alu instid0(SALU_CYCLE_1)
	s_or_b32 s26, s26, s7
	s_and_not1_b32 exec_lo, exec_lo, s15
	s_cbranch_execz .LBB210_395
.LBB210_387:                            ;   Parent Loop BB210_18 Depth=1
                                        ; =>  This Inner Loop Header: Depth=2
	s_delay_alu instid0(VALU_DEP_1)
	v_cmp_gt_u64_e32 vcc_lo, s[8:9], v[6:7]
	v_mov_b32_e32 v9, 0
	s_and_saveexec_b32 s7, vcc_lo
	s_cbranch_execz .LBB210_389
; %bb.388:                              ;   in Loop: Header=BB210_387 Depth=2
	ds_load_u16 v9, v8
.LBB210_389:                            ;   in Loop: Header=BB210_387 Depth=2
	s_or_b32 exec_lo, exec_lo, s7
	s_and_saveexec_b32 s7, vcc_lo
	s_cbranch_execz .LBB210_386
; %bb.390:                              ;   in Loop: Header=BB210_387 Depth=2
	s_waitcnt lgkmcnt(0)
	v_cmp_lt_i16_e32 vcc_lo, -1, v9
	v_and_b32_e32 v12, 0xffff, v9
	v_cndmask_b32_e32 v16, 0xffff, v29, vcc_lo
	v_cmp_o_f16_e32 vcc_lo, v9, v9
	s_delay_alu instid0(VALU_DEP_2) | instskip(NEXT) | instid1(VALU_DEP_1)
	v_xor_b32_e32 v12, v16, v12
	v_cndmask_b32_e32 v12, 0xffff, v12, vcc_lo
	s_delay_alu instid0(VALU_DEP_1) | instskip(NEXT) | instid1(VALU_DEP_1)
	v_and_b32_e32 v12, v12, v30
	v_cmp_eq_u32_e32 vcc_lo, v12, v31
	s_and_b32 exec_lo, exec_lo, vcc_lo
	s_cbranch_execz .LBB210_386
; %bb.391:                              ;   in Loop: Header=BB210_387 Depth=2
	v_perm_b32 v9, v9, s97, 0x5040100
	ds_store_b32 v13, v9 offset:3072
	s_branch .LBB210_386
.LBB210_392:                            ;   in Loop: Header=BB210_18 Depth=1
                                        ; implicit-def: $vgpr4_vgpr5
	s_branch .LBB210_337
.LBB210_393:                            ;   in Loop: Header=BB210_18 Depth=1
                                        ; implicit-def: $vgpr4_vgpr5
	s_branch .LBB210_353
.LBB210_394:                            ;   in Loop: Header=BB210_18 Depth=1
	s_mov_b32 s14, -1
	s_mov_b32 s7, 0
                                        ; implicit-def: $sgpr15
                                        ; implicit-def: $vgpr32
	s_mov_b32 s77, s14
	s_cbranch_execnz .LBB210_397
	s_branch .LBB210_410
.LBB210_395:                            ;   in Loop: Header=BB210_18 Depth=1
	s_set_inst_prefetch_distance 0x2
	s_or_b32 exec_lo, exec_lo, s15
	v_lshrrev_b32_e32 v32, 16, v9
	s_and_b32 s7, s26, exec_lo
.LBB210_396:                            ;   in Loop: Header=BB210_18 Depth=1
	s_or_b32 exec_lo, exec_lo, s14
	s_mov_b32 s14, 0
	s_mov_b32 s15, -1
	s_mov_b32 s77, s14
	s_branch .LBB210_410
.LBB210_397:                            ;   in Loop: Header=BB210_18 Depth=1
	s_mov_b32 s26, s71
	s_delay_alu instid0(SALU_CYCLE_1)
	s_cmp_lg_u64 s[26:27], 0
	s_cbranch_scc0 .LBB210_430
; %bb.398:                              ;   in Loop: Header=BB210_18 Depth=1
	v_cvt_f32_u32_e32 v2, s35
	s_sub_u32 s9, 0, s35
	s_subb_u32 s14, 0, 0
	s_delay_alu instid0(VALU_DEP_1) | instskip(NEXT) | instid1(VALU_DEP_1)
	v_fmac_f32_e64 v2, 0, 0x4f800000
	v_rcp_f32_e32 v2, v2
	s_waitcnt_depctr 0xfff
	v_mul_f32_e32 v2, 0x5f7ffffc, v2
	s_delay_alu instid0(VALU_DEP_1) | instskip(NEXT) | instid1(VALU_DEP_1)
	v_mul_f32_e32 v3, 0x2f800000, v2
	v_trunc_f32_e32 v3, v3
	s_delay_alu instid0(VALU_DEP_1) | instskip(SKIP_1) | instid1(VALU_DEP_2)
	v_fmac_f32_e32 v2, 0xcf800000, v3
	v_cvt_u32_f32_e32 v3, v3
	v_cvt_u32_f32_e32 v2, v2
	s_delay_alu instid0(VALU_DEP_2) | instskip(NEXT) | instid1(VALU_DEP_2)
	v_readfirstlane_b32 s7, v3
	v_readfirstlane_b32 s8, v2
	s_delay_alu instid0(VALU_DEP_2) | instskip(NEXT) | instid1(VALU_DEP_1)
	s_mul_i32 s15, s9, s7
	s_mul_hi_u32 s62, s9, s8
	s_mul_i32 s26, s14, s8
	s_add_i32 s15, s62, s15
	s_mul_i32 s63, s9, s8
	s_add_i32 s15, s15, s26
	s_mul_hi_u32 s62, s8, s63
	s_mul_hi_u32 s77, s7, s63
	s_mul_i32 s26, s7, s63
	s_mul_hi_u32 s63, s8, s15
	s_mul_i32 s8, s8, s15
	s_mul_hi_u32 s78, s7, s15
	s_add_u32 s8, s62, s8
	s_addc_u32 s62, 0, s63
	s_add_u32 s8, s8, s26
	s_mul_i32 s15, s7, s15
	s_addc_u32 s8, s62, s77
	s_addc_u32 s26, s78, 0
	s_add_u32 s8, s8, s15
	s_addc_u32 s15, 0, s26
	v_add_co_u32 v2, s8, v2, s8
	s_delay_alu instid0(VALU_DEP_1) | instskip(SKIP_1) | instid1(VALU_DEP_1)
	s_cmp_lg_u32 s8, 0
	s_addc_u32 s7, s7, s15
	v_readfirstlane_b32 s8, v2
	s_mul_i32 s15, s9, s7
	s_delay_alu instid0(VALU_DEP_1)
	s_mul_hi_u32 s26, s9, s8
	s_mul_i32 s14, s14, s8
	s_add_i32 s15, s26, s15
	s_mul_i32 s9, s9, s8
	s_add_i32 s15, s15, s14
	s_mul_hi_u32 s26, s7, s9
	s_mul_i32 s62, s7, s9
	s_mul_hi_u32 s9, s8, s9
	s_mul_hi_u32 s63, s8, s15
	s_mul_i32 s8, s8, s15
	s_mul_hi_u32 s14, s7, s15
	s_add_u32 s8, s9, s8
	s_addc_u32 s9, 0, s63
	s_add_u32 s8, s8, s62
	s_mul_i32 s15, s7, s15
	s_addc_u32 s8, s9, s26
	s_addc_u32 s9, s14, 0
	s_add_u32 s8, s8, s15
	s_addc_u32 s9, 0, s9
	v_add_co_u32 v2, s8, v2, s8
	s_delay_alu instid0(VALU_DEP_1) | instskip(SKIP_1) | instid1(VALU_DEP_1)
	s_cmp_lg_u32 s8, 0
	s_addc_u32 s7, s7, s9
	v_readfirstlane_b32 s8, v2
	s_mul_i32 s14, s88, s7
	s_mul_hi_u32 s9, s88, s7
	s_mul_hi_u32 s15, s27, s7
	s_mul_i32 s7, s27, s7
	s_mul_hi_u32 s26, s88, s8
	s_mul_hi_u32 s62, s27, s8
	s_mul_i32 s8, s27, s8
	s_add_u32 s14, s26, s14
	s_addc_u32 s9, 0, s9
	s_add_u32 s8, s14, s8
	s_addc_u32 s8, s9, s62
	s_addc_u32 s9, s15, 0
	s_add_u32 s7, s8, s7
	s_addc_u32 s8, 0, s9
	s_mul_hi_u32 s9, s35, s7
	s_mul_i32 s7, s35, s7
	s_mul_i32 s8, s35, s8
	v_sub_co_u32 v2, s7, s88, s7
	s_add_i32 s9, s9, s8
	s_cmp_lg_u32 s7, 0
	s_delay_alu instid0(VALU_DEP_1) | instskip(SKIP_3) | instid1(VALU_DEP_2)
	v_sub_co_u32 v3, s7, v2, s35
	s_subb_u32 s8, s27, s9
	s_cmp_lg_u32 s7, 0
	v_cmp_le_u32_e32 vcc_lo, s35, v2
	v_cmp_le_u32_e64 s7, s35, v3
	v_sub_co_u32 v6, s9, v3, s35
	s_subb_u32 s14, s8, 0
	s_cmp_lg_u32 s9, 0
	s_delay_alu instid0(VALU_DEP_2)
	v_cndmask_b32_e64 v7, 0, -1, s7
	s_subb_u32 s9, s14, 0
	s_cmp_eq_u32 s14, 0
	v_mov_b32_e32 v9, s9
	v_cndmask_b32_e64 v8, 0, -1, vcc_lo
	s_cselect_b32 vcc_lo, -1, 0
	s_cmp_eq_u32 s8, 0
	v_cndmask_b32_e32 v7, -1, v7, vcc_lo
	s_cselect_b32 vcc_lo, -1, 0
	v_cndmask_b32_e32 v8, -1, v8, vcc_lo
	s_delay_alu instid0(VALU_DEP_2) | instskip(NEXT) | instid1(VALU_DEP_2)
	v_cmp_ne_u32_e32 vcc_lo, 0, v7
	v_cmp_ne_u32_e64 s7, 0, v8
	v_cndmask_b32_e32 v7, s14, v9, vcc_lo
	v_cndmask_b32_e32 v6, v3, v6, vcc_lo
	s_delay_alu instid0(VALU_DEP_2) | instskip(NEXT) | instid1(VALU_DEP_2)
	v_cndmask_b32_e64 v3, s8, v7, s7
	v_cndmask_b32_e64 v2, v2, v6, s7
	s_cbranch_execnz .LBB210_400
.LBB210_399:                            ;   in Loop: Header=BB210_18 Depth=1
	v_cvt_f32_u32_e32 v2, s35
	s_sub_i32 s7, 0, s35
	s_delay_alu instid0(VALU_DEP_1) | instskip(SKIP_2) | instid1(VALU_DEP_1)
	v_rcp_iflag_f32_e32 v2, v2
	s_waitcnt_depctr 0xfff
	v_mul_f32_e32 v2, 0x4f7ffffe, v2
	v_cvt_u32_f32_e32 v2, v2
	s_delay_alu instid0(VALU_DEP_1) | instskip(NEXT) | instid1(VALU_DEP_1)
	v_mul_lo_u32 v3, s7, v2
	v_mul_hi_u32 v3, v2, v3
	s_delay_alu instid0(VALU_DEP_1) | instskip(NEXT) | instid1(VALU_DEP_1)
	v_add_nc_u32_e32 v2, v2, v3
	v_mul_hi_u32 v2, s88, v2
	s_delay_alu instid0(VALU_DEP_1) | instskip(NEXT) | instid1(VALU_DEP_1)
	v_mul_lo_u32 v2, v2, s35
	v_sub_nc_u32_e32 v2, s88, v2
	s_delay_alu instid0(VALU_DEP_1) | instskip(SKIP_1) | instid1(VALU_DEP_2)
	v_subrev_nc_u32_e32 v3, s35, v2
	v_cmp_le_u32_e32 vcc_lo, s35, v2
	v_cndmask_b32_e32 v2, v2, v3, vcc_lo
	s_delay_alu instid0(VALU_DEP_1) | instskip(SKIP_1) | instid1(VALU_DEP_2)
	v_subrev_nc_u32_e32 v3, s35, v2
	v_cmp_le_u32_e32 vcc_lo, s35, v2
	v_cndmask_b32_e32 v12, v2, v3, vcc_lo
	s_delay_alu instid0(VALU_DEP_1)
	v_dual_mov_b32 v2, v12 :: v_dual_mov_b32 v3, v13
.LBB210_400:                            ;   in Loop: Header=BB210_18 Depth=1
	s_delay_alu instid0(VALU_DEP_1) | instskip(NEXT) | instid1(VALU_DEP_2)
	v_sub_co_u32 v2, vcc_lo, s88, v2
	v_sub_co_ci_u32_e32 v3, vcc_lo, s27, v3, vcc_lo
	s_mov_b32 s7, 0
	s_mov_b32 s8, exec_lo
                                        ; implicit-def: $vgpr32
	s_delay_alu instid0(VALU_DEP_1)
	v_cmpx_gt_u64_e64 v[2:3], v[0:1]
	s_cbranch_execz .LBB210_409
; %bb.401:                              ;   in Loop: Header=BB210_18 Depth=1
	v_dual_mov_b32 v7, v1 :: v_dual_mov_b32 v6, v0
	s_mov_b32 s9, 0
                                        ; implicit-def: $sgpr14
	s_branch .LBB210_403
.LBB210_402:                            ;   in Loop: Header=BB210_403 Depth=2
	s_or_b32 exec_lo, exec_lo, s7
	s_waitcnt vmcnt(0) lgkmcnt(0)
	s_barrier
	buffer_gl0_inv
	ds_load_b32 v8, v13 offset:3072
	v_add_co_u32 v6, vcc_lo, v6, s35
	v_add_co_ci_u32_e32 v7, vcc_lo, 0, v7, vcc_lo
	s_waitcnt lgkmcnt(0)
	s_barrier
	buffer_gl0_inv
	v_cmp_ge_u64_e32 vcc_lo, v[6:7], v[2:3]
	v_cmp_neq_f16_e64 s7, 0, v8
	s_delay_alu instid0(VALU_DEP_1) | instskip(NEXT) | instid1(SALU_CYCLE_1)
	s_or_b32 s15, vcc_lo, s7
	s_and_b32 s15, exec_lo, s15
	s_delay_alu instid0(SALU_CYCLE_1) | instskip(SKIP_2) | instid1(SALU_CYCLE_1)
	s_or_b32 s9, s15, s9
	s_and_not1_b32 s14, s14, exec_lo
	s_and_b32 s7, s7, exec_lo
	s_or_b32 s14, s14, s7
	s_and_not1_b32 exec_lo, exec_lo, s9
	s_cbranch_execz .LBB210_408
.LBB210_403:                            ;   Parent Loop BB210_18 Depth=1
                                        ; =>  This Inner Loop Header: Depth=2
	s_delay_alu instid0(VALU_DEP_1)
	v_cmp_gt_u64_e32 vcc_lo, s[36:37], v[6:7]
	v_mov_b32_e32 v8, 0
	s_and_saveexec_b32 s15, vcc_lo
	s_cbranch_execz .LBB210_405
; %bb.404:                              ;   in Loop: Header=BB210_403 Depth=2
	v_mul_lo_u32 v12, v7, s30
	v_mul_lo_u32 v16, v6, s31
	v_mad_u64_u32 v[8:9], null, v6, s30, 0
	s_delay_alu instid0(VALU_DEP_1) | instskip(NEXT) | instid1(VALU_DEP_1)
	v_add3_u32 v9, v9, v16, v12
	v_lshlrev_b64 v[8:9], 1, v[8:9]
	s_delay_alu instid0(VALU_DEP_1) | instskip(NEXT) | instid1(VALU_DEP_1)
	v_add_co_u32 v8, s7, s29, v8
	v_add_co_ci_u32_e64 v9, s7, s33, v9, s7
	global_load_u16 v8, v[8:9], off
.LBB210_405:                            ;   in Loop: Header=BB210_403 Depth=2
	s_or_b32 exec_lo, exec_lo, s15
	s_and_saveexec_b32 s7, vcc_lo
	s_cbranch_execz .LBB210_402
; %bb.406:                              ;   in Loop: Header=BB210_403 Depth=2
	s_waitcnt vmcnt(0)
	v_cmp_lt_i16_e32 vcc_lo, -1, v8
	v_dual_cndmask_b32 v12, 0xffff, v29 :: v_dual_and_b32 v9, 0xffff, v8
	v_cmp_o_f16_e32 vcc_lo, v8, v8
	s_delay_alu instid0(VALU_DEP_2) | instskip(NEXT) | instid1(VALU_DEP_1)
	v_xor_b32_e32 v9, v12, v9
	v_cndmask_b32_e32 v9, 0xffff, v9, vcc_lo
	s_delay_alu instid0(VALU_DEP_1) | instskip(NEXT) | instid1(VALU_DEP_1)
	v_and_b32_e32 v9, v9, v30
	v_cmp_eq_u32_e32 vcc_lo, v9, v31
	s_and_b32 exec_lo, exec_lo, vcc_lo
	s_cbranch_execz .LBB210_402
; %bb.407:                              ;   in Loop: Header=BB210_403 Depth=2
	v_perm_b32 v8, v8, s97, 0x5040100
	ds_store_b32 v13, v8 offset:3072
	s_branch .LBB210_402
.LBB210_408:                            ;   in Loop: Header=BB210_18 Depth=1
	s_or_b32 exec_lo, exec_lo, s9
	v_lshrrev_b32_e32 v32, 16, v8
	s_and_b32 s7, s14, exec_lo
.LBB210_409:                            ;   in Loop: Header=BB210_18 Depth=1
	s_or_b32 exec_lo, exec_lo, s8
	s_mov_b32 s15, 0
	s_mov_b32 s14, -1
	s_mov_b32 s77, 0
.LBB210_410:                            ;   in Loop: Header=BB210_18 Depth=1
	s_or_not1_b32 s7, s7, exec_lo
.LBB210_411:                            ;   in Loop: Header=BB210_18 Depth=1
	s_or_b32 exec_lo, exec_lo, s61
	s_mov_b32 s26, 0
                                        ; implicit-def: $vgpr7
	s_and_saveexec_b32 s78, s7
	s_cbranch_execz .LBB210_476
; %bb.412:                              ;   in Loop: Header=BB210_18 Depth=1
	v_dual_mov_b32 v2, 1 :: v_dual_mov_b32 v7, 1
	v_mov_b32_e32 v3, 0
	s_xor_b32 s8, s60, -1
	s_delay_alu instid0(SALU_CYCLE_1)
	s_and_saveexec_b32 s7, s8
	s_cbranch_execz .LBB210_422
; %bb.413:                              ;   in Loop: Header=BB210_18 Depth=1
	s_mov_b32 s9, exec_lo
                                        ; implicit-def: $sgpr26
                                        ; implicit-def: $sgpr8
	v_cmpx_ge_u64_e64 s[12:13], v[4:5]
	s_xor_b32 s9, exec_lo, s9
	s_cbranch_execz .LBB210_419
; %bb.414:                              ;   in Loop: Header=BB210_18 Depth=1
	ds_load_b64 v[2:3], v13 offset:5120
	s_waitcnt lgkmcnt(0)
	v_cmp_ne_u64_e32 vcc_lo, 0, v[2:3]
	s_cbranch_vccnz .LBB210_418
; %bb.415:                              ;   in Loop: Header=BB210_18 Depth=1
	s_and_saveexec_b32 s8, s5
	s_cbranch_execz .LBB210_417
; %bb.416:                              ;   in Loop: Header=BB210_18 Depth=1
	v_dual_mov_b32 v2, s12 :: v_dual_mov_b32 v3, s13
	ds_store_b64 v13, v[2:3] offset:5128
.LBB210_417:                            ;   in Loop: Header=BB210_18 Depth=1
	s_or_b32 exec_lo, exec_lo, s8
	s_waitcnt lgkmcnt(0)
	s_barrier
	buffer_gl0_inv
.LBB210_418:                            ;   in Loop: Header=BB210_18 Depth=1
	s_lshl_b32 s8, 1, s22
	v_or_b32_e32 v30, s20, v30
	v_and_or_b32 v31, v31, s21, s8
	s_mov_b32 s8, 0
	s_mov_b32 s26, 5
.LBB210_419:                            ;   in Loop: Header=BB210_18 Depth=1
	s_or_saveexec_b32 s9, s9
	v_mov_b32_e32 v7, s26
	s_xor_b32 exec_lo, exec_lo, s9
; %bb.420:                              ;   in Loop: Header=BB210_18 Depth=1
	v_sub_co_u32 v4, vcc_lo, v4, s12
	v_subrev_co_ci_u32_e32 v5, vcc_lo, s13, v5, vcc_lo
	v_mov_b32_e32 v7, 0
	s_or_b32 s8, s8, exec_lo
; %bb.421:                              ;   in Loop: Header=BB210_18 Depth=1
	s_or_b32 exec_lo, exec_lo, s9
	s_delay_alu instid0(VALU_DEP_2)
	v_dual_mov_b32 v2, v4 :: v_dual_mov_b32 v3, v5
	s_and_b32 s26, s8, exec_lo
.LBB210_422:                            ;   in Loop: Header=BB210_18 Depth=1
	s_or_b32 exec_lo, exec_lo, s7
	s_mov_b32 s12, -1
                                        ; implicit-def: $sgpr7
                                        ; implicit-def: $sgpr8
                                        ; implicit-def: $sgpr9
	s_and_saveexec_b32 s22, s26
	s_cbranch_execz .LBB210_475
; %bb.423:                              ;   in Loop: Header=BB210_18 Depth=1
	v_cmp_eq_u64_e32 vcc_lo, 1, v[2:3]
	s_cmp_eq_u64 s[10:11], 1
	s_mov_b32 s13, -1
	s_cselect_b32 s7, -1, 0
                                        ; implicit-def: $sgpr8
                                        ; implicit-def: $sgpr9
	s_delay_alu instid0(SALU_CYCLE_1) | instskip(NEXT) | instid1(SALU_CYCLE_1)
	s_and_b32 s60, s7, vcc_lo
                                        ; implicit-def: $sgpr7
	s_and_saveexec_b32 s61, s60
	s_cbranch_execz .LBB210_462
; %bb.424:                              ;   in Loop: Header=BB210_18 Depth=1
	ds_load_b64 v[4:5], v13 offset:5120
	s_waitcnt lgkmcnt(0)
	s_barrier
	buffer_gl0_inv
	v_readfirstlane_b32 s8, v4
	v_readfirstlane_b32 s9, v5
	s_and_saveexec_b32 s7, s6
	s_cbranch_execz .LBB210_426
; %bb.425:                              ;   in Loop: Header=BB210_18 Depth=1
	ds_store_b16 v26, v13
.LBB210_426:                            ;   in Loop: Header=BB210_18 Depth=1
	s_or_b32 exec_lo, exec_lo, s7
	v_and_b32_e32 v31, s21, v31
	v_or_b32_e32 v30, s20, v30
	s_cmp_eq_u64 s[8:9], 0
	s_waitcnt lgkmcnt(0)
	s_barrier
	buffer_gl0_inv
	s_cbranch_scc1 .LBB210_431
; %bb.427:                              ;   in Loop: Header=BB210_18 Depth=1
	s_add_u32 s26, s86, s8
	s_addc_u32 s13, s87, s9
	s_mov_b32 s12, s71
	s_delay_alu instid0(SALU_CYCLE_1)
	s_cmp_lg_u64 s[12:13], 0
	s_cbranch_scc0 .LBB210_432
; %bb.428:                              ;   in Loop: Header=BB210_18 Depth=1
	v_cvt_f32_u32_e32 v4, s35
	s_sub_u32 s62, 0, s35
	s_subb_u32 s63, 0, 0
	s_delay_alu instid0(VALU_DEP_1) | instskip(NEXT) | instid1(VALU_DEP_1)
	v_fmac_f32_e64 v4, 0, 0x4f800000
	v_rcp_f32_e32 v4, v4
	s_waitcnt_depctr 0xfff
	v_mul_f32_e32 v4, 0x5f7ffffc, v4
	s_delay_alu instid0(VALU_DEP_1) | instskip(NEXT) | instid1(VALU_DEP_1)
	v_mul_f32_e32 v5, 0x2f800000, v4
	v_trunc_f32_e32 v5, v5
	s_delay_alu instid0(VALU_DEP_1) | instskip(SKIP_1) | instid1(VALU_DEP_2)
	v_fmac_f32_e32 v4, 0xcf800000, v5
	v_cvt_u32_f32_e32 v5, v5
	v_cvt_u32_f32_e32 v4, v4
	s_delay_alu instid0(VALU_DEP_2) | instskip(NEXT) | instid1(VALU_DEP_2)
	v_readfirstlane_b32 s7, v5
	v_readfirstlane_b32 s12, v4
	s_delay_alu instid0(VALU_DEP_2) | instskip(NEXT) | instid1(VALU_DEP_1)
	s_mul_i32 s79, s62, s7
	s_mul_hi_u32 s81, s62, s12
	s_mul_i32 s80, s63, s12
	s_add_i32 s79, s81, s79
	s_mul_i32 s82, s62, s12
	s_add_i32 s79, s79, s80
	s_mul_hi_u32 s81, s12, s82
	s_mul_hi_u32 s83, s7, s82
	s_mul_i32 s80, s7, s82
	s_mul_hi_u32 s82, s12, s79
	s_mul_i32 s12, s12, s79
	s_mul_hi_u32 vcc_lo, s7, s79
	s_add_u32 s12, s81, s12
	s_addc_u32 s81, 0, s82
	s_add_u32 s12, s12, s80
	s_mul_i32 s79, s7, s79
	s_addc_u32 s12, s81, s83
	s_addc_u32 s80, vcc_lo, 0
	s_add_u32 s12, s12, s79
	s_addc_u32 s79, 0, s80
	v_add_co_u32 v4, s12, v4, s12
	s_delay_alu instid0(VALU_DEP_1) | instskip(SKIP_1) | instid1(VALU_DEP_1)
	s_cmp_lg_u32 s12, 0
	s_addc_u32 s7, s7, s79
	v_readfirstlane_b32 s12, v4
	s_mul_i32 s79, s62, s7
	s_delay_alu instid0(VALU_DEP_1)
	s_mul_hi_u32 s80, s62, s12
	s_mul_i32 s63, s63, s12
	s_add_i32 s79, s80, s79
	s_mul_i32 s62, s62, s12
	s_add_i32 s79, s79, s63
	s_mul_hi_u32 s80, s7, s62
	s_mul_i32 s81, s7, s62
	s_mul_hi_u32 s62, s12, s62
	s_mul_hi_u32 s82, s12, s79
	s_mul_i32 s12, s12, s79
	s_mul_hi_u32 s63, s7, s79
	s_add_u32 s12, s62, s12
	s_addc_u32 s62, 0, s82
	s_add_u32 s12, s12, s81
	s_mul_i32 s79, s7, s79
	s_addc_u32 s12, s62, s80
	s_addc_u32 s62, s63, 0
	s_add_u32 s12, s12, s79
	s_addc_u32 s62, 0, s62
	v_add_co_u32 v4, s12, v4, s12
	s_delay_alu instid0(VALU_DEP_1) | instskip(SKIP_1) | instid1(VALU_DEP_1)
	s_cmp_lg_u32 s12, 0
	s_addc_u32 s7, s7, s62
	v_readfirstlane_b32 s12, v4
	s_mul_i32 s63, s26, s7
	s_mul_hi_u32 s62, s26, s7
	s_mul_hi_u32 s79, s13, s7
	s_mul_i32 s7, s13, s7
	s_mul_hi_u32 s80, s26, s12
	s_mul_hi_u32 s81, s13, s12
	s_mul_i32 s12, s13, s12
	s_add_u32 s63, s80, s63
	s_addc_u32 s62, 0, s62
	s_add_u32 s12, s63, s12
	s_addc_u32 s12, s62, s81
	s_addc_u32 s62, s79, 0
	s_add_u32 s7, s12, s7
	s_addc_u32 s12, 0, s62
	s_mul_hi_u32 s62, s35, s7
	s_mul_i32 s7, s35, s7
	s_mul_i32 s12, s35, s12
	v_sub_co_u32 v4, s7, s26, s7
	s_add_i32 s62, s62, s12
	s_cmp_lg_u32 s7, 0
	s_delay_alu instid0(VALU_DEP_1) | instskip(SKIP_3) | instid1(VALU_DEP_2)
	v_sub_co_u32 v5, s7, v4, s35
	s_subb_u32 s12, s13, s62
	s_cmp_lg_u32 s7, 0
	v_cmp_le_u32_e32 vcc_lo, s35, v4
	v_cmp_le_u32_e64 s7, s35, v5
	v_sub_co_u32 v6, s62, v5, s35
	s_subb_u32 s63, s12, 0
	s_cmp_lg_u32 s62, 0
	s_delay_alu instid0(VALU_DEP_2)
	v_cndmask_b32_e64 v7, 0, -1, s7
	s_subb_u32 s62, s63, 0
	s_cmp_eq_u32 s63, 0
	v_mov_b32_e32 v9, s62
	v_cndmask_b32_e64 v8, 0, -1, vcc_lo
	s_cselect_b32 vcc_lo, -1, 0
	s_cmp_eq_u32 s12, 0
	v_cndmask_b32_e32 v7, -1, v7, vcc_lo
	s_cselect_b32 vcc_lo, -1, 0
	v_cndmask_b32_e32 v8, -1, v8, vcc_lo
	s_delay_alu instid0(VALU_DEP_2) | instskip(NEXT) | instid1(VALU_DEP_2)
	v_cmp_ne_u32_e32 vcc_lo, 0, v7
	v_cmp_ne_u32_e64 s7, 0, v8
	v_cndmask_b32_e32 v7, s63, v9, vcc_lo
	v_cndmask_b32_e32 v6, v5, v6, vcc_lo
	s_delay_alu instid0(VALU_DEP_2) | instskip(NEXT) | instid1(VALU_DEP_2)
	v_cndmask_b32_e64 v5, s12, v7, s7
	v_cndmask_b32_e64 v4, v4, v6, s7
	s_mov_b32 s7, 0
	s_branch .LBB210_433
.LBB210_429:                            ;   in Loop: Header=BB210_18 Depth=1
                                        ; implicit-def: $vgpr2_vgpr3
	s_branch .LBB210_383
.LBB210_430:                            ;   in Loop: Header=BB210_18 Depth=1
                                        ; implicit-def: $vgpr2_vgpr3
	s_branch .LBB210_399
.LBB210_431:                            ;   in Loop: Header=BB210_18 Depth=1
	s_mov_b32 s7, -1
	s_mov_b32 s13, 0
                                        ; implicit-def: $sgpr8
                                        ; implicit-def: $vgpr32
	s_branch .LBB210_445
.LBB210_432:                            ;   in Loop: Header=BB210_18 Depth=1
	s_mov_b32 s7, -1
                                        ; implicit-def: $vgpr4_vgpr5
.LBB210_433:                            ;   in Loop: Header=BB210_18 Depth=1
	s_delay_alu instid0(SALU_CYCLE_1)
	s_and_not1_b32 vcc_lo, exec_lo, s7
	s_cbranch_vccnz .LBB210_435
; %bb.434:                              ;   in Loop: Header=BB210_18 Depth=1
	v_cvt_f32_u32_e32 v4, s35
	s_sub_i32 s7, 0, s35
	s_delay_alu instid0(VALU_DEP_1) | instskip(SKIP_2) | instid1(VALU_DEP_1)
	v_rcp_iflag_f32_e32 v4, v4
	s_waitcnt_depctr 0xfff
	v_mul_f32_e32 v4, 0x4f7ffffe, v4
	v_cvt_u32_f32_e32 v4, v4
	s_delay_alu instid0(VALU_DEP_1) | instskip(NEXT) | instid1(VALU_DEP_1)
	v_mul_lo_u32 v5, s7, v4
	v_mul_hi_u32 v5, v4, v5
	s_delay_alu instid0(VALU_DEP_1) | instskip(NEXT) | instid1(VALU_DEP_1)
	v_add_nc_u32_e32 v4, v4, v5
	v_mul_hi_u32 v4, s26, v4
	s_delay_alu instid0(VALU_DEP_1) | instskip(NEXT) | instid1(VALU_DEP_1)
	v_mul_lo_u32 v4, v4, s35
	v_sub_nc_u32_e32 v4, s26, v4
	s_delay_alu instid0(VALU_DEP_1) | instskip(SKIP_1) | instid1(VALU_DEP_2)
	v_subrev_nc_u32_e32 v5, s35, v4
	v_cmp_le_u32_e32 vcc_lo, s35, v4
	v_cndmask_b32_e32 v4, v4, v5, vcc_lo
	s_delay_alu instid0(VALU_DEP_1) | instskip(SKIP_1) | instid1(VALU_DEP_2)
	v_subrev_nc_u32_e32 v5, s35, v4
	v_cmp_le_u32_e32 vcc_lo, s35, v4
	v_cndmask_b32_e32 v12, v4, v5, vcc_lo
	s_delay_alu instid0(VALU_DEP_1)
	v_dual_mov_b32 v4, v12 :: v_dual_mov_b32 v5, v13
.LBB210_435:                            ;   in Loop: Header=BB210_18 Depth=1
	s_delay_alu instid0(VALU_DEP_1) | instskip(NEXT) | instid1(VALU_DEP_2)
	v_sub_co_u32 v4, vcc_lo, s26, v4
	v_sub_co_ci_u32_e32 v5, vcc_lo, s13, v5, vcc_lo
	s_mov_b32 s13, 0
	s_mov_b32 s12, exec_lo
                                        ; implicit-def: $vgpr32
	s_delay_alu instid0(VALU_DEP_1)
	v_cmpx_gt_u64_e64 v[4:5], v[0:1]
	s_cbranch_execz .LBB210_444
; %bb.436:                              ;   in Loop: Header=BB210_18 Depth=1
	v_mov_b32_e32 v8, v25
	v_dual_mov_b32 v7, v1 :: v_dual_mov_b32 v6, v0
                                        ; implicit-def: $sgpr26
	s_set_inst_prefetch_distance 0x1
	s_branch .LBB210_438
	.p2align	6
.LBB210_437:                            ;   in Loop: Header=BB210_438 Depth=2
	s_or_b32 exec_lo, exec_lo, s7
	s_waitcnt lgkmcnt(0)
	s_barrier
	buffer_gl0_inv
	ds_load_b32 v9, v13 offset:3072
	v_add_co_u32 v6, vcc_lo, v6, s35
	v_add_co_ci_u32_e32 v7, vcc_lo, 0, v7, vcc_lo
	v_add_nc_u32_e32 v8, s94, v8
	s_waitcnt lgkmcnt(0)
	s_barrier
	s_delay_alu instid0(VALU_DEP_2) | instskip(SKIP_2) | instid1(VALU_DEP_1)
	v_cmp_ge_u64_e32 vcc_lo, v[6:7], v[4:5]
	buffer_gl0_inv
	v_cmp_neq_f16_e64 s7, 0, v9
	s_or_b32 s62, vcc_lo, s7
	s_delay_alu instid0(SALU_CYCLE_1) | instskip(NEXT) | instid1(SALU_CYCLE_1)
	s_and_b32 s62, exec_lo, s62
	s_or_b32 s13, s62, s13
	s_and_not1_b32 s26, s26, exec_lo
	s_and_b32 s7, s7, exec_lo
	s_delay_alu instid0(SALU_CYCLE_1)
	s_or_b32 s26, s26, s7
	s_and_not1_b32 exec_lo, exec_lo, s13
	s_cbranch_execz .LBB210_443
.LBB210_438:                            ;   Parent Loop BB210_18 Depth=1
                                        ; =>  This Inner Loop Header: Depth=2
	s_delay_alu instid0(VALU_DEP_1)
	v_cmp_gt_u64_e32 vcc_lo, s[8:9], v[6:7]
	v_mov_b32_e32 v9, 0
	s_and_saveexec_b32 s7, vcc_lo
	s_cbranch_execz .LBB210_440
; %bb.439:                              ;   in Loop: Header=BB210_438 Depth=2
	ds_load_u16 v9, v8
.LBB210_440:                            ;   in Loop: Header=BB210_438 Depth=2
	s_or_b32 exec_lo, exec_lo, s7
	s_and_saveexec_b32 s7, vcc_lo
	s_cbranch_execz .LBB210_437
; %bb.441:                              ;   in Loop: Header=BB210_438 Depth=2
	s_waitcnt lgkmcnt(0)
	v_cmp_lt_i16_e32 vcc_lo, -1, v9
	v_and_b32_e32 v12, 0xffff, v9
	v_cndmask_b32_e32 v16, 0xffff, v29, vcc_lo
	v_cmp_o_f16_e32 vcc_lo, v9, v9
	s_delay_alu instid0(VALU_DEP_2) | instskip(NEXT) | instid1(VALU_DEP_1)
	v_xor_b32_e32 v12, v16, v12
	v_cndmask_b32_e32 v12, 0xffff, v12, vcc_lo
	s_delay_alu instid0(VALU_DEP_1) | instskip(NEXT) | instid1(VALU_DEP_1)
	v_and_b32_e32 v12, v12, v30
	v_cmp_eq_u32_e32 vcc_lo, v12, v31
	s_and_b32 exec_lo, exec_lo, vcc_lo
	s_cbranch_execz .LBB210_437
; %bb.442:                              ;   in Loop: Header=BB210_438 Depth=2
	v_perm_b32 v9, v9, s97, 0x5040100
	ds_store_b32 v13, v9 offset:3072
	s_branch .LBB210_437
.LBB210_443:                            ;   in Loop: Header=BB210_18 Depth=1
	s_set_inst_prefetch_distance 0x2
	s_or_b32 exec_lo, exec_lo, s13
	v_lshrrev_b32_e32 v32, 16, v9
	s_and_b32 s13, s26, exec_lo
.LBB210_444:                            ;   in Loop: Header=BB210_18 Depth=1
	s_or_b32 exec_lo, exec_lo, s12
	s_mov_b32 s7, 0
	s_mov_b32 s8, -1
.LBB210_445:                            ;   in Loop: Header=BB210_18 Depth=1
	s_and_b32 vcc_lo, exec_lo, s7
	s_mov_b32 s9, s7
	s_cbranch_vccz .LBB210_461
; %bb.446:                              ;   in Loop: Header=BB210_18 Depth=1
	s_mov_b32 s26, s71
	s_delay_alu instid0(SALU_CYCLE_1)
	s_cmp_lg_u64 s[26:27], 0
	s_cbranch_scc0 .LBB210_448
; %bb.447:                              ;   in Loop: Header=BB210_18 Depth=1
	v_cvt_f32_u32_e32 v4, s35
	s_sub_u32 s9, 0, s35
	s_subb_u32 s12, 0, 0
	s_delay_alu instid0(VALU_DEP_1) | instskip(NEXT) | instid1(VALU_DEP_1)
	v_fmac_f32_e64 v4, 0, 0x4f800000
	v_rcp_f32_e32 v4, v4
	s_waitcnt_depctr 0xfff
	v_mul_f32_e32 v4, 0x5f7ffffc, v4
	s_delay_alu instid0(VALU_DEP_1) | instskip(NEXT) | instid1(VALU_DEP_1)
	v_mul_f32_e32 v5, 0x2f800000, v4
	v_trunc_f32_e32 v5, v5
	s_delay_alu instid0(VALU_DEP_1) | instskip(SKIP_1) | instid1(VALU_DEP_2)
	v_fmac_f32_e32 v4, 0xcf800000, v5
	v_cvt_u32_f32_e32 v5, v5
	v_cvt_u32_f32_e32 v4, v4
	s_delay_alu instid0(VALU_DEP_2) | instskip(NEXT) | instid1(VALU_DEP_2)
	v_readfirstlane_b32 s7, v5
	v_readfirstlane_b32 s8, v4
	s_delay_alu instid0(VALU_DEP_2) | instskip(NEXT) | instid1(VALU_DEP_1)
	s_mul_i32 s13, s9, s7
	s_mul_hi_u32 s62, s9, s8
	s_mul_i32 s26, s12, s8
	s_add_i32 s13, s62, s13
	s_mul_i32 s63, s9, s8
	s_add_i32 s13, s13, s26
	s_mul_hi_u32 s62, s8, s63
	s_mul_hi_u32 s79, s7, s63
	s_mul_i32 s26, s7, s63
	s_mul_hi_u32 s63, s8, s13
	s_mul_i32 s8, s8, s13
	s_mul_hi_u32 s80, s7, s13
	s_add_u32 s8, s62, s8
	s_addc_u32 s62, 0, s63
	s_add_u32 s8, s8, s26
	s_mul_i32 s13, s7, s13
	s_addc_u32 s8, s62, s79
	s_addc_u32 s26, s80, 0
	s_add_u32 s8, s8, s13
	s_addc_u32 s13, 0, s26
	v_add_co_u32 v4, s8, v4, s8
	s_delay_alu instid0(VALU_DEP_1) | instskip(SKIP_1) | instid1(VALU_DEP_1)
	s_cmp_lg_u32 s8, 0
	s_addc_u32 s7, s7, s13
	v_readfirstlane_b32 s8, v4
	s_mul_i32 s13, s9, s7
	s_delay_alu instid0(VALU_DEP_1)
	s_mul_hi_u32 s26, s9, s8
	s_mul_i32 s12, s12, s8
	s_add_i32 s13, s26, s13
	s_mul_i32 s9, s9, s8
	s_add_i32 s13, s13, s12
	s_mul_hi_u32 s26, s7, s9
	s_mul_i32 s62, s7, s9
	s_mul_hi_u32 s9, s8, s9
	s_mul_hi_u32 s63, s8, s13
	s_mul_i32 s8, s8, s13
	s_mul_hi_u32 s12, s7, s13
	s_add_u32 s8, s9, s8
	s_addc_u32 s9, 0, s63
	s_add_u32 s8, s8, s62
	s_mul_i32 s13, s7, s13
	s_addc_u32 s8, s9, s26
	s_addc_u32 s9, s12, 0
	s_add_u32 s8, s8, s13
	s_addc_u32 s9, 0, s9
	v_add_co_u32 v4, s8, v4, s8
	s_delay_alu instid0(VALU_DEP_1) | instskip(SKIP_1) | instid1(VALU_DEP_1)
	s_cmp_lg_u32 s8, 0
	s_addc_u32 s7, s7, s9
	v_readfirstlane_b32 s8, v4
	s_mul_i32 s12, s88, s7
	s_mul_hi_u32 s9, s88, s7
	s_mul_hi_u32 s13, s27, s7
	s_mul_i32 s7, s27, s7
	s_mul_hi_u32 s26, s88, s8
	s_mul_hi_u32 s62, s27, s8
	s_mul_i32 s8, s27, s8
	s_add_u32 s12, s26, s12
	s_addc_u32 s9, 0, s9
	s_add_u32 s8, s12, s8
	s_addc_u32 s8, s9, s62
	s_addc_u32 s9, s13, 0
	s_add_u32 s7, s8, s7
	s_addc_u32 s8, 0, s9
	s_mul_hi_u32 s9, s35, s7
	s_mul_i32 s7, s35, s7
	s_mul_i32 s8, s35, s8
	v_sub_co_u32 v4, s7, s88, s7
	s_add_i32 s9, s9, s8
	s_cmp_lg_u32 s7, 0
	s_delay_alu instid0(VALU_DEP_1) | instskip(SKIP_3) | instid1(VALU_DEP_2)
	v_sub_co_u32 v5, s7, v4, s35
	s_subb_u32 s8, s27, s9
	s_cmp_lg_u32 s7, 0
	v_cmp_le_u32_e32 vcc_lo, s35, v4
	v_cmp_le_u32_e64 s7, s35, v5
	v_sub_co_u32 v6, s9, v5, s35
	s_subb_u32 s12, s8, 0
	s_cmp_lg_u32 s9, 0
	s_delay_alu instid0(VALU_DEP_2)
	v_cndmask_b32_e64 v7, 0, -1, s7
	s_subb_u32 s9, s12, 0
	s_cmp_eq_u32 s12, 0
	v_mov_b32_e32 v9, s9
	v_cndmask_b32_e64 v8, 0, -1, vcc_lo
	s_cselect_b32 vcc_lo, -1, 0
	s_cmp_eq_u32 s8, 0
	v_cndmask_b32_e32 v7, -1, v7, vcc_lo
	s_cselect_b32 vcc_lo, -1, 0
	v_cndmask_b32_e32 v8, -1, v8, vcc_lo
	s_delay_alu instid0(VALU_DEP_2) | instskip(NEXT) | instid1(VALU_DEP_2)
	v_cmp_ne_u32_e32 vcc_lo, 0, v7
	v_cmp_ne_u32_e64 s7, 0, v8
	v_cndmask_b32_e32 v7, s12, v9, vcc_lo
	v_cndmask_b32_e32 v6, v5, v6, vcc_lo
	s_delay_alu instid0(VALU_DEP_2) | instskip(NEXT) | instid1(VALU_DEP_2)
	v_cndmask_b32_e64 v5, s8, v7, s7
	v_cndmask_b32_e64 v4, v4, v6, s7
	s_mov_b32 s7, 0
	s_branch .LBB210_449
.LBB210_448:                            ;   in Loop: Header=BB210_18 Depth=1
	s_mov_b32 s7, -1
                                        ; implicit-def: $vgpr4_vgpr5
.LBB210_449:                            ;   in Loop: Header=BB210_18 Depth=1
	s_delay_alu instid0(SALU_CYCLE_1)
	s_and_not1_b32 vcc_lo, exec_lo, s7
	s_cbranch_vccnz .LBB210_451
; %bb.450:                              ;   in Loop: Header=BB210_18 Depth=1
	v_cvt_f32_u32_e32 v4, s35
	s_sub_i32 s7, 0, s35
	s_delay_alu instid0(VALU_DEP_1) | instskip(SKIP_2) | instid1(VALU_DEP_1)
	v_rcp_iflag_f32_e32 v4, v4
	s_waitcnt_depctr 0xfff
	v_mul_f32_e32 v4, 0x4f7ffffe, v4
	v_cvt_u32_f32_e32 v4, v4
	s_delay_alu instid0(VALU_DEP_1) | instskip(NEXT) | instid1(VALU_DEP_1)
	v_mul_lo_u32 v5, s7, v4
	v_mul_hi_u32 v5, v4, v5
	s_delay_alu instid0(VALU_DEP_1) | instskip(NEXT) | instid1(VALU_DEP_1)
	v_add_nc_u32_e32 v4, v4, v5
	v_mul_hi_u32 v4, s88, v4
	s_delay_alu instid0(VALU_DEP_1) | instskip(NEXT) | instid1(VALU_DEP_1)
	v_mul_lo_u32 v4, v4, s35
	v_sub_nc_u32_e32 v4, s88, v4
	s_delay_alu instid0(VALU_DEP_1) | instskip(SKIP_1) | instid1(VALU_DEP_2)
	v_subrev_nc_u32_e32 v5, s35, v4
	v_cmp_le_u32_e32 vcc_lo, s35, v4
	v_cndmask_b32_e32 v4, v4, v5, vcc_lo
	s_delay_alu instid0(VALU_DEP_1) | instskip(SKIP_1) | instid1(VALU_DEP_2)
	v_subrev_nc_u32_e32 v5, s35, v4
	v_cmp_le_u32_e32 vcc_lo, s35, v4
	v_cndmask_b32_e32 v12, v4, v5, vcc_lo
	s_delay_alu instid0(VALU_DEP_1)
	v_dual_mov_b32 v4, v12 :: v_dual_mov_b32 v5, v13
.LBB210_451:                            ;   in Loop: Header=BB210_18 Depth=1
	s_delay_alu instid0(VALU_DEP_1) | instskip(NEXT) | instid1(VALU_DEP_2)
	v_sub_co_u32 v4, vcc_lo, s88, v4
	v_sub_co_ci_u32_e32 v5, vcc_lo, s27, v5, vcc_lo
	s_mov_b32 s13, 0
	s_mov_b32 s8, exec_lo
                                        ; implicit-def: $vgpr32
	s_delay_alu instid0(VALU_DEP_1)
	v_cmpx_gt_u64_e64 v[4:5], v[0:1]
	s_cbranch_execz .LBB210_460
; %bb.452:                              ;   in Loop: Header=BB210_18 Depth=1
	v_dual_mov_b32 v7, v1 :: v_dual_mov_b32 v6, v0
	s_mov_b32 s9, 0
                                        ; implicit-def: $sgpr12
	s_branch .LBB210_454
.LBB210_453:                            ;   in Loop: Header=BB210_454 Depth=2
	s_or_b32 exec_lo, exec_lo, s7
	s_waitcnt vmcnt(0) lgkmcnt(0)
	s_barrier
	buffer_gl0_inv
	ds_load_b32 v8, v13 offset:3072
	v_add_co_u32 v6, vcc_lo, v6, s35
	v_add_co_ci_u32_e32 v7, vcc_lo, 0, v7, vcc_lo
	s_waitcnt lgkmcnt(0)
	s_barrier
	buffer_gl0_inv
	v_cmp_ge_u64_e32 vcc_lo, v[6:7], v[4:5]
	v_cmp_neq_f16_e64 s7, 0, v8
	s_delay_alu instid0(VALU_DEP_1) | instskip(NEXT) | instid1(SALU_CYCLE_1)
	s_or_b32 s13, vcc_lo, s7
	s_and_b32 s13, exec_lo, s13
	s_delay_alu instid0(SALU_CYCLE_1) | instskip(SKIP_2) | instid1(SALU_CYCLE_1)
	s_or_b32 s9, s13, s9
	s_and_not1_b32 s12, s12, exec_lo
	s_and_b32 s7, s7, exec_lo
	s_or_b32 s12, s12, s7
	s_and_not1_b32 exec_lo, exec_lo, s9
	s_cbranch_execz .LBB210_459
.LBB210_454:                            ;   Parent Loop BB210_18 Depth=1
                                        ; =>  This Inner Loop Header: Depth=2
	s_delay_alu instid0(VALU_DEP_1)
	v_cmp_gt_u64_e32 vcc_lo, s[36:37], v[6:7]
	v_mov_b32_e32 v8, 0
	s_and_saveexec_b32 s13, vcc_lo
	s_cbranch_execz .LBB210_456
; %bb.455:                              ;   in Loop: Header=BB210_454 Depth=2
	v_mul_lo_u32 v12, v7, s30
	v_mul_lo_u32 v16, v6, s31
	v_mad_u64_u32 v[8:9], null, v6, s30, 0
	s_delay_alu instid0(VALU_DEP_1) | instskip(NEXT) | instid1(VALU_DEP_1)
	v_add3_u32 v9, v9, v16, v12
	v_lshlrev_b64 v[8:9], 1, v[8:9]
	s_delay_alu instid0(VALU_DEP_1) | instskip(NEXT) | instid1(VALU_DEP_1)
	v_add_co_u32 v8, s7, s29, v8
	v_add_co_ci_u32_e64 v9, s7, s33, v9, s7
	global_load_u16 v8, v[8:9], off
.LBB210_456:                            ;   in Loop: Header=BB210_454 Depth=2
	s_or_b32 exec_lo, exec_lo, s13
	s_and_saveexec_b32 s7, vcc_lo
	s_cbranch_execz .LBB210_453
; %bb.457:                              ;   in Loop: Header=BB210_454 Depth=2
	s_waitcnt vmcnt(0)
	v_cmp_lt_i16_e32 vcc_lo, -1, v8
	v_dual_cndmask_b32 v12, 0xffff, v29 :: v_dual_and_b32 v9, 0xffff, v8
	v_cmp_o_f16_e32 vcc_lo, v8, v8
	s_delay_alu instid0(VALU_DEP_2) | instskip(NEXT) | instid1(VALU_DEP_1)
	v_xor_b32_e32 v9, v12, v9
	v_cndmask_b32_e32 v9, 0xffff, v9, vcc_lo
	s_delay_alu instid0(VALU_DEP_1) | instskip(NEXT) | instid1(VALU_DEP_1)
	v_and_b32_e32 v9, v9, v30
	v_cmp_eq_u32_e32 vcc_lo, v9, v31
	s_and_b32 exec_lo, exec_lo, vcc_lo
	s_cbranch_execz .LBB210_453
; %bb.458:                              ;   in Loop: Header=BB210_454 Depth=2
	v_perm_b32 v8, v8, s97, 0x5040100
	ds_store_b32 v13, v8 offset:3072
	s_branch .LBB210_453
.LBB210_459:                            ;   in Loop: Header=BB210_18 Depth=1
	s_or_b32 exec_lo, exec_lo, s9
	v_lshrrev_b32_e32 v32, 16, v8
	s_and_b32 s13, s12, exec_lo
.LBB210_460:                            ;   in Loop: Header=BB210_18 Depth=1
	s_or_b32 exec_lo, exec_lo, s8
	s_mov_b32 s8, 0
	s_mov_b32 s7, -1
	s_mov_b32 s9, 0
.LBB210_461:                            ;   in Loop: Header=BB210_18 Depth=1
	s_or_not1_b32 s13, s13, exec_lo
.LBB210_462:                            ;   in Loop: Header=BB210_18 Depth=1
	s_or_b32 exec_lo, exec_lo, s61
	s_mov_b32 s26, 0
                                        ; implicit-def: $vgpr7
                                        ; implicit-def: $vgpr4_vgpr5
	s_and_saveexec_b32 s12, s13
	s_cbranch_execz .LBB210_474
; %bb.463:                              ;   in Loop: Header=BB210_18 Depth=1
	v_dual_mov_b32 v4, 1 :: v_dual_mov_b32 v7, 1
	v_mov_b32_e32 v5, 0
	s_xor_b32 s26, s60, -1
	s_delay_alu instid0(SALU_CYCLE_1)
	s_and_saveexec_b32 s13, s26
	s_cbranch_execz .LBB210_473
; %bb.464:                              ;   in Loop: Header=BB210_18 Depth=1
	s_mov_b32 s26, exec_lo
                                        ; implicit-def: $sgpr60
	v_cmpx_ge_u64_e64 s[10:11], v[2:3]
	s_xor_b32 s26, exec_lo, s26
	s_cbranch_execz .LBB210_470
; %bb.465:                              ;   in Loop: Header=BB210_18 Depth=1
	ds_load_b64 v[4:5], v13 offset:5120
	s_waitcnt lgkmcnt(0)
	v_cmp_ne_u64_e32 vcc_lo, 0, v[4:5]
	s_cbranch_vccnz .LBB210_469
; %bb.466:                              ;   in Loop: Header=BB210_18 Depth=1
	s_and_saveexec_b32 s60, s5
	s_cbranch_execz .LBB210_468
; %bb.467:                              ;   in Loop: Header=BB210_18 Depth=1
	v_dual_mov_b32 v4, s10 :: v_dual_mov_b32 v5, s11
	ds_store_b64 v13, v[4:5] offset:5128
.LBB210_468:                            ;   in Loop: Header=BB210_18 Depth=1
	s_or_b32 exec_lo, exec_lo, s60
	s_waitcnt lgkmcnt(0)
	s_barrier
	buffer_gl0_inv
.LBB210_469:                            ;   in Loop: Header=BB210_18 Depth=1
	v_and_b32_e32 v31, s21, v31
	v_or_b32_e32 v30, s20, v30
	s_mov_b32 s60, 5
.LBB210_470:                            ;   in Loop: Header=BB210_18 Depth=1
	s_or_saveexec_b32 s20, s26
	v_mov_b32_e32 v7, s60
	s_xor_b32 exec_lo, exec_lo, s20
; %bb.471:                              ;   in Loop: Header=BB210_18 Depth=1
	v_sub_co_u32 v2, vcc_lo, v2, s10
	v_subrev_co_ci_u32_e32 v3, vcc_lo, s11, v3, vcc_lo
	v_mov_b32_e32 v7, 5
; %bb.472:                              ;   in Loop: Header=BB210_18 Depth=1
	s_or_b32 exec_lo, exec_lo, s20
	s_delay_alu instid0(VALU_DEP_2)
	v_dual_mov_b32 v5, v3 :: v_dual_mov_b32 v4, v2
.LBB210_473:                            ;   in Loop: Header=BB210_18 Depth=1
	s_or_b32 exec_lo, exec_lo, s13
	s_delay_alu instid0(SALU_CYCLE_1)
	s_mov_b32 s26, exec_lo
.LBB210_474:                            ;   in Loop: Header=BB210_18 Depth=1
	s_or_b32 exec_lo, exec_lo, s12
	s_delay_alu instid0(VALU_DEP_1)
	v_dual_mov_b32 v2, v4 :: v_dual_mov_b32 v3, v5
	s_or_not1_b32 s12, s26, exec_lo
.LBB210_475:                            ;   in Loop: Header=BB210_18 Depth=1
	s_or_b32 exec_lo, exec_lo, s22
	s_delay_alu instid0(SALU_CYCLE_1)
	s_and_not1_b32 s10, s14, exec_lo
	s_and_b32 s7, s7, exec_lo
	s_and_b32 s8, s8, exec_lo
	s_or_b32 s14, s10, s7
	s_and_not1_b32 s7, s15, exec_lo
	s_and_not1_b32 s10, s77, exec_lo
	s_and_b32 s9, s9, exec_lo
	v_dual_mov_b32 v5, v3 :: v_dual_mov_b32 v4, v2
	s_or_b32 s15, s7, s8
	s_or_b32 s77, s10, s9
	s_and_b32 s26, s12, exec_lo
.LBB210_476:                            ;   in Loop: Header=BB210_18 Depth=1
	s_or_b32 exec_lo, exec_lo, s78
	s_delay_alu instid0(SALU_CYCLE_1)
	s_and_b32 s14, s14, exec_lo
	s_and_b32 s9, s15, exec_lo
	;; [unrolled: 1-line block ×3, first 2 shown]
	s_or_not1_b32 s7, s26, exec_lo
.LBB210_477:                            ;   in Loop: Header=BB210_18 Depth=1
	s_or_b32 exec_lo, exec_lo, s76
	s_delay_alu instid0(SALU_CYCLE_1)
	s_and_not1_b32 s10, s16, exec_lo
	s_and_b32 s11, s14, exec_lo
	s_and_b32 s9, s9, exec_lo
	s_or_b32 s16, s10, s11
	s_and_not1_b32 s10, s17, exec_lo
	s_and_not1_b32 s11, s74, exec_lo
	s_and_b32 s8, s8, exec_lo
	v_dual_mov_b32 v2, v4 :: v_dual_mov_b32 v3, v5
	s_or_b32 s17, s10, s9
	s_or_b32 s74, s11, s8
	s_and_b32 s26, s7, exec_lo
.LBB210_478:                            ;   in Loop: Header=BB210_18 Depth=1
	s_or_b32 exec_lo, exec_lo, s75
	s_delay_alu instid0(SALU_CYCLE_1)
	s_and_b32 s16, s16, exec_lo
	s_and_b32 s9, s17, exec_lo
	;; [unrolled: 1-line block ×3, first 2 shown]
	s_or_not1_b32 s17, s26, exec_lo
.LBB210_479:                            ;   in Loop: Header=BB210_18 Depth=1
	s_or_b32 exec_lo, exec_lo, s70
	s_mov_b32 s7, s25
	s_mov_b32 s10, s24
	s_and_saveexec_b32 s11, s17
; %bb.480:                              ;   in Loop: Header=BB210_18 Depth=1
	v_cmp_eq_u32_e32 vcc_lo, 5, v7
	v_cmp_ne_u32_e64 s7, 5, v7
	s_and_not1_b32 s10, s24, exec_lo
	s_and_not1_b32 s12, s25, exec_lo
	;; [unrolled: 1-line block ×3, first 2 shown]
	s_and_b32 s13, vcc_lo, exec_lo
	s_and_b32 s7, s7, exec_lo
	s_and_not1_b32 s9, s9, exec_lo
	s_and_not1_b32 s8, s8, exec_lo
	s_or_b32 s10, s10, s7
	s_or_b32 s7, s12, s13
; %bb.481:                              ;   in Loop: Header=BB210_18 Depth=1
	s_or_b32 exec_lo, exec_lo, s11
	s_delay_alu instid0(SALU_CYCLE_1)
	s_and_not1_b32 s11, s18, exec_lo
	s_and_b32 s12, s16, exec_lo
	s_and_b32 s9, s9, exec_lo
	s_or_b32 s18, s11, s12
	s_and_not1_b32 s11, s19, exec_lo
	s_and_not1_b32 s12, s23, exec_lo
	s_and_b32 s8, s8, exec_lo
	v_dual_mov_b32 v8, v31 :: v_dual_mov_b32 v9, v30
	v_mov_b32_e32 v6, v32
	s_or_b32 s19, s11, s9
	s_or_b32 s23, s12, s8
	s_and_not1_b32 s8, s24, exec_lo
	s_and_b32 s9, s10, exec_lo
	s_and_not1_b32 s10, s25, exec_lo
	s_and_b32 s7, s7, exec_lo
	s_or_b32 s24, s8, s9
	s_or_b32 s25, s10, s7
.LBB210_482:                            ;   in Loop: Header=BB210_18 Depth=1
	s_or_b32 exec_lo, exec_lo, s69
	s_mov_b32 s70, s23
	s_mov_b32 s69, s23
	s_and_saveexec_b32 s7, s25
.LBB210_483:                            ;   in Loop: Header=BB210_18 Depth=1
	v_mov_b32_e32 v7, 0
	s_and_not1_b32 s23, s23, exec_lo
	s_and_not1_b32 s18, s18, exec_lo
	;; [unrolled: 1-line block ×5, first 2 shown]
	s_or_b32 s24, s24, exec_lo
.LBB210_484:                            ;   in Loop: Header=BB210_18 Depth=1
	s_or_b32 exec_lo, exec_lo, s7
	s_delay_alu instid0(SALU_CYCLE_1)
	s_and_not1_b32 s7, s68, exec_lo
	s_and_b32 s9, s23, exec_lo
	s_and_not1_b32 s10, vcc_hi, exec_lo
	s_or_b32 s68, s7, s9
	s_and_not1_b32 s7, s67, exec_lo
	s_and_b32 s9, s18, exec_lo
	s_and_b32 s11, s19, exec_lo
	s_or_b32 s67, s7, s9
	s_or_b32 vcc_hi, s10, s11
	s_and_not1_b32 s7, s66, exec_lo
	s_and_b32 s9, s70, exec_lo
	s_and_not1_b32 s10, s104, exec_lo
	s_and_b32 s11, s69, exec_lo
	s_mov_b32 s8, -1
	s_or_b32 s66, s7, s9
	s_or_b32 s104, s10, s11
                                        ; implicit-def: $vgpr30
                                        ; implicit-def: $vgpr31
                                        ; implicit-def: $vgpr16_vgpr17
                                        ; implicit-def: $vgpr32
	s_and_saveexec_b32 s7, s24
	s_delay_alu instid0(SALU_CYCLE_1)
	s_xor_b32 s7, exec_lo, s7
	s_cbranch_execz .LBB210_17
; %bb.485:                              ;   in Loop: Header=BB210_18 Depth=1
	s_mov_b32 s9, -1
	s_mov_b32 s10, exec_lo
	v_cmpx_eq_u32_e32 0, v7
	s_cbranch_execz .LBB210_16
; %bb.486:                              ;   in Loop: Header=BB210_18 Depth=1
	s_xor_b32 s99, s99, 1
	s_add_i32 s11, s95, -2
	s_cmp_eq_u32 s95, 0
	s_mov_b32 s95, s11
	s_cselect_b32 s8, -1, 0
	s_xor_b32 s9, exec_lo, -1
	s_or_not1_b32 s8, s8, exec_lo
	s_branch .LBB210_16
.LBB210_487:
	s_or_b32 exec_lo, exec_lo, s96
	s_xor_b32 s7, s103, -1
	s_xor_b32 s9, s101, -1
	;; [unrolled: 1-line block ×5, first 2 shown]
	s_mov_b32 s8, 0
	s_and_saveexec_b32 s12, s11
	s_delay_alu instid0(SALU_CYCLE_1)
	s_xor_b32 s14, exec_lo, s12
	s_cbranch_execz .LBB210_546
; %bb.488:
	s_and_saveexec_b32 s11, s10
	s_delay_alu instid0(SALU_CYCLE_1)
	s_xor_b32 s15, exec_lo, s11
	s_cbranch_execz .LBB210_544
; %bb.489:
	;; [unrolled: 5-line block ×4, first 2 shown]
	s_and_saveexec_b32 s7, s6
	s_delay_alu instid0(SALU_CYCLE_1)
	s_xor_b32 s6, exec_lo, s7
; %bb.492:
	v_and_b32_e32 v2, 0x8000, v8
	v_mov_b32_e32 v3, 0xffff
	s_delay_alu instid0(VALU_DEP_2) | instskip(NEXT) | instid1(VALU_DEP_2)
	v_cmp_eq_u32_e32 vcc_lo, 0, v2
	v_cndmask_b32_e32 v2, 0x8000, v3, vcc_lo
	s_delay_alu instid0(VALU_DEP_1)
	v_xor_b32_e32 v6, v2, v8
; %bb.493:
	s_or_b32 exec_lo, exec_lo, s6
	s_and_saveexec_b32 s6, s5
	s_cbranch_execz .LBB210_495
; %bb.494:
	v_mov_b32_e32 v2, 0
	s_delay_alu instid0(VALU_DEP_1)
	v_mov_b32_e32 v3, v2
	ds_store_b64 v2, v[2:3] offset:5136
.LBB210_495:
	s_or_b32 exec_lo, exec_lo, s6
	v_mov_b32_e32 v16, 0
	s_waitcnt lgkmcnt(0)
	s_barrier
	buffer_gl0_inv
	s_and_saveexec_b32 s5, s4
	s_cbranch_execz .LBB210_497
; %bb.496:
	global_load_u16 v16, v[10:11], off
.LBB210_497:
	s_or_b32 exec_lo, exec_lo, s5
	s_clause 0x2
	s_load_b64 s[26:27], s[0:1], 0x450
	s_load_b128 s[48:51], s[0:1], 0x298
	s_load_b64 s[24:25], s[0:1], 0x2a8
	s_add_u32 s5, s36, 31
	s_addc_u32 s7, s37, 0
	s_and_b32 s6, s5, 0xffffffe0
	s_mul_i32 s5, s64, s47
	s_mul_hi_u32 s8, s64, s46
	s_mul_i32 s9, s64, s46
	s_add_i32 s8, s8, s5
	s_sub_u32 s12, s34, s9
	s_subb_u32 s8, 0, s8
	s_mul_i32 s18, s56, s42
	s_mul_i32 s20, s58, s44
	v_mov_b32_e32 v15, 0x8000
	v_cmp_lt_i16_e32 vcc_lo, -1, v6
	v_and_b32_e32 v2, 0xffff, v6
	s_mov_b32 s21, -1
	s_delay_alu instid0(VALU_DEP_3)
	v_cndmask_b32_e32 v3, 0xffff, v15, vcc_lo
	s_waitcnt lgkmcnt(0)
	s_mul_i32 s5, s12, s27
	s_mul_hi_u32 s9, s12, s26
	s_mul_i32 s8, s8, s26
	s_add_i32 s5, s9, s5
	s_mul_i32 s9, s28, s40
	s_add_i32 s13, s5, s8
	s_mul_i32 s5, s28, s41
	s_mul_hi_u32 s8, s28, s40
	s_mul_hi_u32 s11, s28, s48
	s_add_i32 s8, s8, s5
	s_sub_u32 s5, s56, s9
	s_subb_u32 s8, s57, s8
	s_mul_i32 s9, s5, s51
	s_mul_hi_u32 s10, s5, s50
	s_mul_i32 s8, s8, s50
	s_add_i32 s9, s10, s9
	s_mul_i32 s10, s28, s49
	s_add_i32 s9, s9, s8
	s_add_i32 s11, s11, s10
	s_mul_i32 s8, s56, s43
	s_mul_hi_u32 s10, s56, s42
	s_load_b128 s[40:43], s[0:1], 0x440
	s_add_i32 s10, s10, s8
	s_sub_u32 s18, s34, s18
	s_subb_u32 s10, 0, s10
	s_mul_i32 s8, s18, s25
	s_mul_hi_u32 s19, s18, s24
	s_mul_i32 s10, s10, s24
	s_add_i32 s8, s19, s8
	s_mul_i32 s18, s18, s24
	s_add_i32 s19, s8, s10
	s_mul_i32 s8, s58, s45
	s_mul_hi_u32 s10, s58, s44
	s_load_b64 s[44:45], s[0:1], 0x1c8
	s_add_i32 s10, s10, s8
	s_sub_u32 s20, s64, s20
	s_mul_i32 s8, s5, s50
	s_subb_u32 s10, s65, s10
	v_xor_b32_e32 v2, v3, v2
	v_cmp_o_f16_e32 vcc_lo, v6, v6
	s_mul_i32 s12, s12, s26
	s_waitcnt lgkmcnt(0)
	s_mul_i32 s5, s20, s43
	s_mul_hi_u32 s22, s20, s42
	s_mul_i32 s24, s58, s40
	s_add_i32 s5, s22, s5
	s_mul_i32 s22, s10, s42
	s_mul_i32 s10, s28, s48
	s_add_i32 s23, s5, s22
	s_mul_i32 s5, s58, s41
	s_mul_hi_u32 s22, s58, s40
	s_lshl_b64 s[10:11], s[10:11], 1
	s_add_i32 s25, s22, s5
	v_cndmask_b32_e32 v14, 0xffff, v2, vcc_lo
	s_add_u32 s5, s44, s10
	s_addc_u32 s10, s45, s11
	s_lshl_b64 s[8:9], s[8:9], 1
	v_cmp_gt_u64_e32 vcc_lo, s[6:7], v[0:1]
	s_add_u32 s5, s5, s8
	s_addc_u32 s22, s10, s9
	s_clause 0x1
	s_load_b64 s[8:9], s[0:1], 0x368
	s_load_b64 s[10:11], s[0:1], 0x510
	s_lshl_b64 s[0:1], s[18:19], 1
	s_delay_alu instid0(SALU_CYCLE_1)
	s_add_u32 s5, s5, s0
	s_addc_u32 s18, s22, s1
	s_lshl_b64 s[0:1], s[24:25], 3
	v_readlane_b32 s24, v37, 0
	v_readlane_b32 s25, v37, 1
	s_mul_i32 s22, s20, s42
	s_delay_alu instid0(VALU_DEP_2) | instskip(NEXT) | instid1(VALU_DEP_1)
	s_add_u32 s19, s24, s0
	s_addc_u32 s20, s25, s1
	s_lshl_b64 s[0:1], s[22:23], 3
	s_delay_alu instid0(SALU_CYCLE_1) | instskip(SKIP_2) | instid1(SALU_CYCLE_1)
	s_add_u32 s19, s19, s0
	s_addc_u32 s20, s20, s1
	s_lshl_b64 s[0:1], s[12:13], 3
	s_add_u32 s12, s19, s0
	s_addc_u32 s13, s20, s1
	s_mov_b32 s19, 0
	s_mov_b32 s1, 0
	s_and_saveexec_b32 s20, vcc_lo
	s_cbranch_execz .LBB210_515
; %bb.498:
	v_mov_b32_e32 v9, v1
	v_dual_mov_b32 v3, 0 :: v_dual_mov_b32 v8, v0
	s_mov_b32 s21, 0
                                        ; implicit-def: $sgpr22
                                        ; implicit-def: $vgpr6_vgpr7
	s_branch .LBB210_500
.LBB210_499:                            ;   in Loop: Header=BB210_500 Depth=1
	s_or_b32 exec_lo, exec_lo, s23
	s_xor_b32 s0, s25, -1
	s_and_b32 s1, exec_lo, s1
	v_dual_mov_b32 v9, v5 :: v_dual_mov_b32 v8, v4
	s_or_b32 s21, s1, s21
	s_waitcnt vmcnt(0)
	v_mov_b32_e32 v16, v17
	s_and_not1_b32 s1, s22, exec_lo
	s_and_b32 s0, s0, exec_lo
	s_delay_alu instid0(SALU_CYCLE_1)
	s_or_b32 s22, s1, s0
	s_and_not1_b32 exec_lo, exec_lo, s21
	s_cbranch_execz .LBB210_514
.LBB210_500:                            ; =>This Inner Loop Header: Depth=1
	s_delay_alu instid0(VALU_DEP_1) | instskip(NEXT) | instid1(VALU_DEP_1)
	v_add_co_u32 v4, s0, v8, s35
	v_add_co_ci_u32_e64 v5, s0, 0, v9, s0
	v_mov_b32_e32 v17, 0
	s_mov_b32 s1, exec_lo
	s_delay_alu instid0(VALU_DEP_2)
	v_cmpx_gt_u64_e64 s[36:37], v[4:5]
	s_cbranch_execz .LBB210_502
; %bb.501:                              ;   in Loop: Header=BB210_500 Depth=1
	v_mul_lo_u32 v2, v5, s30
	v_mul_lo_u32 v17, v4, s31
	v_mad_u64_u32 v[12:13], null, v4, s30, 0
	s_delay_alu instid0(VALU_DEP_1) | instskip(NEXT) | instid1(VALU_DEP_1)
	v_add3_u32 v13, v13, v17, v2
	v_lshlrev_b64 v[12:13], 1, v[12:13]
	s_delay_alu instid0(VALU_DEP_1) | instskip(NEXT) | instid1(VALU_DEP_1)
	v_add_co_u32 v12, s0, s29, v12
	v_add_co_ci_u32_e64 v13, s0, s33, v13, s0
	global_load_u16 v17, v[12:13], off
.LBB210_502:                            ;   in Loop: Header=BB210_500 Depth=1
	s_or_b32 exec_lo, exec_lo, s1
	s_mov_b32 s23, 0
	s_mov_b32 s1, exec_lo
	v_cmpx_gt_u64_e64 s[36:37], v[8:9]
	s_cbranch_execz .LBB210_504
; %bb.503:                              ;   in Loop: Header=BB210_500 Depth=1
	s_waitcnt vmcnt(0)
	v_cmp_lt_i16_e64 s0, -1, v16
	v_and_b32_e32 v2, 0xffff, v16
	s_delay_alu instid0(VALU_DEP_2) | instskip(SKIP_1) | instid1(VALU_DEP_2)
	v_cndmask_b32_e64 v12, 0xffff, v15, s0
	v_cmp_o_f16_e64 s0, v16, v16
	v_xor_b32_e32 v2, v12, v2
	s_delay_alu instid0(VALU_DEP_1) | instskip(NEXT) | instid1(VALU_DEP_1)
	v_cndmask_b32_e64 v2, 0xffff, v2, s0
	v_cmp_gt_u32_e64 s0, v2, v14
	s_delay_alu instid0(VALU_DEP_1) | instskip(SKIP_1) | instid1(VALU_DEP_1)
	v_cndmask_b32_e64 v12, 0, 1, s0
	v_cmp_lt_u32_e64 s0, v2, v14
	v_cndmask_b32_e64 v2, 0, 1, s0
	s_delay_alu instid0(VALU_DEP_1) | instskip(NEXT) | instid1(VALU_DEP_1)
	v_cndmask_b32_e64 v2, v2, v12, s3
	v_and_b32_e32 v2, 1, v2
	s_delay_alu instid0(VALU_DEP_1) | instskip(NEXT) | instid1(VALU_DEP_1)
	v_cmp_eq_u32_e64 s0, 1, v2
	s_and_b32 s23, s0, exec_lo
.LBB210_504:                            ;   in Loop: Header=BB210_500 Depth=1
	s_or_b32 exec_lo, exec_lo, s1
	v_cndmask_b32_e64 v2, 0, 1, s23
	s_delay_alu instid0(VALU_DEP_1) | instskip(NEXT) | instid1(VALU_DEP_1)
	v_cmp_ne_u32_e64 s0, 0, v2
	s_cmp_lg_u32 s0, 0
	s_cselect_b32 s1, -1, 0
	s_delay_alu instid0(SALU_CYCLE_1) | instskip(NEXT) | instid1(SALU_CYCLE_1)
	s_and_b32 s1, s2, s1
	s_and_saveexec_b32 s24, s1
	s_cbranch_execz .LBB210_508
; %bb.505:                              ;   in Loop: Header=BB210_500 Depth=1
	s_mov_b32 s27, exec_lo
	s_bcnt1_i32_b32 s25, s0
	v_mbcnt_lo_u32_b32 v12, s27, 0
	s_mov_b32 s26, exec_lo
                                        ; implicit-def: $vgpr6_vgpr7
	s_delay_alu instid0(VALU_DEP_1)
	v_cmpx_eq_u32_e32 0, v12
	s_cbranch_execz .LBB210_507
; %bb.506:                              ;   in Loop: Header=BB210_500 Depth=1
	s_bcnt1_i32_b32 s1, s27
	s_delay_alu instid0(SALU_CYCLE_1) | instskip(NEXT) | instid1(SALU_CYCLE_1)
	s_mul_i32 s1, s25, s1
	v_mov_b32_e32 v2, s1
	s_waitcnt lgkmcnt(0)
	ds_add_rtn_u64 v[6:7], v3, v[2:3] offset:5136
.LBB210_507:                            ;   in Loop: Header=BB210_500 Depth=1
	s_or_b32 exec_lo, exec_lo, s26
	s_waitcnt lgkmcnt(0)
	v_readfirstlane_b32 s27, v7
	v_readfirstlane_b32 s26, v6
	s_delay_alu instid0(VALU_DEP_1)
	v_mad_u64_u32 v[6:7], null, s25, v12, s[26:27]
.LBB210_508:                            ;   in Loop: Header=BB210_500 Depth=1
	s_or_b32 exec_lo, exec_lo, s24
	s_waitcnt lgkmcnt(0)
	ds_bpermute_b32 v6, v3, v6
	ds_bpermute_b32 v7, v3, v7
	s_mov_b32 s1, -1
	s_mov_b32 s26, -1
                                        ; implicit-def: $sgpr25
	s_and_saveexec_b32 s24, s23
	s_cbranch_execz .LBB210_512
; %bb.509:                              ;   in Loop: Header=BB210_500 Depth=1
	v_and_b32_e32 v2, s0, v22
	s_mov_b32 s23, 0
	s_mov_b32 s25, exec_lo
	s_delay_alu instid0(VALU_DEP_1) | instskip(SKIP_1) | instid1(VALU_DEP_1)
	v_bcnt_u32_b32 v2, v2, 0
	s_waitcnt lgkmcnt(0)
	v_add_co_u32 v12, s0, v6, v2
	s_delay_alu instid0(VALU_DEP_1) | instskip(NEXT) | instid1(VALU_DEP_1)
	v_add_co_ci_u32_e64 v13, s0, 0, v7, s0
	v_cmpx_gt_u64_e64 s[38:39], v[12:13]
	s_cbranch_execz .LBB210_511
; %bb.510:                              ;   in Loop: Header=BB210_500 Depth=1
	v_mul_lo_u32 v2, v13, s8
	v_mul_lo_u32 v23, v12, s9
	v_mad_u64_u32 v[18:19], null, v12, s8, 0
	v_mul_lo_u32 v13, v13, s10
	v_mul_lo_u32 v24, v12, s11
	v_mad_u64_u32 v[20:21], null, v12, s10, 0
	s_mov_b32 s23, exec_lo
	s_delay_alu instid0(VALU_DEP_4) | instskip(NEXT) | instid1(VALU_DEP_2)
	v_add3_u32 v19, v19, v23, v2
	v_add3_u32 v21, v21, v24, v13
	s_delay_alu instid0(VALU_DEP_2) | instskip(NEXT) | instid1(VALU_DEP_2)
	v_lshlrev_b64 v[12:13], 1, v[18:19]
	v_lshlrev_b64 v[18:19], 3, v[20:21]
	s_delay_alu instid0(VALU_DEP_2) | instskip(NEXT) | instid1(VALU_DEP_1)
	v_add_co_u32 v12, s0, s5, v12
	v_add_co_ci_u32_e64 v13, s0, s18, v13, s0
	s_delay_alu instid0(VALU_DEP_3) | instskip(NEXT) | instid1(VALU_DEP_1)
	v_add_co_u32 v18, s0, s12, v18
	v_add_co_ci_u32_e64 v19, s0, s13, v19, s0
	s_waitcnt vmcnt(0)
	global_store_b16 v[12:13], v16, off
	global_store_b64 v[18:19], v[8:9], off
.LBB210_511:                            ;   in Loop: Header=BB210_500 Depth=1
	s_or_b32 exec_lo, exec_lo, s25
	s_mov_b32 s25, -1
	s_or_not1_b32 s26, s23, exec_lo
.LBB210_512:                            ;   in Loop: Header=BB210_500 Depth=1
	s_or_b32 exec_lo, exec_lo, s24
	s_and_saveexec_b32 s23, s26
	s_cbranch_execz .LBB210_499
; %bb.513:                              ;   in Loop: Header=BB210_500 Depth=1
	v_cmp_le_u64_e64 s0, s[6:7], v[4:5]
	s_and_not1_b32 s25, s25, exec_lo
	s_delay_alu instid0(VALU_DEP_1)
	s_or_not1_b32 s1, s0, exec_lo
	s_branch .LBB210_499
.LBB210_514:
	s_or_b32 exec_lo, exec_lo, s21
	s_delay_alu instid0(SALU_CYCLE_1)
	s_mov_b32 s1, exec_lo
	s_or_not1_b32 s21, s22, exec_lo
.LBB210_515:
	s_or_b32 exec_lo, exec_lo, s20
	s_and_saveexec_b32 s3, s21
	s_cbranch_execz .LBB210_538
; %bb.516:
	v_mov_b32_e32 v12, 0
	s_waitcnt vmcnt(0) lgkmcnt(0)
	s_waitcnt_vscnt null, 0x0
	s_barrier
	buffer_gl0_inv
	s_and_saveexec_b32 s0, s4
	s_cbranch_execz .LBB210_518
; %bb.517:
	global_load_u16 v12, v[10:11], off
.LBB210_518:
	s_or_b32 exec_lo, exec_lo, s0
	s_mov_b32 s0, 0
	s_and_saveexec_b32 s4, vcc_lo
	s_cbranch_execz .LBB210_537
; %bb.519:
	v_dual_mov_b32 v10, 0x8000 :: v_dual_mov_b32 v3, 0
	s_mov_b32 s20, 0
                                        ; implicit-def: $sgpr19
                                        ; implicit-def: $vgpr4_vgpr5
	s_branch .LBB210_522
.LBB210_520:                            ;   in Loop: Header=BB210_522 Depth=1
	s_or_b32 exec_lo, exec_lo, s22
	v_mov_b32_e32 v12, v11
	v_dual_mov_b32 v0, v6 :: v_dual_mov_b32 v1, v7
	s_or_not1_b32 s23, s23, exec_lo
	s_or_not1_b32 s21, s21, exec_lo
.LBB210_521:                            ;   in Loop: Header=BB210_522 Depth=1
	s_or_b32 exec_lo, exec_lo, s0
	s_xor_b32 s0, s23, -1
	s_and_b32 s21, exec_lo, s21
	s_delay_alu instid0(SALU_CYCLE_1) | instskip(SKIP_2) | instid1(SALU_CYCLE_1)
	s_or_b32 s20, s21, s20
	s_and_not1_b32 s19, s19, exec_lo
	s_and_b32 s0, s0, exec_lo
	s_or_b32 s19, s19, s0
	s_and_not1_b32 exec_lo, exec_lo, s20
	s_cbranch_execz .LBB210_535
.LBB210_522:                            ; =>This Inner Loop Header: Depth=1
	v_add_co_u32 v6, vcc_lo, v0, s35
	v_add_co_ci_u32_e32 v7, vcc_lo, 0, v1, vcc_lo
	v_mov_b32_e32 v11, 0
	s_mov_b32 s0, exec_lo
	s_delay_alu instid0(VALU_DEP_2)
	v_cmpx_gt_u64_e64 s[36:37], v[6:7]
	s_cbranch_execz .LBB210_524
; %bb.523:                              ;   in Loop: Header=BB210_522 Depth=1
	v_mul_lo_u32 v2, v7, s30
	v_mul_lo_u32 v11, v6, s31
	v_mad_u64_u32 v[8:9], null, v6, s30, 0
	s_delay_alu instid0(VALU_DEP_1) | instskip(NEXT) | instid1(VALU_DEP_1)
	v_add3_u32 v9, v9, v11, v2
	v_lshlrev_b64 v[8:9], 1, v[8:9]
	s_delay_alu instid0(VALU_DEP_1) | instskip(NEXT) | instid1(VALU_DEP_2)
	v_add_co_u32 v8, vcc_lo, s29, v8
	v_add_co_ci_u32_e32 v9, vcc_lo, s33, v9, vcc_lo
	global_load_u16 v11, v[8:9], off
.LBB210_524:                            ;   in Loop: Header=BB210_522 Depth=1
	s_or_b32 exec_lo, exec_lo, s0
	s_waitcnt vmcnt(0)
	v_cmp_lt_i16_e32 vcc_lo, -1, v12
	v_and_b32_e32 v2, 0xffff, v12
	v_cndmask_b32_e32 v8, 0xffff, v10, vcc_lo
	v_cmp_o_f16_e32 vcc_lo, v12, v12
	s_delay_alu instid0(VALU_DEP_2) | instskip(NEXT) | instid1(VALU_DEP_1)
	v_xor_b32_e32 v2, v8, v2
	v_cndmask_b32_e32 v2, 0xffff, v2, vcc_lo
	v_cmp_gt_u64_e32 vcc_lo, s[36:37], v[0:1]
	s_delay_alu instid0(VALU_DEP_2) | instskip(NEXT) | instid1(VALU_DEP_1)
	v_cmp_eq_u32_e64 s0, v2, v14
	s_and_b32 s22, vcc_lo, s0
	s_delay_alu instid0(SALU_CYCLE_1) | instskip(NEXT) | instid1(VALU_DEP_1)
	v_cndmask_b32_e64 v2, 0, 1, s22
	v_cmp_ne_u32_e32 vcc_lo, 0, v2
	s_cmp_lg_u32 vcc_lo, 0
	s_cselect_b32 s0, -1, 0
	s_delay_alu instid0(SALU_CYCLE_1) | instskip(NEXT) | instid1(SALU_CYCLE_1)
	s_and_b32 s0, s2, s0
	s_and_saveexec_b32 s21, s0
	s_cbranch_execz .LBB210_528
; %bb.525:                              ;   in Loop: Header=BB210_522 Depth=1
	s_mov_b32 s25, exec_lo
	s_bcnt1_i32_b32 s23, vcc_lo
	v_mbcnt_lo_u32_b32 v8, s25, 0
	s_mov_b32 s24, exec_lo
                                        ; implicit-def: $vgpr4_vgpr5
	s_delay_alu instid0(VALU_DEP_1)
	v_cmpx_eq_u32_e32 0, v8
	s_cbranch_execz .LBB210_527
; %bb.526:                              ;   in Loop: Header=BB210_522 Depth=1
	s_bcnt1_i32_b32 s0, s25
	s_delay_alu instid0(SALU_CYCLE_1) | instskip(NEXT) | instid1(SALU_CYCLE_1)
	s_mul_i32 s0, s23, s0
	v_mov_b32_e32 v2, s0
	ds_add_rtn_u64 v[4:5], v3, v[2:3] offset:5136
.LBB210_527:                            ;   in Loop: Header=BB210_522 Depth=1
	s_or_b32 exec_lo, exec_lo, s24
	s_waitcnt lgkmcnt(0)
	v_readfirstlane_b32 s25, v5
	v_readfirstlane_b32 s24, v4
	s_delay_alu instid0(VALU_DEP_1)
	v_mad_u64_u32 v[4:5], null, s23, v8, s[24:25]
.LBB210_528:                            ;   in Loop: Header=BB210_522 Depth=1
	s_or_b32 exec_lo, exec_lo, s21
	ds_bpermute_b32 v4, v3, v4
	ds_bpermute_b32 v5, v3, v5
	s_cmp_eq_u32 vcc_lo, 0
	s_mov_b32 s21, -1
	s_cselect_b32 s23, -1, 0
	s_waitcnt lgkmcnt(0)
	v_cmp_gt_u64_e64 s0, s[38:39], v[4:5]
	s_delay_alu instid0(VALU_DEP_1)
	s_or_b32 s24, s23, s0
	s_mov_b32 s23, -1
	s_and_saveexec_b32 s0, s24
	s_cbranch_execz .LBB210_521
; %bb.529:                              ;   in Loop: Header=BB210_522 Depth=1
	v_and_b32_e32 v2, vcc_lo, v22
	v_sub_co_u32 v8, vcc_lo, s38, v4
	v_sub_co_ci_u32_e32 v9, vcc_lo, s39, v5, vcc_lo
	s_delay_alu instid0(VALU_DEP_3) | instskip(SKIP_1) | instid1(VALU_DEP_1)
	v_bcnt_u32_b32 v2, v2, 0
	s_mov_b32 s24, -1
	v_bcnt_u32_b32 v2, 0, v2
	s_delay_alu instid0(VALU_DEP_1) | instskip(SKIP_1) | instid1(SALU_CYCLE_1)
	v_cmp_gt_u64_e32 vcc_lo, v[8:9], v[2:3]
	s_and_b32 s25, s22, vcc_lo
	s_and_saveexec_b32 s22, s25
	s_cbranch_execz .LBB210_533
; %bb.530:                              ;   in Loop: Header=BB210_522 Depth=1
	v_add_co_u32 v8, vcc_lo, v4, v2
	v_add_co_ci_u32_e32 v9, vcc_lo, 0, v5, vcc_lo
	s_mov_b32 s24, 0
	s_mov_b32 s23, exec_lo
	s_delay_alu instid0(VALU_DEP_1)
	v_cmpx_gt_u64_e64 s[38:39], v[8:9]
	s_cbranch_execz .LBB210_532
; %bb.531:                              ;   in Loop: Header=BB210_522 Depth=1
	v_mul_lo_u32 v2, v9, s8
	v_mul_lo_u32 v13, v8, s9
	v_mad_u64_u32 v[15:16], null, v8, s8, 0
	v_mul_lo_u32 v9, v9, s10
	v_mul_lo_u32 v19, v8, s11
	v_mad_u64_u32 v[17:18], null, v8, s10, 0
	s_mov_b32 s24, exec_lo
	s_delay_alu instid0(VALU_DEP_4) | instskip(NEXT) | instid1(VALU_DEP_2)
	v_add3_u32 v16, v16, v13, v2
	v_add3_u32 v18, v18, v19, v9
	s_delay_alu instid0(VALU_DEP_2) | instskip(NEXT) | instid1(VALU_DEP_2)
	v_lshlrev_b64 v[8:9], 1, v[15:16]
	v_lshlrev_b64 v[15:16], 3, v[17:18]
	s_delay_alu instid0(VALU_DEP_2) | instskip(NEXT) | instid1(VALU_DEP_3)
	v_add_co_u32 v8, vcc_lo, s5, v8
	v_add_co_ci_u32_e32 v9, vcc_lo, s18, v9, vcc_lo
	s_delay_alu instid0(VALU_DEP_3) | instskip(NEXT) | instid1(VALU_DEP_4)
	v_add_co_u32 v15, vcc_lo, s12, v15
	v_add_co_ci_u32_e32 v16, vcc_lo, s13, v16, vcc_lo
	global_store_b16 v[8:9], v12, off
	global_store_b64 v[15:16], v[0:1], off
.LBB210_532:                            ;   in Loop: Header=BB210_522 Depth=1
	s_or_b32 exec_lo, exec_lo, s23
	s_delay_alu instid0(SALU_CYCLE_1)
	s_xor_b32 s23, exec_lo, -1
	s_or_not1_b32 s24, s24, exec_lo
.LBB210_533:                            ;   in Loop: Header=BB210_522 Depth=1
	s_or_b32 exec_lo, exec_lo, s22
	s_and_saveexec_b32 s22, s24
	s_cbranch_execz .LBB210_520
; %bb.534:                              ;   in Loop: Header=BB210_522 Depth=1
	v_cmp_le_u64_e32 vcc_lo, s[6:7], v[6:7]
	s_or_b32 s23, s23, exec_lo
	s_or_not1_b32 s21, vcc_lo, exec_lo
	s_branch .LBB210_520
.LBB210_535:
	s_or_b32 exec_lo, exec_lo, s20
	s_mov_b32 s0, 0
	s_and_saveexec_b32 s2, s19
	s_delay_alu instid0(SALU_CYCLE_1)
	s_xor_b32 s2, exec_lo, s2
	s_cbranch_execnz .LBB210_570
.LBB210_536:
	s_or_b32 exec_lo, exec_lo, s2
	s_delay_alu instid0(SALU_CYCLE_1)
	s_and_b32 s0, s0, exec_lo
.LBB210_537:
	s_or_b32 exec_lo, exec_lo, s4
	s_delay_alu instid0(SALU_CYCLE_1)
	s_and_b32 s19, s0, exec_lo
	s_and_not1_b32 s1, s1, exec_lo
.LBB210_538:
	s_or_b32 exec_lo, exec_lo, s3
	s_and_saveexec_b32 s0, s1
	s_delay_alu instid0(SALU_CYCLE_1)
	s_xor_b32 s0, exec_lo, s0
	s_cbranch_execnz .LBB210_564
.LBB210_539:
	s_or_b32 exec_lo, exec_lo, s0
	s_waitcnt lgkmcnt(0)
	s_and_b32 s8, s19, exec_lo
.LBB210_540:
	s_and_not1_saveexec_b32 s0, s17
	s_cbranch_execnz .LBB210_560
.LBB210_541:
	s_or_b32 exec_lo, exec_lo, s0
	s_delay_alu instid0(SALU_CYCLE_1)
	s_and_b32 s8, s8, exec_lo
.LBB210_542:
	s_and_not1_saveexec_b32 s0, s16
	s_cbranch_execnz .LBB210_556
.LBB210_543:
	s_or_b32 exec_lo, exec_lo, s0
	s_delay_alu instid0(SALU_CYCLE_1)
	s_and_b32 s8, s8, exec_lo
.LBB210_544:
	s_and_not1_saveexec_b32 s0, s15
	s_cbranch_execnz .LBB210_552
.LBB210_545:
	s_or_b32 exec_lo, exec_lo, s0
	s_delay_alu instid0(SALU_CYCLE_1)
	s_and_b32 s8, s8, exec_lo
.LBB210_546:
	s_and_not1_saveexec_b32 s0, s14
	s_cbranch_execnz .LBB210_550
; %bb.547:
	s_or_b32 exec_lo, exec_lo, s0
	s_and_saveexec_b32 s0, s8
.LBB210_548:
	; divergent unreachable
.LBB210_549:
	s_nop 0
	s_sendmsg sendmsg(MSG_DEALLOC_VGPRS)
	s_endpgm
.LBB210_550:
	s_cbranch_execnz .LBB210_554
; %bb.551:
	s_or_b32 s8, s8, exec_lo
	s_or_b32 exec_lo, exec_lo, s0
	s_and_saveexec_b32 s0, s8
	s_cbranch_execnz .LBB210_548
	s_branch .LBB210_549
.LBB210_552:
	s_cbranch_execnz .LBB210_558
; %bb.553:
	s_or_b32 s8, s8, exec_lo
	s_branch .LBB210_545
.LBB210_554:
	s_trap 2
	s_sendmsg_rtn_b32 s0, sendmsg(MSG_RTN_GET_DOORBELL)
	s_mov_b32 ttmp2, m0
	s_waitcnt lgkmcnt(0)
	s_and_b32 s0, s0, 0x3ff
	s_delay_alu instid0(SALU_CYCLE_1) | instskip(NEXT) | instid1(SALU_CYCLE_1)
	s_bitset1_b32 s0, 10
	s_mov_b32 m0, s0
	s_sendmsg sendmsg(MSG_INTERRUPT)
	s_mov_b32 m0, ttmp2
.LBB210_555:                            ; =>This Inner Loop Header: Depth=1
	s_sethalt 5
	s_branch .LBB210_555
.LBB210_556:
	s_cbranch_execnz .LBB210_562
; %bb.557:
	s_or_b32 s8, s8, exec_lo
	s_branch .LBB210_543
.LBB210_558:
	s_trap 2
	s_sendmsg_rtn_b32 s0, sendmsg(MSG_RTN_GET_DOORBELL)
	s_mov_b32 ttmp2, m0
	s_waitcnt lgkmcnt(0)
	s_and_b32 s0, s0, 0x3ff
	s_delay_alu instid0(SALU_CYCLE_1) | instskip(NEXT) | instid1(SALU_CYCLE_1)
	s_bitset1_b32 s0, 10
	s_mov_b32 m0, s0
	s_sendmsg sendmsg(MSG_INTERRUPT)
	s_mov_b32 m0, ttmp2
.LBB210_559:                            ; =>This Inner Loop Header: Depth=1
	s_sethalt 5
	s_branch .LBB210_559
.LBB210_560:
	s_cbranch_execnz .LBB210_566
; %bb.561:
	s_or_b32 s8, s8, exec_lo
	s_branch .LBB210_541
.LBB210_562:
	s_trap 2
	s_sendmsg_rtn_b32 s0, sendmsg(MSG_RTN_GET_DOORBELL)
	s_mov_b32 ttmp2, m0
	s_waitcnt lgkmcnt(0)
	s_and_b32 s0, s0, 0x3ff
	s_delay_alu instid0(SALU_CYCLE_1) | instskip(NEXT) | instid1(SALU_CYCLE_1)
	s_bitset1_b32 s0, 10
	s_mov_b32 m0, s0
	s_sendmsg sendmsg(MSG_INTERRUPT)
	s_mov_b32 m0, ttmp2
.LBB210_563:                            ; =>This Inner Loop Header: Depth=1
	s_sethalt 5
	s_branch .LBB210_563
.LBB210_564:
	s_cbranch_execnz .LBB210_568
; %bb.565:
	s_or_b32 s19, s19, exec_lo
	s_branch .LBB210_539
.LBB210_566:
	s_trap 2
	s_sendmsg_rtn_b32 s0, sendmsg(MSG_RTN_GET_DOORBELL)
	s_mov_b32 ttmp2, m0
	s_waitcnt lgkmcnt(0)
	s_and_b32 s0, s0, 0x3ff
	s_delay_alu instid0(SALU_CYCLE_1) | instskip(NEXT) | instid1(SALU_CYCLE_1)
	s_bitset1_b32 s0, 10
	s_mov_b32 m0, s0
	s_sendmsg sendmsg(MSG_INTERRUPT)
	s_mov_b32 m0, ttmp2
.LBB210_567:                            ; =>This Inner Loop Header: Depth=1
	s_sethalt 5
	s_branch .LBB210_567
.LBB210_568:
	s_trap 2
	s_sendmsg_rtn_b32 s0, sendmsg(MSG_RTN_GET_DOORBELL)
	s_mov_b32 ttmp2, m0
	s_waitcnt lgkmcnt(0)
	s_and_b32 s0, s0, 0x3ff
	s_delay_alu instid0(SALU_CYCLE_1) | instskip(NEXT) | instid1(SALU_CYCLE_1)
	s_bitset1_b32 s0, 10
	s_mov_b32 m0, s0
	s_sendmsg sendmsg(MSG_INTERRUPT)
	s_mov_b32 m0, ttmp2
.LBB210_569:                            ; =>This Inner Loop Header: Depth=1
	s_sethalt 5
	s_branch .LBB210_569
.LBB210_570:
	s_cbranch_execnz .LBB210_572
; %bb.571:
	s_mov_b32 s0, exec_lo
	s_branch .LBB210_536
.LBB210_572:
	s_trap 2
	s_sendmsg_rtn_b32 s0, sendmsg(MSG_RTN_GET_DOORBELL)
	s_mov_b32 ttmp2, m0
	s_waitcnt lgkmcnt(0)
	s_and_b32 s0, s0, 0x3ff
	s_delay_alu instid0(SALU_CYCLE_1) | instskip(NEXT) | instid1(SALU_CYCLE_1)
	s_bitset1_b32 s0, 10
	s_mov_b32 m0, s0
	s_sendmsg sendmsg(MSG_INTERRUPT)
	s_mov_b32 m0, ttmp2
.LBB210_573:                            ; =>This Inner Loop Header: Depth=1
	s_sethalt 5
	s_branch .LBB210_573
	.section	.rodata,"a",@progbits
	.p2align	6, 0x0
	.amdhsa_kernel _ZN2at6native6sbtopk10gatherTopKIN3c104HalfEmLi3ELb0EEEvNS_4cuda6detail10TensorInfoIKT_T0_EESA_SA_bSA_SA_NS7_IS8_SA_EESA_NS7_IlSA_EESA_PS8_
		.amdhsa_group_segment_fixed_size 5152
		.amdhsa_private_segment_fixed_size 0
		.amdhsa_kernarg_size 1568
		.amdhsa_user_sgpr_count 13
		.amdhsa_user_sgpr_dispatch_ptr 0
		.amdhsa_user_sgpr_queue_ptr 0
		.amdhsa_user_sgpr_kernarg_segment_ptr 1
		.amdhsa_user_sgpr_dispatch_id 0
		.amdhsa_user_sgpr_private_segment_size 0
		.amdhsa_wavefront_size32 1
		.amdhsa_uses_dynamic_stack 0
		.amdhsa_enable_private_segment 0
		.amdhsa_system_sgpr_workgroup_id_x 1
		.amdhsa_system_sgpr_workgroup_id_y 1
		.amdhsa_system_sgpr_workgroup_id_z 1
		.amdhsa_system_sgpr_workgroup_info 0
		.amdhsa_system_vgpr_workitem_id 0
		.amdhsa_next_free_vgpr 38
		.amdhsa_next_free_sgpr 105
		.amdhsa_reserve_vcc 1
		.amdhsa_float_round_mode_32 0
		.amdhsa_float_round_mode_16_64 0
		.amdhsa_float_denorm_mode_32 3
		.amdhsa_float_denorm_mode_16_64 3
		.amdhsa_dx10_clamp 1
		.amdhsa_ieee_mode 1
		.amdhsa_fp16_overflow 0
		.amdhsa_workgroup_processor_mode 1
		.amdhsa_memory_ordered 1
		.amdhsa_forward_progress 0
		.amdhsa_shared_vgpr_count 0
		.amdhsa_exception_fp_ieee_invalid_op 0
		.amdhsa_exception_fp_denorm_src 0
		.amdhsa_exception_fp_ieee_div_zero 0
		.amdhsa_exception_fp_ieee_overflow 0
		.amdhsa_exception_fp_ieee_underflow 0
		.amdhsa_exception_fp_ieee_inexact 0
		.amdhsa_exception_int_div_zero 0
	.end_amdhsa_kernel
	.section	.text._ZN2at6native6sbtopk10gatherTopKIN3c104HalfEmLi3ELb0EEEvNS_4cuda6detail10TensorInfoIKT_T0_EESA_SA_bSA_SA_NS7_IS8_SA_EESA_NS7_IlSA_EESA_PS8_,"axG",@progbits,_ZN2at6native6sbtopk10gatherTopKIN3c104HalfEmLi3ELb0EEEvNS_4cuda6detail10TensorInfoIKT_T0_EESA_SA_bSA_SA_NS7_IS8_SA_EESA_NS7_IlSA_EESA_PS8_,comdat
.Lfunc_end210:
	.size	_ZN2at6native6sbtopk10gatherTopKIN3c104HalfEmLi3ELb0EEEvNS_4cuda6detail10TensorInfoIKT_T0_EESA_SA_bSA_SA_NS7_IS8_SA_EESA_NS7_IlSA_EESA_PS8_, .Lfunc_end210-_ZN2at6native6sbtopk10gatherTopKIN3c104HalfEmLi3ELb0EEEvNS_4cuda6detail10TensorInfoIKT_T0_EESA_SA_bSA_SA_NS7_IS8_SA_EESA_NS7_IlSA_EESA_PS8_
                                        ; -- End function
	.section	.AMDGPU.csdata,"",@progbits
; Kernel info:
; codeLenInByte = 30864
; NumSgprs: 107
; NumVgprs: 38
; ScratchSize: 0
; MemoryBound: 0
; FloatMode: 240
; IeeeMode: 1
; LDSByteSize: 5152 bytes/workgroup (compile time only)
; SGPRBlocks: 13
; VGPRBlocks: 4
; NumSGPRsForWavesPerEU: 107
; NumVGPRsForWavesPerEU: 38
; Occupancy: 16
; WaveLimiterHint : 1
; COMPUTE_PGM_RSRC2:SCRATCH_EN: 0
; COMPUTE_PGM_RSRC2:USER_SGPR: 13
; COMPUTE_PGM_RSRC2:TRAP_HANDLER: 0
; COMPUTE_PGM_RSRC2:TGID_X_EN: 1
; COMPUTE_PGM_RSRC2:TGID_Y_EN: 1
; COMPUTE_PGM_RSRC2:TGID_Z_EN: 1
; COMPUTE_PGM_RSRC2:TIDIG_COMP_CNT: 0
	.section	.text._ZN2at6native6mbtopk23computeBlockDigitCountsIN3c104HalfEmjLin1EEEvNS_4cuda6detail10TensorInfoIKT_T0_EEjPjjSA_iijT1_PSD_Ps,"axG",@progbits,_ZN2at6native6mbtopk23computeBlockDigitCountsIN3c104HalfEmjLin1EEEvNS_4cuda6detail10TensorInfoIKT_T0_EEjPjjSA_iijT1_PSD_Ps,comdat
	.protected	_ZN2at6native6mbtopk23computeBlockDigitCountsIN3c104HalfEmjLin1EEEvNS_4cuda6detail10TensorInfoIKT_T0_EEjPjjSA_iijT1_PSD_Ps ; -- Begin function _ZN2at6native6mbtopk23computeBlockDigitCountsIN3c104HalfEmjLin1EEEvNS_4cuda6detail10TensorInfoIKT_T0_EEjPjjSA_iijT1_PSD_Ps
	.globl	_ZN2at6native6mbtopk23computeBlockDigitCountsIN3c104HalfEmjLin1EEEvNS_4cuda6detail10TensorInfoIKT_T0_EEjPjjSA_iijT1_PSD_Ps
	.p2align	8
	.type	_ZN2at6native6mbtopk23computeBlockDigitCountsIN3c104HalfEmjLin1EEEvNS_4cuda6detail10TensorInfoIKT_T0_EEjPjjSA_iijT1_PSD_Ps,@function
_ZN2at6native6mbtopk23computeBlockDigitCountsIN3c104HalfEmjLin1EEEvNS_4cuda6detail10TensorInfoIKT_T0_EEjPjjSA_iijT1_PSD_Ps: ; @_ZN2at6native6mbtopk23computeBlockDigitCountsIN3c104HalfEmjLin1EEEvNS_4cuda6detail10TensorInfoIKT_T0_EEjPjjSA_iijT1_PSD_Ps
; %bb.0:
	s_clause 0x2
	s_load_b128 s[8:11], s[0:1], 0x1c0
	s_load_b32 s5, s[0:1], 0x1b0
	s_load_b64 s[2:3], s[0:1], 0x1e0
	s_waitcnt lgkmcnt(0)
	v_cvt_f32_u32_e32 v1, s10
	s_sub_i32 s6, 0, s10
	s_mul_i32 s3, s3, s15
	s_delay_alu instid0(SALU_CYCLE_1) | instskip(NEXT) | instid1(VALU_DEP_1)
	s_add_i32 s3, s3, s14
	v_rcp_iflag_f32_e32 v1, v1
	s_mul_i32 s24, s3, s2
	s_delay_alu instid0(SALU_CYCLE_1) | instskip(SKIP_3) | instid1(VALU_DEP_1)
	s_add_i32 s24, s24, s13
	s_mov_b32 s13, 0
	s_waitcnt_depctr 0xfff
	v_mul_f32_e32 v1, 0x4f7ffffe, v1
	v_cvt_u32_f32_e32 v1, v1
	s_delay_alu instid0(VALU_DEP_1) | instskip(NEXT) | instid1(VALU_DEP_1)
	v_readfirstlane_b32 s4, v1
	s_mul_i32 s6, s6, s4
	s_delay_alu instid0(SALU_CYCLE_1) | instskip(NEXT) | instid1(SALU_CYCLE_1)
	s_mul_hi_u32 s2, s4, s6
	s_add_i32 s4, s4, s2
	s_delay_alu instid0(SALU_CYCLE_1) | instskip(NEXT) | instid1(SALU_CYCLE_1)
	s_mul_hi_u32 s2, s24, s4
	s_mul_i32 s3, s2, s10
	s_add_i32 s4, s2, 1
	s_sub_i32 s3, s24, s3
	s_delay_alu instid0(SALU_CYCLE_1)
	s_sub_i32 s6, s3, s10
	s_cmp_ge_u32 s3, s10
	s_cselect_b32 s2, s4, s2
	s_cselect_b32 s3, s6, s3
	s_add_i32 s4, s2, 1
	s_cmp_ge_u32 s3, s10
	s_cselect_b32 s12, s4, s2
	s_delay_alu instid0(SALU_CYCLE_1)
	s_cmp_ge_u32 s12, s5
	s_cbranch_scc1 .LBB211_32
; %bb.1:
	s_clause 0x1
	s_load_b128 s[4:7], s[0:1], 0x1d0
	s_load_b32 s15, s[0:1], 0x198
	s_lshl_b64 s[2:3], s[12:13], 2
	s_mov_b64 s[18:19], s[12:13]
	s_waitcnt lgkmcnt(0)
	s_add_u32 s4, s4, s2
	s_addc_u32 s5, s5, s3
	s_cmp_lt_i32 s15, 2
	s_mov_b64 s[2:3], 0
	s_cbranch_scc1 .LBB211_9
; %bb.2:
	s_mov_b32 s14, 0
	s_add_i32 s2, s15, -1
	s_mov_b32 s3, s14
	s_add_i32 s13, s15, 1
	s_lshl_b64 s[2:3], s[2:3], 3
	s_delay_alu instid0(SALU_CYCLE_1)
	s_add_u32 s2, s2, s0
	s_addc_u32 s3, s3, s1
	s_add_u32 s16, s2, 8
	s_addc_u32 s17, s3, 0
	s_mov_b64 s[2:3], 0
.LBB211_3:                              ; =>This Inner Loop Header: Depth=1
	s_load_b64 s[20:21], s[16:17], 0x0
	s_waitcnt lgkmcnt(0)
	s_or_b64 s[22:23], s[18:19], s[20:21]
	s_delay_alu instid0(SALU_CYCLE_1) | instskip(NEXT) | instid1(SALU_CYCLE_1)
	s_mov_b32 s15, s23
                                        ; implicit-def: $sgpr22_sgpr23
	s_cmp_lg_u64 s[14:15], 0
	s_mov_b32 s15, -1
	s_cbranch_scc0 .LBB211_5
; %bb.4:                                ;   in Loop: Header=BB211_3 Depth=1
	v_cvt_f32_u32_e32 v1, s20
	v_cvt_f32_u32_e32 v2, s21
	s_sub_u32 s23, 0, s20
	s_subb_u32 s25, 0, s21
	s_waitcnt_depctr 0xfff
	v_fmac_f32_e32 v1, 0x4f800000, v2
	s_delay_alu instid0(VALU_DEP_1) | instskip(SKIP_2) | instid1(VALU_DEP_1)
	v_rcp_f32_e32 v1, v1
	s_waitcnt_depctr 0xfff
	v_mul_f32_e32 v1, 0x5f7ffffc, v1
	v_mul_f32_e32 v2, 0x2f800000, v1
	s_delay_alu instid0(VALU_DEP_1) | instskip(NEXT) | instid1(VALU_DEP_1)
	v_trunc_f32_e32 v2, v2
	v_fmac_f32_e32 v1, 0xcf800000, v2
	v_cvt_u32_f32_e32 v2, v2
	s_delay_alu instid0(VALU_DEP_2) | instskip(NEXT) | instid1(VALU_DEP_2)
	v_cvt_u32_f32_e32 v1, v1
	v_readfirstlane_b32 s15, v2
	s_delay_alu instid0(VALU_DEP_2) | instskip(NEXT) | instid1(VALU_DEP_2)
	v_readfirstlane_b32 s22, v1
	s_mul_i32 s26, s23, s15
	s_delay_alu instid0(VALU_DEP_1)
	s_mul_hi_u32 s28, s23, s22
	s_mul_i32 s27, s25, s22
	s_add_i32 s26, s28, s26
	s_mul_i32 s29, s23, s22
	s_add_i32 s26, s26, s27
	s_mul_hi_u32 s28, s22, s29
	s_mul_hi_u32 s30, s15, s29
	s_mul_i32 s27, s15, s29
	s_mul_hi_u32 s29, s22, s26
	s_mul_i32 s22, s22, s26
	s_mul_hi_u32 s31, s15, s26
	s_add_u32 s22, s28, s22
	s_addc_u32 s28, 0, s29
	s_add_u32 s22, s22, s27
	s_mul_i32 s26, s15, s26
	s_addc_u32 s22, s28, s30
	s_addc_u32 s27, s31, 0
	s_add_u32 s22, s22, s26
	s_addc_u32 s26, 0, s27
	v_add_co_u32 v1, s22, v1, s22
	s_delay_alu instid0(VALU_DEP_1) | instskip(SKIP_1) | instid1(VALU_DEP_1)
	s_cmp_lg_u32 s22, 0
	s_addc_u32 s15, s15, s26
	v_readfirstlane_b32 s22, v1
	s_mul_i32 s26, s23, s15
	s_delay_alu instid0(VALU_DEP_1)
	s_mul_hi_u32 s27, s23, s22
	s_mul_i32 s25, s25, s22
	s_add_i32 s26, s27, s26
	s_mul_i32 s23, s23, s22
	s_add_i32 s26, s26, s25
	s_mul_hi_u32 s27, s15, s23
	s_mul_i32 s28, s15, s23
	s_mul_hi_u32 s23, s22, s23
	s_mul_hi_u32 s29, s22, s26
	s_mul_i32 s22, s22, s26
	s_mul_hi_u32 s25, s15, s26
	s_add_u32 s22, s23, s22
	s_addc_u32 s23, 0, s29
	s_add_u32 s22, s22, s28
	s_mul_i32 s26, s15, s26
	s_addc_u32 s22, s23, s27
	s_addc_u32 s23, s25, 0
	s_add_u32 s22, s22, s26
	s_addc_u32 s23, 0, s23
	v_add_co_u32 v1, s22, v1, s22
	s_delay_alu instid0(VALU_DEP_1) | instskip(SKIP_1) | instid1(VALU_DEP_1)
	s_cmp_lg_u32 s22, 0
	s_addc_u32 s15, s15, s23
	v_readfirstlane_b32 s22, v1
	s_mul_i32 s25, s18, s15
	s_mul_hi_u32 s23, s18, s15
	s_mul_hi_u32 s26, s19, s15
	s_mul_i32 s15, s19, s15
	s_mul_hi_u32 s27, s18, s22
	s_mul_hi_u32 s28, s19, s22
	s_mul_i32 s22, s19, s22
	s_add_u32 s25, s27, s25
	s_addc_u32 s23, 0, s23
	s_add_u32 s22, s25, s22
	s_addc_u32 s22, s23, s28
	s_addc_u32 s23, s26, 0
	s_add_u32 s22, s22, s15
	s_addc_u32 s23, 0, s23
	s_mul_hi_u32 s15, s20, s22
	s_mul_i32 s26, s20, s23
	s_mul_i32 s27, s20, s22
	s_add_i32 s15, s15, s26
	v_sub_co_u32 v1, s26, s18, s27
	s_mul_i32 s25, s21, s22
	s_delay_alu instid0(SALU_CYCLE_1) | instskip(NEXT) | instid1(VALU_DEP_1)
	s_add_i32 s15, s15, s25
	v_sub_co_u32 v2, s27, v1, s20
	s_sub_i32 s25, s19, s15
	s_cmp_lg_u32 s26, 0
	s_subb_u32 s25, s25, s21
	s_cmp_lg_u32 s27, 0
	v_readfirstlane_b32 s27, v2
	s_subb_u32 s25, s25, 0
	s_delay_alu instid0(SALU_CYCLE_1) | instskip(SKIP_1) | instid1(VALU_DEP_1)
	s_cmp_ge_u32 s25, s21
	s_cselect_b32 s28, -1, 0
	s_cmp_ge_u32 s27, s20
	s_cselect_b32 s27, -1, 0
	s_cmp_eq_u32 s25, s21
	s_cselect_b32 s25, s27, s28
	s_add_u32 s27, s22, 1
	s_addc_u32 s28, s23, 0
	s_add_u32 s29, s22, 2
	s_addc_u32 s30, s23, 0
	s_cmp_lg_u32 s25, 0
	s_cselect_b32 s25, s29, s27
	s_cselect_b32 s27, s30, s28
	s_cmp_lg_u32 s26, 0
	v_readfirstlane_b32 s26, v1
	s_subb_u32 s15, s19, s15
	s_delay_alu instid0(SALU_CYCLE_1) | instskip(SKIP_1) | instid1(VALU_DEP_1)
	s_cmp_ge_u32 s15, s21
	s_cselect_b32 s28, -1, 0
	s_cmp_ge_u32 s26, s20
	s_cselect_b32 s26, -1, 0
	s_cmp_eq_u32 s15, s21
	s_cselect_b32 s15, s26, s28
	s_delay_alu instid0(SALU_CYCLE_1)
	s_cmp_lg_u32 s15, 0
	s_mov_b32 s15, 0
	s_cselect_b32 s23, s27, s23
	s_cselect_b32 s22, s25, s22
.LBB211_5:                              ;   in Loop: Header=BB211_3 Depth=1
	s_and_not1_b32 vcc_lo, exec_lo, s15
	s_cbranch_vccnz .LBB211_7
; %bb.6:                                ;   in Loop: Header=BB211_3 Depth=1
	v_cvt_f32_u32_e32 v1, s20
	s_sub_i32 s22, 0, s20
	s_waitcnt_depctr 0xfff
	v_rcp_iflag_f32_e32 v1, v1
	s_waitcnt_depctr 0xfff
	v_mul_f32_e32 v1, 0x4f7ffffe, v1
	s_delay_alu instid0(VALU_DEP_1) | instskip(NEXT) | instid1(VALU_DEP_1)
	v_cvt_u32_f32_e32 v1, v1
	v_readfirstlane_b32 s15, v1
	s_delay_alu instid0(VALU_DEP_1) | instskip(NEXT) | instid1(SALU_CYCLE_1)
	s_mul_i32 s22, s22, s15
	s_mul_hi_u32 s22, s15, s22
	s_delay_alu instid0(SALU_CYCLE_1) | instskip(NEXT) | instid1(SALU_CYCLE_1)
	s_add_i32 s15, s15, s22
	s_mul_hi_u32 s15, s18, s15
	s_delay_alu instid0(SALU_CYCLE_1) | instskip(SKIP_2) | instid1(SALU_CYCLE_1)
	s_mul_i32 s22, s15, s20
	s_add_i32 s23, s15, 1
	s_sub_i32 s22, s18, s22
	s_sub_i32 s25, s22, s20
	s_cmp_ge_u32 s22, s20
	s_cselect_b32 s15, s23, s15
	s_cselect_b32 s22, s25, s22
	s_add_i32 s23, s15, 1
	s_cmp_ge_u32 s22, s20
	s_cselect_b32 s22, s23, s15
	s_mov_b32 s23, s14
.LBB211_7:                              ;   in Loop: Header=BB211_3 Depth=1
	s_load_b64 s[26:27], s[16:17], 0xc8
	s_mul_i32 s15, s22, s21
	s_mul_hi_u32 s21, s22, s20
	s_mul_i32 s25, s23, s20
	s_add_i32 s15, s21, s15
	s_mul_i32 s20, s22, s20
	s_add_i32 s15, s15, s25
	s_sub_u32 s18, s18, s20
	s_subb_u32 s15, s19, s15
	s_waitcnt lgkmcnt(0)
	s_mul_i32 s15, s26, s15
	s_mul_hi_u32 s19, s26, s18
	s_mul_i32 s20, s27, s18
	s_add_i32 s15, s19, s15
	s_mul_i32 s18, s26, s18
	s_add_i32 s15, s15, s20
	s_add_u32 s2, s18, s2
	s_addc_u32 s3, s15, s3
	s_add_i32 s13, s13, -1
	s_add_u32 s16, s16, -8
	s_addc_u32 s17, s17, -1
	s_cmp_gt_u32 s13, 2
	s_cbranch_scc0 .LBB211_10
; %bb.8:                                ;   in Loop: Header=BB211_3 Depth=1
	s_mov_b64 s[18:19], s[22:23]
	s_branch .LBB211_3
.LBB211_9:
	s_mov_b64 s[22:23], s[18:19]
.LBB211_10:
	s_load_b32 s13, s[4:5], 0x0
	v_cmp_gt_u32_e32 vcc_lo, 0x100, v0
	v_lshlrev_b32_e32 v1, 2, v0
	s_and_saveexec_b32 s4, vcc_lo
	s_cbranch_execz .LBB211_12
; %bb.11:
	v_mov_b32_e32 v2, 0
	ds_store_b32 v1, v2
.LBB211_12:
	s_or_b32 exec_lo, exec_lo, s4
	s_load_b32 s14, s[0:1], 0x1a0
	s_mul_i32 s4, s12, s10
	s_waitcnt lgkmcnt(0)
	s_sub_i32 s4, s24, s4
	s_barrier
	s_mul_i32 s5, s9, s4
	s_add_i32 s4, s4, 1
	s_lshl_b32 s12, s5, 8
	buffer_gl0_inv
	s_sub_i32 s5, s14, s12
	s_delay_alu instid0(SALU_CYCLE_1) | instskip(SKIP_4) | instid1(VALU_DEP_1)
	s_add_u32 s5, s5, 0xff
	s_addc_u32 s15, 0, 0
	s_cmp_lt_u32 s4, s10
	v_alignbit_b32 v2, s15, s5, 8
	s_mov_b32 s10, 0
	v_readfirstlane_b32 s5, v2
	s_delay_alu instid0(VALU_DEP_1) | instskip(NEXT) | instid1(SALU_CYCLE_1)
	s_cselect_b32 s9, s9, s5
	s_cmp_lt_i32 s9, 1
	s_cbranch_scc1 .LBB211_28
; %bb.13:
	s_clause 0x2
	s_load_b64 s[16:17], s[0:1], 0xd0
	s_load_b64 s[4:5], s[0:1], 0x1b8
	;; [unrolled: 1-line block ×3, first 2 shown]
	v_add_nc_u32_e32 v2, s12, v0
	s_waitcnt lgkmcnt(0)
	s_mul_i32 s15, s16, s23
	s_mul_hi_u32 s18, s16, s22
	s_mul_i32 s17, s17, s22
	s_add_i32 s15, s18, s15
	s_mul_i32 s16, s16, s22
	s_add_i32 s17, s15, s17
	s_delay_alu instid0(SALU_CYCLE_1) | instskip(NEXT) | instid1(SALU_CYCLE_1)
	s_lshl_b64 s[16:17], s[16:17], 1
	s_add_u32 s15, s0, s16
	s_addc_u32 s16, s1, s17
	s_lshl_b64 s[0:1], s[2:3], 1
	s_delay_alu instid0(SALU_CYCLE_1)
	s_add_u32 s2, s15, s0
	s_addc_u32 s3, s16, s1
	s_and_b32 s1, s8, 0xff
	s_cmp_eq_u32 s9, 1
	s_cbranch_scc1 .LBB211_23
; %bb.14:
	v_dual_mov_b32 v3, 1 :: v_dual_mov_b32 v4, 0x8000
	v_mov_b32_e32 v5, v2
	s_and_b32 s8, s9, 0x7ffffffe
	s_branch .LBB211_16
.LBB211_15:                             ;   in Loop: Header=BB211_16 Depth=1
	s_or_b32 exec_lo, exec_lo, s12
	v_add_nc_u32_e32 v5, 0x200, v5
	s_add_i32 s10, s10, 2
	s_delay_alu instid0(SALU_CYCLE_1)
	s_cmp_eq_u32 s8, s10
	s_cbranch_scc1 .LBB211_22
.LBB211_16:                             ; =>This Inner Loop Header: Depth=1
	s_mov_b32 s12, exec_lo
	s_delay_alu instid0(VALU_DEP_1)
	v_cmpx_gt_u32_e64 s14, v5
	s_cbranch_execz .LBB211_19
; %bb.17:                               ;   in Loop: Header=BB211_16 Depth=1
	v_mad_u64_u32 v[6:7], null, v5, s4, 0
	s_delay_alu instid0(VALU_DEP_1) | instskip(NEXT) | instid1(VALU_DEP_1)
	v_mad_u64_u32 v[8:9], null, v5, s5, v[7:8]
	v_mov_b32_e32 v7, v8
	s_delay_alu instid0(VALU_DEP_1) | instskip(NEXT) | instid1(VALU_DEP_1)
	v_lshlrev_b64 v[6:7], 1, v[6:7]
	v_add_co_u32 v6, s0, s2, v6
	s_delay_alu instid0(VALU_DEP_1) | instskip(SKIP_4) | instid1(VALU_DEP_2)
	v_add_co_ci_u32_e64 v7, s0, s3, v7, s0
	global_load_u16 v6, v[6:7], off
	s_waitcnt vmcnt(0)
	v_cmp_lt_i16_e64 s0, -1, v6
	v_and_b32_e32 v7, 0xffff, v6
	v_cndmask_b32_e64 v8, 0xffff, v4, s0
	v_cmp_o_f16_e64 s0, v6, v6
	s_delay_alu instid0(VALU_DEP_2) | instskip(NEXT) | instid1(VALU_DEP_1)
	v_xor_b32_e32 v7, v8, v7
	v_cndmask_b32_e64 v6, 0xffff, v7, s0
	s_delay_alu instid0(VALU_DEP_1) | instskip(NEXT) | instid1(VALU_DEP_1)
	v_xor_b32_e32 v7, s13, v6
	v_and_b32_e32 v7, s11, v7
	s_delay_alu instid0(VALU_DEP_1) | instskip(NEXT) | instid1(VALU_DEP_1)
	v_cmp_eq_u32_e64 s0, 0, v7
	s_and_b32 exec_lo, exec_lo, s0
	s_cbranch_execz .LBB211_19
; %bb.18:                               ;   in Loop: Header=BB211_16 Depth=1
	v_bfe_u32 v6, v6, s1, 8
	s_delay_alu instid0(VALU_DEP_1)
	v_lshlrev_b32_e32 v6, 2, v6
	ds_add_u32 v6, v3
.LBB211_19:                             ;   in Loop: Header=BB211_16 Depth=1
	s_or_b32 exec_lo, exec_lo, s12
	v_add_nc_u32_e32 v6, 0x100, v5
	s_mov_b32 s12, exec_lo
	s_delay_alu instid0(VALU_DEP_1)
	v_cmpx_gt_u32_e64 s14, v6
	s_cbranch_execz .LBB211_15
; %bb.20:                               ;   in Loop: Header=BB211_16 Depth=1
	v_mad_u64_u32 v[7:8], null, v6, s4, 0
	s_delay_alu instid0(VALU_DEP_1) | instskip(NEXT) | instid1(VALU_DEP_1)
	v_mad_u64_u32 v[9:10], null, v6, s5, v[8:9]
	v_mov_b32_e32 v8, v9
	s_delay_alu instid0(VALU_DEP_1) | instskip(NEXT) | instid1(VALU_DEP_1)
	v_lshlrev_b64 v[6:7], 1, v[7:8]
	v_add_co_u32 v6, s0, s2, v6
	s_delay_alu instid0(VALU_DEP_1) | instskip(SKIP_4) | instid1(VALU_DEP_1)
	v_add_co_ci_u32_e64 v7, s0, s3, v7, s0
	global_load_u16 v6, v[6:7], off
	s_waitcnt vmcnt(0)
	v_and_b32_e32 v7, 0xffff, v6
	v_cmp_lt_i16_e64 s0, -1, v6
	v_cndmask_b32_e64 v8, 0xffff, v4, s0
	v_cmp_o_f16_e64 s0, v6, v6
	s_delay_alu instid0(VALU_DEP_2) | instskip(NEXT) | instid1(VALU_DEP_1)
	v_xor_b32_e32 v7, v8, v7
	v_cndmask_b32_e64 v6, 0xffff, v7, s0
	s_delay_alu instid0(VALU_DEP_1) | instskip(NEXT) | instid1(VALU_DEP_1)
	v_xor_b32_e32 v7, s13, v6
	v_and_b32_e32 v7, s11, v7
	s_delay_alu instid0(VALU_DEP_1) | instskip(NEXT) | instid1(VALU_DEP_1)
	v_cmp_eq_u32_e64 s0, 0, v7
	s_and_b32 exec_lo, exec_lo, s0
	s_cbranch_execz .LBB211_15
; %bb.21:                               ;   in Loop: Header=BB211_16 Depth=1
	v_bfe_u32 v6, v6, s1, 8
	s_delay_alu instid0(VALU_DEP_1)
	v_lshlrev_b32_e32 v6, 2, v6
	ds_add_u32 v6, v3
	s_branch .LBB211_15
.LBB211_22:
	s_lshl_b32 s10, s8, 8
.LBB211_23:
	s_bitcmp0_b32 s9, 0
	s_cbranch_scc1 .LBB211_28
; %bb.24:
	v_add_nc_u32_e32 v2, s10, v2
	s_mov_b32 s8, exec_lo
	s_delay_alu instid0(VALU_DEP_1)
	v_cmpx_gt_u32_e64 s14, v2
	s_cbranch_execz .LBB211_27
; %bb.25:
	v_mad_u64_u32 v[3:4], null, v2, s4, 0
	s_delay_alu instid0(VALU_DEP_1) | instskip(NEXT) | instid1(VALU_DEP_1)
	v_mad_u64_u32 v[5:6], null, v2, s5, v[4:5]
	v_mov_b32_e32 v4, v5
	s_delay_alu instid0(VALU_DEP_1) | instskip(NEXT) | instid1(VALU_DEP_1)
	v_lshlrev_b64 v[2:3], 1, v[3:4]
	v_add_co_u32 v2, s0, s2, v2
	s_delay_alu instid0(VALU_DEP_1)
	v_add_co_ci_u32_e64 v3, s0, s3, v3, s0
	global_load_u16 v2, v[2:3], off
	v_mov_b32_e32 v3, 0x8000
	s_waitcnt vmcnt(0)
	v_cmp_lt_i16_e64 s0, -1, v2
	v_and_b32_e32 v4, 0xffff, v2
	s_delay_alu instid0(VALU_DEP_2) | instskip(SKIP_1) | instid1(VALU_DEP_2)
	v_cndmask_b32_e64 v3, 0xffff, v3, s0
	v_cmp_o_f16_e64 s0, v2, v2
	v_xor_b32_e32 v3, v3, v4
	s_delay_alu instid0(VALU_DEP_1) | instskip(NEXT) | instid1(VALU_DEP_1)
	v_cndmask_b32_e64 v2, 0xffff, v3, s0
	v_xor_b32_e32 v3, s13, v2
	s_delay_alu instid0(VALU_DEP_1) | instskip(NEXT) | instid1(VALU_DEP_1)
	v_and_b32_e32 v3, s11, v3
	v_cmp_eq_u32_e64 s0, 0, v3
	s_delay_alu instid0(VALU_DEP_1)
	s_and_b32 exec_lo, exec_lo, s0
	s_cbranch_execz .LBB211_27
; %bb.26:
	v_bfe_u32 v2, v2, s1, 8
	s_delay_alu instid0(VALU_DEP_1)
	v_dual_mov_b32 v3, 1 :: v_dual_lshlrev_b32 v2, 2, v2
	ds_add_u32 v2, v3
.LBB211_27:
	s_or_b32 exec_lo, exec_lo, s8
.LBB211_28:
	v_mov_b32_e32 v2, 0
	s_waitcnt lgkmcnt(0)
	s_barrier
	buffer_gl0_inv
	s_and_saveexec_b32 s0, vcc_lo
	s_cbranch_execz .LBB211_30
; %bb.29:
	ds_load_b32 v2, v1
.LBB211_30:
	s_or_b32 exec_lo, exec_lo, s0
	s_and_saveexec_b32 s0, vcc_lo
	s_cbranch_execz .LBB211_32
; %bb.31:
	v_lshl_or_b32 v0, s24, 8, v0
	v_mov_b32_e32 v1, 0
	s_delay_alu instid0(VALU_DEP_1) | instskip(NEXT) | instid1(VALU_DEP_1)
	v_lshlrev_b64 v[0:1], 1, v[0:1]
	v_add_co_u32 v0, vcc_lo, s6, v0
	s_delay_alu instid0(VALU_DEP_2)
	v_add_co_ci_u32_e32 v1, vcc_lo, s7, v1, vcc_lo
	s_waitcnt lgkmcnt(0)
	global_store_b16 v[0:1], v2, off
.LBB211_32:
	s_nop 0
	s_sendmsg sendmsg(MSG_DEALLOC_VGPRS)
	s_endpgm
	.section	.rodata,"a",@progbits
	.p2align	6, 0x0
	.amdhsa_kernel _ZN2at6native6mbtopk23computeBlockDigitCountsIN3c104HalfEmjLin1EEEvNS_4cuda6detail10TensorInfoIKT_T0_EEjPjjSA_iijT1_PSD_Ps
		.amdhsa_group_segment_fixed_size 1024
		.amdhsa_private_segment_fixed_size 0
		.amdhsa_kernarg_size 736
		.amdhsa_user_sgpr_count 13
		.amdhsa_user_sgpr_dispatch_ptr 0
		.amdhsa_user_sgpr_queue_ptr 0
		.amdhsa_user_sgpr_kernarg_segment_ptr 1
		.amdhsa_user_sgpr_dispatch_id 0
		.amdhsa_user_sgpr_private_segment_size 0
		.amdhsa_wavefront_size32 1
		.amdhsa_uses_dynamic_stack 0
		.amdhsa_enable_private_segment 0
		.amdhsa_system_sgpr_workgroup_id_x 1
		.amdhsa_system_sgpr_workgroup_id_y 1
		.amdhsa_system_sgpr_workgroup_id_z 1
		.amdhsa_system_sgpr_workgroup_info 0
		.amdhsa_system_vgpr_workitem_id 0
		.amdhsa_next_free_vgpr 11
		.amdhsa_next_free_sgpr 32
		.amdhsa_reserve_vcc 1
		.amdhsa_float_round_mode_32 0
		.amdhsa_float_round_mode_16_64 0
		.amdhsa_float_denorm_mode_32 3
		.amdhsa_float_denorm_mode_16_64 3
		.amdhsa_dx10_clamp 1
		.amdhsa_ieee_mode 1
		.amdhsa_fp16_overflow 0
		.amdhsa_workgroup_processor_mode 1
		.amdhsa_memory_ordered 1
		.amdhsa_forward_progress 0
		.amdhsa_shared_vgpr_count 0
		.amdhsa_exception_fp_ieee_invalid_op 0
		.amdhsa_exception_fp_denorm_src 0
		.amdhsa_exception_fp_ieee_div_zero 0
		.amdhsa_exception_fp_ieee_overflow 0
		.amdhsa_exception_fp_ieee_underflow 0
		.amdhsa_exception_fp_ieee_inexact 0
		.amdhsa_exception_int_div_zero 0
	.end_amdhsa_kernel
	.section	.text._ZN2at6native6mbtopk23computeBlockDigitCountsIN3c104HalfEmjLin1EEEvNS_4cuda6detail10TensorInfoIKT_T0_EEjPjjSA_iijT1_PSD_Ps,"axG",@progbits,_ZN2at6native6mbtopk23computeBlockDigitCountsIN3c104HalfEmjLin1EEEvNS_4cuda6detail10TensorInfoIKT_T0_EEjPjjSA_iijT1_PSD_Ps,comdat
.Lfunc_end211:
	.size	_ZN2at6native6mbtopk23computeBlockDigitCountsIN3c104HalfEmjLin1EEEvNS_4cuda6detail10TensorInfoIKT_T0_EEjPjjSA_iijT1_PSD_Ps, .Lfunc_end211-_ZN2at6native6mbtopk23computeBlockDigitCountsIN3c104HalfEmjLin1EEEvNS_4cuda6detail10TensorInfoIKT_T0_EEjPjjSA_iijT1_PSD_Ps
                                        ; -- End function
	.section	.AMDGPU.csdata,"",@progbits
; Kernel info:
; codeLenInByte = 2160
; NumSgprs: 34
; NumVgprs: 11
; ScratchSize: 0
; MemoryBound: 0
; FloatMode: 240
; IeeeMode: 1
; LDSByteSize: 1024 bytes/workgroup (compile time only)
; SGPRBlocks: 4
; VGPRBlocks: 1
; NumSGPRsForWavesPerEU: 34
; NumVGPRsForWavesPerEU: 11
; Occupancy: 16
; WaveLimiterHint : 0
; COMPUTE_PGM_RSRC2:SCRATCH_EN: 0
; COMPUTE_PGM_RSRC2:USER_SGPR: 13
; COMPUTE_PGM_RSRC2:TRAP_HANDLER: 0
; COMPUTE_PGM_RSRC2:TGID_X_EN: 1
; COMPUTE_PGM_RSRC2:TGID_Y_EN: 1
; COMPUTE_PGM_RSRC2:TGID_Z_EN: 1
; COMPUTE_PGM_RSRC2:TIDIG_COMP_CNT: 0
	.section	.text._ZN2at6native6mbtopk10gatherTopKIN3c104HalfEmLin1EEEvNS_4cuda6detail10TensorInfoIKT_T0_EESA_SA_bjSA_NS7_IS8_SA_EESA_NS7_IlSA_EESA_jjPS8_PjSF_j,"axG",@progbits,_ZN2at6native6mbtopk10gatherTopKIN3c104HalfEmLin1EEEvNS_4cuda6detail10TensorInfoIKT_T0_EESA_SA_bjSA_NS7_IS8_SA_EESA_NS7_IlSA_EESA_jjPS8_PjSF_j,comdat
	.protected	_ZN2at6native6mbtopk10gatherTopKIN3c104HalfEmLin1EEEvNS_4cuda6detail10TensorInfoIKT_T0_EESA_SA_bjSA_NS7_IS8_SA_EESA_NS7_IlSA_EESA_jjPS8_PjSF_j ; -- Begin function _ZN2at6native6mbtopk10gatherTopKIN3c104HalfEmLin1EEEvNS_4cuda6detail10TensorInfoIKT_T0_EESA_SA_bjSA_NS7_IS8_SA_EESA_NS7_IlSA_EESA_jjPS8_PjSF_j
	.globl	_ZN2at6native6mbtopk10gatherTopKIN3c104HalfEmLin1EEEvNS_4cuda6detail10TensorInfoIKT_T0_EESA_SA_bjSA_NS7_IS8_SA_EESA_NS7_IlSA_EESA_jjPS8_PjSF_j
	.p2align	8
	.type	_ZN2at6native6mbtopk10gatherTopKIN3c104HalfEmLin1EEEvNS_4cuda6detail10TensorInfoIKT_T0_EESA_SA_bjSA_NS7_IS8_SA_EESA_NS7_IlSA_EESA_jjPS8_PjSF_j,@function
_ZN2at6native6mbtopk10gatherTopKIN3c104HalfEmLin1EEEvNS_4cuda6detail10TensorInfoIKT_T0_EESA_SA_bjSA_NS7_IS8_SA_EESA_NS7_IlSA_EESA_jjPS8_PjSF_j: ; @_ZN2at6native6mbtopk10gatherTopKIN3c104HalfEmLin1EEEvNS_4cuda6detail10TensorInfoIKT_T0_EESA_SA_bjSA_NS7_IS8_SA_EESA_NS7_IlSA_EESA_jjPS8_PjSF_j
; %bb.0:
	s_clause 0x1
	s_load_b64 s[2:3], s[0:1], 0x538
	s_load_b32 s4, s[0:1], 0x530
	s_waitcnt lgkmcnt(0)
	s_mul_i32 s3, s3, s15
	s_delay_alu instid0(SALU_CYCLE_1) | instskip(NEXT) | instid1(SALU_CYCLE_1)
	s_add_i32 s3, s3, s14
	s_mul_i32 s3, s3, s2
	s_delay_alu instid0(SALU_CYCLE_1) | instskip(NEXT) | instid1(SALU_CYCLE_1)
	s_add_i32 s3, s3, s13
	s_cmp_ge_u32 s3, s4
	s_cbranch_scc1 .LBB212_67
; %bb.1:
	s_load_b64 s[16:17], s[0:1], 0x510
	s_waitcnt lgkmcnt(0)
	v_cvt_f32_u32_e32 v1, s17
	s_sub_i32 s4, 0, s17
	s_lshl_b32 s33, s16, 8
	s_delay_alu instid0(VALU_DEP_1) | instskip(SKIP_2) | instid1(VALU_DEP_1)
	v_rcp_iflag_f32_e32 v1, v1
	s_waitcnt_depctr 0xfff
	v_mul_f32_e32 v1, 0x4f7ffffe, v1
	v_cvt_u32_f32_e32 v1, v1
	s_delay_alu instid0(VALU_DEP_1) | instskip(NEXT) | instid1(VALU_DEP_1)
	v_readfirstlane_b32 s2, v1
	s_mul_i32 s4, s4, s2
	s_delay_alu instid0(SALU_CYCLE_1) | instskip(NEXT) | instid1(SALU_CYCLE_1)
	s_mul_hi_u32 s4, s2, s4
	s_add_i32 s2, s2, s4
	s_load_b128 s[4:7], s[0:1], 0x1a0
	s_mul_hi_u32 s2, s3, s2
	s_delay_alu instid0(SALU_CYCLE_1) | instskip(SKIP_2) | instid1(SALU_CYCLE_1)
	s_mul_i32 s8, s2, s17
	s_add_i32 s9, s2, 1
	s_sub_i32 s8, s3, s8
	s_sub_i32 s10, s8, s17
	s_cmp_ge_u32 s8, s17
	s_cselect_b32 s2, s9, s2
	s_cselect_b32 s8, s10, s8
	s_add_i32 s9, s2, 1
	s_cmp_ge_u32 s8, s17
	s_cselect_b32 s2, s9, s2
	s_delay_alu instid0(SALU_CYCLE_1) | instskip(NEXT) | instid1(SALU_CYCLE_1)
	s_mul_i32 s20, s2, s17
	s_sub_i32 s50, s3, s20
	s_delay_alu instid0(SALU_CYCLE_1) | instskip(NEXT) | instid1(SALU_CYCLE_1)
	s_add_i32 s3, s50, 1
	s_cmp_lt_u32 s3, s17
	s_mov_b32 s3, 0
	s_cbranch_scc1 .LBB212_3
; %bb.2:
	s_mul_i32 s8, s50, s33
	s_waitcnt lgkmcnt(0)
	s_sub_u32 s8, s4, s8
	s_subb_u32 s9, s5, 0
	s_add_u32 s8, s8, 0xff
	s_addc_u32 s9, s9, 0
	s_delay_alu instid0(SALU_CYCLE_1) | instskip(NEXT) | instid1(SALU_CYCLE_1)
	s_ashr_i32 s10, s9, 31
	s_lshr_b32 s10, s10, 24
	s_delay_alu instid0(SALU_CYCLE_1) | instskip(SKIP_1) | instid1(SALU_CYCLE_1)
	s_add_u32 s8, s8, s10
	s_addc_u32 s9, s9, 0
	v_alignbit_b32 v1, s9, s8, 8
	s_delay_alu instid0(VALU_DEP_1)
	v_readfirstlane_b32 s16, v1
.LBB212_3:
	s_load_b32 s9, s[0:1], 0x198
	s_mov_b64 s[18:19], 0
	s_mov_b64 s[22:23], s[2:3]
	s_waitcnt lgkmcnt(0)
	s_cmp_lt_i32 s9, 2
	s_cbranch_scc1 .LBB212_11
; %bb.4:
	s_mov_b32 s8, 0
	s_add_i32 s10, s9, -1
	s_mov_b32 s11, s8
	s_add_i32 s21, s9, 1
	s_lshl_b64 s[10:11], s[10:11], 3
	s_mov_b64 s[12:13], s[2:3]
	s_add_u32 s9, s10, s0
	s_addc_u32 s11, s11, s1
	s_add_u32 s10, s9, 8
	s_addc_u32 s11, s11, 0
.LBB212_5:                              ; =>This Inner Loop Header: Depth=1
	s_load_b64 s[14:15], s[10:11], 0x0
	s_waitcnt lgkmcnt(0)
	s_or_b64 s[22:23], s[12:13], s[14:15]
	s_delay_alu instid0(SALU_CYCLE_1) | instskip(NEXT) | instid1(SALU_CYCLE_1)
	s_mov_b32 s9, s23
                                        ; implicit-def: $sgpr22_sgpr23
	s_cmp_lg_u64 s[8:9], 0
	s_mov_b32 s9, -1
	s_cbranch_scc0 .LBB212_7
; %bb.6:                                ;   in Loop: Header=BB212_5 Depth=1
	v_cvt_f32_u32_e32 v1, s14
	v_cvt_f32_u32_e32 v2, s15
	s_sub_u32 s23, 0, s14
	s_subb_u32 s24, 0, s15
	s_waitcnt_depctr 0xfff
	v_fmac_f32_e32 v1, 0x4f800000, v2
	s_delay_alu instid0(VALU_DEP_1) | instskip(SKIP_2) | instid1(VALU_DEP_1)
	v_rcp_f32_e32 v1, v1
	s_waitcnt_depctr 0xfff
	v_mul_f32_e32 v1, 0x5f7ffffc, v1
	v_mul_f32_e32 v2, 0x2f800000, v1
	s_delay_alu instid0(VALU_DEP_1) | instskip(NEXT) | instid1(VALU_DEP_1)
	v_trunc_f32_e32 v2, v2
	v_fmac_f32_e32 v1, 0xcf800000, v2
	v_cvt_u32_f32_e32 v2, v2
	s_delay_alu instid0(VALU_DEP_2) | instskip(NEXT) | instid1(VALU_DEP_2)
	v_cvt_u32_f32_e32 v1, v1
	v_readfirstlane_b32 s9, v2
	s_delay_alu instid0(VALU_DEP_2) | instskip(NEXT) | instid1(VALU_DEP_2)
	v_readfirstlane_b32 s22, v1
	s_mul_i32 s25, s23, s9
	s_delay_alu instid0(VALU_DEP_1)
	s_mul_hi_u32 s27, s23, s22
	s_mul_i32 s26, s24, s22
	s_add_i32 s25, s27, s25
	s_mul_i32 s28, s23, s22
	s_add_i32 s25, s25, s26
	s_mul_hi_u32 s27, s22, s28
	s_mul_hi_u32 s29, s9, s28
	s_mul_i32 s26, s9, s28
	s_mul_hi_u32 s28, s22, s25
	s_mul_i32 s22, s22, s25
	s_mul_hi_u32 s30, s9, s25
	s_add_u32 s22, s27, s22
	s_addc_u32 s27, 0, s28
	s_add_u32 s22, s22, s26
	s_mul_i32 s25, s9, s25
	s_addc_u32 s22, s27, s29
	s_addc_u32 s26, s30, 0
	s_add_u32 s22, s22, s25
	s_addc_u32 s25, 0, s26
	v_add_co_u32 v1, s22, v1, s22
	s_delay_alu instid0(VALU_DEP_1) | instskip(SKIP_1) | instid1(VALU_DEP_1)
	s_cmp_lg_u32 s22, 0
	s_addc_u32 s9, s9, s25
	v_readfirstlane_b32 s22, v1
	s_mul_i32 s25, s23, s9
	s_delay_alu instid0(VALU_DEP_1)
	s_mul_hi_u32 s26, s23, s22
	s_mul_i32 s24, s24, s22
	s_add_i32 s25, s26, s25
	s_mul_i32 s23, s23, s22
	s_add_i32 s25, s25, s24
	s_mul_hi_u32 s26, s9, s23
	s_mul_i32 s27, s9, s23
	s_mul_hi_u32 s23, s22, s23
	s_mul_hi_u32 s28, s22, s25
	s_mul_i32 s22, s22, s25
	s_mul_hi_u32 s24, s9, s25
	s_add_u32 s22, s23, s22
	s_addc_u32 s23, 0, s28
	s_add_u32 s22, s22, s27
	s_mul_i32 s25, s9, s25
	s_addc_u32 s22, s23, s26
	s_addc_u32 s23, s24, 0
	s_add_u32 s22, s22, s25
	s_addc_u32 s23, 0, s23
	v_add_co_u32 v1, s22, v1, s22
	s_delay_alu instid0(VALU_DEP_1) | instskip(SKIP_1) | instid1(VALU_DEP_1)
	s_cmp_lg_u32 s22, 0
	s_addc_u32 s9, s9, s23
	v_readfirstlane_b32 s22, v1
	s_mul_i32 s24, s12, s9
	s_mul_hi_u32 s23, s12, s9
	s_mul_hi_u32 s25, s13, s9
	s_mul_i32 s9, s13, s9
	s_mul_hi_u32 s26, s12, s22
	s_mul_hi_u32 s27, s13, s22
	s_mul_i32 s22, s13, s22
	s_add_u32 s24, s26, s24
	s_addc_u32 s23, 0, s23
	s_add_u32 s22, s24, s22
	s_addc_u32 s22, s23, s27
	s_addc_u32 s23, s25, 0
	s_add_u32 s22, s22, s9
	s_addc_u32 s23, 0, s23
	s_mul_hi_u32 s9, s14, s22
	s_mul_i32 s25, s14, s23
	s_mul_i32 s26, s14, s22
	s_add_i32 s9, s9, s25
	v_sub_co_u32 v1, s25, s12, s26
	s_mul_i32 s24, s15, s22
	s_delay_alu instid0(SALU_CYCLE_1) | instskip(NEXT) | instid1(VALU_DEP_1)
	s_add_i32 s9, s9, s24
	v_sub_co_u32 v2, s26, v1, s14
	s_sub_i32 s24, s13, s9
	s_cmp_lg_u32 s25, 0
	s_subb_u32 s24, s24, s15
	s_cmp_lg_u32 s26, 0
	v_readfirstlane_b32 s26, v2
	s_subb_u32 s24, s24, 0
	s_delay_alu instid0(SALU_CYCLE_1) | instskip(SKIP_1) | instid1(VALU_DEP_1)
	s_cmp_ge_u32 s24, s15
	s_cselect_b32 s27, -1, 0
	s_cmp_ge_u32 s26, s14
	s_cselect_b32 s26, -1, 0
	s_cmp_eq_u32 s24, s15
	s_cselect_b32 s24, s26, s27
	s_add_u32 s26, s22, 1
	s_addc_u32 s27, s23, 0
	s_add_u32 s28, s22, 2
	s_addc_u32 s29, s23, 0
	s_cmp_lg_u32 s24, 0
	s_cselect_b32 s24, s28, s26
	s_cselect_b32 s26, s29, s27
	s_cmp_lg_u32 s25, 0
	v_readfirstlane_b32 s25, v1
	s_subb_u32 s9, s13, s9
	s_delay_alu instid0(SALU_CYCLE_1) | instskip(SKIP_1) | instid1(VALU_DEP_1)
	s_cmp_ge_u32 s9, s15
	s_cselect_b32 s27, -1, 0
	s_cmp_ge_u32 s25, s14
	s_cselect_b32 s25, -1, 0
	s_cmp_eq_u32 s9, s15
	s_cselect_b32 s9, s25, s27
	s_delay_alu instid0(SALU_CYCLE_1)
	s_cmp_lg_u32 s9, 0
	s_mov_b32 s9, 0
	s_cselect_b32 s23, s26, s23
	s_cselect_b32 s22, s24, s22
.LBB212_7:                              ;   in Loop: Header=BB212_5 Depth=1
	s_and_not1_b32 vcc_lo, exec_lo, s9
	s_cbranch_vccnz .LBB212_9
; %bb.8:                                ;   in Loop: Header=BB212_5 Depth=1
	v_cvt_f32_u32_e32 v1, s14
	s_sub_i32 s22, 0, s14
	s_waitcnt_depctr 0xfff
	v_rcp_iflag_f32_e32 v1, v1
	s_waitcnt_depctr 0xfff
	v_mul_f32_e32 v1, 0x4f7ffffe, v1
	s_delay_alu instid0(VALU_DEP_1) | instskip(NEXT) | instid1(VALU_DEP_1)
	v_cvt_u32_f32_e32 v1, v1
	v_readfirstlane_b32 s9, v1
	s_delay_alu instid0(VALU_DEP_1) | instskip(NEXT) | instid1(SALU_CYCLE_1)
	s_mul_i32 s22, s22, s9
	s_mul_hi_u32 s22, s9, s22
	s_delay_alu instid0(SALU_CYCLE_1) | instskip(NEXT) | instid1(SALU_CYCLE_1)
	s_add_i32 s9, s9, s22
	s_mul_hi_u32 s9, s12, s9
	s_delay_alu instid0(SALU_CYCLE_1) | instskip(SKIP_2) | instid1(SALU_CYCLE_1)
	s_mul_i32 s22, s9, s14
	s_add_i32 s23, s9, 1
	s_sub_i32 s22, s12, s22
	s_sub_i32 s24, s22, s14
	s_cmp_ge_u32 s22, s14
	s_cselect_b32 s9, s23, s9
	s_cselect_b32 s22, s24, s22
	s_add_i32 s23, s9, 1
	s_cmp_ge_u32 s22, s14
	s_cselect_b32 s22, s23, s9
	s_mov_b32 s23, s8
.LBB212_9:                              ;   in Loop: Header=BB212_5 Depth=1
	s_load_b64 s[24:25], s[10:11], 0xc8
	s_mul_i32 s9, s22, s15
	s_mul_hi_u32 s15, s22, s14
	s_mul_i32 s26, s23, s14
	s_add_i32 s9, s15, s9
	s_mul_i32 s14, s22, s14
	s_add_i32 s9, s9, s26
	s_sub_u32 s12, s12, s14
	s_subb_u32 s9, s13, s9
	s_waitcnt lgkmcnt(0)
	s_mul_i32 s9, s24, s9
	s_mul_hi_u32 s13, s24, s12
	s_mul_i32 s14, s25, s12
	s_add_i32 s9, s13, s9
	s_mul_i32 s12, s24, s12
	s_add_i32 s9, s9, s14
	s_add_u32 s18, s12, s18
	s_addc_u32 s19, s9, s19
	s_add_i32 s21, s21, -1
	s_add_u32 s10, s10, -8
	s_addc_u32 s11, s11, -1
	s_cmp_gt_u32 s21, 2
	s_cbranch_scc0 .LBB212_11
; %bb.10:                               ;   in Loop: Header=BB212_5 Depth=1
	s_mov_b64 s[12:13], s[22:23]
	s_branch .LBB212_5
.LBB212_11:
	s_clause 0x1
	s_load_b32 s11, s[0:1], 0x358
	s_load_b64 s[24:25], s[0:1], 0xd0
	s_add_u32 s8, s0, 0x1c0
	s_addc_u32 s9, s1, 0
	s_mov_b64 s[26:27], 0
	s_mov_b64 s[28:29], s[2:3]
	s_waitcnt lgkmcnt(0)
	s_cmp_lt_i32 s11, 2
	s_cbranch_scc1 .LBB212_19
; %bb.12:
	s_mov_b32 s10, 0
	s_add_i32 s12, s11, -1
	s_mov_b32 s13, s10
	s_add_i32 s21, s11, 1
	s_lshl_b64 s[12:13], s[12:13], 3
	s_mov_b64 s[14:15], s[2:3]
	s_add_u32 s11, s12, s8
	s_addc_u32 s13, s13, s9
	s_add_u32 s12, s11, 8
	s_addc_u32 s13, s13, 0
.LBB212_13:                             ; =>This Inner Loop Header: Depth=1
	s_load_b64 s[30:31], s[12:13], 0x0
	s_waitcnt lgkmcnt(0)
	s_or_b64 s[28:29], s[14:15], s[30:31]
	s_delay_alu instid0(SALU_CYCLE_1) | instskip(NEXT) | instid1(SALU_CYCLE_1)
	s_mov_b32 s11, s29
                                        ; implicit-def: $sgpr28_sgpr29
	s_cmp_lg_u64 s[10:11], 0
	s_mov_b32 s11, -1
	s_cbranch_scc0 .LBB212_15
; %bb.14:                               ;   in Loop: Header=BB212_13 Depth=1
	v_cvt_f32_u32_e32 v1, s30
	v_cvt_f32_u32_e32 v2, s31
	s_sub_u32 s29, 0, s30
	s_subb_u32 s34, 0, s31
	s_waitcnt_depctr 0xfff
	v_fmac_f32_e32 v1, 0x4f800000, v2
	s_delay_alu instid0(VALU_DEP_1) | instskip(SKIP_2) | instid1(VALU_DEP_1)
	v_rcp_f32_e32 v1, v1
	s_waitcnt_depctr 0xfff
	v_mul_f32_e32 v1, 0x5f7ffffc, v1
	v_mul_f32_e32 v2, 0x2f800000, v1
	s_delay_alu instid0(VALU_DEP_1) | instskip(NEXT) | instid1(VALU_DEP_1)
	v_trunc_f32_e32 v2, v2
	v_fmac_f32_e32 v1, 0xcf800000, v2
	v_cvt_u32_f32_e32 v2, v2
	s_delay_alu instid0(VALU_DEP_2) | instskip(NEXT) | instid1(VALU_DEP_2)
	v_cvt_u32_f32_e32 v1, v1
	v_readfirstlane_b32 s11, v2
	s_delay_alu instid0(VALU_DEP_2) | instskip(NEXT) | instid1(VALU_DEP_2)
	v_readfirstlane_b32 s28, v1
	s_mul_i32 s35, s29, s11
	s_delay_alu instid0(VALU_DEP_1)
	s_mul_hi_u32 s37, s29, s28
	s_mul_i32 s36, s34, s28
	s_add_i32 s35, s37, s35
	s_mul_i32 s38, s29, s28
	s_add_i32 s35, s35, s36
	s_mul_hi_u32 s37, s28, s38
	s_mul_hi_u32 s39, s11, s38
	s_mul_i32 s36, s11, s38
	s_mul_hi_u32 s38, s28, s35
	s_mul_i32 s28, s28, s35
	s_mul_hi_u32 s40, s11, s35
	s_add_u32 s28, s37, s28
	s_addc_u32 s37, 0, s38
	s_add_u32 s28, s28, s36
	s_mul_i32 s35, s11, s35
	s_addc_u32 s28, s37, s39
	s_addc_u32 s36, s40, 0
	s_add_u32 s28, s28, s35
	s_addc_u32 s35, 0, s36
	v_add_co_u32 v1, s28, v1, s28
	s_delay_alu instid0(VALU_DEP_1) | instskip(SKIP_1) | instid1(VALU_DEP_1)
	s_cmp_lg_u32 s28, 0
	s_addc_u32 s11, s11, s35
	v_readfirstlane_b32 s28, v1
	s_mul_i32 s35, s29, s11
	s_delay_alu instid0(VALU_DEP_1)
	s_mul_hi_u32 s36, s29, s28
	s_mul_i32 s34, s34, s28
	s_add_i32 s35, s36, s35
	s_mul_i32 s29, s29, s28
	s_add_i32 s35, s35, s34
	s_mul_hi_u32 s36, s11, s29
	s_mul_i32 s37, s11, s29
	s_mul_hi_u32 s29, s28, s29
	s_mul_hi_u32 s38, s28, s35
	s_mul_i32 s28, s28, s35
	s_mul_hi_u32 s34, s11, s35
	s_add_u32 s28, s29, s28
	s_addc_u32 s29, 0, s38
	s_add_u32 s28, s28, s37
	s_mul_i32 s35, s11, s35
	s_addc_u32 s28, s29, s36
	s_addc_u32 s29, s34, 0
	s_add_u32 s28, s28, s35
	s_addc_u32 s29, 0, s29
	v_add_co_u32 v1, s28, v1, s28
	s_delay_alu instid0(VALU_DEP_1) | instskip(SKIP_1) | instid1(VALU_DEP_1)
	s_cmp_lg_u32 s28, 0
	s_addc_u32 s11, s11, s29
	v_readfirstlane_b32 s28, v1
	s_mul_i32 s34, s14, s11
	s_mul_hi_u32 s29, s14, s11
	s_mul_hi_u32 s35, s15, s11
	s_mul_i32 s11, s15, s11
	s_mul_hi_u32 s36, s14, s28
	s_mul_hi_u32 s37, s15, s28
	s_mul_i32 s28, s15, s28
	s_add_u32 s34, s36, s34
	s_addc_u32 s29, 0, s29
	s_add_u32 s28, s34, s28
	s_addc_u32 s28, s29, s37
	s_addc_u32 s29, s35, 0
	s_add_u32 s28, s28, s11
	s_addc_u32 s29, 0, s29
	s_mul_hi_u32 s11, s30, s28
	s_mul_i32 s35, s30, s29
	s_mul_i32 s36, s30, s28
	s_add_i32 s11, s11, s35
	v_sub_co_u32 v1, s35, s14, s36
	s_mul_i32 s34, s31, s28
	s_delay_alu instid0(SALU_CYCLE_1) | instskip(NEXT) | instid1(VALU_DEP_1)
	s_add_i32 s11, s11, s34
	v_sub_co_u32 v2, s36, v1, s30
	s_sub_i32 s34, s15, s11
	s_cmp_lg_u32 s35, 0
	s_subb_u32 s34, s34, s31
	s_cmp_lg_u32 s36, 0
	v_readfirstlane_b32 s36, v2
	s_subb_u32 s34, s34, 0
	s_delay_alu instid0(SALU_CYCLE_1) | instskip(SKIP_1) | instid1(VALU_DEP_1)
	s_cmp_ge_u32 s34, s31
	s_cselect_b32 s37, -1, 0
	s_cmp_ge_u32 s36, s30
	s_cselect_b32 s36, -1, 0
	s_cmp_eq_u32 s34, s31
	s_cselect_b32 s34, s36, s37
	s_add_u32 s36, s28, 1
	s_addc_u32 s37, s29, 0
	s_add_u32 s38, s28, 2
	s_addc_u32 s39, s29, 0
	s_cmp_lg_u32 s34, 0
	s_cselect_b32 s34, s38, s36
	s_cselect_b32 s36, s39, s37
	s_cmp_lg_u32 s35, 0
	v_readfirstlane_b32 s35, v1
	s_subb_u32 s11, s15, s11
	s_delay_alu instid0(SALU_CYCLE_1) | instskip(SKIP_1) | instid1(VALU_DEP_1)
	s_cmp_ge_u32 s11, s31
	s_cselect_b32 s37, -1, 0
	s_cmp_ge_u32 s35, s30
	s_cselect_b32 s35, -1, 0
	s_cmp_eq_u32 s11, s31
	s_cselect_b32 s11, s35, s37
	s_delay_alu instid0(SALU_CYCLE_1)
	s_cmp_lg_u32 s11, 0
	s_mov_b32 s11, 0
	s_cselect_b32 s29, s36, s29
	s_cselect_b32 s28, s34, s28
.LBB212_15:                             ;   in Loop: Header=BB212_13 Depth=1
	s_and_not1_b32 vcc_lo, exec_lo, s11
	s_cbranch_vccnz .LBB212_17
; %bb.16:                               ;   in Loop: Header=BB212_13 Depth=1
	v_cvt_f32_u32_e32 v1, s30
	s_sub_i32 s28, 0, s30
	s_waitcnt_depctr 0xfff
	v_rcp_iflag_f32_e32 v1, v1
	s_waitcnt_depctr 0xfff
	v_mul_f32_e32 v1, 0x4f7ffffe, v1
	s_delay_alu instid0(VALU_DEP_1) | instskip(NEXT) | instid1(VALU_DEP_1)
	v_cvt_u32_f32_e32 v1, v1
	v_readfirstlane_b32 s11, v1
	s_delay_alu instid0(VALU_DEP_1) | instskip(NEXT) | instid1(SALU_CYCLE_1)
	s_mul_i32 s28, s28, s11
	s_mul_hi_u32 s28, s11, s28
	s_delay_alu instid0(SALU_CYCLE_1) | instskip(NEXT) | instid1(SALU_CYCLE_1)
	s_add_i32 s11, s11, s28
	s_mul_hi_u32 s11, s14, s11
	s_delay_alu instid0(SALU_CYCLE_1) | instskip(SKIP_2) | instid1(SALU_CYCLE_1)
	s_mul_i32 s28, s11, s30
	s_add_i32 s29, s11, 1
	s_sub_i32 s28, s14, s28
	s_sub_i32 s34, s28, s30
	s_cmp_ge_u32 s28, s30
	s_cselect_b32 s11, s29, s11
	s_cselect_b32 s28, s34, s28
	s_add_i32 s29, s11, 1
	s_cmp_ge_u32 s28, s30
	s_cselect_b32 s28, s29, s11
	s_mov_b32 s29, s10
.LBB212_17:                             ;   in Loop: Header=BB212_13 Depth=1
	s_load_b64 s[34:35], s[12:13], 0xc8
	s_mul_i32 s11, s28, s31
	s_mul_hi_u32 s31, s28, s30
	s_mul_i32 s36, s29, s30
	s_add_i32 s11, s31, s11
	s_mul_i32 s30, s28, s30
	s_add_i32 s11, s11, s36
	s_sub_u32 s14, s14, s30
	s_subb_u32 s11, s15, s11
	s_waitcnt lgkmcnt(0)
	s_mul_i32 s11, s34, s11
	s_mul_hi_u32 s15, s34, s14
	s_mul_i32 s30, s35, s14
	s_add_i32 s11, s15, s11
	s_mul_i32 s14, s34, s14
	s_add_i32 s11, s11, s30
	s_add_u32 s26, s14, s26
	s_addc_u32 s27, s11, s27
	s_add_i32 s21, s21, -1
	s_add_u32 s12, s12, -8
	s_addc_u32 s13, s13, -1
	s_cmp_gt_u32 s21, 2
	s_cbranch_scc0 .LBB212_19
; %bb.18:                               ;   in Loop: Header=BB212_13 Depth=1
	s_mov_b64 s[14:15], s[28:29]
	s_branch .LBB212_13
.LBB212_19:
	s_clause 0x1
	s_load_b32 s11, s[0:1], 0x500
	s_load_b64 s[34:35], s[8:9], 0xd0
	s_add_u32 s9, s0, 0x368
	s_addc_u32 s10, s1, 0
	s_mov_b64 s[30:31], 0
	s_waitcnt lgkmcnt(0)
	s_cmp_lt_i32 s11, 2
	s_cbranch_scc1 .LBB212_27
; %bb.20:
	s_mov_b32 s8, 0
	s_add_i32 s12, s11, -1
	s_mov_b32 s13, s8
	s_add_i32 s21, s11, 1
	s_lshl_b64 s[12:13], s[12:13], 3
	s_delay_alu instid0(SALU_CYCLE_1)
	s_add_u32 s9, s12, s9
	s_addc_u32 s11, s13, s10
	s_add_u32 s10, s9, 8
	s_addc_u32 s11, s11, 0
	s_mov_b64 s[12:13], s[2:3]
.LBB212_21:                             ; =>This Inner Loop Header: Depth=1
	s_load_b64 s[14:15], s[10:11], 0x0
	s_waitcnt lgkmcnt(0)
	s_or_b64 s[36:37], s[12:13], s[14:15]
	s_delay_alu instid0(SALU_CYCLE_1) | instskip(NEXT) | instid1(SALU_CYCLE_1)
	s_mov_b32 s9, s37
                                        ; implicit-def: $sgpr36_sgpr37
	s_cmp_lg_u64 s[8:9], 0
	s_mov_b32 s9, -1
	s_cbranch_scc0 .LBB212_23
; %bb.22:                               ;   in Loop: Header=BB212_21 Depth=1
	v_cvt_f32_u32_e32 v1, s14
	v_cvt_f32_u32_e32 v2, s15
	s_sub_u32 s37, 0, s14
	s_subb_u32 s38, 0, s15
	s_waitcnt_depctr 0xfff
	v_fmac_f32_e32 v1, 0x4f800000, v2
	s_delay_alu instid0(VALU_DEP_1) | instskip(SKIP_2) | instid1(VALU_DEP_1)
	v_rcp_f32_e32 v1, v1
	s_waitcnt_depctr 0xfff
	v_mul_f32_e32 v1, 0x5f7ffffc, v1
	v_mul_f32_e32 v2, 0x2f800000, v1
	s_delay_alu instid0(VALU_DEP_1) | instskip(NEXT) | instid1(VALU_DEP_1)
	v_trunc_f32_e32 v2, v2
	v_fmac_f32_e32 v1, 0xcf800000, v2
	v_cvt_u32_f32_e32 v2, v2
	s_delay_alu instid0(VALU_DEP_2) | instskip(NEXT) | instid1(VALU_DEP_2)
	v_cvt_u32_f32_e32 v1, v1
	v_readfirstlane_b32 s9, v2
	s_delay_alu instid0(VALU_DEP_2) | instskip(NEXT) | instid1(VALU_DEP_2)
	v_readfirstlane_b32 s36, v1
	s_mul_i32 s39, s37, s9
	s_delay_alu instid0(VALU_DEP_1)
	s_mul_hi_u32 s41, s37, s36
	s_mul_i32 s40, s38, s36
	s_add_i32 s39, s41, s39
	s_mul_i32 s42, s37, s36
	s_add_i32 s39, s39, s40
	s_mul_hi_u32 s41, s36, s42
	s_mul_hi_u32 s43, s9, s42
	s_mul_i32 s40, s9, s42
	s_mul_hi_u32 s42, s36, s39
	s_mul_i32 s36, s36, s39
	s_mul_hi_u32 s44, s9, s39
	s_add_u32 s36, s41, s36
	s_addc_u32 s41, 0, s42
	s_add_u32 s36, s36, s40
	s_mul_i32 s39, s9, s39
	s_addc_u32 s36, s41, s43
	s_addc_u32 s40, s44, 0
	s_add_u32 s36, s36, s39
	s_addc_u32 s39, 0, s40
	v_add_co_u32 v1, s36, v1, s36
	s_delay_alu instid0(VALU_DEP_1) | instskip(SKIP_1) | instid1(VALU_DEP_1)
	s_cmp_lg_u32 s36, 0
	s_addc_u32 s9, s9, s39
	v_readfirstlane_b32 s36, v1
	s_mul_i32 s39, s37, s9
	s_delay_alu instid0(VALU_DEP_1)
	s_mul_hi_u32 s40, s37, s36
	s_mul_i32 s38, s38, s36
	s_add_i32 s39, s40, s39
	s_mul_i32 s37, s37, s36
	s_add_i32 s39, s39, s38
	s_mul_hi_u32 s40, s9, s37
	s_mul_i32 s41, s9, s37
	s_mul_hi_u32 s37, s36, s37
	s_mul_hi_u32 s42, s36, s39
	s_mul_i32 s36, s36, s39
	s_mul_hi_u32 s38, s9, s39
	s_add_u32 s36, s37, s36
	s_addc_u32 s37, 0, s42
	s_add_u32 s36, s36, s41
	s_mul_i32 s39, s9, s39
	s_addc_u32 s36, s37, s40
	s_addc_u32 s37, s38, 0
	s_add_u32 s36, s36, s39
	s_addc_u32 s37, 0, s37
	v_add_co_u32 v1, s36, v1, s36
	s_delay_alu instid0(VALU_DEP_1) | instskip(SKIP_1) | instid1(VALU_DEP_1)
	s_cmp_lg_u32 s36, 0
	s_addc_u32 s9, s9, s37
	v_readfirstlane_b32 s36, v1
	s_mul_i32 s38, s12, s9
	s_mul_hi_u32 s37, s12, s9
	s_mul_hi_u32 s39, s13, s9
	s_mul_i32 s9, s13, s9
	s_mul_hi_u32 s40, s12, s36
	s_mul_hi_u32 s41, s13, s36
	s_mul_i32 s36, s13, s36
	s_add_u32 s38, s40, s38
	s_addc_u32 s37, 0, s37
	s_add_u32 s36, s38, s36
	s_addc_u32 s36, s37, s41
	s_addc_u32 s37, s39, 0
	s_add_u32 s36, s36, s9
	s_addc_u32 s37, 0, s37
	s_mul_hi_u32 s9, s14, s36
	s_mul_i32 s39, s14, s37
	s_mul_i32 s40, s14, s36
	s_add_i32 s9, s9, s39
	v_sub_co_u32 v1, s39, s12, s40
	s_mul_i32 s38, s15, s36
	s_delay_alu instid0(SALU_CYCLE_1) | instskip(NEXT) | instid1(VALU_DEP_1)
	s_add_i32 s9, s9, s38
	v_sub_co_u32 v2, s40, v1, s14
	s_sub_i32 s38, s13, s9
	s_cmp_lg_u32 s39, 0
	s_subb_u32 s38, s38, s15
	s_cmp_lg_u32 s40, 0
	v_readfirstlane_b32 s40, v2
	s_subb_u32 s38, s38, 0
	s_delay_alu instid0(SALU_CYCLE_1) | instskip(SKIP_1) | instid1(VALU_DEP_1)
	s_cmp_ge_u32 s38, s15
	s_cselect_b32 s41, -1, 0
	s_cmp_ge_u32 s40, s14
	s_cselect_b32 s40, -1, 0
	s_cmp_eq_u32 s38, s15
	s_cselect_b32 s38, s40, s41
	s_add_u32 s40, s36, 1
	s_addc_u32 s41, s37, 0
	s_add_u32 s42, s36, 2
	s_addc_u32 s43, s37, 0
	s_cmp_lg_u32 s38, 0
	s_cselect_b32 s38, s42, s40
	s_cselect_b32 s40, s43, s41
	s_cmp_lg_u32 s39, 0
	v_readfirstlane_b32 s39, v1
	s_subb_u32 s9, s13, s9
	s_delay_alu instid0(SALU_CYCLE_1) | instskip(SKIP_1) | instid1(VALU_DEP_1)
	s_cmp_ge_u32 s9, s15
	s_cselect_b32 s41, -1, 0
	s_cmp_ge_u32 s39, s14
	s_cselect_b32 s39, -1, 0
	s_cmp_eq_u32 s9, s15
	s_cselect_b32 s9, s39, s41
	s_delay_alu instid0(SALU_CYCLE_1)
	s_cmp_lg_u32 s9, 0
	s_mov_b32 s9, 0
	s_cselect_b32 s37, s40, s37
	s_cselect_b32 s36, s38, s36
.LBB212_23:                             ;   in Loop: Header=BB212_21 Depth=1
	s_and_not1_b32 vcc_lo, exec_lo, s9
	s_cbranch_vccnz .LBB212_25
; %bb.24:                               ;   in Loop: Header=BB212_21 Depth=1
	v_cvt_f32_u32_e32 v1, s14
	s_sub_i32 s36, 0, s14
	s_waitcnt_depctr 0xfff
	v_rcp_iflag_f32_e32 v1, v1
	s_waitcnt_depctr 0xfff
	v_mul_f32_e32 v1, 0x4f7ffffe, v1
	s_delay_alu instid0(VALU_DEP_1) | instskip(NEXT) | instid1(VALU_DEP_1)
	v_cvt_u32_f32_e32 v1, v1
	v_readfirstlane_b32 s9, v1
	s_delay_alu instid0(VALU_DEP_1) | instskip(NEXT) | instid1(SALU_CYCLE_1)
	s_mul_i32 s36, s36, s9
	s_mul_hi_u32 s36, s9, s36
	s_delay_alu instid0(SALU_CYCLE_1) | instskip(NEXT) | instid1(SALU_CYCLE_1)
	s_add_i32 s9, s9, s36
	s_mul_hi_u32 s9, s12, s9
	s_delay_alu instid0(SALU_CYCLE_1) | instskip(SKIP_2) | instid1(SALU_CYCLE_1)
	s_mul_i32 s36, s9, s14
	s_add_i32 s37, s9, 1
	s_sub_i32 s36, s12, s36
	s_sub_i32 s38, s36, s14
	s_cmp_ge_u32 s36, s14
	s_cselect_b32 s9, s37, s9
	s_cselect_b32 s36, s38, s36
	s_add_i32 s37, s9, 1
	s_cmp_ge_u32 s36, s14
	s_cselect_b32 s36, s37, s9
	s_mov_b32 s37, s8
.LBB212_25:                             ;   in Loop: Header=BB212_21 Depth=1
	s_load_b64 s[38:39], s[10:11], 0xc8
	s_mul_i32 s9, s36, s15
	s_mul_hi_u32 s15, s36, s14
	s_mul_i32 s40, s37, s14
	s_add_i32 s9, s15, s9
	s_mul_i32 s14, s36, s14
	s_add_i32 s9, s9, s40
	s_sub_u32 s12, s12, s14
	s_subb_u32 s9, s13, s9
	s_waitcnt lgkmcnt(0)
	s_mul_i32 s9, s38, s9
	s_mul_hi_u32 s13, s38, s12
	s_mul_i32 s14, s39, s12
	s_add_i32 s9, s13, s9
	s_mul_i32 s12, s38, s12
	s_add_i32 s9, s9, s14
	s_add_u32 s30, s12, s30
	s_addc_u32 s31, s9, s31
	s_add_i32 s21, s21, -1
	s_add_u32 s10, s10, -8
	s_addc_u32 s11, s11, -1
	s_cmp_gt_u32 s21, 2
	s_cbranch_scc0 .LBB212_28
; %bb.26:                               ;   in Loop: Header=BB212_21 Depth=1
	s_mov_b64 s[12:13], s[36:37]
	s_branch .LBB212_21
.LBB212_27:
	s_mov_b64 s[36:37], s[2:3]
.LBB212_28:
	s_load_b128 s[8:11], s[0:1], 0x518
	s_lshl_b64 s[2:3], s[2:3], 1
	v_mov_b32_e32 v1, 0
	s_mov_b32 s21, 0
	s_waitcnt lgkmcnt(0)
	s_add_u32 s2, s8, s2
	s_addc_u32 s3, s9, s3
	global_load_u16 v1, v1, s[2:3]
	s_clause 0x3
	s_load_b64 s[42:43], s[0:1], 0x0
	s_load_b64 s[40:41], s[0:1], 0x1c0
	;; [unrolled: 1-line block ×4, first 2 shown]
	v_cmp_ne_u32_e64 s2, 0, v0
	v_cmp_eq_u32_e64 s3, 0, v0
	s_waitcnt vmcnt(0)
	v_readfirstlane_b32 s51, v1
	s_delay_alu instid0(VALU_DEP_2)
	s_and_saveexec_b32 s52, s3
	s_cbranch_execz .LBB212_44
; %bb.29:
	s_load_b64 s[44:45], s[0:1], 0x528
	s_lshl_b64 s[46:47], s[20:21], 2
	s_mov_b32 s20, 0
	s_add_u32 s12, s10, s46
	s_addc_u32 s13, s11, s47
	s_mov_b32 s53, 0
	s_waitcnt lgkmcnt(0)
	s_add_u32 s14, s44, s46
	s_addc_u32 s15, s45, s47
	s_cmp_lt_u32 s17, 4
	s_cbranch_scc1 .LBB212_41
; %bb.30:
	s_mov_b32 s54, 0
.LBB212_31:                             ; =>This Inner Loop Header: Depth=1
	s_add_u32 s12, s10, s46
	s_addc_u32 s13, s11, s47
	s_add_u32 s48, s44, s46
	s_load_b128 s[12:15], s[12:13], 0x0
	s_addc_u32 s49, s45, s47
	s_cmp_ge_u32 s54, s50
	s_cbranch_scc0 .LBB212_38
; %bb.32:                               ;   in Loop: Header=BB212_31 Depth=1
	s_add_i32 s55, s54, 1
	s_delay_alu instid0(SALU_CYCLE_1)
	s_cmp_ge_u32 s55, s50
	s_cbranch_scc0 .LBB212_39
.LBB212_33:                             ;   in Loop: Header=BB212_31 Depth=1
	s_add_i32 s55, s55, 1
	s_delay_alu instid0(SALU_CYCLE_1)
	s_cmp_ge_u32 s55, s50
	s_cbranch_scc0 .LBB212_40
.LBB212_34:                             ;   in Loop: Header=BB212_31 Depth=1
	s_add_i32 s55, s55, 1
	s_delay_alu instid0(SALU_CYCLE_1)
	s_cmp_ge_u32 s55, s50
	s_cbranch_scc1 .LBB212_36
.LBB212_35:                             ;   in Loop: Header=BB212_31 Depth=1
	s_load_b32 s48, s[48:49], 0xc
	s_waitcnt lgkmcnt(0)
	s_add_i32 s21, s21, s15
	s_add_i32 s20, s48, s20
.LBB212_36:                             ;   in Loop: Header=BB212_31 Depth=1
	s_waitcnt lgkmcnt(0)
	s_add_i32 s12, s12, s53
	s_delay_alu instid0(SALU_CYCLE_1) | instskip(NEXT) | instid1(SALU_CYCLE_1)
	s_add_i32 s12, s12, s13
	s_add_i32 s12, s12, s14
	s_delay_alu instid0(SALU_CYCLE_1)
	s_add_i32 s53, s12, s15
	s_add_u32 s10, s10, 16
	s_addc_u32 s11, s11, 0
	s_add_u32 s44, s44, 16
	s_addc_u32 s45, s45, 0
	s_add_i32 s49, s55, 4
	s_add_u32 s14, s44, s46
	s_addc_u32 s15, s45, s47
	s_add_u32 s12, s10, s46
	s_addc_u32 s13, s11, s47
	s_add_i32 s48, s55, 1
	s_cmp_ge_u32 s49, s17
	s_cbranch_scc1 .LBB212_42
; %bb.37:                               ;   in Loop: Header=BB212_31 Depth=1
	s_mov_b32 s54, s48
	s_branch .LBB212_31
.LBB212_38:                             ;   in Loop: Header=BB212_31 Depth=1
	s_load_b32 s55, s[48:49], 0x0
	s_waitcnt lgkmcnt(0)
	s_add_i32 s21, s12, s21
	s_add_i32 s20, s55, s20
	;; [unrolled: 1-line block ×3, first 2 shown]
	s_delay_alu instid0(SALU_CYCLE_1)
	s_cmp_ge_u32 s55, s50
	s_cbranch_scc1 .LBB212_33
.LBB212_39:                             ;   in Loop: Header=BB212_31 Depth=1
	s_load_b32 s56, s[48:49], 0x4
	s_waitcnt lgkmcnt(0)
	s_add_i32 s21, s21, s13
	s_add_i32 s20, s56, s20
	;; [unrolled: 1-line block ×3, first 2 shown]
	s_delay_alu instid0(SALU_CYCLE_1)
	s_cmp_ge_u32 s55, s50
	s_cbranch_scc1 .LBB212_34
.LBB212_40:                             ;   in Loop: Header=BB212_31 Depth=1
	s_load_b32 s56, s[48:49], 0x8
	s_waitcnt lgkmcnt(0)
	s_add_i32 s21, s21, s14
	s_add_i32 s20, s56, s20
	;; [unrolled: 1-line block ×3, first 2 shown]
	s_delay_alu instid0(SALU_CYCLE_1)
	s_cmp_ge_u32 s55, s50
	s_cbranch_scc0 .LBB212_35
	s_branch .LBB212_36
.LBB212_41:
	s_mov_b32 s10, 0
	s_delay_alu instid0(SALU_CYCLE_1)
	s_cmp_ge_u32 s10, s17
	s_cbranch_scc0 .LBB212_65
	s_branch .LBB212_43
.LBB212_42:
	s_add_i32 s10, s54, 4
	s_delay_alu instid0(SALU_CYCLE_1)
	s_cmp_ge_u32 s10, s17
	s_cbranch_scc0 .LBB212_65
.LBB212_43:
	v_dual_mov_b32 v1, s20 :: v_dual_mov_b32 v2, s53
	v_dual_mov_b32 v3, s21 :: v_dual_mov_b32 v4, 0
	ds_store_b96 v4, v[1:3] offset:1056
.LBB212_44:
	s_or_b32 exec_lo, exec_lo, s52
	s_cmp_eq_u32 s16, 0
	s_waitcnt lgkmcnt(0)
	s_barrier
	buffer_gl0_inv
	s_cbranch_scc1 .LBB212_67
; %bb.45:
	s_mul_i32 s10, s34, s29
	s_mul_hi_u32 s11, s34, s28
	s_mul_hi_u32 s12, s24, s22
	s_add_i32 s10, s11, s10
	s_mul_i32 s11, s24, s23
	s_mul_i32 s13, s35, s28
	s_add_i32 s12, s12, s11
	s_mul_i32 s14, s25, s22
	s_add_i32 s11, s10, s13
	s_add_i32 s13, s12, s14
	s_mul_i32 s10, s38, s37
	s_mul_hi_u32 s14, s38, s36
	s_mul_i32 s12, s24, s22
	s_add_i32 s10, s14, s10
	s_mul_i32 s14, s39, s36
	s_lshl_b64 s[12:13], s[12:13], 1
	s_add_i32 s21, s10, s14
	s_add_u32 s14, s42, s12
	s_addc_u32 s15, s43, s13
	s_lshl_b64 s[12:13], s[18:19], 1
	v_dual_mov_b32 v5, 0 :: v_dual_add_nc_u32 v10, -1, v0
	s_mul_i32 s10, s34, s28
	s_add_u32 s14, s14, s12
	s_addc_u32 s15, s15, s13
	s_lshl_b64 s[10:11], s[10:11], 1
	ds_load_b96 v[1:3], v5 offset:1056
	s_add_u32 s12, s40, s10
	s_addc_u32 s13, s41, s11
	s_lshl_b64 s[10:11], s[26:27], 1
	s_mul_i32 s20, s38, s36
	s_add_u32 s17, s12, s10
	s_addc_u32 s18, s13, s11
	s_lshl_b64 s[10:11], s[20:21], 3
	v_lshrrev_b32_e32 v4, 5, v0
	s_add_u32 s10, s8, s10
	s_addc_u32 s11, s9, s11
	s_lshl_b64 s[8:9], s[30:31], 3
	v_mov_b32_e32 v14, 0x8000
	s_add_u32 s19, s10, s8
	s_sext_i32_i16 s8, s51
	s_addc_u32 s20, s11, s9
	s_and_b32 s9, 0xffff, s51
	s_cmp_gt_i32 s8, -1
	s_mov_b32 s8, 0x8000
	v_cmp_o_f16_e64 s10, s51, s51
	s_cselect_b32 s8, s8, 0xffff
	s_waitcnt lgkmcnt(0)
	v_add_nc_u32_e32 v1, v1, v2
	s_xor_b32 s8, s8, s9
	v_add_lshl_u32 v8, v4, v0, 2
	s_and_b32 s9, s10, exec_lo
	s_cselect_b32 s21, s8, 0xffff
	s_clause 0x3
	s_load_b32 s22, s[0:1], 0x1b0
	s_load_b64 s[8:9], s[0:1], 0x1b8
	s_load_b64 s[10:11], s[0:1], 0x360
	;; [unrolled: 1-line block ×3, first 2 shown]
	v_mad_u64_u32 v[6:7], null, s50, s33, v[0:1]
	v_lshlrev_b32_e32 v2, 3, v0
	v_lshrrev_b32_e32 v4, 2, v0
	v_lshrrev_b32_e32 v11, 5, v10
	v_mbcnt_lo_u32_b32 v9, -1, 0
	v_cmp_gt_u32_e64 s0, 32, v0
                                        ; implicit-def: $vgpr15
	s_delay_alu instid0(VALU_DEP_4) | instskip(NEXT) | instid1(VALU_DEP_4)
	v_add_lshl_u32 v0, v4, v2, 2
	v_add_lshl_u32 v10, v11, v10, 2
	s_delay_alu instid0(VALU_DEP_4)
	v_dual_mov_b32 v4, v6 :: v_dual_and_b32 v11, 15, v9
	v_bfe_i32 v12, v9, 4, 1
	v_add_nc_u32_e32 v13, -1, v9
	s_waitcnt lgkmcnt(0)
	s_bitcmp1_b32 s22, 0
	s_cselect_b32 s1, -1, 0
	s_branch .LBB212_48
.LBB212_46:                             ;   in Loop: Header=BB212_48 Depth=1
	s_or_b32 exec_lo, exec_lo, s22
	v_add_nc_u32_e32 v1, v2, v1
.LBB212_47:                             ;   in Loop: Header=BB212_48 Depth=1
	v_add_nc_u32_e32 v3, v16, v3
	v_add_nc_u32_e32 v4, 0x100, v4
	s_add_i32 s16, s16, -1
	s_delay_alu instid0(SALU_CYCLE_1)
	s_cmp_lg_u32 s16, 0
	s_cbranch_scc0 .LBB212_67
.LBB212_48:                             ; =>This Inner Loop Header: Depth=1
	v_mov_b32_e32 v2, v5
	v_mov_b32_e32 v6, v5
	s_mov_b32 s22, exec_lo
	v_cmpx_gt_u64_e64 s[4:5], v[4:5]
	s_cbranch_execz .LBB212_50
; %bb.49:                               ;   in Loop: Header=BB212_48 Depth=1
	v_mad_u64_u32 v[6:7], null, v4, s8, 0
	s_delay_alu instid0(VALU_DEP_1) | instskip(NEXT) | instid1(VALU_DEP_1)
	v_mov_b32_e32 v2, v7
	v_mad_u64_u32 v[15:16], null, v4, s9, v[2:3]
	s_delay_alu instid0(VALU_DEP_1) | instskip(NEXT) | instid1(VALU_DEP_1)
	v_mov_b32_e32 v7, v15
	v_lshlrev_b64 v[6:7], 1, v[6:7]
	s_delay_alu instid0(VALU_DEP_1) | instskip(NEXT) | instid1(VALU_DEP_2)
	v_add_co_u32 v6, vcc_lo, s14, v6
	v_add_co_ci_u32_e32 v7, vcc_lo, s15, v7, vcc_lo
	global_load_u16 v15, v[6:7], off
	s_waitcnt vmcnt(0)
	v_and_b32_e32 v2, 0xffff, v15
	v_cmp_lt_i16_e32 vcc_lo, -1, v15
	v_cndmask_b32_e32 v6, 0xffff, v14, vcc_lo
	v_cmp_o_f16_e32 vcc_lo, v15, v15
	s_delay_alu instid0(VALU_DEP_2) | instskip(NEXT) | instid1(VALU_DEP_1)
	v_xor_b32_e32 v2, v6, v2
	v_cndmask_b32_e32 v6, 0xffff, v2, vcc_lo
	s_delay_alu instid0(VALU_DEP_1) | instskip(SKIP_4) | instid1(VALU_DEP_2)
	v_cmp_lt_u32_e32 vcc_lo, s21, v6
	v_cndmask_b32_e64 v2, 0, 1, vcc_lo
	v_cmp_gt_u32_e32 vcc_lo, s21, v6
	v_cndmask_b32_e64 v7, 0, 1, vcc_lo
	v_cmp_eq_u32_e32 vcc_lo, s21, v6
	v_cndmask_b32_e64 v2, v7, v2, s1
	v_cndmask_b32_e64 v6, 0, 1, vcc_lo
	s_delay_alu instid0(VALU_DEP_2)
	v_and_b32_e32 v2, 1, v2
.LBB212_50:                             ;   in Loop: Header=BB212_48 Depth=1
	s_or_b32 exec_lo, exec_lo, s22
	ds_store_b32 v8, v2
	s_waitcnt lgkmcnt(0)
	s_waitcnt_vscnt null, 0x0
	s_barrier
	buffer_gl0_inv
	s_and_saveexec_b32 s22, s0
	s_cbranch_execz .LBB212_52
; %bb.51:                               ;   in Loop: Header=BB212_48 Depth=1
	ds_load_2addr_b32 v[16:17], v0 offset1:1
	ds_load_2addr_b32 v[18:19], v0 offset0:2 offset1:3
	ds_load_2addr_b32 v[20:21], v0 offset0:4 offset1:5
	;; [unrolled: 1-line block ×3, first 2 shown]
	v_cmp_ne_u32_e32 vcc_lo, 0, v11
	; wave barrier
	s_waitcnt lgkmcnt(3)
	v_add_nc_u32_e32 v7, v17, v16
	s_waitcnt lgkmcnt(2)
	s_delay_alu instid0(VALU_DEP_1) | instskip(SKIP_1) | instid1(VALU_DEP_1)
	v_add3_u32 v7, v7, v18, v19
	s_waitcnt lgkmcnt(1)
	v_add3_u32 v7, v7, v20, v21
	s_waitcnt lgkmcnt(0)
	s_delay_alu instid0(VALU_DEP_1) | instskip(NEXT) | instid1(VALU_DEP_1)
	v_add3_u32 v7, v7, v22, v23
	v_mov_b32_dpp v17, v7 row_shr:1 row_mask:0xf bank_mask:0xf
	s_delay_alu instid0(VALU_DEP_1) | instskip(SKIP_1) | instid1(VALU_DEP_2)
	v_cndmask_b32_e32 v17, 0, v17, vcc_lo
	v_cmp_lt_u32_e32 vcc_lo, 1, v11
	v_add_nc_u32_e32 v7, v17, v7
	s_delay_alu instid0(VALU_DEP_1) | instskip(NEXT) | instid1(VALU_DEP_1)
	v_mov_b32_dpp v17, v7 row_shr:2 row_mask:0xf bank_mask:0xf
	v_cndmask_b32_e32 v17, 0, v17, vcc_lo
	v_cmp_lt_u32_e32 vcc_lo, 3, v11
	s_delay_alu instid0(VALU_DEP_2) | instskip(NEXT) | instid1(VALU_DEP_1)
	v_add_nc_u32_e32 v7, v7, v17
	v_mov_b32_dpp v17, v7 row_shr:4 row_mask:0xf bank_mask:0xf
	s_delay_alu instid0(VALU_DEP_1) | instskip(SKIP_1) | instid1(VALU_DEP_2)
	v_cndmask_b32_e32 v17, 0, v17, vcc_lo
	v_cmp_lt_u32_e32 vcc_lo, 7, v11
	v_add_nc_u32_e32 v7, v7, v17
	s_delay_alu instid0(VALU_DEP_1) | instskip(NEXT) | instid1(VALU_DEP_1)
	v_mov_b32_dpp v17, v7 row_shr:8 row_mask:0xf bank_mask:0xf
	v_cndmask_b32_e32 v17, 0, v17, vcc_lo
	v_cmp_gt_i32_e32 vcc_lo, 0, v13
	s_delay_alu instid0(VALU_DEP_2)
	v_add_nc_u32_e32 v7, v7, v17
	v_cndmask_b32_e32 v18, v13, v9, vcc_lo
	ds_swizzle_b32 v17, v7 offset:swizzle(BROADCAST,32,15)
	v_lshlrev_b32_e32 v18, 2, v18
	s_waitcnt lgkmcnt(0)
	v_and_b32_e32 v17, v12, v17
	s_delay_alu instid0(VALU_DEP_1) | instskip(SKIP_3) | instid1(VALU_DEP_1)
	v_add_nc_u32_e32 v7, v7, v17
	ds_bpermute_b32 v7, v18, v7
	s_waitcnt lgkmcnt(0)
	v_add_nc_u32_e32 v7, v7, v16
	v_cndmask_b32_e64 v7, v7, v2, s3
	ds_store_b32 v0, v7
	; wave barrier
	ds_load_2addr_b32 v[16:17], v0 offset0:1 offset1:2
	ds_load_2addr_b32 v[18:19], v0 offset0:3 offset1:4
	;; [unrolled: 1-line block ×3, first 2 shown]
	ds_load_b32 v22, v0 offset:28
	s_waitcnt lgkmcnt(3)
	v_add_nc_u32_e32 v7, v16, v7
	s_delay_alu instid0(VALU_DEP_1) | instskip(SKIP_1) | instid1(VALU_DEP_1)
	v_add_nc_u32_e32 v16, v17, v7
	s_waitcnt lgkmcnt(2)
	v_add_nc_u32_e32 v17, v18, v16
	s_delay_alu instid0(VALU_DEP_1) | instskip(SKIP_1) | instid1(VALU_DEP_1)
	v_add_nc_u32_e32 v18, v19, v17
	s_waitcnt lgkmcnt(1)
	v_add_nc_u32_e32 v19, v20, v18
	s_delay_alu instid0(VALU_DEP_1) | instskip(SKIP_1) | instid1(VALU_DEP_1)
	v_add_nc_u32_e32 v20, v21, v19
	s_waitcnt lgkmcnt(0)
	v_add_nc_u32_e32 v21, v22, v20
	ds_store_2addr_b32 v0, v7, v16 offset0:1 offset1:2
	ds_store_2addr_b32 v0, v17, v18 offset0:3 offset1:4
	;; [unrolled: 1-line block ×3, first 2 shown]
	ds_store_b32 v0, v21 offset:28
.LBB212_52:                             ;   in Loop: Header=BB212_48 Depth=1
	s_or_b32 exec_lo, exec_lo, s22
	v_mov_b32_e32 v7, 0
	s_waitcnt lgkmcnt(0)
	s_barrier
	buffer_gl0_inv
	s_and_saveexec_b32 s22, s2
	s_cbranch_execz .LBB212_54
; %bb.53:                               ;   in Loop: Header=BB212_48 Depth=1
	ds_load_b32 v7, v10
.LBB212_54:                             ;   in Loop: Header=BB212_48 Depth=1
	s_or_b32 exec_lo, exec_lo, s22
	ds_load_b32 v16, v5 offset:1048
	s_mov_b32 s22, exec_lo
	s_waitcnt lgkmcnt(0)
	s_barrier
	buffer_gl0_inv
	v_cmpx_ne_u32_e32 0, v2
	s_cbranch_execz .LBB212_56
; %bb.55:                               ;   in Loop: Header=BB212_48 Depth=1
	v_add_nc_u32_e32 v23, v7, v3
	s_delay_alu instid0(VALU_DEP_1) | instskip(NEXT) | instid1(VALU_DEP_1)
	v_mad_u64_u32 v[17:18], null, v23, s10, 0
	v_mov_b32_e32 v2, v18
	v_mad_u64_u32 v[19:20], null, v23, s12, 0
	s_delay_alu instid0(VALU_DEP_1) | instskip(NEXT) | instid1(VALU_DEP_3)
	v_mov_b32_e32 v7, v20
	v_mad_u64_u32 v[20:21], null, v23, s11, v[2:3]
	s_delay_alu instid0(VALU_DEP_2) | instskip(NEXT) | instid1(VALU_DEP_2)
	v_mad_u64_u32 v[21:22], null, v23, s13, v[7:8]
	v_mov_b32_e32 v18, v20
	s_delay_alu instid0(VALU_DEP_2) | instskip(NEXT) | instid1(VALU_DEP_2)
	v_mov_b32_e32 v20, v21
	v_lshlrev_b64 v[17:18], 1, v[17:18]
	s_delay_alu instid0(VALU_DEP_2) | instskip(NEXT) | instid1(VALU_DEP_2)
	v_lshlrev_b64 v[19:20], 3, v[19:20]
	v_add_co_u32 v17, vcc_lo, s17, v17
	s_delay_alu instid0(VALU_DEP_3) | instskip(NEXT) | instid1(VALU_DEP_3)
	v_add_co_ci_u32_e32 v18, vcc_lo, s18, v18, vcc_lo
	v_add_co_u32 v19, vcc_lo, s19, v19
	s_delay_alu instid0(VALU_DEP_4)
	v_add_co_ci_u32_e32 v20, vcc_lo, s20, v20, vcc_lo
	global_store_b16 v[17:18], v15, off
	global_store_b64 v[19:20], v[4:5], off
.LBB212_56:                             ;   in Loop: Header=BB212_48 Depth=1
	s_or_b32 exec_lo, exec_lo, s22
	v_mov_b32_e32 v2, v5
	s_delay_alu instid0(VALU_DEP_1)
	v_cmp_le_u64_e32 vcc_lo, s[6:7], v[1:2]
	s_cbranch_vccnz .LBB212_47
; %bb.57:                               ;   in Loop: Header=BB212_48 Depth=1
	ds_store_b32 v8, v6
	s_waitcnt lgkmcnt(0)
	s_waitcnt_vscnt null, 0x0
	s_barrier
	buffer_gl0_inv
	s_and_saveexec_b32 s22, s0
	s_cbranch_execz .LBB212_59
; %bb.58:                               ;   in Loop: Header=BB212_48 Depth=1
	ds_load_2addr_b32 v[17:18], v0 offset1:1
	ds_load_2addr_b32 v[19:20], v0 offset0:2 offset1:3
	ds_load_2addr_b32 v[21:22], v0 offset0:4 offset1:5
	;; [unrolled: 1-line block ×3, first 2 shown]
	v_cmp_ne_u32_e32 vcc_lo, 0, v11
	; wave barrier
	s_waitcnt lgkmcnt(3)
	v_add_nc_u32_e32 v2, v18, v17
	s_waitcnt lgkmcnt(2)
	s_delay_alu instid0(VALU_DEP_1) | instskip(SKIP_1) | instid1(VALU_DEP_1)
	v_add3_u32 v2, v2, v19, v20
	s_waitcnt lgkmcnt(1)
	v_add3_u32 v2, v2, v21, v22
	s_waitcnt lgkmcnt(0)
	s_delay_alu instid0(VALU_DEP_1) | instskip(NEXT) | instid1(VALU_DEP_1)
	v_add3_u32 v2, v2, v23, v24
	v_mov_b32_dpp v7, v2 row_shr:1 row_mask:0xf bank_mask:0xf
	s_delay_alu instid0(VALU_DEP_1) | instskip(SKIP_1) | instid1(VALU_DEP_2)
	v_cndmask_b32_e32 v7, 0, v7, vcc_lo
	v_cmp_lt_u32_e32 vcc_lo, 1, v11
	v_add_nc_u32_e32 v2, v7, v2
	s_delay_alu instid0(VALU_DEP_1) | instskip(NEXT) | instid1(VALU_DEP_1)
	v_mov_b32_dpp v7, v2 row_shr:2 row_mask:0xf bank_mask:0xf
	v_cndmask_b32_e32 v7, 0, v7, vcc_lo
	v_cmp_lt_u32_e32 vcc_lo, 3, v11
	s_delay_alu instid0(VALU_DEP_2) | instskip(NEXT) | instid1(VALU_DEP_1)
	v_add_nc_u32_e32 v2, v2, v7
	v_mov_b32_dpp v7, v2 row_shr:4 row_mask:0xf bank_mask:0xf
	s_delay_alu instid0(VALU_DEP_1) | instskip(SKIP_1) | instid1(VALU_DEP_2)
	v_cndmask_b32_e32 v7, 0, v7, vcc_lo
	v_cmp_lt_u32_e32 vcc_lo, 7, v11
	v_add_nc_u32_e32 v2, v2, v7
	s_delay_alu instid0(VALU_DEP_1) | instskip(NEXT) | instid1(VALU_DEP_1)
	v_mov_b32_dpp v7, v2 row_shr:8 row_mask:0xf bank_mask:0xf
	v_cndmask_b32_e32 v7, 0, v7, vcc_lo
	v_cmp_gt_i32_e32 vcc_lo, 0, v13
	v_cndmask_b32_e32 v18, v13, v9, vcc_lo
	s_delay_alu instid0(VALU_DEP_1) | instskip(NEXT) | instid1(VALU_DEP_4)
	v_lshlrev_b32_e32 v18, 2, v18
	v_add_nc_u32_e32 v2, v2, v7
	ds_swizzle_b32 v7, v2 offset:swizzle(BROADCAST,32,15)
	s_waitcnt lgkmcnt(0)
	v_and_b32_e32 v7, v12, v7
	s_delay_alu instid0(VALU_DEP_1) | instskip(SKIP_3) | instid1(VALU_DEP_1)
	v_add_nc_u32_e32 v2, v2, v7
	ds_bpermute_b32 v2, v18, v2
	s_waitcnt lgkmcnt(0)
	v_add_nc_u32_e32 v2, v2, v17
	v_cndmask_b32_e64 v2, v2, v6, s3
	ds_store_b32 v0, v2
	; wave barrier
	ds_load_2addr_b32 v[17:18], v0 offset0:1 offset1:2
	ds_load_2addr_b32 v[19:20], v0 offset0:3 offset1:4
	ds_load_2addr_b32 v[21:22], v0 offset0:5 offset1:6
	ds_load_b32 v7, v0 offset:28
	s_waitcnt lgkmcnt(3)
	v_add_nc_u32_e32 v2, v17, v2
	s_delay_alu instid0(VALU_DEP_1) | instskip(SKIP_1) | instid1(VALU_DEP_1)
	v_add_nc_u32_e32 v17, v18, v2
	s_waitcnt lgkmcnt(2)
	v_add_nc_u32_e32 v18, v19, v17
	s_delay_alu instid0(VALU_DEP_1) | instskip(SKIP_1) | instid1(VALU_DEP_1)
	v_add_nc_u32_e32 v19, v20, v18
	s_waitcnt lgkmcnt(1)
	v_add_nc_u32_e32 v20, v21, v19
	s_delay_alu instid0(VALU_DEP_1) | instskip(SKIP_1) | instid1(VALU_DEP_1)
	v_add_nc_u32_e32 v21, v22, v20
	s_waitcnt lgkmcnt(0)
	v_add_nc_u32_e32 v7, v7, v21
	ds_store_2addr_b32 v0, v2, v17 offset0:1 offset1:2
	ds_store_2addr_b32 v0, v18, v19 offset0:3 offset1:4
	;; [unrolled: 1-line block ×3, first 2 shown]
	ds_store_b32 v0, v7 offset:28
.LBB212_59:                             ;   in Loop: Header=BB212_48 Depth=1
	s_or_b32 exec_lo, exec_lo, s22
	v_mov_b32_e32 v7, 0
	s_waitcnt lgkmcnt(0)
	s_barrier
	buffer_gl0_inv
	s_and_saveexec_b32 s22, s2
	s_cbranch_execz .LBB212_61
; %bb.60:                               ;   in Loop: Header=BB212_48 Depth=1
	ds_load_b32 v7, v10
.LBB212_61:                             ;   in Loop: Header=BB212_48 Depth=1
	s_or_b32 exec_lo, exec_lo, s22
	ds_load_b32 v2, v5 offset:1048
	s_mov_b32 s22, exec_lo
	s_waitcnt lgkmcnt(0)
	s_barrier
	buffer_gl0_inv
	v_cmpx_ne_u32_e32 0, v6
	s_cbranch_execz .LBB212_46
; %bb.62:                               ;   in Loop: Header=BB212_48 Depth=1
	v_dual_mov_b32 v7, v5 :: v_dual_add_nc_u32 v6, v7, v1
	s_delay_alu instid0(VALU_DEP_1)
	v_cmp_gt_u64_e32 vcc_lo, s[6:7], v[6:7]
	s_and_b32 exec_lo, exec_lo, vcc_lo
	s_cbranch_execz .LBB212_46
; %bb.63:                               ;   in Loop: Header=BB212_48 Depth=1
	v_mad_u64_u32 v[17:18], null, v6, s10, 0
	v_mad_u64_u32 v[19:20], null, v6, s12, 0
	s_delay_alu instid0(VALU_DEP_1) | instskip(NEXT) | instid1(VALU_DEP_1)
	v_dual_mov_b32 v7, v18 :: v_dual_mov_b32 v18, v20
	v_mad_u64_u32 v[20:21], null, v6, s11, v[7:8]
	s_delay_alu instid0(VALU_DEP_2) | instskip(NEXT) | instid1(VALU_DEP_2)
	v_mad_u64_u32 v[21:22], null, v6, s13, v[18:19]
	v_mov_b32_e32 v18, v20
	s_delay_alu instid0(VALU_DEP_2) | instskip(NEXT) | instid1(VALU_DEP_2)
	v_mov_b32_e32 v20, v21
	v_lshlrev_b64 v[6:7], 1, v[17:18]
	s_delay_alu instid0(VALU_DEP_2) | instskip(NEXT) | instid1(VALU_DEP_2)
	v_lshlrev_b64 v[17:18], 3, v[19:20]
	v_add_co_u32 v6, vcc_lo, s17, v6
	s_delay_alu instid0(VALU_DEP_3) | instskip(NEXT) | instid1(VALU_DEP_3)
	v_add_co_ci_u32_e32 v7, vcc_lo, s18, v7, vcc_lo
	v_add_co_u32 v17, vcc_lo, s19, v17
	s_delay_alu instid0(VALU_DEP_4)
	v_add_co_ci_u32_e32 v18, vcc_lo, s20, v18, vcc_lo
	global_store_b16 v[6:7], v15, off
	global_store_b64 v[17:18], v[4:5], off
	s_branch .LBB212_46
	.p2align	6
.LBB212_64:                             ;   in Loop: Header=BB212_65 Depth=1
	s_add_u32 s12, s12, 4
	s_addc_u32 s13, s13, 0
	s_waitcnt lgkmcnt(0)
	s_add_i32 s53, s11, s53
	s_add_u32 s14, s14, 4
	s_addc_u32 s15, s15, 0
	s_add_i32 s10, s10, 1
	s_delay_alu instid0(SALU_CYCLE_1)
	s_cmp_lt_u32 s10, s17
	s_cbranch_scc0 .LBB212_43
.LBB212_65:                             ; =>This Inner Loop Header: Depth=1
	s_load_b32 s11, s[12:13], 0x0
	s_cmp_ge_u32 s10, s50
	s_cbranch_scc1 .LBB212_64
; %bb.66:                               ;   in Loop: Header=BB212_65 Depth=1
	s_load_b32 s44, s[14:15], 0x0
	s_waitcnt lgkmcnt(0)
	s_add_i32 s21, s11, s21
	s_add_i32 s20, s44, s20
	s_branch .LBB212_64
.LBB212_67:
	s_nop 0
	s_sendmsg sendmsg(MSG_DEALLOC_VGPRS)
	s_endpgm
	.section	.rodata,"a",@progbits
	.p2align	6, 0x0
	.amdhsa_kernel _ZN2at6native6mbtopk10gatherTopKIN3c104HalfEmLin1EEEvNS_4cuda6detail10TensorInfoIKT_T0_EESA_SA_bjSA_NS7_IS8_SA_EESA_NS7_IlSA_EESA_jjPS8_PjSF_j
		.amdhsa_group_segment_fixed_size 1068
		.amdhsa_private_segment_fixed_size 0
		.amdhsa_kernarg_size 1592
		.amdhsa_user_sgpr_count 13
		.amdhsa_user_sgpr_dispatch_ptr 0
		.amdhsa_user_sgpr_queue_ptr 0
		.amdhsa_user_sgpr_kernarg_segment_ptr 1
		.amdhsa_user_sgpr_dispatch_id 0
		.amdhsa_user_sgpr_private_segment_size 0
		.amdhsa_wavefront_size32 1
		.amdhsa_uses_dynamic_stack 0
		.amdhsa_enable_private_segment 0
		.amdhsa_system_sgpr_workgroup_id_x 1
		.amdhsa_system_sgpr_workgroup_id_y 1
		.amdhsa_system_sgpr_workgroup_id_z 1
		.amdhsa_system_sgpr_workgroup_info 0
		.amdhsa_system_vgpr_workitem_id 0
		.amdhsa_next_free_vgpr 25
		.amdhsa_next_free_sgpr 57
		.amdhsa_reserve_vcc 1
		.amdhsa_float_round_mode_32 0
		.amdhsa_float_round_mode_16_64 0
		.amdhsa_float_denorm_mode_32 3
		.amdhsa_float_denorm_mode_16_64 3
		.amdhsa_dx10_clamp 1
		.amdhsa_ieee_mode 1
		.amdhsa_fp16_overflow 0
		.amdhsa_workgroup_processor_mode 1
		.amdhsa_memory_ordered 1
		.amdhsa_forward_progress 0
		.amdhsa_shared_vgpr_count 0
		.amdhsa_exception_fp_ieee_invalid_op 0
		.amdhsa_exception_fp_denorm_src 0
		.amdhsa_exception_fp_ieee_div_zero 0
		.amdhsa_exception_fp_ieee_overflow 0
		.amdhsa_exception_fp_ieee_underflow 0
		.amdhsa_exception_fp_ieee_inexact 0
		.amdhsa_exception_int_div_zero 0
	.end_amdhsa_kernel
	.section	.text._ZN2at6native6mbtopk10gatherTopKIN3c104HalfEmLin1EEEvNS_4cuda6detail10TensorInfoIKT_T0_EESA_SA_bjSA_NS7_IS8_SA_EESA_NS7_IlSA_EESA_jjPS8_PjSF_j,"axG",@progbits,_ZN2at6native6mbtopk10gatherTopKIN3c104HalfEmLin1EEEvNS_4cuda6detail10TensorInfoIKT_T0_EESA_SA_bjSA_NS7_IS8_SA_EESA_NS7_IlSA_EESA_jjPS8_PjSF_j,comdat
.Lfunc_end212:
	.size	_ZN2at6native6mbtopk10gatherTopKIN3c104HalfEmLin1EEEvNS_4cuda6detail10TensorInfoIKT_T0_EESA_SA_bjSA_NS7_IS8_SA_EESA_NS7_IlSA_EESA_jjPS8_PjSF_j, .Lfunc_end212-_ZN2at6native6mbtopk10gatherTopKIN3c104HalfEmLin1EEEvNS_4cuda6detail10TensorInfoIKT_T0_EESA_SA_bjSA_NS7_IS8_SA_EESA_NS7_IlSA_EESA_jjPS8_PjSF_j
                                        ; -- End function
	.section	.AMDGPU.csdata,"",@progbits
; Kernel info:
; codeLenInByte = 5516
; NumSgprs: 59
; NumVgprs: 25
; ScratchSize: 0
; MemoryBound: 0
; FloatMode: 240
; IeeeMode: 1
; LDSByteSize: 1068 bytes/workgroup (compile time only)
; SGPRBlocks: 7
; VGPRBlocks: 3
; NumSGPRsForWavesPerEU: 59
; NumVGPRsForWavesPerEU: 25
; Occupancy: 16
; WaveLimiterHint : 1
; COMPUTE_PGM_RSRC2:SCRATCH_EN: 0
; COMPUTE_PGM_RSRC2:USER_SGPR: 13
; COMPUTE_PGM_RSRC2:TRAP_HANDLER: 0
; COMPUTE_PGM_RSRC2:TGID_X_EN: 1
; COMPUTE_PGM_RSRC2:TGID_Y_EN: 1
; COMPUTE_PGM_RSRC2:TGID_Z_EN: 1
; COMPUTE_PGM_RSRC2:TIDIG_COMP_CNT: 0
	.section	.text._ZN2at6native6sbtopk10gatherTopKIN3c104HalfEmLin1ELb0EEEvNS_4cuda6detail10TensorInfoIKT_T0_EESA_SA_bSA_SA_NS7_IS8_SA_EESA_NS7_IlSA_EESA_PS8_,"axG",@progbits,_ZN2at6native6sbtopk10gatherTopKIN3c104HalfEmLin1ELb0EEEvNS_4cuda6detail10TensorInfoIKT_T0_EESA_SA_bSA_SA_NS7_IS8_SA_EESA_NS7_IlSA_EESA_PS8_,comdat
	.protected	_ZN2at6native6sbtopk10gatherTopKIN3c104HalfEmLin1ELb0EEEvNS_4cuda6detail10TensorInfoIKT_T0_EESA_SA_bSA_SA_NS7_IS8_SA_EESA_NS7_IlSA_EESA_PS8_ ; -- Begin function _ZN2at6native6sbtopk10gatherTopKIN3c104HalfEmLin1ELb0EEEvNS_4cuda6detail10TensorInfoIKT_T0_EESA_SA_bSA_SA_NS7_IS8_SA_EESA_NS7_IlSA_EESA_PS8_
	.globl	_ZN2at6native6sbtopk10gatherTopKIN3c104HalfEmLin1ELb0EEEvNS_4cuda6detail10TensorInfoIKT_T0_EESA_SA_bSA_SA_NS7_IS8_SA_EESA_NS7_IlSA_EESA_PS8_
	.p2align	8
	.type	_ZN2at6native6sbtopk10gatherTopKIN3c104HalfEmLin1ELb0EEEvNS_4cuda6detail10TensorInfoIKT_T0_EESA_SA_bSA_SA_NS7_IS8_SA_EESA_NS7_IlSA_EESA_PS8_,@function
_ZN2at6native6sbtopk10gatherTopKIN3c104HalfEmLin1ELb0EEEvNS_4cuda6detail10TensorInfoIKT_T0_EESA_SA_bSA_SA_NS7_IS8_SA_EESA_NS7_IlSA_EESA_PS8_: ; @_ZN2at6native6sbtopk10gatherTopKIN3c104HalfEmLin1ELb0EEEvNS_4cuda6detail10TensorInfoIKT_T0_EESA_SA_bSA_SA_NS7_IS8_SA_EESA_NS7_IlSA_EESA_PS8_
; %bb.0:
	s_clause 0x1
	s_load_b64 s[10:11], s[0:1], 0x520
	s_load_b128 s[28:31], s[0:1], 0x1b8
	s_add_u32 s8, s0, 0x520
	s_addc_u32 s9, s1, 0
	s_mov_b32 s5, 0
	s_waitcnt lgkmcnt(0)
	s_mul_i32 s2, s11, s15
	s_delay_alu instid0(SALU_CYCLE_1) | instskip(NEXT) | instid1(SALU_CYCLE_1)
	s_add_i32 s2, s2, s14
	s_mul_i32 s2, s2, s10
	s_delay_alu instid0(SALU_CYCLE_1) | instskip(NEXT) | instid1(SALU_CYCLE_1)
	s_add_i32 s4, s2, s13
	v_cmp_ge_u64_e64 s2, s[4:5], s[28:29]
	s_delay_alu instid0(VALU_DEP_1)
	s_and_b32 vcc_lo, exec_lo, s2
	s_cbranch_vccnz .LBB213_562
; %bb.1:
	s_load_b32 s11, s[0:1], 0x198
	s_mov_b64 s[2:3], 0
	s_mov_b64 s[6:7], s[4:5]
	s_waitcnt lgkmcnt(0)
	s_cmp_lt_i32 s11, 2
	s_cbranch_scc1 .LBB213_9
; %bb.2:
	s_mov_b32 s14, 0
	s_add_i32 s2, s11, -1
	s_mov_b32 s3, s14
	s_add_i32 s11, s11, 1
	s_lshl_b64 s[6:7], s[2:3], 3
	s_mov_b64 s[2:3], 0
	s_add_u32 s6, s6, s0
	s_addc_u32 s7, s7, s1
	s_add_u32 s16, s6, 8
	s_addc_u32 s17, s7, 0
	s_mov_b64 s[18:19], s[4:5]
.LBB213_3:                              ; =>This Inner Loop Header: Depth=1
	s_load_b64 s[20:21], s[16:17], 0x0
	s_mov_b32 s12, -1
	s_waitcnt lgkmcnt(0)
	s_or_b64 s[6:7], s[18:19], s[20:21]
	s_delay_alu instid0(SALU_CYCLE_1) | instskip(NEXT) | instid1(SALU_CYCLE_1)
	s_mov_b32 s15, s7
                                        ; implicit-def: $sgpr6_sgpr7
	s_cmp_lg_u64 s[14:15], 0
	s_cbranch_scc0 .LBB213_5
; %bb.4:                                ;   in Loop: Header=BB213_3 Depth=1
	v_cvt_f32_u32_e32 v1, s20
	v_cvt_f32_u32_e32 v2, s21
	s_sub_u32 s12, 0, s20
	s_subb_u32 s15, 0, s21
	s_waitcnt_depctr 0xfff
	v_fmac_f32_e32 v1, 0x4f800000, v2
	s_delay_alu instid0(VALU_DEP_1) | instskip(SKIP_2) | instid1(VALU_DEP_1)
	v_rcp_f32_e32 v1, v1
	s_waitcnt_depctr 0xfff
	v_mul_f32_e32 v1, 0x5f7ffffc, v1
	v_mul_f32_e32 v2, 0x2f800000, v1
	s_delay_alu instid0(VALU_DEP_1) | instskip(NEXT) | instid1(VALU_DEP_1)
	v_trunc_f32_e32 v2, v2
	v_fmac_f32_e32 v1, 0xcf800000, v2
	v_cvt_u32_f32_e32 v2, v2
	s_delay_alu instid0(VALU_DEP_2) | instskip(NEXT) | instid1(VALU_DEP_2)
	v_cvt_u32_f32_e32 v1, v1
	v_readfirstlane_b32 s6, v2
	s_delay_alu instid0(VALU_DEP_2) | instskip(NEXT) | instid1(VALU_DEP_2)
	v_readfirstlane_b32 s7, v1
	s_mul_i32 s22, s12, s6
	s_delay_alu instid0(VALU_DEP_1)
	s_mul_hi_u32 s24, s12, s7
	s_mul_i32 s23, s15, s7
	s_add_i32 s22, s24, s22
	s_mul_i32 s25, s12, s7
	s_add_i32 s22, s22, s23
	s_mul_hi_u32 s24, s7, s25
	s_mul_hi_u32 s26, s6, s25
	s_mul_i32 s23, s6, s25
	s_mul_hi_u32 s25, s7, s22
	s_mul_i32 s7, s7, s22
	s_mul_hi_u32 s27, s6, s22
	s_add_u32 s7, s24, s7
	s_addc_u32 s24, 0, s25
	s_add_u32 s7, s7, s23
	s_mul_i32 s22, s6, s22
	s_addc_u32 s7, s24, s26
	s_addc_u32 s23, s27, 0
	s_add_u32 s7, s7, s22
	s_addc_u32 s22, 0, s23
	v_add_co_u32 v1, s7, v1, s7
	s_delay_alu instid0(VALU_DEP_1) | instskip(SKIP_1) | instid1(VALU_DEP_1)
	s_cmp_lg_u32 s7, 0
	s_addc_u32 s6, s6, s22
	v_readfirstlane_b32 s7, v1
	s_mul_i32 s22, s12, s6
	s_delay_alu instid0(VALU_DEP_1)
	s_mul_hi_u32 s23, s12, s7
	s_mul_i32 s15, s15, s7
	s_add_i32 s22, s23, s22
	s_mul_i32 s12, s12, s7
	s_add_i32 s22, s22, s15
	s_mul_hi_u32 s23, s6, s12
	s_mul_i32 s24, s6, s12
	s_mul_hi_u32 s12, s7, s12
	s_mul_hi_u32 s25, s7, s22
	s_mul_i32 s7, s7, s22
	s_mul_hi_u32 s15, s6, s22
	s_add_u32 s7, s12, s7
	s_addc_u32 s12, 0, s25
	s_add_u32 s7, s7, s24
	s_mul_i32 s22, s6, s22
	s_addc_u32 s7, s12, s23
	s_addc_u32 s12, s15, 0
	s_add_u32 s7, s7, s22
	s_addc_u32 s12, 0, s12
	v_add_co_u32 v1, s7, v1, s7
	s_delay_alu instid0(VALU_DEP_1) | instskip(SKIP_1) | instid1(VALU_DEP_1)
	s_cmp_lg_u32 s7, 0
	s_addc_u32 s6, s6, s12
	v_readfirstlane_b32 s7, v1
	s_mul_i32 s15, s18, s6
	s_mul_hi_u32 s12, s18, s6
	s_mul_hi_u32 s22, s19, s6
	s_mul_i32 s6, s19, s6
	s_mul_hi_u32 s23, s18, s7
	s_mul_hi_u32 s24, s19, s7
	s_mul_i32 s7, s19, s7
	s_add_u32 s15, s23, s15
	s_addc_u32 s12, 0, s12
	s_add_u32 s7, s15, s7
	s_addc_u32 s7, s12, s24
	s_addc_u32 s12, s22, 0
	s_add_u32 s6, s7, s6
	s_addc_u32 s7, 0, s12
	s_mul_hi_u32 s12, s20, s6
	s_mul_i32 s22, s20, s7
	s_mul_i32 s23, s20, s6
	s_add_i32 s12, s12, s22
	v_sub_co_u32 v1, s22, s18, s23
	s_mul_i32 s15, s21, s6
	s_delay_alu instid0(SALU_CYCLE_1) | instskip(NEXT) | instid1(VALU_DEP_1)
	s_add_i32 s12, s12, s15
	v_sub_co_u32 v2, s23, v1, s20
	s_sub_i32 s15, s19, s12
	s_cmp_lg_u32 s22, 0
	s_subb_u32 s15, s15, s21
	s_cmp_lg_u32 s23, 0
	v_readfirstlane_b32 s23, v2
	s_subb_u32 s15, s15, 0
	s_delay_alu instid0(SALU_CYCLE_1) | instskip(SKIP_1) | instid1(VALU_DEP_1)
	s_cmp_ge_u32 s15, s21
	s_cselect_b32 s24, -1, 0
	s_cmp_ge_u32 s23, s20
	s_cselect_b32 s23, -1, 0
	s_cmp_eq_u32 s15, s21
	s_cselect_b32 s15, s23, s24
	s_add_u32 s23, s6, 1
	s_addc_u32 s24, s7, 0
	s_add_u32 s25, s6, 2
	s_addc_u32 s26, s7, 0
	s_cmp_lg_u32 s15, 0
	s_cselect_b32 s15, s25, s23
	s_cselect_b32 s23, s26, s24
	s_cmp_lg_u32 s22, 0
	v_readfirstlane_b32 s22, v1
	s_subb_u32 s12, s19, s12
	s_delay_alu instid0(SALU_CYCLE_1) | instskip(SKIP_1) | instid1(VALU_DEP_1)
	s_cmp_ge_u32 s12, s21
	s_cselect_b32 s24, -1, 0
	s_cmp_ge_u32 s22, s20
	s_cselect_b32 s22, -1, 0
	s_cmp_eq_u32 s12, s21
	s_cselect_b32 s12, s22, s24
	s_delay_alu instid0(SALU_CYCLE_1)
	s_cmp_lg_u32 s12, 0
	s_mov_b32 s12, 0
	s_cselect_b32 s7, s23, s7
	s_cselect_b32 s6, s15, s6
.LBB213_5:                              ;   in Loop: Header=BB213_3 Depth=1
	s_and_not1_b32 vcc_lo, exec_lo, s12
	s_cbranch_vccnz .LBB213_7
; %bb.6:                                ;   in Loop: Header=BB213_3 Depth=1
	v_cvt_f32_u32_e32 v1, s20
	s_sub_i32 s7, 0, s20
	s_waitcnt_depctr 0xfff
	v_rcp_iflag_f32_e32 v1, v1
	s_waitcnt_depctr 0xfff
	v_mul_f32_e32 v1, 0x4f7ffffe, v1
	s_delay_alu instid0(VALU_DEP_1) | instskip(NEXT) | instid1(VALU_DEP_1)
	v_cvt_u32_f32_e32 v1, v1
	v_readfirstlane_b32 s6, v1
	s_delay_alu instid0(VALU_DEP_1) | instskip(NEXT) | instid1(SALU_CYCLE_1)
	s_mul_i32 s7, s7, s6
	s_mul_hi_u32 s7, s6, s7
	s_delay_alu instid0(SALU_CYCLE_1) | instskip(NEXT) | instid1(SALU_CYCLE_1)
	s_add_i32 s6, s6, s7
	s_mul_hi_u32 s6, s18, s6
	s_delay_alu instid0(SALU_CYCLE_1) | instskip(SKIP_2) | instid1(SALU_CYCLE_1)
	s_mul_i32 s7, s6, s20
	s_add_i32 s12, s6, 1
	s_sub_i32 s7, s18, s7
	s_sub_i32 s15, s7, s20
	s_cmp_ge_u32 s7, s20
	s_cselect_b32 s6, s12, s6
	s_cselect_b32 s7, s15, s7
	s_add_i32 s12, s6, 1
	s_cmp_ge_u32 s7, s20
	s_mov_b32 s7, s14
	s_cselect_b32 s6, s12, s6
.LBB213_7:                              ;   in Loop: Header=BB213_3 Depth=1
	s_load_b64 s[22:23], s[16:17], 0xc8
	s_mul_i32 s12, s6, s21
	s_mul_hi_u32 s15, s6, s20
	s_mul_i32 s21, s7, s20
	s_add_i32 s12, s15, s12
	s_mul_i32 s15, s6, s20
	s_add_i32 s12, s12, s21
	s_sub_u32 s15, s18, s15
	s_subb_u32 s12, s19, s12
	s_waitcnt lgkmcnt(0)
	s_mul_i32 s12, s22, s12
	s_mul_hi_u32 s18, s22, s15
	s_mul_i32 s19, s23, s15
	s_add_i32 s12, s18, s12
	s_mul_i32 s15, s22, s15
	s_add_i32 s12, s12, s19
	s_add_u32 s2, s15, s2
	s_addc_u32 s3, s12, s3
	s_add_i32 s11, s11, -1
	s_add_u32 s16, s16, -8
	s_addc_u32 s17, s17, -1
	s_cmp_gt_u32 s11, 2
	s_cbranch_scc0 .LBB213_9
; %bb.8:                                ;   in Loop: Header=BB213_3 Depth=1
	s_mov_b64 s[18:19], s[6:7]
	s_branch .LBB213_3
.LBB213_9:
	s_clause 0x1
	s_load_b32 s11, s[0:1], 0x360
	s_load_b64 s[14:15], s[0:1], 0xd0
	s_add_u32 s16, s0, 0x1c8
	s_addc_u32 s17, s1, 0
	s_mov_b64 s[28:29], 0
	s_mov_b64 s[40:41], s[4:5]
	s_waitcnt lgkmcnt(0)
	s_cmp_lt_i32 s11, 2
	s_cbranch_scc1 .LBB213_17
; %bb.10:
	s_mov_b32 s18, 0
	s_add_i32 s20, s11, -1
	s_mov_b32 s21, s18
	s_add_i32 s11, s11, 1
	s_lshl_b64 s[20:21], s[20:21], 3
	s_mov_b64 s[22:23], s[4:5]
	s_add_u32 s12, s20, s16
	s_addc_u32 s19, s21, s17
	s_add_u32 s20, s12, 8
	s_addc_u32 s21, s19, 0
.LBB213_11:                             ; =>This Inner Loop Header: Depth=1
	s_load_b64 s[24:25], s[20:21], 0x0
	s_mov_b32 s12, -1
                                        ; implicit-def: $sgpr40_sgpr41
	s_waitcnt lgkmcnt(0)
	s_or_b64 s[26:27], s[22:23], s[24:25]
	s_delay_alu instid0(SALU_CYCLE_1) | instskip(NEXT) | instid1(SALU_CYCLE_1)
	s_mov_b32 s19, s27
	s_cmp_lg_u64 s[18:19], 0
	s_cbranch_scc0 .LBB213_13
; %bb.12:                               ;   in Loop: Header=BB213_11 Depth=1
	v_cvt_f32_u32_e32 v1, s24
	v_cvt_f32_u32_e32 v2, s25
	s_sub_u32 s26, 0, s24
	s_subb_u32 s27, 0, s25
	s_waitcnt_depctr 0xfff
	v_fmac_f32_e32 v1, 0x4f800000, v2
	s_delay_alu instid0(VALU_DEP_1) | instskip(SKIP_2) | instid1(VALU_DEP_1)
	v_rcp_f32_e32 v1, v1
	s_waitcnt_depctr 0xfff
	v_mul_f32_e32 v1, 0x5f7ffffc, v1
	v_mul_f32_e32 v2, 0x2f800000, v1
	s_delay_alu instid0(VALU_DEP_1) | instskip(NEXT) | instid1(VALU_DEP_1)
	v_trunc_f32_e32 v2, v2
	v_fmac_f32_e32 v1, 0xcf800000, v2
	v_cvt_u32_f32_e32 v2, v2
	s_delay_alu instid0(VALU_DEP_2) | instskip(NEXT) | instid1(VALU_DEP_2)
	v_cvt_u32_f32_e32 v1, v1
	v_readfirstlane_b32 s12, v2
	s_delay_alu instid0(VALU_DEP_2) | instskip(NEXT) | instid1(VALU_DEP_2)
	v_readfirstlane_b32 s19, v1
	s_mul_i32 s33, s26, s12
	s_delay_alu instid0(VALU_DEP_1)
	s_mul_hi_u32 s35, s26, s19
	s_mul_i32 s34, s27, s19
	s_add_i32 s33, s35, s33
	s_mul_i32 s36, s26, s19
	s_add_i32 s33, s33, s34
	s_mul_hi_u32 s35, s19, s36
	s_mul_hi_u32 s37, s12, s36
	s_mul_i32 s34, s12, s36
	s_mul_hi_u32 s36, s19, s33
	s_mul_i32 s19, s19, s33
	s_mul_hi_u32 s38, s12, s33
	s_add_u32 s19, s35, s19
	s_addc_u32 s35, 0, s36
	s_add_u32 s19, s19, s34
	s_mul_i32 s33, s12, s33
	s_addc_u32 s19, s35, s37
	s_addc_u32 s34, s38, 0
	s_add_u32 s19, s19, s33
	s_addc_u32 s33, 0, s34
	v_add_co_u32 v1, s19, v1, s19
	s_delay_alu instid0(VALU_DEP_1) | instskip(SKIP_1) | instid1(VALU_DEP_1)
	s_cmp_lg_u32 s19, 0
	s_addc_u32 s12, s12, s33
	v_readfirstlane_b32 s19, v1
	s_mul_i32 s33, s26, s12
	s_delay_alu instid0(VALU_DEP_1)
	s_mul_hi_u32 s34, s26, s19
	s_mul_i32 s27, s27, s19
	s_add_i32 s33, s34, s33
	s_mul_i32 s26, s26, s19
	s_add_i32 s33, s33, s27
	s_mul_hi_u32 s34, s12, s26
	s_mul_i32 s35, s12, s26
	s_mul_hi_u32 s26, s19, s26
	s_mul_hi_u32 s36, s19, s33
	s_mul_i32 s19, s19, s33
	s_mul_hi_u32 s27, s12, s33
	s_add_u32 s19, s26, s19
	s_addc_u32 s26, 0, s36
	s_add_u32 s19, s19, s35
	s_mul_i32 s33, s12, s33
	s_addc_u32 s19, s26, s34
	s_addc_u32 s26, s27, 0
	s_add_u32 s19, s19, s33
	s_addc_u32 s26, 0, s26
	v_add_co_u32 v1, s19, v1, s19
	s_delay_alu instid0(VALU_DEP_1) | instskip(SKIP_1) | instid1(VALU_DEP_1)
	s_cmp_lg_u32 s19, 0
	s_addc_u32 s12, s12, s26
	v_readfirstlane_b32 s19, v1
	s_mul_i32 s27, s22, s12
	s_mul_hi_u32 s26, s22, s12
	s_mul_hi_u32 s33, s23, s12
	s_mul_i32 s12, s23, s12
	s_mul_hi_u32 s34, s22, s19
	s_mul_hi_u32 s35, s23, s19
	s_mul_i32 s19, s23, s19
	s_add_u32 s27, s34, s27
	s_addc_u32 s26, 0, s26
	s_add_u32 s19, s27, s19
	s_addc_u32 s19, s26, s35
	s_addc_u32 s26, s33, 0
	s_add_u32 s19, s19, s12
	s_addc_u32 s26, 0, s26
	s_mul_hi_u32 s12, s24, s19
	s_mul_i32 s33, s24, s26
	s_mul_i32 s34, s24, s19
	s_add_i32 s12, s12, s33
	v_sub_co_u32 v1, s33, s22, s34
	s_mul_i32 s27, s25, s19
	s_delay_alu instid0(SALU_CYCLE_1) | instskip(NEXT) | instid1(VALU_DEP_1)
	s_add_i32 s12, s12, s27
	v_sub_co_u32 v2, s34, v1, s24
	s_sub_i32 s27, s23, s12
	s_cmp_lg_u32 s33, 0
	s_subb_u32 s27, s27, s25
	s_cmp_lg_u32 s34, 0
	v_readfirstlane_b32 s34, v2
	s_subb_u32 s27, s27, 0
	s_delay_alu instid0(SALU_CYCLE_1) | instskip(SKIP_1) | instid1(VALU_DEP_1)
	s_cmp_ge_u32 s27, s25
	s_cselect_b32 s35, -1, 0
	s_cmp_ge_u32 s34, s24
	s_cselect_b32 s34, -1, 0
	s_cmp_eq_u32 s27, s25
	s_cselect_b32 s27, s34, s35
	s_add_u32 s34, s19, 1
	s_addc_u32 s35, s26, 0
	s_add_u32 s36, s19, 2
	s_addc_u32 s37, s26, 0
	s_cmp_lg_u32 s27, 0
	s_cselect_b32 s27, s36, s34
	s_cselect_b32 s34, s37, s35
	s_cmp_lg_u32 s33, 0
	v_readfirstlane_b32 s33, v1
	s_subb_u32 s12, s23, s12
	s_delay_alu instid0(SALU_CYCLE_1) | instskip(SKIP_1) | instid1(VALU_DEP_1)
	s_cmp_ge_u32 s12, s25
	s_cselect_b32 s35, -1, 0
	s_cmp_ge_u32 s33, s24
	s_cselect_b32 s33, -1, 0
	s_cmp_eq_u32 s12, s25
	s_cselect_b32 s12, s33, s35
	s_delay_alu instid0(SALU_CYCLE_1)
	s_cmp_lg_u32 s12, 0
	s_mov_b32 s12, 0
	s_cselect_b32 s41, s34, s26
	s_cselect_b32 s40, s27, s19
.LBB213_13:                             ;   in Loop: Header=BB213_11 Depth=1
	s_and_not1_b32 vcc_lo, exec_lo, s12
	s_cbranch_vccnz .LBB213_15
; %bb.14:                               ;   in Loop: Header=BB213_11 Depth=1
	v_cvt_f32_u32_e32 v1, s24
	s_sub_i32 s19, 0, s24
	s_mov_b32 s41, s18
	s_waitcnt_depctr 0xfff
	v_rcp_iflag_f32_e32 v1, v1
	s_waitcnt_depctr 0xfff
	v_mul_f32_e32 v1, 0x4f7ffffe, v1
	s_delay_alu instid0(VALU_DEP_1) | instskip(NEXT) | instid1(VALU_DEP_1)
	v_cvt_u32_f32_e32 v1, v1
	v_readfirstlane_b32 s12, v1
	s_delay_alu instid0(VALU_DEP_1) | instskip(NEXT) | instid1(SALU_CYCLE_1)
	s_mul_i32 s19, s19, s12
	s_mul_hi_u32 s19, s12, s19
	s_delay_alu instid0(SALU_CYCLE_1) | instskip(NEXT) | instid1(SALU_CYCLE_1)
	s_add_i32 s12, s12, s19
	s_mul_hi_u32 s12, s22, s12
	s_delay_alu instid0(SALU_CYCLE_1) | instskip(SKIP_2) | instid1(SALU_CYCLE_1)
	s_mul_i32 s19, s12, s24
	s_add_i32 s26, s12, 1
	s_sub_i32 s19, s22, s19
	s_sub_i32 s27, s19, s24
	s_cmp_ge_u32 s19, s24
	s_cselect_b32 s12, s26, s12
	s_cselect_b32 s19, s27, s19
	s_add_i32 s26, s12, 1
	s_cmp_ge_u32 s19, s24
	s_cselect_b32 s40, s26, s12
.LBB213_15:                             ;   in Loop: Header=BB213_11 Depth=1
	s_load_b64 s[26:27], s[20:21], 0xc8
	s_mul_i32 s12, s40, s25
	s_mul_hi_u32 s19, s40, s24
	s_mul_i32 s25, s41, s24
	s_add_i32 s12, s19, s12
	s_mul_i32 s19, s40, s24
	s_add_i32 s12, s12, s25
	s_sub_u32 s19, s22, s19
	s_subb_u32 s12, s23, s12
	s_waitcnt lgkmcnt(0)
	s_mul_i32 s12, s26, s12
	s_mul_hi_u32 s22, s26, s19
	s_mul_i32 s23, s27, s19
	s_add_i32 s12, s22, s12
	s_mul_i32 s19, s26, s19
	s_add_i32 s12, s12, s23
	s_add_u32 s28, s19, s28
	s_addc_u32 s29, s12, s29
	s_add_i32 s11, s11, -1
	s_add_u32 s20, s20, -8
	s_addc_u32 s21, s21, -1
	s_cmp_gt_u32 s11, 2
	s_cbranch_scc0 .LBB213_17
; %bb.16:                               ;   in Loop: Header=BB213_11 Depth=1
	s_mov_b64 s[22:23], s[40:41]
	s_branch .LBB213_11
.LBB213_17:
	s_clause 0x1
	s_load_b32 s11, s[0:1], 0x508
	s_load_b64 s[16:17], s[16:17], 0xd0
                                        ; implicit-def: $vgpr51 : SGPR spill to VGPR lane
	s_add_u32 s12, s0, 0x370
	s_mov_b64 s[44:45], 0
	s_waitcnt lgkmcnt(0)
	v_writelane_b32 v51, s16, 0
	v_writelane_b32 v51, s17, 1
	s_addc_u32 s17, s1, 0
	s_cmp_lt_i32 s11, 2
	s_cbranch_scc1 .LBB213_25
; %bb.18:
	s_mov_b32 s16, 0
	s_add_i32 s18, s11, -1
	s_mov_b32 s19, s16
	s_add_i32 s11, s11, 1
	s_lshl_b64 s[18:19], s[18:19], 3
	s_delay_alu instid0(SALU_CYCLE_1)
	s_add_u32 s12, s18, s12
	s_addc_u32 s17, s19, s17
	s_add_u32 s18, s12, 8
	s_addc_u32 s19, s17, 0
.LBB213_19:                             ; =>This Inner Loop Header: Depth=1
	s_load_b64 s[20:21], s[18:19], 0x0
	s_mov_b32 s12, -1
                                        ; implicit-def: $sgpr52_sgpr53
	s_waitcnt lgkmcnt(0)
	s_or_b64 s[22:23], s[4:5], s[20:21]
	s_delay_alu instid0(SALU_CYCLE_1) | instskip(NEXT) | instid1(SALU_CYCLE_1)
	s_mov_b32 s17, s23
	s_cmp_lg_u64 s[16:17], 0
	s_cbranch_scc0 .LBB213_21
; %bb.20:                               ;   in Loop: Header=BB213_19 Depth=1
	v_cvt_f32_u32_e32 v1, s20
	v_cvt_f32_u32_e32 v2, s21
	s_sub_u32 s22, 0, s20
	s_subb_u32 s23, 0, s21
	s_waitcnt_depctr 0xfff
	v_fmac_f32_e32 v1, 0x4f800000, v2
	s_delay_alu instid0(VALU_DEP_1) | instskip(SKIP_2) | instid1(VALU_DEP_1)
	v_rcp_f32_e32 v1, v1
	s_waitcnt_depctr 0xfff
	v_mul_f32_e32 v1, 0x5f7ffffc, v1
	v_mul_f32_e32 v2, 0x2f800000, v1
	s_delay_alu instid0(VALU_DEP_1) | instskip(NEXT) | instid1(VALU_DEP_1)
	v_trunc_f32_e32 v2, v2
	v_fmac_f32_e32 v1, 0xcf800000, v2
	v_cvt_u32_f32_e32 v2, v2
	s_delay_alu instid0(VALU_DEP_2) | instskip(NEXT) | instid1(VALU_DEP_2)
	v_cvt_u32_f32_e32 v1, v1
	v_readfirstlane_b32 s12, v2
	s_delay_alu instid0(VALU_DEP_2) | instskip(NEXT) | instid1(VALU_DEP_2)
	v_readfirstlane_b32 s17, v1
	s_mul_i32 s24, s22, s12
	s_delay_alu instid0(VALU_DEP_1)
	s_mul_hi_u32 s26, s22, s17
	s_mul_i32 s25, s23, s17
	s_add_i32 s24, s26, s24
	s_mul_i32 s27, s22, s17
	s_add_i32 s24, s24, s25
	s_mul_hi_u32 s26, s17, s27
	s_mul_hi_u32 s33, s12, s27
	s_mul_i32 s25, s12, s27
	s_mul_hi_u32 s27, s17, s24
	s_mul_i32 s17, s17, s24
	s_mul_hi_u32 s34, s12, s24
	s_add_u32 s17, s26, s17
	s_addc_u32 s26, 0, s27
	s_add_u32 s17, s17, s25
	s_mul_i32 s24, s12, s24
	s_addc_u32 s17, s26, s33
	s_addc_u32 s25, s34, 0
	s_add_u32 s17, s17, s24
	s_addc_u32 s24, 0, s25
	v_add_co_u32 v1, s17, v1, s17
	s_delay_alu instid0(VALU_DEP_1) | instskip(SKIP_1) | instid1(VALU_DEP_1)
	s_cmp_lg_u32 s17, 0
	s_addc_u32 s12, s12, s24
	v_readfirstlane_b32 s17, v1
	s_mul_i32 s24, s22, s12
	s_delay_alu instid0(VALU_DEP_1)
	s_mul_hi_u32 s25, s22, s17
	s_mul_i32 s23, s23, s17
	s_add_i32 s24, s25, s24
	s_mul_i32 s22, s22, s17
	s_add_i32 s24, s24, s23
	s_mul_hi_u32 s25, s12, s22
	s_mul_i32 s26, s12, s22
	s_mul_hi_u32 s22, s17, s22
	s_mul_hi_u32 s27, s17, s24
	s_mul_i32 s17, s17, s24
	s_mul_hi_u32 s23, s12, s24
	s_add_u32 s17, s22, s17
	s_addc_u32 s22, 0, s27
	s_add_u32 s17, s17, s26
	s_mul_i32 s24, s12, s24
	s_addc_u32 s17, s22, s25
	s_addc_u32 s22, s23, 0
	s_add_u32 s17, s17, s24
	s_addc_u32 s22, 0, s22
	v_add_co_u32 v1, s17, v1, s17
	s_delay_alu instid0(VALU_DEP_1) | instskip(SKIP_1) | instid1(VALU_DEP_1)
	s_cmp_lg_u32 s17, 0
	s_addc_u32 s12, s12, s22
	v_readfirstlane_b32 s17, v1
	s_mul_i32 s23, s4, s12
	s_mul_hi_u32 s22, s4, s12
	s_mul_hi_u32 s24, s5, s12
	s_mul_i32 s12, s5, s12
	s_mul_hi_u32 s25, s4, s17
	s_mul_hi_u32 s26, s5, s17
	s_mul_i32 s17, s5, s17
	s_add_u32 s23, s25, s23
	s_addc_u32 s22, 0, s22
	s_add_u32 s17, s23, s17
	s_addc_u32 s17, s22, s26
	s_addc_u32 s22, s24, 0
	s_add_u32 s17, s17, s12
	s_addc_u32 s22, 0, s22
	s_mul_hi_u32 s12, s20, s17
	s_mul_i32 s24, s20, s22
	s_mul_i32 s25, s20, s17
	s_add_i32 s12, s12, s24
	v_sub_co_u32 v1, s24, s4, s25
	s_mul_i32 s23, s21, s17
	s_delay_alu instid0(SALU_CYCLE_1) | instskip(NEXT) | instid1(VALU_DEP_1)
	s_add_i32 s12, s12, s23
	v_sub_co_u32 v2, s25, v1, s20
	s_sub_i32 s23, s5, s12
	s_cmp_lg_u32 s24, 0
	s_subb_u32 s23, s23, s21
	s_cmp_lg_u32 s25, 0
	v_readfirstlane_b32 s25, v2
	s_subb_u32 s23, s23, 0
	s_delay_alu instid0(SALU_CYCLE_1) | instskip(SKIP_1) | instid1(VALU_DEP_1)
	s_cmp_ge_u32 s23, s21
	s_cselect_b32 s26, -1, 0
	s_cmp_ge_u32 s25, s20
	s_cselect_b32 s25, -1, 0
	s_cmp_eq_u32 s23, s21
	s_cselect_b32 s23, s25, s26
	s_add_u32 s25, s17, 1
	s_addc_u32 s26, s22, 0
	s_add_u32 s27, s17, 2
	s_addc_u32 s33, s22, 0
	s_cmp_lg_u32 s23, 0
	s_cselect_b32 s23, s27, s25
	s_cselect_b32 s25, s33, s26
	s_cmp_lg_u32 s24, 0
	v_readfirstlane_b32 s24, v1
	s_subb_u32 s12, s5, s12
	s_delay_alu instid0(SALU_CYCLE_1) | instskip(SKIP_1) | instid1(VALU_DEP_1)
	s_cmp_ge_u32 s12, s21
	s_cselect_b32 s26, -1, 0
	s_cmp_ge_u32 s24, s20
	s_cselect_b32 s24, -1, 0
	s_cmp_eq_u32 s12, s21
	s_cselect_b32 s12, s24, s26
	s_delay_alu instid0(SALU_CYCLE_1)
	s_cmp_lg_u32 s12, 0
	s_mov_b32 s12, 0
	s_cselect_b32 s53, s25, s22
	s_cselect_b32 s52, s23, s17
.LBB213_21:                             ;   in Loop: Header=BB213_19 Depth=1
	s_and_not1_b32 vcc_lo, exec_lo, s12
	s_cbranch_vccnz .LBB213_23
; %bb.22:                               ;   in Loop: Header=BB213_19 Depth=1
	v_cvt_f32_u32_e32 v1, s20
	s_sub_i32 s17, 0, s20
	s_mov_b32 s53, s16
	s_waitcnt_depctr 0xfff
	v_rcp_iflag_f32_e32 v1, v1
	s_waitcnt_depctr 0xfff
	v_mul_f32_e32 v1, 0x4f7ffffe, v1
	s_delay_alu instid0(VALU_DEP_1) | instskip(NEXT) | instid1(VALU_DEP_1)
	v_cvt_u32_f32_e32 v1, v1
	v_readfirstlane_b32 s12, v1
	s_delay_alu instid0(VALU_DEP_1) | instskip(NEXT) | instid1(SALU_CYCLE_1)
	s_mul_i32 s17, s17, s12
	s_mul_hi_u32 s17, s12, s17
	s_delay_alu instid0(SALU_CYCLE_1) | instskip(NEXT) | instid1(SALU_CYCLE_1)
	s_add_i32 s12, s12, s17
	s_mul_hi_u32 s12, s4, s12
	s_delay_alu instid0(SALU_CYCLE_1) | instskip(SKIP_2) | instid1(SALU_CYCLE_1)
	s_mul_i32 s17, s12, s20
	s_add_i32 s22, s12, 1
	s_sub_i32 s17, s4, s17
	s_sub_i32 s23, s17, s20
	s_cmp_ge_u32 s17, s20
	s_cselect_b32 s12, s22, s12
	s_cselect_b32 s17, s23, s17
	s_add_i32 s22, s12, 1
	s_cmp_ge_u32 s17, s20
	s_cselect_b32 s52, s22, s12
.LBB213_23:                             ;   in Loop: Header=BB213_19 Depth=1
	s_load_b64 s[22:23], s[18:19], 0xc8
	s_mul_i32 s12, s52, s21
	s_mul_hi_u32 s17, s52, s20
	s_mul_i32 s21, s53, s20
	s_add_i32 s12, s17, s12
	s_mul_i32 s17, s52, s20
	s_add_i32 s12, s12, s21
	s_sub_u32 s4, s4, s17
	s_subb_u32 s5, s5, s12
	s_waitcnt lgkmcnt(0)
	s_mul_i32 s5, s22, s5
	s_mul_hi_u32 s12, s22, s4
	s_mul_i32 s17, s23, s4
	s_add_i32 s5, s12, s5
	s_mul_i32 s4, s22, s4
	s_add_i32 s5, s5, s17
	s_add_u32 s44, s4, s44
	s_addc_u32 s45, s5, s45
	s_add_i32 s11, s11, -1
	s_add_u32 s18, s18, -8
	s_addc_u32 s19, s19, -1
	s_cmp_gt_u32 s11, 2
	s_cbranch_scc0 .LBB213_26
; %bb.24:                               ;   in Loop: Header=BB213_19 Depth=1
	s_mov_b64 s[4:5], s[52:53]
	s_branch .LBB213_19
.LBB213_25:
	s_mov_b64 s[52:53], s[4:5]
.LBB213_26:
	s_clause 0x2
	s_load_b128 s[36:39], s[0:1], 0x1a0
	s_load_b64 s[16:17], s[0:1], 0x0
	s_load_b64 s[4:5], s[0:1], 0x1c8
	s_mov_b32 s61, 0
	s_waitcnt lgkmcnt(0)
	v_writelane_b32 v51, s4, 2
	v_writelane_b32 v51, s5, 3
	s_load_b64 s[4:5], s[0:1], 0x370
	s_waitcnt lgkmcnt(0)
	v_writelane_b32 v51, s4, 4
	v_writelane_b32 v51, s5, 5
	v_cmp_eq_u32_e64 s5, 0, v0
	s_delay_alu instid0(VALU_DEP_1)
	s_and_saveexec_b32 s4, s5
	s_cbranch_execz .LBB213_28
; %bb.27:
	v_dual_mov_b32 v1, 0 :: v_dual_mov_b32 v4, s37
	s_delay_alu instid0(VALU_DEP_1)
	v_dual_mov_b32 v3, s36 :: v_dual_mov_b32 v2, v1
	ds_store_b32 v1, v1 offset:5144
	ds_store_b128 v1, v[1:4] offset:5120
.LBB213_28:
	s_or_b32 exec_lo, exec_lo, s4
	s_mul_i32 s7, s14, s7
	s_mul_hi_u32 s11, s14, s6
	s_load_b32 s4, s[0:1], 0x1b0
	s_mul_i32 s12, s15, s6
	s_add_i32 s7, s11, s7
	s_mul_i32 s6, s14, s6
	s_add_i32 s7, s7, s12
	v_lshlrev_b32_e32 v45, 3, v0
	s_waitcnt lgkmcnt(0)
	s_lshl_b64 s[18:19], s[6:7], 1
	s_barrier
	buffer_gl0_inv
	s_load_b32 s7, s[8:9], 0xc
	v_or_b32_e32 v24, 2, v45
	s_lshl_b64 s[48:49], s[2:3], 1
	s_add_u32 s14, s16, s18
	s_addc_u32 s15, s17, s19
	v_mbcnt_lo_u32_b32 v41, -1, 0
	v_mad_u64_u32 v[20:21], null, s30, v24, s[14:15]
	v_mad_u64_u32 v[2:3], null, v0, s30, 0
	s_add_u32 s80, s14, s48
	s_addc_u32 s81, s15, s49
	s_bitcmp1_b32 s4, 0
	v_cmp_gt_u32_e32 vcc_lo, 32, v0
	s_delay_alu instid0(VALU_DEP_3)
	v_mov_b32_e32 v8, v21
	v_cmp_gt_i32_e64 s4, 4, v41
	v_or_b32_e32 v9, 6, v45
	v_or_b32_e32 v12, 4, v45
	v_lshrrev_b32_e32 v6, 3, v0
	s_cselect_b32 s88, -1, 0
	s_waitcnt lgkmcnt(0)
	s_and_b32 s33, s7, 0xffff
	v_dual_mov_b32 v1, v3 :: v_dual_lshlrev_b32 v14, 2, v0
	s_xor_b32 s82, s88, -1
	s_and_b32 s83, vcc_lo, s4
	s_bfe_u32 s11, s7, 0xb0005
	v_mad_u64_u32 v[16:17], null, s30, v9, s[14:15]
	v_mad_u64_u32 v[18:19], null, s30, v12, s[14:15]
	s_add_u32 s85, s33, -1
	v_dual_mov_b32 v13, 0 :: v_dual_and_b32 v42, 0x7c, v6
	s_addc_u32 s86, 0, -1
	v_lshlrev_b64 v[6:7], v41, -1
	s_add_u32 s87, s85, s36
	s_addc_u32 s27, s86, s37
	v_mad_u64_u32 v[3:4], null, v0, s31, v[1:2]
	s_cmp_lt_u32 s13, s10
	v_lshlrev_b32_e32 v43, 1, v0
	s_cselect_b32 s10, 12, 18
	v_not_b32_e32 v40, v6
	v_dual_mov_b32 v6, v17 :: v_dual_mov_b32 v7, v19
	v_mov_b32_e32 v50, 0
	s_add_u32 s62, s8, s10
	s_addc_u32 s63, s9, 0
	s_add_i32 s8, s11, -1
	s_bfe_u32 s3, s33, 0x30005
	s_cmp_gt_u32 s8, 6
	v_lshlrev_b64 v[4:5], 1, v[2:3]
	v_mad_u64_u32 v[21:22], null, s31, v9, v[6:7]
	s_cselect_b32 s89, -1, 0
	s_and_b32 s90, s11, 0x7f8
	v_mad_u64_u32 v[22:23], null, s31, v12, v[7:8]
	s_cmp_lg_u32 s3, 0
	v_lshlrev_b64 v[2:3], 3, v[2:3]
	v_cmp_gt_u16_e64 s91, s7, 31
	s_cselect_b32 s92, -1, 0
	s_add_u32 s7, s18, s48
	s_addc_u32 s8, s19, s49
	v_add_co_u32 v10, vcc_lo, s80, v4
	v_mad_u64_u32 v[6:7], null, s31, v24, v[8:9]
	s_add_u32 s64, s16, s7
	v_writelane_b32 v51, s3, 6
	s_addc_u32 s65, s17, s8
	s_lshl_b64 s[66:67], s[30:31], 1
	s_lshl_b64 s[68:69], s[30:31], 3
	s_lshl_b32 s93, s33, 1
	v_dual_mov_b32 v1, v13 :: v_dual_add_nc_u32 v44, 0xc00, v43
	v_add_co_ci_u32_e32 v11, vcc_lo, s81, v5, vcc_lo
	s_add_u32 s7, s16, s48
	v_mov_b32_e32 v19, v22
	v_add_co_u32 v22, vcc_lo, s14, v2
	s_addc_u32 s8, s17, s49
	s_add_u32 s7, s7, s18
	v_add_co_ci_u32_e32 v23, vcc_lo, s15, v3, vcc_lo
	v_writelane_b32 v51, s18, 7
	s_addc_u32 s11, s8, s19
	v_add_co_u32 v24, vcc_lo, s7, v4
	v_cmp_lt_u64_e64 s84, 0x600, s[36:37]
	v_cmp_gt_u64_e64 s4, s[36:37], v[0:1]
	v_dual_mov_b32 v15, v13 :: v_dual_mov_b32 v26, s38
	s_mul_i32 s9, s31, s33
	s_mul_hi_u32 s10, s30, s33
	v_cmp_eq_u32_e64 s2, 0, v41
	v_cmp_gt_u32_e64 s6, 2, v0
	v_dual_mov_b32 v17, v21 :: v_dual_mov_b32 v48, 0
	v_mov_b32_e32 v21, v6
	v_lshl_or_b32 v46, v41, 3, 0xc00
	v_add_co_ci_u32_e32 v25, vcc_lo, s11, v5, vcc_lo
	v_mov_b32_e32 v27, s39
	v_mov_b32_e32 v47, 0x8000
	;; [unrolled: 1-line block ×3, first 2 shown]
	s_add_i32 s9, s10, s9
	s_mul_i32 s8, s30, s33
	s_mov_b32 s94, 14
	s_lshl_b64 s[34:35], s[8:9], 1
	s_movk_i32 s96, 0x3c00
	s_mov_b32 s95, 0
	s_mov_b32 s98, 0
	v_writelane_b32 v51, s19, 8
                                        ; implicit-def: $sgpr97
                                        ; implicit-def: $sgpr101
                                        ; implicit-def: $sgpr100
                                        ; implicit-def: $sgpr102
                                        ; implicit-def: $sgpr99
                                        ; implicit-def: $sgpr103
                                        ; implicit-def: $vcc_hi
                                        ; implicit-def: $sgpr104
                                        ; implicit-def: $sgpr54
                                        ; implicit-def: $sgpr55
	s_branch .LBB213_31
.LBB213_29:                             ;   in Loop: Header=BB213_31 Depth=1
	s_or_b32 exec_lo, exec_lo, s10
	v_dual_mov_b32 v48, v29 :: v_dual_mov_b32 v49, v28
	v_dual_mov_b32 v27, v3 :: v_dual_mov_b32 v26, v2
	v_mov_b32_e32 v50, v6
	s_and_not1_b32 s3, s55, exec_lo
	s_and_b32 s9, s9, exec_lo
	s_and_not1_b32 s54, s54, exec_lo
	s_or_b32 s55, s3, s9
	s_and_not1_b32 s104, s104, exec_lo
	s_and_not1_b32 vcc_hi, vcc_hi, exec_lo
	s_and_not1_b32 s103, s103, exec_lo
	s_or_not1_b32 s8, s8, exec_lo
.LBB213_30:                             ;   in Loop: Header=BB213_31 Depth=1
	s_or_b32 exec_lo, exec_lo, s7
	s_delay_alu instid0(SALU_CYCLE_1) | instskip(NEXT) | instid1(SALU_CYCLE_1)
	s_and_b32 s7, exec_lo, s8
	s_or_b32 s95, s7, s95
	s_and_not1_b32 s7, s99, exec_lo
	s_and_b32 s8, s55, exec_lo
	s_and_not1_b32 s9, s102, exec_lo
	s_or_b32 s99, s7, s8
	s_and_b32 s7, s54, exec_lo
	s_and_not1_b32 s8, s100, exec_lo
	s_and_b32 s10, s104, exec_lo
	s_or_b32 s102, s9, s7
	s_or_b32 s100, s8, s10
	s_and_not1_b32 s7, s101, exec_lo
	s_and_b32 s8, vcc_hi, exec_lo
	s_and_not1_b32 s9, s97, exec_lo
	s_and_b32 s10, s103, exec_lo
	s_or_b32 s101, s7, s8
	s_or_b32 s97, s9, s10
	s_and_not1_b32 exec_lo, exec_lo, s95
	s_cbranch_execz .LBB213_500
.LBB213_31:                             ; =>This Loop Header: Depth=1
                                        ;     Child Loop BB213_36 Depth 2
                                        ;     Child Loop BB213_54 Depth 2
	;; [unrolled: 1-line block ×24, first 2 shown]
	ds_load_b128 v[2:5], v13 offset:5120
	s_waitcnt lgkmcnt(0)
	v_readfirstlane_b32 s71, v3
	v_readfirstlane_b32 s70, v2
	s_delay_alu instid0(VALU_DEP_1)
	s_cmp_lg_u64 s[70:71], 0
	s_cbranch_scc1 .LBB213_61
; %bb.32:                               ;   in Loop: Header=BB213_31 Depth=1
	s_and_b32 vcc_lo, exec_lo, s84
	s_cbranch_vccz .LBB213_44
; %bb.33:                               ;   in Loop: Header=BB213_31 Depth=1
	v_cmp_gt_u64_e32 vcc_lo, 0x601, v[4:5]
	s_mov_b32 s9, 0
	s_mov_b32 s7, 0
	s_cbranch_vccz .LBB213_45
; %bb.34:                               ;   in Loop: Header=BB213_31 Depth=1
	global_load_u16 v6, v13, s[62:63]
	global_load_u16 v7, v[10:11], off
	s_mov_b32 s11, 0
	s_waitcnt vmcnt(1)
	v_readfirstlane_b32 s7, v6
	v_and_b32_e32 v6, 0xffff, v6
	s_delay_alu instid0(VALU_DEP_2) | instskip(NEXT) | instid1(SALU_CYCLE_1)
	s_and_b32 s7, 0xffff, s7
	v_add_nc_u32_e32 v8, s7, v0
	s_mul_i32 s8, s67, s7
	s_mul_hi_u32 s10, s66, s7
	s_mul_i32 s12, s66, s7
	s_add_i32 s10, s10, s8
	v_mad_u64_u32 v[2:3], null, s66, v8, s[64:65]
	s_delay_alu instid0(VALU_DEP_1) | instskip(NEXT) | instid1(VALU_DEP_1)
	v_mad_u64_u32 v[4:5], null, s67, v8, v[3:4]
	v_mov_b32_e32 v3, v4
	v_dual_mov_b32 v5, v1 :: v_dual_mov_b32 v4, v0
	s_branch .LBB213_36
.LBB213_35:                             ;   in Loop: Header=BB213_36 Depth=2
	s_or_b32 exec_lo, exec_lo, s8
	v_add_co_u32 v2, vcc_lo, v2, s12
	v_add_co_ci_u32_e32 v3, vcc_lo, s10, v3, vcc_lo
	v_mov_b32_e32 v7, v8
	s_and_not1_b32 exec_lo, exec_lo, s11
	s_cbranch_execz .LBB213_46
.LBB213_36:                             ;   Parent Loop BB213_31 Depth=1
                                        ; =>  This Inner Loop Header: Depth=2
	s_delay_alu instid0(VALU_DEP_1) | instskip(NEXT) | instid1(VALU_DEP_2)
	v_add_co_u32 v4, vcc_lo, v4, v6
	v_add_co_ci_u32_e32 v5, vcc_lo, 0, v5, vcc_lo
	s_waitcnt lgkmcnt(0)
	v_dual_mov_b32 v9, 0 :: v_dual_mov_b32 v8, 0
	s_mov_b32 s8, exec_lo
	s_delay_alu instid0(VALU_DEP_2)
	v_cmp_le_u64_e32 vcc_lo, s[36:37], v[4:5]
	v_cmpx_gt_u64_e64 s[36:37], v[4:5]
	s_cbranch_execz .LBB213_38
; %bb.37:                               ;   in Loop: Header=BB213_36 Depth=2
	global_load_u16 v8, v[2:3], off
.LBB213_38:                             ;   in Loop: Header=BB213_36 Depth=2
	s_or_b32 exec_lo, exec_lo, s8
	s_waitcnt vmcnt(0)
	v_cmp_lt_i16_e64 s7, -1, v7
	v_and_b32_e32 v12, 0xffff, v7
	s_delay_alu instid0(VALU_DEP_2) | instskip(SKIP_1) | instid1(VALU_DEP_2)
	v_cndmask_b32_e64 v28, 0xffff, v47, s7
	v_cmp_o_f16_e64 s7, v7, v7
	v_xor_b32_e32 v12, v28, v12
	s_delay_alu instid0(VALU_DEP_1) | instskip(NEXT) | instid1(VALU_DEP_1)
	v_cndmask_b32_e64 v12, 0xffff, v12, s7
	v_and_b32_e32 v12, v12, v48
	s_delay_alu instid0(VALU_DEP_1) | instskip(NEXT) | instid1(VALU_DEP_1)
	v_cmp_eq_u32_e64 s7, v12, v49
	s_cmp_lg_u32 s7, 0
	s_cselect_b32 s8, -1, 0
	s_delay_alu instid0(SALU_CYCLE_1) | instskip(NEXT) | instid1(SALU_CYCLE_1)
	s_and_b32 s8, s2, s8
	s_and_saveexec_b32 s13, s8
	s_cbranch_execz .LBB213_42
; %bb.39:                               ;   in Loop: Header=BB213_36 Depth=2
	s_mov_b32 s16, exec_lo
	s_bcnt1_i32_b32 s14, s7
	v_mbcnt_lo_u32_b32 v9, s16, 0
	s_mov_b32 s15, exec_lo
                                        ; implicit-def: $vgpr12
	s_delay_alu instid0(VALU_DEP_1)
	v_cmpx_eq_u32_e32 0, v9
	s_cbranch_execz .LBB213_41
; %bb.40:                               ;   in Loop: Header=BB213_36 Depth=2
	s_bcnt1_i32_b32 s8, s16
	s_delay_alu instid0(SALU_CYCLE_1) | instskip(NEXT) | instid1(SALU_CYCLE_1)
	s_mul_i32 s8, s14, s8
	v_mov_b32_e32 v12, s8
	ds_add_rtn_u32 v12, v13, v12 offset:5144
.LBB213_41:                             ;   in Loop: Header=BB213_36 Depth=2
	s_or_b32 exec_lo, exec_lo, s15
	s_waitcnt lgkmcnt(0)
	v_readfirstlane_b32 s8, v12
	s_delay_alu instid0(VALU_DEP_1)
	v_mad_u32_u24 v9, s14, v9, s8
.LBB213_42:                             ;   in Loop: Header=BB213_36 Depth=2
	s_or_b32 exec_lo, exec_lo, s13
	ds_bpermute_b32 v9, v13, v9
	s_and_b32 s8, exec_lo, vcc_lo
	s_delay_alu instid0(SALU_CYCLE_1)
	s_or_b32 s11, s8, s11
	s_and_saveexec_b32 s8, s7
	s_cbranch_execz .LBB213_35
; %bb.43:                               ;   in Loop: Header=BB213_36 Depth=2
	v_and_b32_e32 v12, s7, v40
	s_delay_alu instid0(VALU_DEP_1) | instskip(NEXT) | instid1(VALU_DEP_1)
	v_bcnt_u32_b32 v12, v12, 0
	v_lshlrev_b32_e32 v12, 1, v12
	s_waitcnt lgkmcnt(0)
	s_delay_alu instid0(VALU_DEP_1)
	v_lshl_add_u32 v9, v9, 1, v12
	ds_store_b16 v9, v7
	s_branch .LBB213_35
.LBB213_44:                             ;   in Loop: Header=BB213_31 Depth=1
	s_mov_b32 s7, 0
                                        ; implicit-def: $sgpr70_sgpr71
	s_cbranch_execnz .LBB213_49
	s_branch .LBB213_59
.LBB213_45:                             ;   in Loop: Header=BB213_31 Depth=1
	s_mov_b64 s[70:71], 0
	s_and_b32 vcc_lo, exec_lo, s9
	s_cbranch_vccnz .LBB213_49
	s_branch .LBB213_59
.LBB213_46:                             ;   in Loop: Header=BB213_31 Depth=1
	s_or_b32 exec_lo, exec_lo, s11
	s_waitcnt lgkmcnt(0)
	s_barrier
	buffer_gl0_inv
	s_and_saveexec_b32 s7, s5
	s_cbranch_execz .LBB213_48
; %bb.47:                               ;   in Loop: Header=BB213_31 Depth=1
	ds_load_b32 v2, v13 offset:5144
	s_waitcnt lgkmcnt(0)
	v_ashrrev_i32_e32 v3, 31, v2
	ds_store_b64 v13, v[2:3] offset:5120
.LBB213_48:                             ;   in Loop: Header=BB213_31 Depth=1
	s_or_b32 exec_lo, exec_lo, s7
	s_waitcnt lgkmcnt(0)
	s_mov_b32 s7, -1
	s_barrier
	s_mov_b64 s[70:71], 0
	s_and_b32 vcc_lo, exec_lo, s9
	s_cbranch_vccz .LBB213_59
.LBB213_49:                             ;   in Loop: Header=BB213_31 Depth=1
	v_mov_b32_e32 v6, 0
	s_and_saveexec_b32 s7, s4
	s_cbranch_execz .LBB213_51
; %bb.50:                               ;   in Loop: Header=BB213_31 Depth=1
	global_load_u16 v6, v[10:11], off
.LBB213_51:                             ;   in Loop: Header=BB213_31 Depth=1
	s_or_b32 exec_lo, exec_lo, s7
	s_and_saveexec_b32 s8, s4
	s_cbranch_execz .LBB213_56
; %bb.52:                               ;   in Loop: Header=BB213_31 Depth=1
	global_load_u16 v8, v13, s[62:63]
	s_mov_b32 s12, 0
	s_waitcnt vmcnt(0)
	v_readfirstlane_b32 s7, v8
	v_and_b32_e32 v8, 0xffff, v8
	s_delay_alu instid0(VALU_DEP_2) | instskip(NEXT) | instid1(SALU_CYCLE_1)
	s_and_b32 s7, 0xffff, s7
	v_add_nc_u32_e32 v7, s7, v0
	s_mul_i32 s10, s67, s7
	s_mul_hi_u32 s11, s66, s7
	s_lshl_b32 s9, s7, 1
	s_add_i32 s10, s11, s10
	v_mad_u64_u32 v[2:3], null, s66, v7, s[64:65]
	s_mul_i32 s11, s66, s7
	s_delay_alu instid0(VALU_DEP_1) | instskip(SKIP_1) | instid1(VALU_DEP_2)
	v_mad_u64_u32 v[4:5], null, s67, v7, v[3:4]
	v_mov_b32_e32 v7, v43
	v_mov_b32_e32 v3, v4
	v_dual_mov_b32 v5, v1 :: v_dual_mov_b32 v4, v0
	s_branch .LBB213_54
	.p2align	6
.LBB213_53:                             ;   in Loop: Header=BB213_54 Depth=2
	s_or_b32 exec_lo, exec_lo, s13
	s_delay_alu instid0(SALU_CYCLE_1)
	s_and_b32 s7, exec_lo, vcc_lo
	v_add_co_u32 v2, vcc_lo, v2, s11
	ds_store_b16 v7, v6
	s_waitcnt vmcnt(0)
	v_dual_mov_b32 v6, v9 :: v_dual_add_nc_u32 v7, s9, v7
	v_add_co_ci_u32_e32 v3, vcc_lo, s10, v3, vcc_lo
	s_or_b32 s12, s7, s12
	s_delay_alu instid0(SALU_CYCLE_1)
	s_and_not1_b32 exec_lo, exec_lo, s12
	s_cbranch_execz .LBB213_56
.LBB213_54:                             ;   Parent Loop BB213_31 Depth=1
                                        ; =>  This Inner Loop Header: Depth=2
	s_delay_alu instid0(VALU_DEP_1) | instskip(NEXT) | instid1(VALU_DEP_2)
	v_add_co_u32 v4, vcc_lo, v4, v8
	v_add_co_ci_u32_e32 v5, vcc_lo, 0, v5, vcc_lo
	v_mov_b32_e32 v9, 0
	s_mov_b32 s13, exec_lo
	s_delay_alu instid0(VALU_DEP_2)
	v_cmp_le_u64_e32 vcc_lo, s[36:37], v[4:5]
	v_cmpx_gt_u64_e64 s[36:37], v[4:5]
	s_cbranch_execz .LBB213_53
; %bb.55:                               ;   in Loop: Header=BB213_54 Depth=2
	global_load_u16 v9, v[2:3], off
	s_branch .LBB213_53
.LBB213_56:                             ;   in Loop: Header=BB213_31 Depth=1
	s_or_b32 exec_lo, exec_lo, s8
	s_waitcnt vmcnt(0) lgkmcnt(0)
	s_barrier
	buffer_gl0_inv
	s_and_saveexec_b32 s7, s5
	s_cbranch_execz .LBB213_58
; %bb.57:                               ;   in Loop: Header=BB213_31 Depth=1
	v_dual_mov_b32 v2, s36 :: v_dual_mov_b32 v3, s37
	ds_store_b64 v13, v[2:3] offset:5120
.LBB213_58:                             ;   in Loop: Header=BB213_31 Depth=1
	s_or_b32 exec_lo, exec_lo, s7
	s_mov_b32 s7, -1
	s_waitcnt lgkmcnt(0)
	s_barrier
                                        ; implicit-def: $sgpr70_sgpr71
.LBB213_59:                             ;   in Loop: Header=BB213_31 Depth=1
	s_and_b32 vcc_lo, exec_lo, s7
	s_cbranch_vccz .LBB213_61
; %bb.60:                               ;   in Loop: Header=BB213_31 Depth=1
	buffer_gl0_inv
	ds_load_b64 v[2:3], v13 offset:5120
	s_waitcnt lgkmcnt(0)
	v_readfirstlane_b32 s70, v2
.LBB213_61:                             ;   in Loop: Header=BB213_31 Depth=1
	s_delay_alu instid0(VALU_DEP_1)
	s_cmp_lt_i32 s70, 1
	s_cbranch_scc0 .LBB213_76
; %bb.62:                               ;   in Loop: Header=BB213_31 Depth=1
	global_load_u16 v2, v13, s[62:63]
	s_mov_b32 s8, s61
	s_mov_b32 s9, s37
	s_waitcnt vmcnt(0)
	v_readfirstlane_b32 s7, v2
	s_delay_alu instid0(VALU_DEP_1) | instskip(NEXT) | instid1(SALU_CYCLE_1)
	s_and_b32 s26, s7, 0xffff
	s_lshl_b32 s46, s26, 2
	s_cmp_lg_u64 s[8:9], 0
	s_cbranch_scc0 .LBB213_96
; %bb.63:                               ;   in Loop: Header=BB213_31 Depth=1
	v_cvt_f32_u32_e32 v2, s46
	s_sub_u32 s9, 0, s46
	s_subb_u32 s10, 0, 0
	s_delay_alu instid0(VALU_DEP_1) | instskip(NEXT) | instid1(VALU_DEP_1)
	v_fmac_f32_e64 v2, 0, 0x4f800000
	v_rcp_f32_e32 v2, v2
	s_waitcnt_depctr 0xfff
	v_mul_f32_e32 v2, 0x5f7ffffc, v2
	s_delay_alu instid0(VALU_DEP_1) | instskip(NEXT) | instid1(VALU_DEP_1)
	v_mul_f32_e32 v3, 0x2f800000, v2
	v_trunc_f32_e32 v3, v3
	s_delay_alu instid0(VALU_DEP_1) | instskip(SKIP_1) | instid1(VALU_DEP_2)
	v_fmac_f32_e32 v2, 0xcf800000, v3
	v_cvt_u32_f32_e32 v3, v3
	v_cvt_u32_f32_e32 v2, v2
	s_delay_alu instid0(VALU_DEP_2) | instskip(NEXT) | instid1(VALU_DEP_2)
	v_readfirstlane_b32 s7, v3
	v_readfirstlane_b32 s8, v2
	s_delay_alu instid0(VALU_DEP_2) | instskip(NEXT) | instid1(VALU_DEP_1)
	s_mul_i32 s11, s9, s7
	s_mul_hi_u32 s13, s9, s8
	s_mul_i32 s12, s10, s8
	s_add_i32 s11, s13, s11
	s_mul_i32 s14, s9, s8
	s_add_i32 s11, s11, s12
	s_mul_hi_u32 s13, s8, s14
	s_mul_hi_u32 s15, s7, s14
	s_mul_i32 s12, s7, s14
	s_mul_hi_u32 s14, s8, s11
	s_mul_i32 s8, s8, s11
	s_mul_hi_u32 s16, s7, s11
	s_add_u32 s8, s13, s8
	s_addc_u32 s13, 0, s14
	s_add_u32 s8, s8, s12
	s_mul_i32 s11, s7, s11
	s_addc_u32 s8, s13, s15
	s_addc_u32 s12, s16, 0
	s_add_u32 s8, s8, s11
	s_addc_u32 s11, 0, s12
	v_add_co_u32 v2, s8, v2, s8
	s_delay_alu instid0(VALU_DEP_1) | instskip(SKIP_1) | instid1(VALU_DEP_1)
	s_cmp_lg_u32 s8, 0
	s_addc_u32 s7, s7, s11
	v_readfirstlane_b32 s8, v2
	s_mul_i32 s11, s9, s7
	s_delay_alu instid0(VALU_DEP_1)
	s_mul_hi_u32 s12, s9, s8
	s_mul_i32 s10, s10, s8
	s_add_i32 s11, s12, s11
	s_mul_i32 s9, s9, s8
	s_add_i32 s11, s11, s10
	s_mul_hi_u32 s12, s7, s9
	s_mul_i32 s13, s7, s9
	s_mul_hi_u32 s9, s8, s9
	s_mul_hi_u32 s14, s8, s11
	s_mul_i32 s8, s8, s11
	s_mul_hi_u32 s10, s7, s11
	s_add_u32 s8, s9, s8
	s_addc_u32 s9, 0, s14
	s_add_u32 s8, s8, s13
	s_mul_i32 s11, s7, s11
	s_addc_u32 s8, s9, s12
	s_addc_u32 s9, s10, 0
	s_add_u32 s8, s8, s11
	s_addc_u32 s9, 0, s9
	v_add_co_u32 v2, s8, v2, s8
	s_delay_alu instid0(VALU_DEP_1) | instskip(SKIP_1) | instid1(VALU_DEP_1)
	s_cmp_lg_u32 s8, 0
	s_addc_u32 s7, s7, s9
	v_readfirstlane_b32 s8, v2
	s_mul_i32 s10, s36, s7
	s_mul_hi_u32 s9, s36, s7
	s_mul_hi_u32 s11, s37, s7
	s_mul_i32 s7, s37, s7
	s_mul_hi_u32 s12, s36, s8
	s_mul_hi_u32 s13, s37, s8
	s_mul_i32 s8, s37, s8
	s_add_u32 s10, s12, s10
	s_addc_u32 s9, 0, s9
	s_add_u32 s8, s10, s8
	s_addc_u32 s8, s9, s13
	s_addc_u32 s9, s11, 0
	s_add_u32 s7, s8, s7
	s_addc_u32 s8, 0, s9
	s_mul_hi_u32 s9, s46, s7
	s_mul_i32 s7, s46, s7
	s_mul_i32 s8, s46, s8
	v_sub_co_u32 v2, s7, s36, s7
	s_add_i32 s9, s9, s8
	s_cmp_lg_u32 s7, 0
	s_delay_alu instid0(VALU_DEP_1) | instskip(SKIP_2) | instid1(VALU_DEP_1)
	v_sub_co_u32 v3, s7, v2, s46
	s_subb_u32 s8, s37, s9
	s_cmp_lg_u32 s7, 0
	v_cmp_le_u32_e32 vcc_lo, s46, v3
	v_sub_co_u32 v4, s7, v3, s46
	s_subb_u32 s9, s8, 0
	s_cmp_lg_u32 s7, 0
	v_cndmask_b32_e64 v5, 0, -1, vcc_lo
	s_subb_u32 s7, s9, 0
	s_cmp_eq_u32 s9, 0
	v_mov_b32_e32 v7, s7
	s_cselect_b32 vcc_lo, -1, 0
	s_cmp_eq_u32 s8, 0
	v_cndmask_b32_e32 v5, -1, v5, vcc_lo
	v_cmp_le_u32_e32 vcc_lo, s46, v2
	s_cselect_b32 s7, -1, 0
	v_cndmask_b32_e64 v6, 0, -1, vcc_lo
	s_delay_alu instid0(VALU_DEP_3) | instskip(NEXT) | instid1(VALU_DEP_2)
	v_cmp_ne_u32_e32 vcc_lo, 0, v5
	v_cndmask_b32_e64 v5, -1, v6, s7
	v_cndmask_b32_e32 v6, s9, v7, vcc_lo
	v_cndmask_b32_e32 v4, v3, v4, vcc_lo
	s_delay_alu instid0(VALU_DEP_3) | instskip(NEXT) | instid1(VALU_DEP_3)
	v_cmp_ne_u32_e32 vcc_lo, 0, v5
	v_cndmask_b32_e32 v3, s8, v6, vcc_lo
	s_delay_alu instid0(VALU_DEP_3)
	v_cndmask_b32_e32 v2, v2, v4, vcc_lo
	s_cbranch_execnz .LBB213_65
.LBB213_64:                             ;   in Loop: Header=BB213_31 Depth=1
	v_cvt_f32_u32_e32 v2, s46
	s_sub_i32 s7, 0, s46
	s_delay_alu instid0(VALU_DEP_1) | instskip(SKIP_2) | instid1(VALU_DEP_1)
	v_rcp_iflag_f32_e32 v2, v2
	s_waitcnt_depctr 0xfff
	v_mul_f32_e32 v2, 0x4f7ffffe, v2
	v_cvt_u32_f32_e32 v2, v2
	s_delay_alu instid0(VALU_DEP_1) | instskip(NEXT) | instid1(VALU_DEP_1)
	v_mul_lo_u32 v3, s7, v2
	v_mul_hi_u32 v3, v2, v3
	s_delay_alu instid0(VALU_DEP_1) | instskip(NEXT) | instid1(VALU_DEP_1)
	v_add_nc_u32_e32 v2, v2, v3
	v_mul_hi_u32 v2, s36, v2
	s_delay_alu instid0(VALU_DEP_1) | instskip(NEXT) | instid1(VALU_DEP_1)
	v_mul_lo_u32 v2, v2, s46
	v_sub_nc_u32_e32 v2, s36, v2
	s_delay_alu instid0(VALU_DEP_1) | instskip(SKIP_1) | instid1(VALU_DEP_2)
	v_subrev_nc_u32_e32 v3, s46, v2
	v_cmp_le_u32_e32 vcc_lo, s46, v2
	v_cndmask_b32_e32 v2, v2, v3, vcc_lo
	s_delay_alu instid0(VALU_DEP_1) | instskip(SKIP_1) | instid1(VALU_DEP_2)
	v_subrev_nc_u32_e32 v3, s46, v2
	v_cmp_le_u32_e32 vcc_lo, s46, v2
	v_cndmask_b32_e32 v12, v2, v3, vcc_lo
	s_delay_alu instid0(VALU_DEP_1)
	v_dual_mov_b32 v2, v12 :: v_dual_mov_b32 v3, v13
.LBB213_65:                             ;   in Loop: Header=BB213_31 Depth=1
	s_delay_alu instid0(VALU_DEP_1) | instskip(NEXT) | instid1(VALU_DEP_2)
	v_sub_co_u32 v28, vcc_lo, s36, v2
	v_sub_co_ci_u32_e32 v29, vcc_lo, s37, v3, vcc_lo
	v_mov_b32_e32 v2, 0
	v_mov_b32_e32 v3, 0
	s_mov_b64 s[72:73], 0
	s_mov_b32 s47, exec_lo
	s_delay_alu instid0(VALU_DEP_1)
	v_dual_mov_b32 v5, v3 :: v_dual_mov_b32 v4, v2
	v_dual_mov_b32 v7, v3 :: v_dual_mov_b32 v6, v2
	;; [unrolled: 1-line block ×3, first 2 shown]
	v_cmpx_gt_u64_e64 v[28:29], v[14:15]
	s_cbranch_execz .LBB213_69
; %bb.66:                               ;   in Loop: Header=BB213_31 Depth=1
	v_dual_mov_b32 v31, v23 :: v_dual_mov_b32 v30, v22
	v_dual_mov_b32 v33, v21 :: v_dual_mov_b32 v32, v20
	;; [unrolled: 1-line block ×5, first 2 shown]
	s_mul_i32 s7, s69, s26
	s_mul_hi_u32 s8, s68, s26
	s_and_b32 s58, s94, 0xfe
	s_add_i32 s59, s8, s7
	s_mul_i32 s60, s68, s26
	s_mov_b32 s71, 0
	s_mov_b64 s[74:75], 0
	s_mov_b64 s[76:77], 0
	;; [unrolled: 1-line block ×3, first 2 shown]
.LBB213_67:                             ;   Parent Loop BB213_31 Depth=1
                                        ; =>  This Inner Loop Header: Depth=2
	v_add_co_u32 v2, vcc_lo, v30, s48
	v_add_co_ci_u32_e32 v3, vcc_lo, s49, v31, vcc_lo
	global_load_u16 v4, v[2:3], off
	v_add_co_u32 v2, vcc_lo, v32, s48
	v_add_co_ci_u32_e32 v3, vcc_lo, s49, v33, vcc_lo
	global_load_u16 v5, v[2:3], off
	;; [unrolled: 3-line block ×4, first 2 shown]
	s_waitcnt vmcnt(3)
	v_cmp_lt_i16_e32 vcc_lo, -1, v4
	v_cmp_o_f16_e64 s7, v4, v4
	v_dual_cndmask_b32 v4, 0xffff, v47 :: v_dual_and_b32 v3, 0xffff, v4
	s_waitcnt vmcnt(2)
	v_cmp_lt_i16_e32 vcc_lo, -1, v5
	v_cmp_o_f16_e64 s8, v5, v5
	s_delay_alu instid0(VALU_DEP_3) | instskip(SKIP_1) | instid1(VALU_DEP_2)
	v_xor_b32_e32 v3, v4, v3
	v_dual_cndmask_b32 v5, 0xffff, v47 :: v_dual_and_b32 v4, 0xffff, v5
	v_cndmask_b32_e64 v3, 0xffff, v3, s7
	s_waitcnt vmcnt(1)
	v_cmp_lt_i16_e32 vcc_lo, -1, v6
	v_cmp_o_f16_e64 s9, v6, v6
	v_xor_b32_e32 v4, v5, v4
	v_dual_cndmask_b32 v6, 0xffff, v47 :: v_dual_and_b32 v5, 0xffff, v6
	s_delay_alu instid0(VALU_DEP_2)
	v_cndmask_b32_e64 v4, 0xffff, v4, s8
	s_waitcnt vmcnt(0)
	v_cmp_lt_i16_e32 vcc_lo, -1, v2
	v_cmp_o_f16_e64 s10, v2, v2
	v_xor_b32_e32 v5, v6, v5
	v_and_b32_e32 v2, 0xffff, v2
	v_cndmask_b32_e32 v6, 0xffff, v47, vcc_lo
	s_delay_alu instid0(VALU_DEP_3) | instskip(NEXT) | instid1(VALU_DEP_2)
	v_cndmask_b32_e64 v5, 0xffff, v5, s9
	v_xor_b32_e32 v2, v6, v2
	v_and_b32_e32 v6, v3, v48
	v_bfe_u32 v3, v3, s58, 2
	s_delay_alu instid0(VALU_DEP_3) | instskip(NEXT) | instid1(VALU_DEP_3)
	v_cndmask_b32_e64 v2, 0xffff, v2, s10
	v_cmp_eq_u32_e32 vcc_lo, v6, v49
	v_and_b32_e32 v6, v4, v48
	s_delay_alu instid0(VALU_DEP_4)
	v_cmp_eq_u32_e64 s10, 0, v3
	v_cmp_eq_u32_e64 s11, 1, v3
	;; [unrolled: 1-line block ×5, first 2 shown]
	v_and_b32_e32 v6, v5, v48
	v_bfe_u32 v3, v4, s58, 2
	s_and_b32 s10, vcc_lo, s10
	s_delay_alu instid0(VALU_DEP_2)
	v_cmp_eq_u32_e64 s8, v6, v49
	v_and_b32_e32 v6, v2, v48
	v_bfe_u32 v2, v2, s58, 2
	v_cmp_eq_u32_e64 s14, 0, v3
	v_cmp_eq_u32_e64 s15, 1, v3
	;; [unrolled: 1-line block ×4, first 2 shown]
	v_bfe_u32 v3, v5, s58, 2
	v_cmp_eq_u32_e64 s22, 0, v2
	v_cmp_eq_u32_e64 s23, 1, v2
	;; [unrolled: 1-line block ×4, first 2 shown]
	v_cndmask_b32_e64 v2, 0, 1, s10
	v_cmp_eq_u32_e64 s18, 0, v3
	s_and_b32 s14, s7, s14
	v_cmp_eq_u32_e64 s9, v6, v49
	v_cmp_eq_u32_e64 s19, 1, v3
	v_cmp_ne_u32_e64 s10, 0, v2
	v_cndmask_b32_e64 v2, 0, 1, s14
	s_and_b32 s18, s8, s18
	s_and_b32 s22, s9, s22
	v_cmp_eq_u32_e64 s20, 2, v3
	s_bcnt1_i32_b32 s10, s10
	v_cmp_ne_u32_e64 s14, 0, v2
	v_cndmask_b32_e64 v2, 0, 1, s18
	v_cmp_eq_u32_e64 s21, 3, v3
	s_delay_alu instid0(VALU_DEP_3) | instskip(NEXT) | instid1(VALU_DEP_2)
	s_bcnt1_i32_b32 s14, s14
	v_cmp_ne_u32_e64 s18, 0, v2
	v_cndmask_b32_e64 v2, 0, 1, s22
	s_add_i32 s10, s14, s10
	s_delay_alu instid0(VALU_DEP_2) | instskip(NEXT) | instid1(VALU_DEP_1)
	s_bcnt1_i32_b32 s18, s18
	v_cmp_ne_u32_e64 s22, 0, v2
	s_add_i32 s10, s10, s18
	s_delay_alu instid0(VALU_DEP_1) | instskip(NEXT) | instid1(SALU_CYCLE_1)
	s_bcnt1_i32_b32 s22, s22
	s_add_i32 s10, s10, s22
	s_delay_alu instid0(SALU_CYCLE_1)
	s_add_u32 s78, s78, s10
	s_addc_u32 s79, s79, 0
	s_and_b32 s10, vcc_lo, s11
	s_and_b32 s11, s7, s15
	v_cndmask_b32_e64 v2, 0, 1, s10
	s_and_b32 s14, s8, s19
	s_and_b32 s15, s9, s23
	s_delay_alu instid0(VALU_DEP_1) | instskip(SKIP_1) | instid1(VALU_DEP_2)
	v_cmp_ne_u32_e64 s10, 0, v2
	v_cndmask_b32_e64 v2, 0, 1, s11
	s_bcnt1_i32_b32 s10, s10
	s_delay_alu instid0(VALU_DEP_1) | instskip(SKIP_1) | instid1(VALU_DEP_2)
	v_cmp_ne_u32_e64 s11, 0, v2
	v_cndmask_b32_e64 v2, 0, 1, s14
	s_bcnt1_i32_b32 s11, s11
	s_delay_alu instid0(VALU_DEP_1) | instskip(SKIP_2) | instid1(VALU_DEP_2)
	v_cmp_ne_u32_e64 s14, 0, v2
	v_cndmask_b32_e64 v2, 0, 1, s15
	s_add_i32 s10, s11, s10
	s_bcnt1_i32_b32 s14, s14
	s_delay_alu instid0(VALU_DEP_1) | instskip(SKIP_1) | instid1(VALU_DEP_1)
	v_cmp_ne_u32_e64 s15, 0, v2
	s_add_i32 s10, s10, s14
	s_bcnt1_i32_b32 s15, s15
	s_delay_alu instid0(SALU_CYCLE_1) | instskip(NEXT) | instid1(SALU_CYCLE_1)
	s_add_i32 s10, s10, s15
	s_add_u32 s76, s76, s10
	s_addc_u32 s77, s77, 0
	s_and_b32 s10, vcc_lo, s12
	s_and_b32 s11, s7, s16
	v_cndmask_b32_e64 v2, 0, 1, s10
	s_and_b32 s12, s8, s20
	s_and_b32 s14, s9, s24
	v_dual_mov_b32 v4, s76 :: v_dual_mov_b32 v5, s77
	s_delay_alu instid0(VALU_DEP_2) | instskip(SKIP_1) | instid1(VALU_DEP_2)
	v_cmp_ne_u32_e64 s10, 0, v2
	v_cndmask_b32_e64 v2, 0, 1, s11
	s_bcnt1_i32_b32 s10, s10
	s_delay_alu instid0(VALU_DEP_1) | instskip(SKIP_1) | instid1(VALU_DEP_2)
	v_cmp_ne_u32_e64 s11, 0, v2
	v_cndmask_b32_e64 v2, 0, 1, s12
	s_bcnt1_i32_b32 s11, s11
	s_delay_alu instid0(VALU_DEP_1) | instskip(SKIP_3) | instid1(VALU_DEP_3)
	v_cmp_ne_u32_e64 s12, 0, v2
	v_cndmask_b32_e64 v2, 0, 1, s14
	s_add_i32 s10, s11, s10
	v_add_co_u32 v36, s11, v36, s60
	s_bcnt1_i32_b32 s12, s12
	s_delay_alu instid0(VALU_DEP_2) | instskip(SKIP_2) | instid1(VALU_DEP_2)
	v_cmp_ne_u32_e64 s14, 0, v2
	s_add_i32 s10, s10, s12
	v_add_co_u32 v34, s12, v34, s60
	s_bcnt1_i32_b32 s14, s14
	s_delay_alu instid0(SALU_CYCLE_1)
	s_add_i32 s10, s10, s14
	v_add_co_u32 v30, s14, v30, s60
	s_add_u32 s74, s74, s10
	s_addc_u32 s75, s75, 0
	s_and_b32 s10, vcc_lo, s13
	s_and_b32 s7, s7, s17
	v_cndmask_b32_e64 v2, 0, 1, s10
	s_and_b32 s8, s8, s21
	s_and_b32 s9, s9, s25
	v_add_co_u32 v38, s10, v38, s46
	s_delay_alu instid0(VALU_DEP_2) | instskip(SKIP_3) | instid1(VALU_DEP_3)
	v_cmp_ne_u32_e32 vcc_lo, 0, v2
	v_cndmask_b32_e64 v2, 0, 1, s7
	v_add_co_ci_u32_e64 v39, s10, 0, v39, s10
	v_add_co_ci_u32_e64 v37, s10, s59, v37, s11
	v_cmp_ne_u32_e64 s7, 0, v2
	v_cndmask_b32_e64 v2, 0, 1, s8
	s_bcnt1_i32_b32 s11, vcc_lo
	v_add_co_u32 v32, s13, v32, s60
	s_delay_alu instid0(VALU_DEP_3) | instskip(NEXT) | instid1(VALU_DEP_2)
	s_bcnt1_i32_b32 s7, s7
	v_cmp_ne_u32_e64 s8, 0, v2
	v_cndmask_b32_e64 v2, 0, 1, s9
	s_add_i32 s7, s7, s11
	v_add_co_ci_u32_e64 v35, s10, s59, v35, s12
	s_delay_alu instid0(VALU_DEP_3) | instskip(NEXT) | instid1(VALU_DEP_2)
	s_bcnt1_i32_b32 s8, s8
	v_cmp_ne_u32_e64 s9, 0, v2
	s_add_i32 s7, s7, s8
	v_add_co_ci_u32_e64 v33, s10, s59, v33, s13
	v_add_co_ci_u32_e64 v31, s10, s59, v31, s14
	s_delay_alu instid0(VALU_DEP_3)
	s_bcnt1_i32_b32 s9, s9
	v_cmp_ge_u64_e64 s10, v[38:39], v[28:29]
	s_add_i32 s7, s7, s9
	v_mov_b32_e32 v2, s78
	s_add_u32 s72, s72, s7
	s_addc_u32 s73, s73, 0
	v_mov_b32_e32 v6, s74
	v_dual_mov_b32 v8, s72 :: v_dual_mov_b32 v9, s73
	v_mov_b32_e32 v3, s79
	v_mov_b32_e32 v7, s75
	s_or_b32 s71, s10, s71
	s_delay_alu instid0(SALU_CYCLE_1)
	s_and_not1_b32 exec_lo, exec_lo, s71
	s_cbranch_execnz .LBB213_67
; %bb.68:                               ;   in Loop: Header=BB213_31 Depth=1
	s_or_b32 exec_lo, exec_lo, s71
.LBB213_69:                             ;   in Loop: Header=BB213_31 Depth=1
	s_delay_alu instid0(SALU_CYCLE_1) | instskip(SKIP_3) | instid1(VALU_DEP_2)
	s_or_b32 exec_lo, exec_lo, s47
	v_add_co_u32 v28, vcc_lo, v28, v0
	v_add_co_ci_u32_e32 v29, vcc_lo, 0, v29, vcc_lo
	v_mov_b32_e32 v30, 0
	v_cmp_gt_u64_e32 vcc_lo, s[36:37], v[28:29]
	s_and_saveexec_b32 s8, vcc_lo
	s_cbranch_execz .LBB213_71
; %bb.70:                               ;   in Loop: Header=BB213_31 Depth=1
	v_mul_lo_u32 v12, v29, s30
	v_mul_lo_u32 v32, v28, s31
	v_mad_u64_u32 v[30:31], null, v28, s30, 0
	s_delay_alu instid0(VALU_DEP_1) | instskip(NEXT) | instid1(VALU_DEP_1)
	v_add3_u32 v31, v31, v32, v12
	v_lshlrev_b64 v[30:31], 1, v[30:31]
	s_delay_alu instid0(VALU_DEP_1) | instskip(NEXT) | instid1(VALU_DEP_1)
	v_add_co_u32 v30, s7, s80, v30
	v_add_co_ci_u32_e64 v31, s7, s81, v31, s7
	global_load_u16 v30, v[30:31], off
.LBB213_71:                             ;   in Loop: Header=BB213_31 Depth=1
	s_or_b32 exec_lo, exec_lo, s8
	s_and_saveexec_b32 s11, vcc_lo
	s_cbranch_execz .LBB213_78
; %bb.72:                               ;   in Loop: Header=BB213_31 Depth=1
	s_and_b32 s13, s94, 0xfe
	s_mov_b32 s12, 0
	s_branch .LBB213_74
.LBB213_73:                             ;   in Loop: Header=BB213_74 Depth=2
	s_or_b32 exec_lo, exec_lo, s8
	s_waitcnt vmcnt(0)
	v_cmp_lt_i16_e64 s7, -1, v30
	v_and_b32_e32 v31, 0xffff, v30
	s_and_b32 s8, exec_lo, vcc_lo
	s_delay_alu instid0(SALU_CYCLE_1) | instskip(NEXT) | instid1(VALU_DEP_2)
	s_or_b32 s12, s8, s12
	v_cndmask_b32_e64 v32, 0xffff, v47, s7
	v_cmp_o_f16_e64 s7, v30, v30
	s_delay_alu instid0(VALU_DEP_2) | instskip(NEXT) | instid1(VALU_DEP_1)
	v_xor_b32_e32 v31, v32, v31
	v_cndmask_b32_e64 v30, 0xffff, v31, s7
	s_delay_alu instid0(VALU_DEP_1) | instskip(SKIP_1) | instid1(VALU_DEP_2)
	v_and_b32_e32 v31, v30, v48
	v_bfe_u32 v30, v30, s13, 2
	v_cmp_eq_u32_e32 vcc_lo, v31, v49
	s_delay_alu instid0(VALU_DEP_2) | instskip(SKIP_3) | instid1(VALU_DEP_4)
	v_cmp_eq_u32_e64 s7, 0, v30
	v_cmp_eq_u32_e64 s8, 1, v30
	;; [unrolled: 1-line block ×4, first 2 shown]
	s_and_b32 s7, vcc_lo, s7
	s_delay_alu instid0(SALU_CYCLE_1) | instskip(SKIP_1) | instid1(SALU_CYCLE_1)
	v_cndmask_b32_e64 v30, 0, 1, s7
	s_and_b32 s7, vcc_lo, s8
	v_cndmask_b32_e64 v31, 0, 1, s7
	s_and_b32 s7, vcc_lo, s9
	s_delay_alu instid0(SALU_CYCLE_1)
	v_cndmask_b32_e64 v32, 0, 1, s7
	s_and_b32 s7, vcc_lo, s10
	v_cmp_ne_u32_e32 vcc_lo, 0, v30
	v_mov_b32_e32 v30, v12
	v_cndmask_b32_e64 v33, 0, 1, s7
	v_cmp_ne_u32_e64 s7, 0, v31
	v_cmp_ne_u32_e64 s8, 0, v32
	s_bcnt1_i32_b32 s10, vcc_lo
	s_delay_alu instid0(SALU_CYCLE_1) | instskip(NEXT) | instid1(VALU_DEP_3)
	v_add_co_u32 v2, vcc_lo, v2, s10
	s_bcnt1_i32_b32 s7, s7
	v_cmp_ne_u32_e64 s9, 0, v33
	v_add_co_ci_u32_e32 v3, vcc_lo, 0, v3, vcc_lo
	v_add_co_u32 v4, vcc_lo, v4, s7
	s_bcnt1_i32_b32 s8, s8
	v_add_co_ci_u32_e32 v5, vcc_lo, 0, v5, vcc_lo
	v_add_co_u32 v6, vcc_lo, v6, s8
	s_bcnt1_i32_b32 s7, s9
	v_add_co_ci_u32_e32 v7, vcc_lo, 0, v7, vcc_lo
	v_add_co_u32 v8, vcc_lo, v8, s7
	v_add_co_ci_u32_e32 v9, vcc_lo, 0, v9, vcc_lo
	s_and_not1_b32 exec_lo, exec_lo, s12
	s_cbranch_execz .LBB213_77
.LBB213_74:                             ;   Parent Loop BB213_31 Depth=1
                                        ; =>  This Inner Loop Header: Depth=2
	v_add_co_u32 v28, vcc_lo, v28, s26
	v_add_co_ci_u32_e32 v29, vcc_lo, 0, v29, vcc_lo
	v_mov_b32_e32 v12, 0
	s_mov_b32 s8, exec_lo
	s_delay_alu instid0(VALU_DEP_2)
	v_cmp_le_u64_e32 vcc_lo, s[36:37], v[28:29]
	v_cmpx_gt_u64_e64 s[36:37], v[28:29]
	s_cbranch_execz .LBB213_73
; %bb.75:                               ;   in Loop: Header=BB213_74 Depth=2
	v_mul_lo_u32 v12, v29, s30
	v_mul_lo_u32 v33, v28, s31
	v_mad_u64_u32 v[31:32], null, v28, s30, 0
	s_delay_alu instid0(VALU_DEP_1) | instskip(NEXT) | instid1(VALU_DEP_1)
	v_add3_u32 v32, v32, v33, v12
	v_lshlrev_b64 v[31:32], 1, v[31:32]
	s_delay_alu instid0(VALU_DEP_1) | instskip(NEXT) | instid1(VALU_DEP_1)
	v_add_co_u32 v31, s7, s80, v31
	v_add_co_ci_u32_e64 v32, s7, s81, v32, s7
	global_load_u16 v12, v[31:32], off
	s_branch .LBB213_73
.LBB213_76:                             ;   in Loop: Header=BB213_31 Depth=1
                                        ; implicit-def: $vgpr8_vgpr9
                                        ; implicit-def: $vgpr4_vgpr5
	s_cbranch_execnz .LBB213_79
	s_branch .LBB213_88
.LBB213_77:                             ;   in Loop: Header=BB213_31 Depth=1
	s_or_b32 exec_lo, exec_lo, s12
.LBB213_78:                             ;   in Loop: Header=BB213_31 Depth=1
	s_delay_alu instid0(SALU_CYCLE_1)
	s_or_b32 exec_lo, exec_lo, s11
	s_branch .LBB213_88
.LBB213_79:                             ;   in Loop: Header=BB213_31 Depth=1
	global_load_u16 v8, v13, s[62:63]
	s_mov_b64 s[72:73], 0
	s_mov_b32 s47, exec_lo
	s_waitcnt vmcnt(0)
	v_readfirstlane_b32 s7, v8
	v_and_b32_e32 v30, 0xffff, v8
	s_delay_alu instid0(VALU_DEP_2) | instskip(NEXT) | instid1(SALU_CYCLE_1)
	s_and_b32 s7, 0xffff, s7
	s_lshl_b32 s46, s7, 2
	s_delay_alu instid0(SALU_CYCLE_1) | instskip(SKIP_1) | instid1(VALU_DEP_1)
	v_cvt_f32_u32_e32 v2, s46
	s_sub_i32 s8, 0, s46
	v_rcp_iflag_f32_e32 v2, v2
	s_waitcnt_depctr 0xfff
	v_mul_f32_e32 v2, 0x4f7ffffe, v2
	s_delay_alu instid0(VALU_DEP_1) | instskip(NEXT) | instid1(VALU_DEP_1)
	v_cvt_u32_f32_e32 v2, v2
	v_readfirstlane_b32 s7, v2
	v_mov_b32_e32 v2, 0
	v_mov_b32_e32 v3, 0
	s_delay_alu instid0(VALU_DEP_3) | instskip(NEXT) | instid1(VALU_DEP_1)
	s_mul_i32 s8, s8, s7
	v_dual_mov_b32 v5, v3 :: v_dual_mov_b32 v4, v2
	s_mul_hi_u32 s8, s7, s8
	v_dual_mov_b32 v7, v3 :: v_dual_mov_b32 v6, v2
	s_add_i32 s7, s7, s8
	v_dual_mov_b32 v9, v3 :: v_dual_mov_b32 v8, v2
	s_mul_hi_u32 s7, s70, s7
	s_delay_alu instid0(SALU_CYCLE_1) | instskip(NEXT) | instid1(SALU_CYCLE_1)
	s_mul_i32 s7, s7, s46
	s_sub_i32 s7, s70, s7
	s_delay_alu instid0(SALU_CYCLE_1) | instskip(SKIP_2) | instid1(SALU_CYCLE_1)
	s_sub_i32 s8, s7, s46
	s_cmp_ge_u32 s7, s46
	s_cselect_b32 s7, s8, s7
	s_sub_i32 s8, s7, s46
	s_cmp_ge_u32 s7, s46
	s_cselect_b32 s7, s8, s7
	s_delay_alu instid0(SALU_CYCLE_1) | instskip(NEXT) | instid1(SALU_CYCLE_1)
	s_sub_i32 s60, s70, s7
	v_cmpx_gt_u32_e64 s60, v14
	s_cbranch_execz .LBB213_83
; %bb.80:                               ;   in Loop: Header=BB213_31 Depth=1
	v_dual_mov_b32 v31, v45 :: v_dual_lshlrev_b32 v12, 3, v30
	v_dual_mov_b32 v29, v15 :: v_dual_mov_b32 v28, v14
	s_and_b32 s58, s94, 0xfe
	s_mov_b32 s59, 0
	s_mov_b64 s[74:75], 0
	s_mov_b64 s[76:77], 0
	;; [unrolled: 1-line block ×3, first 2 shown]
.LBB213_81:                             ;   Parent Loop BB213_31 Depth=1
                                        ; =>  This Inner Loop Header: Depth=2
	ds_load_b64 v[2:3], v31
	v_add_co_u32 v28, vcc_lo, v28, s46
	v_add_co_ci_u32_e32 v29, vcc_lo, 0, v29, vcc_lo
	s_delay_alu instid0(VALU_DEP_1)
	v_cmp_le_u64_e32 vcc_lo, s[60:61], v[28:29]
	s_waitcnt lgkmcnt(0)
	v_lshrrev_b32_e32 v4, 16, v2
	v_cmp_lt_i16_e64 s7, -1, v2
	v_cmp_lt_i16_e64 s8, -1, v3
	v_lshrrev_b32_e32 v7, 16, v3
	v_and_b32_e32 v5, 0xffff, v2
	v_cmp_o_f16_e64 s10, v2, v2
	v_cndmask_b32_e64 v2, 0xffff, v47, s7
	v_cmp_lt_i16_e64 s7, -1, v4
	v_and_b32_e32 v6, 0xffff, v3
	v_cmp_o_f16_e64 s9, v3, v3
	v_cndmask_b32_e64 v3, 0xffff, v47, s8
	v_cmp_lt_i16_e64 s8, -1, v7
	v_xor_b32_e32 v2, v2, v5
	v_cndmask_b32_e64 v5, 0xffff, v47, s7
	v_cmp_o_f16_e64 s12, v4, v4
	v_xor_b32_e32 v3, v3, v6
	v_cndmask_b32_e64 v6, 0xffff, v47, s8
	v_cndmask_b32_e64 v2, 0xffff, v2, s10
	v_xor_b32_e32 v4, v5, v4
	v_cmp_o_f16_e64 s11, v7, v7
	v_cndmask_b32_e64 v3, 0xffff, v3, s9
	v_xor_b32_e32 v5, v6, v7
	v_and_b32_e32 v6, v2, v48
	v_cndmask_b32_e64 v4, 0xffff, v4, s12
	v_bfe_u32 v2, v2, s58, 2
	v_and_b32_e32 v7, v3, v48
	v_cndmask_b32_e64 v5, 0xffff, v5, s11
	v_cmp_eq_u32_e64 s7, v6, v49
	v_and_b32_e32 v6, v4, v48
	v_bfe_u32 v4, v4, s58, 2
	v_bfe_u32 v3, v3, s58, 2
	v_cmp_eq_u32_e64 s8, v7, v49
	v_and_b32_e32 v7, v5, v48
	v_bfe_u32 v5, v5, s58, 2
	v_cmp_eq_u32_e64 s9, 0, v2
	v_cmp_eq_u32_e64 s17, v6, v49
	;; [unrolled: 1-line block ×6, first 2 shown]
	s_and_b32 s25, s7, s9
	s_and_b32 s19, s17, s19
	v_cmp_eq_u32_e64 s11, 1, v2
	v_cmp_eq_u32_e64 s13, 2, v2
	v_cmp_eq_u32_e64 s15, 3, v2
	s_and_b32 s26, s8, s10
	v_cmp_eq_u32_e64 s9, 1, v4
	v_cmp_eq_u32_e64 s21, 2, v4
	v_cmp_eq_u32_e64 s23, 3, v4
	v_cndmask_b32_e64 v2, 0, 1, s25
	v_cndmask_b32_e64 v4, 0, 1, s19
	v_cmp_eq_u32_e64 s12, 1, v3
	v_cmp_eq_u32_e64 s14, 2, v3
	;; [unrolled: 1-line block ×3, first 2 shown]
	v_cndmask_b32_e64 v3, 0, 1, s26
	s_and_b32 s20, s18, s20
	v_cmp_eq_u32_e64 s10, 1, v5
	v_cmp_eq_u32_e64 s22, 2, v5
	;; [unrolled: 1-line block ×3, first 2 shown]
	v_cndmask_b32_e64 v5, 0, 1, s20
	v_cmp_ne_u32_e64 s19, 0, v2
	v_cmp_ne_u32_e64 s25, 0, v4
	v_cmp_ne_u32_e64 s20, 0, v3
	s_delay_alu instid0(VALU_DEP_4) | instskip(NEXT) | instid1(VALU_DEP_4)
	v_cmp_ne_u32_e64 s26, 0, v5
	s_bcnt1_i32_b32 s19, s19
	s_delay_alu instid0(VALU_DEP_3) | instskip(NEXT) | instid1(VALU_DEP_2)
	s_bcnt1_i32_b32 s25, s25
	s_bcnt1_i32_b32 s20, s20
	s_add_i32 s19, s25, s19
	s_bcnt1_i32_b32 s26, s26
	s_add_i32 s19, s19, s20
	s_delay_alu instid0(SALU_CYCLE_1) | instskip(NEXT) | instid1(SALU_CYCLE_1)
	s_add_i32 s19, s19, s26
	s_add_u32 s78, s78, s19
	s_addc_u32 s79, s79, 0
	s_and_b32 s11, s7, s11
	s_and_b32 s9, s17, s9
	;; [unrolled: 1-line block ×3, first 2 shown]
	v_cndmask_b32_e64 v2, 0, 1, s11
	v_cndmask_b32_e64 v3, 0, 1, s9
	s_and_b32 s10, s18, s10
	v_cndmask_b32_e64 v4, 0, 1, s12
	v_cndmask_b32_e64 v5, 0, 1, s10
	v_cmp_ne_u32_e64 s9, 0, v2
	v_cmp_ne_u32_e64 s10, 0, v3
	v_add_nc_u32_e32 v31, v31, v12
	v_cmp_ne_u32_e64 s11, 0, v4
	v_cmp_ne_u32_e64 s12, 0, v5
	s_bcnt1_i32_b32 s9, s9
	s_bcnt1_i32_b32 s10, s10
	s_delay_alu instid0(VALU_DEP_2) | instskip(SKIP_3) | instid1(SALU_CYCLE_1)
	s_bcnt1_i32_b32 s11, s11
	s_add_i32 s9, s10, s9
	s_bcnt1_i32_b32 s12, s12
	s_add_i32 s9, s9, s11
	s_add_i32 s9, s9, s12
	s_delay_alu instid0(SALU_CYCLE_1)
	s_add_u32 s76, s76, s9
	s_addc_u32 s77, s77, 0
	s_and_b32 s9, s7, s13
	s_and_b32 s10, s17, s21
	;; [unrolled: 1-line block ×3, first 2 shown]
	v_cndmask_b32_e64 v2, 0, 1, s9
	v_cndmask_b32_e64 v3, 0, 1, s10
	s_and_b32 s12, s18, s22
	v_cndmask_b32_e64 v4, 0, 1, s11
	v_cndmask_b32_e64 v5, 0, 1, s12
	v_cmp_ne_u32_e64 s9, 0, v2
	v_cmp_ne_u32_e64 s10, 0, v3
	s_delay_alu instid0(VALU_DEP_4) | instskip(NEXT) | instid1(VALU_DEP_4)
	v_cmp_ne_u32_e64 s11, 0, v4
	v_cmp_ne_u32_e64 s12, 0, v5
	s_delay_alu instid0(VALU_DEP_4) | instskip(NEXT) | instid1(VALU_DEP_3)
	s_bcnt1_i32_b32 s9, s9
	s_bcnt1_i32_b32 s10, s10
	s_delay_alu instid0(VALU_DEP_2) | instskip(SKIP_3) | instid1(SALU_CYCLE_1)
	s_bcnt1_i32_b32 s11, s11
	s_add_i32 s9, s10, s9
	s_bcnt1_i32_b32 s12, s12
	s_add_i32 s9, s9, s11
	s_add_i32 s9, s9, s12
	s_delay_alu instid0(SALU_CYCLE_1)
	s_add_u32 s74, s74, s9
	s_addc_u32 s75, s75, 0
	s_and_b32 s7, s7, s15
	s_and_b32 s9, s17, s23
	;; [unrolled: 1-line block ×3, first 2 shown]
	v_cndmask_b32_e64 v2, 0, 1, s7
	v_cndmask_b32_e64 v3, 0, 1, s9
	s_and_b32 s10, s18, s24
	v_cndmask_b32_e64 v4, 0, 1, s8
	v_cndmask_b32_e64 v5, 0, 1, s10
	v_cmp_ne_u32_e64 s7, 0, v2
	v_cmp_ne_u32_e64 s8, 0, v3
	v_mov_b32_e32 v2, s78
	v_cmp_ne_u32_e64 s9, 0, v4
	v_cmp_ne_u32_e64 s10, 0, v5
	s_bcnt1_i32_b32 s7, s7
	s_bcnt1_i32_b32 s8, s8
	v_mov_b32_e32 v4, s76
	s_bcnt1_i32_b32 s9, s9
	s_add_i32 s7, s8, s7
	s_bcnt1_i32_b32 s8, s10
	s_add_i32 s7, s7, s9
	v_mov_b32_e32 v6, s74
	s_add_i32 s7, s7, s8
	v_mov_b32_e32 v3, s79
	s_add_u32 s72, s72, s7
	s_addc_u32 s73, s73, 0
	v_dual_mov_b32 v8, s72 :: v_dual_mov_b32 v5, s77
	v_mov_b32_e32 v7, s75
	v_mov_b32_e32 v9, s73
	s_or_b32 s59, vcc_lo, s59
	s_delay_alu instid0(SALU_CYCLE_1)
	s_and_not1_b32 exec_lo, exec_lo, s59
	s_cbranch_execnz .LBB213_81
; %bb.82:                               ;   in Loop: Header=BB213_31 Depth=1
	s_or_b32 exec_lo, exec_lo, s59
.LBB213_83:                             ;   in Loop: Header=BB213_31 Depth=1
	s_delay_alu instid0(SALU_CYCLE_1) | instskip(SKIP_2) | instid1(VALU_DEP_1)
	s_or_b32 exec_lo, exec_lo, s47
	v_add_nc_u32_e32 v12, s60, v0
	s_mov_b32 s14, exec_lo
	v_cmpx_gt_u32_e64 s70, v12
	s_cbranch_execz .LBB213_87
; %bb.84:                               ;   in Loop: Header=BB213_31 Depth=1
	v_dual_mov_b32 v29, v13 :: v_dual_lshlrev_b32 v32, 1, v30
	v_dual_mov_b32 v28, v12 :: v_dual_lshlrev_b32 v31, 1, v12
	s_mov_b32 s13, 0
	s_and_b32 s12, s70, 0x7fffffff
	s_and_b32 s16, s94, 0xfe
	s_mov_b32 s15, s13
.LBB213_85:                             ;   Parent Loop BB213_31 Depth=1
                                        ; =>  This Inner Loop Header: Depth=2
	ds_load_u16 v12, v31
	v_add_co_u32 v28, vcc_lo, v28, v30
	v_add_co_ci_u32_e32 v29, vcc_lo, 0, v29, vcc_lo
	v_add_nc_u32_e32 v31, v31, v32
	s_delay_alu instid0(VALU_DEP_2) | instskip(SKIP_3) | instid1(VALU_DEP_2)
	v_cmp_le_u64_e32 vcc_lo, s[12:13], v[28:29]
	s_waitcnt lgkmcnt(0)
	v_cmp_lt_i16_e64 s7, -1, v12
	v_and_b32_e32 v33, 0xffff, v12
	v_cndmask_b32_e64 v34, 0xffff, v47, s7
	v_cmp_o_f16_e64 s7, v12, v12
	s_delay_alu instid0(VALU_DEP_2) | instskip(NEXT) | instid1(VALU_DEP_1)
	v_xor_b32_e32 v33, v34, v33
	v_cndmask_b32_e64 v12, 0xffff, v33, s7
	s_delay_alu instid0(VALU_DEP_1) | instskip(SKIP_1) | instid1(VALU_DEP_2)
	v_and_b32_e32 v33, v12, v48
	v_bfe_u32 v12, v12, s16, 2
	v_cmp_eq_u32_e64 s7, v33, v49
	s_delay_alu instid0(VALU_DEP_2) | instskip(SKIP_3) | instid1(VALU_DEP_4)
	v_cmp_eq_u32_e64 s8, 0, v12
	v_cmp_eq_u32_e64 s9, 1, v12
	;; [unrolled: 1-line block ×4, first 2 shown]
	s_and_b32 s8, s7, s8
	s_delay_alu instid0(SALU_CYCLE_1) | instskip(SKIP_1) | instid1(SALU_CYCLE_1)
	v_cndmask_b32_e64 v12, 0, 1, s8
	s_and_b32 s8, s7, s9
	v_cndmask_b32_e64 v33, 0, 1, s8
	s_and_b32 s8, s7, s10
	s_and_b32 s7, s7, s11
	v_cndmask_b32_e64 v34, 0, 1, s8
	v_cndmask_b32_e64 v35, 0, 1, s7
	v_cmp_ne_u32_e64 s7, 0, v12
	v_cmp_ne_u32_e64 s8, 0, v33
	s_delay_alu instid0(VALU_DEP_4) | instskip(NEXT) | instid1(VALU_DEP_4)
	v_cmp_ne_u32_e64 s9, 0, v34
	v_cmp_ne_u32_e64 s10, 0, v35
	s_delay_alu instid0(VALU_DEP_4) | instskip(NEXT) | instid1(VALU_DEP_3)
	s_bcnt1_i32_b32 s7, s7
	s_bcnt1_i32_b32 s8, s8
	v_add_co_u32 v2, s7, v2, s7
	s_delay_alu instid0(VALU_DEP_1)
	v_add_co_ci_u32_e64 v3, s7, 0, v3, s7
	v_add_co_u32 v4, s7, v4, s8
	s_bcnt1_i32_b32 s9, s9
	v_add_co_ci_u32_e64 v5, s7, 0, v5, s7
	v_add_co_u32 v6, s7, v6, s9
	s_bcnt1_i32_b32 s10, s10
	v_add_co_ci_u32_e64 v7, s7, 0, v7, s7
	v_add_co_u32 v8, s7, v8, s10
	s_delay_alu instid0(VALU_DEP_1) | instskip(SKIP_1) | instid1(SALU_CYCLE_1)
	v_add_co_ci_u32_e64 v9, s7, 0, v9, s7
	s_or_b32 s15, vcc_lo, s15
	s_and_not1_b32 exec_lo, exec_lo, s15
	s_cbranch_execnz .LBB213_85
; %bb.86:                               ;   in Loop: Header=BB213_31 Depth=1
	s_or_b32 exec_lo, exec_lo, s15
.LBB213_87:                             ;   in Loop: Header=BB213_31 Depth=1
	s_delay_alu instid0(SALU_CYCLE_1)
	s_or_b32 exec_lo, exec_lo, s14
.LBB213_88:                             ;   in Loop: Header=BB213_31 Depth=1
	s_lshl_b32 s7, s98, 7
	s_and_saveexec_b32 s8, s2
	s_cbranch_execz .LBB213_90
; %bb.89:                               ;   in Loop: Header=BB213_31 Depth=1
	v_or_b32_e32 v12, s7, v42
	s_delay_alu instid0(VALU_DEP_1)
	v_lshlrev_b32_e32 v12, 3, v12
	ds_store_b128 v12, v[2:5] offset:3072
	ds_store_b128 v12, v[6:9] offset:3088
.LBB213_90:                             ;   in Loop: Header=BB213_31 Depth=1
	s_or_b32 exec_lo, exec_lo, s8
	s_waitcnt vmcnt(0) lgkmcnt(0)
	s_barrier
	buffer_gl0_inv
	s_and_saveexec_b32 s8, s83
	s_cbranch_execz .LBB213_101
; %bb.91:                               ;   in Loop: Header=BB213_31 Depth=1
	v_mov_b32_e32 v2, 0
	v_mov_b32_e32 v3, 0
	s_and_not1_b32 vcc_lo, exec_lo, s91
	s_cbranch_vccnz .LBB213_100
; %bb.92:                               ;   in Loop: Header=BB213_31 Depth=1
	v_mov_b32_e32 v2, 0
	v_mov_b32_e32 v3, 0
	s_and_not1_b32 vcc_lo, exec_lo, s89
	s_cbranch_vccnz .LBB213_97
; %bb.93:                               ;   in Loop: Header=BB213_31 Depth=1
	v_lshl_add_u32 v4, s98, 10, v46
	s_mov_b32 s9, 0
	s_set_inst_prefetch_distance 0x1
	.p2align	6
.LBB213_94:                             ;   Parent Loop BB213_31 Depth=1
                                        ; =>  This Inner Loop Header: Depth=2
	ds_load_2addr_b64 v[5:8], v4 offset1:4
	ds_load_2addr_b64 v[28:31], v4 offset0:8 offset1:12
	ds_load_2addr_b64 v[32:35], v4 offset0:16 offset1:20
	s_add_i32 s9, s9, 8
	s_delay_alu instid0(SALU_CYCLE_1) | instskip(SKIP_3) | instid1(VALU_DEP_2)
	s_cmp_eq_u32 s90, s9
	s_waitcnt lgkmcnt(2)
	v_add_co_u32 v2, vcc_lo, v5, v2
	v_add_co_ci_u32_e32 v3, vcc_lo, v6, v3, vcc_lo
	v_add_co_u32 v2, vcc_lo, v7, v2
	s_delay_alu instid0(VALU_DEP_2)
	v_add_co_ci_u32_e32 v3, vcc_lo, v8, v3, vcc_lo
	ds_load_2addr_b64 v[5:8], v4 offset0:24 offset1:28
	s_waitcnt lgkmcnt(2)
	v_add_co_u32 v2, vcc_lo, v28, v2
	v_add_co_ci_u32_e32 v3, vcc_lo, v29, v3, vcc_lo
	v_add_nc_u32_e32 v4, 0x100, v4
	s_delay_alu instid0(VALU_DEP_3) | instskip(NEXT) | instid1(VALU_DEP_3)
	v_add_co_u32 v2, vcc_lo, v30, v2
	v_add_co_ci_u32_e32 v3, vcc_lo, v31, v3, vcc_lo
	s_waitcnt lgkmcnt(1)
	s_delay_alu instid0(VALU_DEP_2) | instskip(NEXT) | instid1(VALU_DEP_2)
	v_add_co_u32 v2, vcc_lo, v32, v2
	v_add_co_ci_u32_e32 v3, vcc_lo, v33, v3, vcc_lo
	s_delay_alu instid0(VALU_DEP_2) | instskip(NEXT) | instid1(VALU_DEP_2)
	v_add_co_u32 v2, vcc_lo, v34, v2
	v_add_co_ci_u32_e32 v3, vcc_lo, v35, v3, vcc_lo
	s_waitcnt lgkmcnt(0)
	s_delay_alu instid0(VALU_DEP_2) | instskip(NEXT) | instid1(VALU_DEP_2)
	v_add_co_u32 v2, vcc_lo, v5, v2
	v_add_co_ci_u32_e32 v3, vcc_lo, v6, v3, vcc_lo
	s_delay_alu instid0(VALU_DEP_2) | instskip(NEXT) | instid1(VALU_DEP_2)
	v_add_co_u32 v2, vcc_lo, v7, v2
	v_add_co_ci_u32_e32 v3, vcc_lo, v8, v3, vcc_lo
	s_cbranch_scc0 .LBB213_94
; %bb.95:                               ;   in Loop: Header=BB213_31 Depth=1
	s_set_inst_prefetch_distance 0x2
	s_mov_b32 s9, s90
	s_and_not1_b32 vcc_lo, exec_lo, s92
	s_cbranch_vccz .LBB213_98
	s_branch .LBB213_100
.LBB213_96:                             ;   in Loop: Header=BB213_31 Depth=1
                                        ; implicit-def: $vgpr2_vgpr3
	s_branch .LBB213_64
.LBB213_97:                             ;   in Loop: Header=BB213_31 Depth=1
	s_mov_b32 s9, 0
	s_and_not1_b32 vcc_lo, exec_lo, s92
	s_cbranch_vccnz .LBB213_100
.LBB213_98:                             ;   in Loop: Header=BB213_31 Depth=1
	s_lshl_b32 s10, s98, 10
	s_lshl_b32 s9, s9, 5
	s_delay_alu instid0(SALU_CYCLE_1)
	v_add3_u32 v4, s10, s9, v46
	v_readlane_b32 s9, v51, 6
.LBB213_99:                             ;   Parent Loop BB213_31 Depth=1
                                        ; =>  This Inner Loop Header: Depth=2
	ds_load_b64 v[5:6], v4
	v_add_nc_u32_e32 v4, 32, v4
	s_add_i32 s9, s9, -1
	s_delay_alu instid0(SALU_CYCLE_1)
	s_cmp_lg_u32 s9, 0
	s_waitcnt lgkmcnt(0)
	v_add_co_u32 v2, vcc_lo, v5, v2
	v_add_co_ci_u32_e32 v3, vcc_lo, v6, v3, vcc_lo
	s_cbranch_scc1 .LBB213_99
.LBB213_100:                            ;   in Loop: Header=BB213_31 Depth=1
	v_add_lshl_u32 v4, s7, v41, 3
	ds_store_b64 v4, v[2:3] offset:3072
.LBB213_101:                            ;   in Loop: Header=BB213_31 Depth=1
	s_or_b32 exec_lo, exec_lo, s8
	s_lshl_b32 s7, s7, 3
	s_waitcnt lgkmcnt(0)
	v_mov_b32_e32 v6, s7
	s_barrier
	buffer_gl0_inv
	s_and_b32 s22, s94, 0xfe
	v_cmp_eq_u64_e64 s7, 1, v[26:27]
	ds_load_b128 v[2:5], v6 offset:3072
	ds_load_b128 v[6:9], v6 offset:3088
	s_lshl_b32 s20, 3, s22
	s_and_not1_b32 vcc_lo, exec_lo, s82
	s_not_b32 s21, s20
	s_waitcnt lgkmcnt(1)
	v_readfirstlane_b32 s11, v3
	v_readfirstlane_b32 s10, v2
	v_readfirstlane_b32 s13, v5
	v_readfirstlane_b32 s12, v4
	s_waitcnt lgkmcnt(0)
	v_readfirstlane_b32 s15, v7
	v_readfirstlane_b32 s14, v6
	;; [unrolled: 1-line block ×4, first 2 shown]
	s_cbranch_vccnz .LBB213_117
; %bb.102:                              ;   in Loop: Header=BB213_31 Depth=1
	s_cmp_eq_u64 s[10:11], 1
	v_dual_mov_b32 v28, v49 :: v_dual_mov_b32 v29, v48
	v_mov_b32_e32 v6, v50
	s_cselect_b32 s8, -1, 0
                                        ; implicit-def: $sgpr23
                                        ; implicit-def: $sgpr70
                                        ; implicit-def: $sgpr60
	s_delay_alu instid0(SALU_CYCLE_1)
	s_and_b32 s46, s8, s7
	s_mov_b32 s8, -1
	s_and_saveexec_b32 s24, s46
	s_cbranch_execz .LBB213_136
; %bb.103:                              ;   in Loop: Header=BB213_31 Depth=1
	ds_load_b64 v[2:3], v13 offset:5120
	s_waitcnt lgkmcnt(0)
	s_barrier
	buffer_gl0_inv
	v_readfirstlane_b32 s18, v2
	v_readfirstlane_b32 s19, v3
	s_and_saveexec_b32 s8, s6
	s_cbranch_execz .LBB213_105
; %bb.104:                              ;   in Loop: Header=BB213_31 Depth=1
	ds_store_b16 v44, v13
.LBB213_105:                            ;   in Loop: Header=BB213_31 Depth=1
	s_or_b32 exec_lo, exec_lo, s8
	v_and_b32_e32 v28, s21, v49
	v_or_b32_e32 v29, s20, v48
	s_cmp_eq_u64 s[18:19], 0
	s_waitcnt lgkmcnt(0)
	s_barrier
	buffer_gl0_inv
	s_cbranch_scc1 .LBB213_119
; %bb.106:                              ;   in Loop: Header=BB213_31 Depth=1
	s_add_u32 s23, s85, s18
	s_addc_u32 s9, s86, s19
	s_mov_b32 s8, s61
	s_delay_alu instid0(SALU_CYCLE_1)
	s_cmp_lg_u64 s[8:9], 0
	s_cbranch_scc0 .LBB213_163
; %bb.107:                              ;   in Loop: Header=BB213_31 Depth=1
	v_cvt_f32_u32_e32 v2, s33
	s_sub_u32 s25, 0, s33
	s_subb_u32 s26, 0, 0
	s_delay_alu instid0(VALU_DEP_1) | instskip(NEXT) | instid1(VALU_DEP_1)
	v_fmac_f32_e64 v2, 0, 0x4f800000
	v_rcp_f32_e32 v2, v2
	s_waitcnt_depctr 0xfff
	v_mul_f32_e32 v2, 0x5f7ffffc, v2
	s_delay_alu instid0(VALU_DEP_1) | instskip(NEXT) | instid1(VALU_DEP_1)
	v_mul_f32_e32 v3, 0x2f800000, v2
	v_trunc_f32_e32 v3, v3
	s_delay_alu instid0(VALU_DEP_1) | instskip(SKIP_1) | instid1(VALU_DEP_2)
	v_fmac_f32_e32 v2, 0xcf800000, v3
	v_cvt_u32_f32_e32 v3, v3
	v_cvt_u32_f32_e32 v2, v2
	s_delay_alu instid0(VALU_DEP_2) | instskip(NEXT) | instid1(VALU_DEP_2)
	v_readfirstlane_b32 s3, v3
	v_readfirstlane_b32 s8, v2
	s_delay_alu instid0(VALU_DEP_2) | instskip(NEXT) | instid1(VALU_DEP_1)
	s_mul_i32 s42, s25, s3
	s_mul_hi_u32 s47, s25, s8
	s_mul_i32 s43, s26, s8
	s_add_i32 s42, s47, s42
	s_mul_i32 s50, s25, s8
	s_add_i32 s42, s42, s43
	s_mul_hi_u32 s47, s8, s50
	s_mul_hi_u32 s51, s3, s50
	s_mul_i32 s43, s3, s50
	s_mul_hi_u32 s50, s8, s42
	s_mul_i32 s8, s8, s42
	s_mul_hi_u32 s56, s3, s42
	s_add_u32 s8, s47, s8
	s_addc_u32 s47, 0, s50
	s_add_u32 s8, s8, s43
	s_mul_i32 s42, s3, s42
	s_addc_u32 s8, s47, s51
	s_addc_u32 s43, s56, 0
	s_add_u32 s8, s8, s42
	s_addc_u32 s42, 0, s43
	v_add_co_u32 v2, s8, v2, s8
	s_delay_alu instid0(VALU_DEP_1) | instskip(SKIP_1) | instid1(VALU_DEP_1)
	s_cmp_lg_u32 s8, 0
	s_addc_u32 s3, s3, s42
	v_readfirstlane_b32 s8, v2
	s_mul_i32 s42, s25, s3
	s_delay_alu instid0(VALU_DEP_1)
	s_mul_hi_u32 s43, s25, s8
	s_mul_i32 s26, s26, s8
	s_add_i32 s42, s43, s42
	s_mul_i32 s25, s25, s8
	s_add_i32 s42, s42, s26
	s_mul_hi_u32 s43, s3, s25
	s_mul_i32 s47, s3, s25
	s_mul_hi_u32 s25, s8, s25
	s_mul_hi_u32 s50, s8, s42
	s_mul_i32 s8, s8, s42
	s_mul_hi_u32 s26, s3, s42
	s_add_u32 s8, s25, s8
	s_addc_u32 s25, 0, s50
	s_add_u32 s8, s8, s47
	s_mul_i32 s42, s3, s42
	s_addc_u32 s8, s25, s43
	s_addc_u32 s25, s26, 0
	s_add_u32 s8, s8, s42
	s_addc_u32 s25, 0, s25
	v_add_co_u32 v2, s8, v2, s8
	s_delay_alu instid0(VALU_DEP_1) | instskip(SKIP_1) | instid1(VALU_DEP_1)
	s_cmp_lg_u32 s8, 0
	s_addc_u32 s3, s3, s25
	v_readfirstlane_b32 s8, v2
	s_mul_i32 s26, s23, s3
	s_mul_hi_u32 s25, s23, s3
	s_mul_hi_u32 s42, s9, s3
	s_mul_i32 s3, s9, s3
	s_mul_hi_u32 s43, s23, s8
	s_mul_hi_u32 s47, s9, s8
	s_mul_i32 s8, s9, s8
	s_add_u32 s26, s43, s26
	s_addc_u32 s25, 0, s25
	s_add_u32 s8, s26, s8
	s_addc_u32 s8, s25, s47
	s_addc_u32 s25, s42, 0
	s_add_u32 s3, s8, s3
	s_addc_u32 s8, 0, s25
	s_mul_hi_u32 s25, s33, s3
	s_mul_i32 s3, s33, s3
	s_mul_i32 s8, s33, s8
	v_sub_co_u32 v2, s3, s23, s3
	s_add_i32 s25, s25, s8
	s_cmp_lg_u32 s3, 0
	s_delay_alu instid0(VALU_DEP_1) | instskip(SKIP_2) | instid1(VALU_DEP_1)
	v_sub_co_u32 v3, s3, v2, s33
	s_subb_u32 s25, s9, s25
	s_cmp_lg_u32 s3, 0
	v_cmp_le_u32_e32 vcc_lo, s33, v3
	v_sub_co_u32 v4, s3, v3, s33
	s_subb_u32 s26, s25, 0
	s_cmp_lg_u32 s3, 0
	v_cndmask_b32_e64 v5, 0, -1, vcc_lo
	s_subb_u32 s3, s26, 0
	s_cmp_eq_u32 s26, 0
	v_mov_b32_e32 v7, s3
	s_cselect_b32 vcc_lo, -1, 0
	s_cmp_eq_u32 s25, 0
	v_cndmask_b32_e32 v5, -1, v5, vcc_lo
	v_cmp_le_u32_e32 vcc_lo, s33, v2
	s_cselect_b32 s8, -1, 0
	v_cndmask_b32_e64 v6, 0, -1, vcc_lo
	s_delay_alu instid0(VALU_DEP_3) | instskip(NEXT) | instid1(VALU_DEP_2)
	v_cmp_ne_u32_e32 vcc_lo, 0, v5
	v_cndmask_b32_e64 v5, -1, v6, s8
	v_cndmask_b32_e32 v6, s26, v7, vcc_lo
	v_cndmask_b32_e32 v4, v3, v4, vcc_lo
	s_delay_alu instid0(VALU_DEP_3) | instskip(NEXT) | instid1(VALU_DEP_3)
	v_cmp_ne_u32_e32 vcc_lo, 0, v5
	v_cndmask_b32_e32 v3, s25, v6, vcc_lo
	s_delay_alu instid0(VALU_DEP_3)
	v_cndmask_b32_e32 v2, v2, v4, vcc_lo
	s_cbranch_execnz .LBB213_109
.LBB213_108:                            ;   in Loop: Header=BB213_31 Depth=1
	v_cvt_f32_u32_e32 v2, s33
	s_sub_i32 s3, 0, s33
	s_delay_alu instid0(VALU_DEP_1) | instskip(SKIP_2) | instid1(VALU_DEP_1)
	v_rcp_iflag_f32_e32 v2, v2
	s_waitcnt_depctr 0xfff
	v_mul_f32_e32 v2, 0x4f7ffffe, v2
	v_cvt_u32_f32_e32 v2, v2
	s_delay_alu instid0(VALU_DEP_1) | instskip(NEXT) | instid1(VALU_DEP_1)
	v_mul_lo_u32 v3, s3, v2
	v_mul_hi_u32 v3, v2, v3
	s_delay_alu instid0(VALU_DEP_1) | instskip(NEXT) | instid1(VALU_DEP_1)
	v_add_nc_u32_e32 v2, v2, v3
	v_mul_hi_u32 v2, s23, v2
	s_delay_alu instid0(VALU_DEP_1) | instskip(NEXT) | instid1(VALU_DEP_1)
	v_mul_lo_u32 v2, v2, s33
	v_sub_nc_u32_e32 v2, s23, v2
	s_delay_alu instid0(VALU_DEP_1) | instskip(SKIP_1) | instid1(VALU_DEP_2)
	v_subrev_nc_u32_e32 v3, s33, v2
	v_cmp_le_u32_e32 vcc_lo, s33, v2
	v_cndmask_b32_e32 v2, v2, v3, vcc_lo
	s_delay_alu instid0(VALU_DEP_1) | instskip(SKIP_1) | instid1(VALU_DEP_2)
	v_subrev_nc_u32_e32 v3, s33, v2
	v_cmp_le_u32_e32 vcc_lo, s33, v2
	v_cndmask_b32_e32 v12, v2, v3, vcc_lo
	s_delay_alu instid0(VALU_DEP_1)
	v_dual_mov_b32 v2, v12 :: v_dual_mov_b32 v3, v13
.LBB213_109:                            ;   in Loop: Header=BB213_31 Depth=1
	s_delay_alu instid0(VALU_DEP_1) | instskip(NEXT) | instid1(VALU_DEP_2)
	v_sub_co_u32 v2, vcc_lo, s23, v2
	v_sub_co_ci_u32_e32 v3, vcc_lo, s9, v3, vcc_lo
	s_mov_b32 s8, 0
	s_mov_b32 s9, exec_lo
                                        ; implicit-def: $vgpr6
	s_delay_alu instid0(VALU_DEP_1)
	v_cmpx_gt_u64_e64 v[2:3], v[0:1]
	s_cbranch_execz .LBB213_121
; %bb.110:                              ;   in Loop: Header=BB213_31 Depth=1
	v_dual_mov_b32 v6, v43 :: v_dual_mov_b32 v5, v1
	v_mov_b32_e32 v4, v0
	s_mov_b32 s23, 0
                                        ; implicit-def: $sgpr25
	s_set_inst_prefetch_distance 0x1
	s_branch .LBB213_112
	.p2align	6
.LBB213_111:                            ;   in Loop: Header=BB213_112 Depth=2
	s_or_b32 exec_lo, exec_lo, s8
	s_waitcnt lgkmcnt(0)
	s_barrier
	buffer_gl0_inv
	ds_load_b32 v7, v13 offset:3072
	v_add_co_u32 v4, vcc_lo, v4, s33
	v_add_co_ci_u32_e32 v5, vcc_lo, 0, v5, vcc_lo
	v_add_nc_u32_e32 v6, s93, v6
	s_waitcnt lgkmcnt(0)
	s_barrier
	s_delay_alu instid0(VALU_DEP_2) | instskip(SKIP_2) | instid1(VALU_DEP_1)
	v_cmp_ge_u64_e32 vcc_lo, v[4:5], v[2:3]
	buffer_gl0_inv
	v_cmp_neq_f16_e64 s8, 0, v7
	s_or_b32 s3, vcc_lo, s8
	s_delay_alu instid0(SALU_CYCLE_1) | instskip(NEXT) | instid1(SALU_CYCLE_1)
	s_and_b32 s3, exec_lo, s3
	s_or_b32 s23, s3, s23
	s_and_not1_b32 s3, s25, exec_lo
	s_and_b32 s8, s8, exec_lo
	s_delay_alu instid0(SALU_CYCLE_1)
	s_or_b32 s25, s3, s8
	s_and_not1_b32 exec_lo, exec_lo, s23
	s_cbranch_execz .LBB213_120
.LBB213_112:                            ;   Parent Loop BB213_31 Depth=1
                                        ; =>  This Inner Loop Header: Depth=2
	s_delay_alu instid0(VALU_DEP_1)
	v_cmp_gt_u64_e32 vcc_lo, s[18:19], v[4:5]
	v_mov_b32_e32 v7, 0
	s_and_saveexec_b32 s8, vcc_lo
	s_cbranch_execz .LBB213_114
; %bb.113:                              ;   in Loop: Header=BB213_112 Depth=2
	ds_load_u16 v7, v6
.LBB213_114:                            ;   in Loop: Header=BB213_112 Depth=2
	s_or_b32 exec_lo, exec_lo, s8
	s_and_saveexec_b32 s8, vcc_lo
	s_cbranch_execz .LBB213_111
; %bb.115:                              ;   in Loop: Header=BB213_112 Depth=2
	s_waitcnt lgkmcnt(0)
	v_cmp_lt_i16_e32 vcc_lo, -1, v7
	v_and_b32_e32 v8, 0xffff, v7
	v_cndmask_b32_e32 v9, 0xffff, v47, vcc_lo
	v_cmp_o_f16_e32 vcc_lo, v7, v7
	s_delay_alu instid0(VALU_DEP_2) | instskip(NEXT) | instid1(VALU_DEP_1)
	v_xor_b32_e32 v8, v9, v8
	v_cndmask_b32_e32 v8, 0xffff, v8, vcc_lo
	s_delay_alu instid0(VALU_DEP_1) | instskip(NEXT) | instid1(VALU_DEP_1)
	v_and_b32_e32 v8, v8, v29
	v_cmp_eq_u32_e32 vcc_lo, v8, v28
	s_and_b32 exec_lo, exec_lo, vcc_lo
	s_cbranch_execz .LBB213_111
; %bb.116:                              ;   in Loop: Header=BB213_112 Depth=2
	v_perm_b32 v7, v7, s96, 0x5040100
	ds_store_b32 v13, v7 offset:3072
	s_branch .LBB213_111
.LBB213_117:                            ;   in Loop: Header=BB213_31 Depth=1
	s_mov_b32 s25, 0
	s_mov_b32 s24, 0
                                        ; implicit-def: $sgpr60
                                        ; implicit-def: $sgpr70
                                        ; implicit-def: $sgpr23
                                        ; implicit-def: $vgpr7
                                        ; implicit-def: $vgpr2_vgpr3
                                        ; implicit-def: $vgpr28
                                        ; implicit-def: $vgpr29
                                        ; implicit-def: $vgpr6
	s_cbranch_execnz .LBB213_300
.LBB213_118:                            ;   in Loop: Header=BB213_31 Depth=1
	s_mov_b32 s18, s23
	s_mov_b32 s19, s23
	s_and_saveexec_b32 s7, s25
	s_cbranch_execnz .LBB213_496
	s_branch .LBB213_497
.LBB213_119:                            ;   in Loop: Header=BB213_31 Depth=1
	s_mov_b32 s23, -1
	s_mov_b32 s8, 0
                                        ; implicit-def: $sgpr60
                                        ; implicit-def: $vgpr6
	s_mov_b32 s70, s23
	s_cbranch_execnz .LBB213_122
	s_branch .LBB213_135
.LBB213_120:                            ;   in Loop: Header=BB213_31 Depth=1
	s_set_inst_prefetch_distance 0x2
	s_or_b32 exec_lo, exec_lo, s23
	v_lshrrev_b32_e32 v6, 16, v7
	s_and_b32 s8, s25, exec_lo
.LBB213_121:                            ;   in Loop: Header=BB213_31 Depth=1
	s_or_b32 exec_lo, exec_lo, s9
	s_mov_b32 s60, -1
	s_mov_b32 s23, 0
	s_delay_alu instid0(SALU_CYCLE_1)
	s_mov_b32 s70, s23
	s_branch .LBB213_135
.LBB213_122:                            ;   in Loop: Header=BB213_31 Depth=1
	s_mov_b32 s26, s61
	s_delay_alu instid0(SALU_CYCLE_1)
	s_cmp_lg_u64 s[26:27], 0
	s_cbranch_scc0 .LBB213_164
; %bb.123:                              ;   in Loop: Header=BB213_31 Depth=1
	v_cvt_f32_u32_e32 v2, s33
	s_sub_u32 s9, 0, s33
	s_subb_u32 s18, 0, 0
	s_delay_alu instid0(VALU_DEP_1) | instskip(NEXT) | instid1(VALU_DEP_1)
	v_fmac_f32_e64 v2, 0, 0x4f800000
	v_rcp_f32_e32 v2, v2
	s_waitcnt_depctr 0xfff
	v_mul_f32_e32 v2, 0x5f7ffffc, v2
	s_delay_alu instid0(VALU_DEP_1) | instskip(NEXT) | instid1(VALU_DEP_1)
	v_mul_f32_e32 v3, 0x2f800000, v2
	v_trunc_f32_e32 v3, v3
	s_delay_alu instid0(VALU_DEP_1) | instskip(SKIP_1) | instid1(VALU_DEP_2)
	v_fmac_f32_e32 v2, 0xcf800000, v3
	v_cvt_u32_f32_e32 v3, v3
	v_cvt_u32_f32_e32 v2, v2
	s_delay_alu instid0(VALU_DEP_2) | instskip(NEXT) | instid1(VALU_DEP_2)
	v_readfirstlane_b32 s3, v3
	v_readfirstlane_b32 s8, v2
	s_delay_alu instid0(VALU_DEP_2) | instskip(NEXT) | instid1(VALU_DEP_1)
	s_mul_i32 s19, s9, s3
	s_mul_hi_u32 s25, s9, s8
	s_mul_i32 s23, s18, s8
	s_add_i32 s19, s25, s19
	s_mul_i32 s26, s9, s8
	s_add_i32 s19, s19, s23
	s_mul_hi_u32 s25, s8, s26
	s_mul_hi_u32 s42, s3, s26
	s_mul_i32 s23, s3, s26
	s_mul_hi_u32 s26, s8, s19
	s_mul_i32 s8, s8, s19
	s_mul_hi_u32 s43, s3, s19
	s_add_u32 s8, s25, s8
	s_addc_u32 s25, 0, s26
	s_add_u32 s8, s8, s23
	s_mul_i32 s19, s3, s19
	s_addc_u32 s8, s25, s42
	s_addc_u32 s23, s43, 0
	s_add_u32 s8, s8, s19
	s_addc_u32 s19, 0, s23
	v_add_co_u32 v2, s8, v2, s8
	s_delay_alu instid0(VALU_DEP_1) | instskip(SKIP_1) | instid1(VALU_DEP_1)
	s_cmp_lg_u32 s8, 0
	s_addc_u32 s3, s3, s19
	v_readfirstlane_b32 s8, v2
	s_mul_i32 s19, s9, s3
	s_delay_alu instid0(VALU_DEP_1)
	s_mul_hi_u32 s23, s9, s8
	s_mul_i32 s18, s18, s8
	s_add_i32 s19, s23, s19
	s_mul_i32 s9, s9, s8
	s_add_i32 s19, s19, s18
	s_mul_hi_u32 s23, s3, s9
	s_mul_i32 s25, s3, s9
	s_mul_hi_u32 s9, s8, s9
	s_mul_hi_u32 s26, s8, s19
	s_mul_i32 s8, s8, s19
	s_mul_hi_u32 s18, s3, s19
	s_add_u32 s8, s9, s8
	s_addc_u32 s9, 0, s26
	s_add_u32 s8, s8, s25
	s_mul_i32 s19, s3, s19
	s_addc_u32 s8, s9, s23
	s_addc_u32 s9, s18, 0
	s_add_u32 s8, s8, s19
	s_addc_u32 s9, 0, s9
	v_add_co_u32 v2, s8, v2, s8
	s_delay_alu instid0(VALU_DEP_1) | instskip(SKIP_1) | instid1(VALU_DEP_1)
	s_cmp_lg_u32 s8, 0
	s_addc_u32 s3, s3, s9
	v_readfirstlane_b32 s8, v2
	s_mul_i32 s18, s87, s3
	s_mul_hi_u32 s9, s87, s3
	s_mul_hi_u32 s19, s27, s3
	s_mul_i32 s3, s27, s3
	s_mul_hi_u32 s23, s87, s8
	s_mul_hi_u32 s25, s27, s8
	s_mul_i32 s8, s27, s8
	s_add_u32 s18, s23, s18
	s_addc_u32 s9, 0, s9
	s_add_u32 s8, s18, s8
	s_addc_u32 s8, s9, s25
	s_addc_u32 s9, s19, 0
	s_add_u32 s3, s8, s3
	s_addc_u32 s8, 0, s9
	s_mul_hi_u32 s9, s33, s3
	s_mul_i32 s3, s33, s3
	s_mul_i32 s8, s33, s8
	v_sub_co_u32 v2, s3, s87, s3
	s_add_i32 s9, s9, s8
	s_cmp_lg_u32 s3, 0
	s_delay_alu instid0(VALU_DEP_1) | instskip(SKIP_2) | instid1(VALU_DEP_1)
	v_sub_co_u32 v3, s3, v2, s33
	s_subb_u32 s9, s27, s9
	s_cmp_lg_u32 s3, 0
	v_cmp_le_u32_e32 vcc_lo, s33, v3
	v_sub_co_u32 v4, s3, v3, s33
	s_subb_u32 s18, s9, 0
	s_cmp_lg_u32 s3, 0
	v_cndmask_b32_e64 v5, 0, -1, vcc_lo
	s_subb_u32 s3, s18, 0
	s_cmp_eq_u32 s18, 0
	v_mov_b32_e32 v7, s3
	s_cselect_b32 vcc_lo, -1, 0
	s_cmp_eq_u32 s9, 0
	v_cndmask_b32_e32 v5, -1, v5, vcc_lo
	v_cmp_le_u32_e32 vcc_lo, s33, v2
	s_cselect_b32 s8, -1, 0
	v_cndmask_b32_e64 v6, 0, -1, vcc_lo
	s_delay_alu instid0(VALU_DEP_3) | instskip(NEXT) | instid1(VALU_DEP_2)
	v_cmp_ne_u32_e32 vcc_lo, 0, v5
	v_cndmask_b32_e64 v5, -1, v6, s8
	v_cndmask_b32_e32 v6, s18, v7, vcc_lo
	v_cndmask_b32_e32 v4, v3, v4, vcc_lo
	s_delay_alu instid0(VALU_DEP_3) | instskip(NEXT) | instid1(VALU_DEP_3)
	v_cmp_ne_u32_e32 vcc_lo, 0, v5
	v_cndmask_b32_e32 v3, s9, v6, vcc_lo
	s_delay_alu instid0(VALU_DEP_3)
	v_cndmask_b32_e32 v2, v2, v4, vcc_lo
	s_cbranch_execnz .LBB213_125
.LBB213_124:                            ;   in Loop: Header=BB213_31 Depth=1
	v_cvt_f32_u32_e32 v2, s33
	s_sub_i32 s3, 0, s33
	s_delay_alu instid0(VALU_DEP_1) | instskip(SKIP_2) | instid1(VALU_DEP_1)
	v_rcp_iflag_f32_e32 v2, v2
	s_waitcnt_depctr 0xfff
	v_mul_f32_e32 v2, 0x4f7ffffe, v2
	v_cvt_u32_f32_e32 v2, v2
	s_delay_alu instid0(VALU_DEP_1) | instskip(NEXT) | instid1(VALU_DEP_1)
	v_mul_lo_u32 v3, s3, v2
	v_mul_hi_u32 v3, v2, v3
	s_delay_alu instid0(VALU_DEP_1) | instskip(NEXT) | instid1(VALU_DEP_1)
	v_add_nc_u32_e32 v2, v2, v3
	v_mul_hi_u32 v2, s87, v2
	s_delay_alu instid0(VALU_DEP_1) | instskip(NEXT) | instid1(VALU_DEP_1)
	v_mul_lo_u32 v2, v2, s33
	v_sub_nc_u32_e32 v2, s87, v2
	s_delay_alu instid0(VALU_DEP_1) | instskip(SKIP_1) | instid1(VALU_DEP_2)
	v_subrev_nc_u32_e32 v3, s33, v2
	v_cmp_le_u32_e32 vcc_lo, s33, v2
	v_cndmask_b32_e32 v2, v2, v3, vcc_lo
	s_delay_alu instid0(VALU_DEP_1) | instskip(SKIP_1) | instid1(VALU_DEP_2)
	v_subrev_nc_u32_e32 v3, s33, v2
	v_cmp_le_u32_e32 vcc_lo, s33, v2
	v_cndmask_b32_e32 v12, v2, v3, vcc_lo
	s_delay_alu instid0(VALU_DEP_1)
	v_dual_mov_b32 v2, v12 :: v_dual_mov_b32 v3, v13
.LBB213_125:                            ;   in Loop: Header=BB213_31 Depth=1
	s_delay_alu instid0(VALU_DEP_1) | instskip(NEXT) | instid1(VALU_DEP_2)
	v_sub_co_u32 v2, vcc_lo, s87, v2
	v_sub_co_ci_u32_e32 v3, vcc_lo, s27, v3, vcc_lo
	s_mov_b32 s8, 0
	s_mov_b32 s9, exec_lo
                                        ; implicit-def: $vgpr6
	s_delay_alu instid0(VALU_DEP_1)
	v_cmpx_gt_u64_e64 v[2:3], v[0:1]
	s_cbranch_execz .LBB213_134
; %bb.126:                              ;   in Loop: Header=BB213_31 Depth=1
	v_dual_mov_b32 v4, v24 :: v_dual_mov_b32 v5, v25
	v_dual_mov_b32 v7, v1 :: v_dual_mov_b32 v6, v0
	s_mov_b32 s18, 0
                                        ; implicit-def: $sgpr19
	s_branch .LBB213_128
.LBB213_127:                            ;   in Loop: Header=BB213_128 Depth=2
	s_or_b32 exec_lo, exec_lo, s8
	s_waitcnt vmcnt(0) lgkmcnt(0)
	s_barrier
	buffer_gl0_inv
	ds_load_b32 v8, v13 offset:3072
	v_add_co_u32 v6, vcc_lo, v6, s33
	v_add_co_ci_u32_e32 v7, vcc_lo, 0, v7, vcc_lo
	s_waitcnt lgkmcnt(0)
	s_barrier
	buffer_gl0_inv
	v_cmp_ge_u64_e32 vcc_lo, v[6:7], v[2:3]
	v_cmp_neq_f16_e64 s8, 0, v8
	s_delay_alu instid0(VALU_DEP_1)
	s_or_b32 s3, vcc_lo, s8
	v_add_co_u32 v4, vcc_lo, v4, s34
	s_and_b32 s3, exec_lo, s3
	v_add_co_ci_u32_e32 v5, vcc_lo, s35, v5, vcc_lo
	s_or_b32 s18, s3, s18
	s_and_not1_b32 s3, s19, exec_lo
	s_and_b32 s8, s8, exec_lo
	s_delay_alu instid0(SALU_CYCLE_1)
	s_or_b32 s19, s3, s8
	s_and_not1_b32 exec_lo, exec_lo, s18
	s_cbranch_execz .LBB213_133
.LBB213_128:                            ;   Parent Loop BB213_31 Depth=1
                                        ; =>  This Inner Loop Header: Depth=2
	s_delay_alu instid0(VALU_DEP_1)
	v_cmp_gt_u64_e32 vcc_lo, s[36:37], v[6:7]
	v_mov_b32_e32 v8, 0
	s_and_saveexec_b32 s8, vcc_lo
	s_cbranch_execz .LBB213_130
; %bb.129:                              ;   in Loop: Header=BB213_128 Depth=2
	global_load_u16 v8, v[4:5], off
.LBB213_130:                            ;   in Loop: Header=BB213_128 Depth=2
	s_or_b32 exec_lo, exec_lo, s8
	s_and_saveexec_b32 s8, vcc_lo
	s_cbranch_execz .LBB213_127
; %bb.131:                              ;   in Loop: Header=BB213_128 Depth=2
	s_waitcnt vmcnt(0)
	v_cmp_lt_i16_e32 vcc_lo, -1, v8
	v_dual_cndmask_b32 v12, 0xffff, v47 :: v_dual_and_b32 v9, 0xffff, v8
	v_cmp_o_f16_e32 vcc_lo, v8, v8
	s_delay_alu instid0(VALU_DEP_2) | instskip(NEXT) | instid1(VALU_DEP_1)
	v_xor_b32_e32 v9, v12, v9
	v_cndmask_b32_e32 v9, 0xffff, v9, vcc_lo
	s_delay_alu instid0(VALU_DEP_1) | instskip(NEXT) | instid1(VALU_DEP_1)
	v_and_b32_e32 v9, v9, v29
	v_cmp_eq_u32_e32 vcc_lo, v9, v28
	s_and_b32 exec_lo, exec_lo, vcc_lo
	s_cbranch_execz .LBB213_127
; %bb.132:                              ;   in Loop: Header=BB213_128 Depth=2
	v_perm_b32 v8, v8, s96, 0x5040100
	ds_store_b32 v13, v8 offset:3072
	s_branch .LBB213_127
.LBB213_133:                            ;   in Loop: Header=BB213_31 Depth=1
	s_or_b32 exec_lo, exec_lo, s18
	v_lshrrev_b32_e32 v6, 16, v8
	s_and_b32 s8, s19, exec_lo
.LBB213_134:                            ;   in Loop: Header=BB213_31 Depth=1
	s_or_b32 exec_lo, exec_lo, s9
	s_mov_b32 s70, -1
	s_mov_b32 s23, 0
	s_mov_b32 s60, 0
.LBB213_135:                            ;   in Loop: Header=BB213_31 Depth=1
	s_or_not1_b32 s8, s8, exec_lo
.LBB213_136:                            ;   in Loop: Header=BB213_31 Depth=1
	s_or_b32 exec_lo, exec_lo, s24
	s_mov_b32 s71, 0
	s_mov_b32 s25, 0
	;; [unrolled: 1-line block ×3, first 2 shown]
                                        ; implicit-def: $vgpr7
                                        ; implicit-def: $vgpr2_vgpr3
	s_and_saveexec_b32 s72, s8
	s_cbranch_execz .LBB213_299
; %bb.137:                              ;   in Loop: Header=BB213_31 Depth=1
	v_dual_mov_b32 v2, 1 :: v_dual_mov_b32 v7, 1
	v_mov_b32_e32 v3, 0
	s_xor_b32 s3, s46, -1
	s_delay_alu instid0(SALU_CYCLE_1)
	s_and_saveexec_b32 s8, s3
	s_cbranch_execz .LBB213_147
; %bb.138:                              ;   in Loop: Header=BB213_31 Depth=1
                                        ; implicit-def: $sgpr19
                                        ; implicit-def: $sgpr9
	s_mov_b32 s3, exec_lo
	v_cmpx_ge_u64_e64 s[10:11], v[26:27]
	s_xor_b32 s18, exec_lo, s3
	s_cbranch_execz .LBB213_144
; %bb.139:                              ;   in Loop: Header=BB213_31 Depth=1
	ds_load_b64 v[2:3], v13 offset:5120
	s_waitcnt lgkmcnt(0)
	v_cmp_ne_u64_e32 vcc_lo, 0, v[2:3]
	s_cbranch_vccnz .LBB213_143
; %bb.140:                              ;   in Loop: Header=BB213_31 Depth=1
	s_and_saveexec_b32 s9, s5
	s_cbranch_execz .LBB213_142
; %bb.141:                              ;   in Loop: Header=BB213_31 Depth=1
	v_dual_mov_b32 v2, s10 :: v_dual_mov_b32 v3, s11
	ds_store_b64 v13, v[2:3] offset:5128
.LBB213_142:                            ;   in Loop: Header=BB213_31 Depth=1
	s_or_b32 exec_lo, exec_lo, s9
	s_waitcnt lgkmcnt(0)
	s_barrier
	buffer_gl0_inv
.LBB213_143:                            ;   in Loop: Header=BB213_31 Depth=1
	v_and_b32_e32 v28, s21, v28
	v_or_b32_e32 v29, s20, v29
	s_mov_b32 s9, 0
	s_mov_b32 s19, 8
.LBB213_144:                            ;   in Loop: Header=BB213_31 Depth=1
	s_or_saveexec_b32 s18, s18
	v_dual_mov_b32 v7, s19 :: v_dual_mov_b32 v2, v26
	v_mov_b32_e32 v3, v27
	s_xor_b32 exec_lo, exec_lo, s18
; %bb.145:                              ;   in Loop: Header=BB213_31 Depth=1
	v_sub_co_u32 v2, vcc_lo, v26, s10
	v_subrev_co_ci_u32_e32 v3, vcc_lo, s11, v27, vcc_lo
	v_mov_b32_e32 v7, 0
	s_or_b32 s9, s9, exec_lo
; %bb.146:                              ;   in Loop: Header=BB213_31 Depth=1
	s_or_b32 exec_lo, exec_lo, s18
	s_delay_alu instid0(SALU_CYCLE_1)
	s_and_b32 s24, s9, exec_lo
.LBB213_147:                            ;   in Loop: Header=BB213_31 Depth=1
	s_or_b32 exec_lo, exec_lo, s8
	s_mov_b32 s25, -1
                                        ; implicit-def: $sgpr9
                                        ; implicit-def: $sgpr18
                                        ; implicit-def: $sgpr19
	s_and_saveexec_b32 s3, s24
	s_delay_alu instid0(SALU_CYCLE_1)
	s_xor_b32 s24, exec_lo, s3
	s_cbranch_execz .LBB213_296
; %bb.148:                              ;   in Loop: Header=BB213_31 Depth=1
	v_cmp_eq_u64_e32 vcc_lo, 1, v[2:3]
	s_cmp_eq_u64 s[12:13], 1
                                        ; implicit-def: $sgpr25
                                        ; implicit-def: $sgpr74
                                        ; implicit-def: $sgpr73
	s_cselect_b32 s8, -1, 0
	s_delay_alu instid0(SALU_CYCLE_1)
	s_and_b32 s58, s8, vcc_lo
	s_mov_b32 s8, -1
	s_and_saveexec_b32 s46, s58
	s_cbranch_execz .LBB213_182
; %bb.149:                              ;   in Loop: Header=BB213_31 Depth=1
	ds_load_b64 v[4:5], v13 offset:5120
	s_waitcnt lgkmcnt(0)
	s_barrier
	buffer_gl0_inv
	v_readfirstlane_b32 s18, v4
	v_readfirstlane_b32 s19, v5
	s_and_saveexec_b32 s8, s6
	s_cbranch_execz .LBB213_151
; %bb.150:                              ;   in Loop: Header=BB213_31 Depth=1
	ds_store_b16 v44, v13
.LBB213_151:                            ;   in Loop: Header=BB213_31 Depth=1
	s_or_b32 exec_lo, exec_lo, s8
	s_lshl_b32 s8, 1, s22
	v_or_b32_e32 v29, s20, v29
	v_and_or_b32 v28, v28, s21, s8
	s_cmp_eq_u64 s[18:19], 0
	s_waitcnt lgkmcnt(0)
	s_barrier
	buffer_gl0_inv
	s_cbranch_scc1 .LBB213_165
; %bb.152:                              ;   in Loop: Header=BB213_31 Depth=1
	s_add_u32 s25, s85, s18
	s_addc_u32 s9, s86, s19
	s_mov_b32 s8, s61
	s_delay_alu instid0(SALU_CYCLE_1)
	s_cmp_lg_u64 s[8:9], 0
	s_cbranch_scc0 .LBB213_209
; %bb.153:                              ;   in Loop: Header=BB213_31 Depth=1
	v_cvt_f32_u32_e32 v4, s33
	s_sub_u32 s47, 0, s33
	s_subb_u32 s56, 0, 0
	s_delay_alu instid0(VALU_DEP_1) | instskip(NEXT) | instid1(VALU_DEP_1)
	v_fmac_f32_e64 v4, 0, 0x4f800000
	v_rcp_f32_e32 v4, v4
	s_waitcnt_depctr 0xfff
	v_mul_f32_e32 v4, 0x5f7ffffc, v4
	s_delay_alu instid0(VALU_DEP_1) | instskip(NEXT) | instid1(VALU_DEP_1)
	v_mul_f32_e32 v5, 0x2f800000, v4
	v_trunc_f32_e32 v5, v5
	s_delay_alu instid0(VALU_DEP_1) | instskip(SKIP_1) | instid1(VALU_DEP_2)
	v_fmac_f32_e32 v4, 0xcf800000, v5
	v_cvt_u32_f32_e32 v5, v5
	v_cvt_u32_f32_e32 v4, v4
	s_delay_alu instid0(VALU_DEP_2) | instskip(NEXT) | instid1(VALU_DEP_2)
	v_readfirstlane_b32 s8, v5
	v_readfirstlane_b32 s26, v4
	s_delay_alu instid0(VALU_DEP_2) | instskip(NEXT) | instid1(VALU_DEP_1)
	s_mul_i32 s57, s47, s8
	s_mul_hi_u32 s73, s47, s26
	s_mul_i32 s59, s56, s26
	s_add_i32 s57, s73, s57
	s_mul_i32 s74, s47, s26
	s_add_i32 s57, s57, s59
	s_mul_hi_u32 s73, s26, s74
	s_mul_hi_u32 s75, s8, s74
	s_mul_i32 s59, s8, s74
	s_mul_hi_u32 s74, s26, s57
	s_mul_i32 s26, s26, s57
	s_mul_hi_u32 s76, s8, s57
	s_add_u32 s26, s73, s26
	s_addc_u32 s73, 0, s74
	s_add_u32 s26, s26, s59
	s_mul_i32 s57, s8, s57
	s_addc_u32 s26, s73, s75
	s_addc_u32 s59, s76, 0
	s_add_u32 s26, s26, s57
	s_addc_u32 s57, 0, s59
	v_add_co_u32 v4, s26, v4, s26
	s_delay_alu instid0(VALU_DEP_1) | instskip(SKIP_1) | instid1(VALU_DEP_1)
	s_cmp_lg_u32 s26, 0
	s_addc_u32 s8, s8, s57
	v_readfirstlane_b32 s26, v4
	s_mul_i32 s57, s47, s8
	s_delay_alu instid0(VALU_DEP_1)
	s_mul_hi_u32 s59, s47, s26
	s_mul_i32 s56, s56, s26
	s_add_i32 s57, s59, s57
	s_mul_i32 s47, s47, s26
	s_add_i32 s57, s57, s56
	s_mul_hi_u32 s59, s8, s47
	s_mul_i32 s73, s8, s47
	s_mul_hi_u32 s47, s26, s47
	s_mul_hi_u32 s74, s26, s57
	s_mul_i32 s26, s26, s57
	s_mul_hi_u32 s56, s8, s57
	s_add_u32 s26, s47, s26
	s_addc_u32 s47, 0, s74
	s_add_u32 s26, s26, s73
	s_mul_i32 s57, s8, s57
	s_addc_u32 s26, s47, s59
	s_addc_u32 s47, s56, 0
	s_add_u32 s26, s26, s57
	s_addc_u32 s47, 0, s47
	v_add_co_u32 v4, s26, v4, s26
	s_delay_alu instid0(VALU_DEP_1) | instskip(SKIP_1) | instid1(VALU_DEP_1)
	s_cmp_lg_u32 s26, 0
	s_addc_u32 s8, s8, s47
	v_readfirstlane_b32 s26, v4
	s_mul_i32 s56, s25, s8
	s_mul_hi_u32 s47, s25, s8
	s_mul_hi_u32 s57, s9, s8
	s_mul_i32 s8, s9, s8
	s_mul_hi_u32 s59, s25, s26
	s_mul_hi_u32 s73, s9, s26
	s_mul_i32 s26, s9, s26
	s_add_u32 s56, s59, s56
	s_addc_u32 s47, 0, s47
	s_add_u32 s26, s56, s26
	s_addc_u32 s26, s47, s73
	s_addc_u32 s47, s57, 0
	s_add_u32 s8, s26, s8
	s_addc_u32 s26, 0, s47
	s_mul_hi_u32 s47, s33, s8
	s_mul_i32 s8, s33, s8
	s_mul_i32 s26, s33, s26
	v_sub_co_u32 v4, s8, s25, s8
	s_add_i32 s47, s47, s26
	s_cmp_lg_u32 s8, 0
	s_delay_alu instid0(VALU_DEP_1) | instskip(SKIP_3) | instid1(VALU_DEP_2)
	v_sub_co_u32 v5, s8, v4, s33
	s_subb_u32 s26, s9, s47
	s_cmp_lg_u32 s8, 0
	v_cmp_le_u32_e32 vcc_lo, s33, v4
	v_cmp_le_u32_e64 s8, s33, v5
	v_sub_co_u32 v6, s47, v5, s33
	s_subb_u32 s56, s26, 0
	s_cmp_lg_u32 s47, 0
	s_delay_alu instid0(VALU_DEP_2)
	v_cndmask_b32_e64 v7, 0, -1, s8
	s_subb_u32 s47, s56, 0
	s_cmp_eq_u32 s56, 0
	v_mov_b32_e32 v9, s47
	v_cndmask_b32_e64 v8, 0, -1, vcc_lo
	s_cselect_b32 vcc_lo, -1, 0
	s_cmp_eq_u32 s26, 0
	v_cndmask_b32_e32 v7, -1, v7, vcc_lo
	s_cselect_b32 vcc_lo, -1, 0
	v_cndmask_b32_e32 v8, -1, v8, vcc_lo
	s_delay_alu instid0(VALU_DEP_2) | instskip(NEXT) | instid1(VALU_DEP_2)
	v_cmp_ne_u32_e32 vcc_lo, 0, v7
	v_cmp_ne_u32_e64 s8, 0, v8
	v_cndmask_b32_e32 v7, s56, v9, vcc_lo
	v_cndmask_b32_e32 v6, v5, v6, vcc_lo
	s_delay_alu instid0(VALU_DEP_2) | instskip(NEXT) | instid1(VALU_DEP_2)
	v_cndmask_b32_e64 v5, s26, v7, s8
	v_cndmask_b32_e64 v4, v4, v6, s8
	s_cbranch_execnz .LBB213_155
.LBB213_154:                            ;   in Loop: Header=BB213_31 Depth=1
	v_cvt_f32_u32_e32 v4, s33
	s_sub_i32 s8, 0, s33
	s_delay_alu instid0(VALU_DEP_1) | instskip(SKIP_2) | instid1(VALU_DEP_1)
	v_rcp_iflag_f32_e32 v4, v4
	s_waitcnt_depctr 0xfff
	v_mul_f32_e32 v4, 0x4f7ffffe, v4
	v_cvt_u32_f32_e32 v4, v4
	s_delay_alu instid0(VALU_DEP_1) | instskip(NEXT) | instid1(VALU_DEP_1)
	v_mul_lo_u32 v5, s8, v4
	v_mul_hi_u32 v5, v4, v5
	s_delay_alu instid0(VALU_DEP_1) | instskip(NEXT) | instid1(VALU_DEP_1)
	v_add_nc_u32_e32 v4, v4, v5
	v_mul_hi_u32 v4, s25, v4
	s_delay_alu instid0(VALU_DEP_1) | instskip(NEXT) | instid1(VALU_DEP_1)
	v_mul_lo_u32 v4, v4, s33
	v_sub_nc_u32_e32 v4, s25, v4
	s_delay_alu instid0(VALU_DEP_1) | instskip(SKIP_1) | instid1(VALU_DEP_2)
	v_subrev_nc_u32_e32 v5, s33, v4
	v_cmp_le_u32_e32 vcc_lo, s33, v4
	v_cndmask_b32_e32 v4, v4, v5, vcc_lo
	s_delay_alu instid0(VALU_DEP_1) | instskip(SKIP_1) | instid1(VALU_DEP_2)
	v_subrev_nc_u32_e32 v5, s33, v4
	v_cmp_le_u32_e32 vcc_lo, s33, v4
	v_cndmask_b32_e32 v12, v4, v5, vcc_lo
	s_delay_alu instid0(VALU_DEP_1)
	v_dual_mov_b32 v4, v12 :: v_dual_mov_b32 v5, v13
.LBB213_155:                            ;   in Loop: Header=BB213_31 Depth=1
	s_delay_alu instid0(VALU_DEP_1) | instskip(NEXT) | instid1(VALU_DEP_2)
	v_sub_co_u32 v4, vcc_lo, s25, v4
	v_sub_co_ci_u32_e32 v5, vcc_lo, s9, v5, vcc_lo
	s_mov_b32 s8, 0
	s_mov_b32 s9, exec_lo
                                        ; implicit-def: $vgpr6
	s_delay_alu instid0(VALU_DEP_1)
	v_cmpx_gt_u64_e64 v[4:5], v[0:1]
	s_cbranch_execz .LBB213_167
; %bb.156:                              ;   in Loop: Header=BB213_31 Depth=1
	v_dual_mov_b32 v8, v43 :: v_dual_mov_b32 v7, v1
	v_mov_b32_e32 v6, v0
	s_mov_b32 s25, 0
                                        ; implicit-def: $sgpr26
	s_set_inst_prefetch_distance 0x1
	s_branch .LBB213_158
	.p2align	6
.LBB213_157:                            ;   in Loop: Header=BB213_158 Depth=2
	s_or_b32 exec_lo, exec_lo, s8
	s_waitcnt lgkmcnt(0)
	s_barrier
	buffer_gl0_inv
	ds_load_b32 v9, v13 offset:3072
	v_add_co_u32 v6, vcc_lo, v6, s33
	v_add_co_ci_u32_e32 v7, vcc_lo, 0, v7, vcc_lo
	v_add_nc_u32_e32 v8, s93, v8
	s_waitcnt lgkmcnt(0)
	s_barrier
	s_delay_alu instid0(VALU_DEP_2) | instskip(SKIP_2) | instid1(VALU_DEP_1)
	v_cmp_ge_u64_e32 vcc_lo, v[6:7], v[4:5]
	buffer_gl0_inv
	v_cmp_neq_f16_e64 s8, 0, v9
	s_or_b32 s47, vcc_lo, s8
	s_delay_alu instid0(SALU_CYCLE_1) | instskip(NEXT) | instid1(SALU_CYCLE_1)
	s_and_b32 s47, exec_lo, s47
	s_or_b32 s25, s47, s25
	s_and_not1_b32 s26, s26, exec_lo
	s_and_b32 s8, s8, exec_lo
	s_delay_alu instid0(SALU_CYCLE_1)
	s_or_b32 s26, s26, s8
	s_and_not1_b32 exec_lo, exec_lo, s25
	s_cbranch_execz .LBB213_166
.LBB213_158:                            ;   Parent Loop BB213_31 Depth=1
                                        ; =>  This Inner Loop Header: Depth=2
	s_delay_alu instid0(VALU_DEP_1)
	v_cmp_gt_u64_e32 vcc_lo, s[18:19], v[6:7]
	v_mov_b32_e32 v9, 0
	s_and_saveexec_b32 s8, vcc_lo
	s_cbranch_execz .LBB213_160
; %bb.159:                              ;   in Loop: Header=BB213_158 Depth=2
	ds_load_u16 v9, v8
.LBB213_160:                            ;   in Loop: Header=BB213_158 Depth=2
	s_or_b32 exec_lo, exec_lo, s8
	s_and_saveexec_b32 s8, vcc_lo
	s_cbranch_execz .LBB213_157
; %bb.161:                              ;   in Loop: Header=BB213_158 Depth=2
	s_waitcnt lgkmcnt(0)
	v_cmp_lt_i16_e32 vcc_lo, -1, v9
	v_and_b32_e32 v12, 0xffff, v9
	v_cndmask_b32_e32 v30, 0xffff, v47, vcc_lo
	v_cmp_o_f16_e32 vcc_lo, v9, v9
	s_delay_alu instid0(VALU_DEP_2) | instskip(NEXT) | instid1(VALU_DEP_1)
	v_xor_b32_e32 v12, v30, v12
	v_cndmask_b32_e32 v12, 0xffff, v12, vcc_lo
	s_delay_alu instid0(VALU_DEP_1) | instskip(NEXT) | instid1(VALU_DEP_1)
	v_and_b32_e32 v12, v12, v29
	v_cmp_eq_u32_e32 vcc_lo, v12, v28
	s_and_b32 exec_lo, exec_lo, vcc_lo
	s_cbranch_execz .LBB213_157
; %bb.162:                              ;   in Loop: Header=BB213_158 Depth=2
	v_perm_b32 v9, v9, s96, 0x5040100
	ds_store_b32 v13, v9 offset:3072
	s_branch .LBB213_157
.LBB213_163:                            ;   in Loop: Header=BB213_31 Depth=1
                                        ; implicit-def: $vgpr2_vgpr3
	s_branch .LBB213_108
.LBB213_164:                            ;   in Loop: Header=BB213_31 Depth=1
                                        ; implicit-def: $vgpr2_vgpr3
	s_branch .LBB213_124
.LBB213_165:                            ;   in Loop: Header=BB213_31 Depth=1
	s_mov_b32 s25, -1
	s_mov_b32 s8, 0
                                        ; implicit-def: $sgpr73
                                        ; implicit-def: $vgpr6
	s_mov_b32 s74, s25
	s_cbranch_execnz .LBB213_168
	s_branch .LBB213_181
.LBB213_166:                            ;   in Loop: Header=BB213_31 Depth=1
	s_set_inst_prefetch_distance 0x2
	s_or_b32 exec_lo, exec_lo, s25
	v_lshrrev_b32_e32 v6, 16, v9
	s_and_b32 s8, s26, exec_lo
.LBB213_167:                            ;   in Loop: Header=BB213_31 Depth=1
	s_or_b32 exec_lo, exec_lo, s9
	s_mov_b32 s73, -1
	s_mov_b32 s25, 0
	s_delay_alu instid0(SALU_CYCLE_1)
	s_mov_b32 s74, s25
	s_branch .LBB213_181
.LBB213_168:                            ;   in Loop: Header=BB213_31 Depth=1
	s_mov_b32 s26, s61
	s_delay_alu instid0(SALU_CYCLE_1)
	s_cmp_lg_u64 s[26:27], 0
	s_cbranch_scc0 .LBB213_210
; %bb.169:                              ;   in Loop: Header=BB213_31 Depth=1
	v_cvt_f32_u32_e32 v4, s33
	s_sub_u32 s18, 0, s33
	s_subb_u32 s19, 0, 0
	s_delay_alu instid0(VALU_DEP_1) | instskip(NEXT) | instid1(VALU_DEP_1)
	v_fmac_f32_e64 v4, 0, 0x4f800000
	v_rcp_f32_e32 v4, v4
	s_waitcnt_depctr 0xfff
	v_mul_f32_e32 v4, 0x5f7ffffc, v4
	s_delay_alu instid0(VALU_DEP_1) | instskip(NEXT) | instid1(VALU_DEP_1)
	v_mul_f32_e32 v5, 0x2f800000, v4
	v_trunc_f32_e32 v5, v5
	s_delay_alu instid0(VALU_DEP_1) | instskip(SKIP_1) | instid1(VALU_DEP_2)
	v_fmac_f32_e32 v4, 0xcf800000, v5
	v_cvt_u32_f32_e32 v5, v5
	v_cvt_u32_f32_e32 v4, v4
	s_delay_alu instid0(VALU_DEP_2) | instskip(NEXT) | instid1(VALU_DEP_2)
	v_readfirstlane_b32 s8, v5
	v_readfirstlane_b32 s9, v4
	s_delay_alu instid0(VALU_DEP_2) | instskip(NEXT) | instid1(VALU_DEP_1)
	s_mul_i32 s25, s18, s8
	s_mul_hi_u32 s47, s18, s9
	s_mul_i32 s26, s19, s9
	s_add_i32 s25, s47, s25
	s_mul_i32 s56, s18, s9
	s_add_i32 s25, s25, s26
	s_mul_hi_u32 s47, s9, s56
	s_mul_hi_u32 s57, s8, s56
	s_mul_i32 s26, s8, s56
	s_mul_hi_u32 s56, s9, s25
	s_mul_i32 s9, s9, s25
	s_mul_hi_u32 s59, s8, s25
	s_add_u32 s9, s47, s9
	s_addc_u32 s47, 0, s56
	s_add_u32 s9, s9, s26
	s_mul_i32 s25, s8, s25
	s_addc_u32 s9, s47, s57
	s_addc_u32 s26, s59, 0
	s_add_u32 s9, s9, s25
	s_addc_u32 s25, 0, s26
	v_add_co_u32 v4, s9, v4, s9
	s_delay_alu instid0(VALU_DEP_1) | instskip(SKIP_1) | instid1(VALU_DEP_1)
	s_cmp_lg_u32 s9, 0
	s_addc_u32 s8, s8, s25
	v_readfirstlane_b32 s9, v4
	s_mul_i32 s25, s18, s8
	s_delay_alu instid0(VALU_DEP_1)
	s_mul_hi_u32 s26, s18, s9
	s_mul_i32 s19, s19, s9
	s_add_i32 s25, s26, s25
	s_mul_i32 s18, s18, s9
	s_add_i32 s25, s25, s19
	s_mul_hi_u32 s26, s8, s18
	s_mul_i32 s47, s8, s18
	s_mul_hi_u32 s18, s9, s18
	s_mul_hi_u32 s56, s9, s25
	s_mul_i32 s9, s9, s25
	s_mul_hi_u32 s19, s8, s25
	s_add_u32 s9, s18, s9
	s_addc_u32 s18, 0, s56
	s_add_u32 s9, s9, s47
	s_mul_i32 s25, s8, s25
	s_addc_u32 s9, s18, s26
	s_addc_u32 s18, s19, 0
	s_add_u32 s9, s9, s25
	s_addc_u32 s18, 0, s18
	v_add_co_u32 v4, s9, v4, s9
	s_delay_alu instid0(VALU_DEP_1) | instskip(SKIP_1) | instid1(VALU_DEP_1)
	s_cmp_lg_u32 s9, 0
	s_addc_u32 s8, s8, s18
	v_readfirstlane_b32 s9, v4
	s_mul_i32 s19, s87, s8
	s_mul_hi_u32 s18, s87, s8
	s_mul_hi_u32 s25, s27, s8
	s_mul_i32 s8, s27, s8
	s_mul_hi_u32 s26, s87, s9
	s_mul_hi_u32 s47, s27, s9
	s_mul_i32 s9, s27, s9
	s_add_u32 s19, s26, s19
	s_addc_u32 s18, 0, s18
	s_add_u32 s9, s19, s9
	s_addc_u32 s9, s18, s47
	s_addc_u32 s18, s25, 0
	s_add_u32 s8, s9, s8
	s_addc_u32 s9, 0, s18
	s_mul_hi_u32 s18, s33, s8
	s_mul_i32 s8, s33, s8
	s_mul_i32 s9, s33, s9
	v_sub_co_u32 v4, s8, s87, s8
	s_add_i32 s18, s18, s9
	s_cmp_lg_u32 s8, 0
	s_delay_alu instid0(VALU_DEP_1) | instskip(SKIP_3) | instid1(VALU_DEP_2)
	v_sub_co_u32 v5, s8, v4, s33
	s_subb_u32 s9, s27, s18
	s_cmp_lg_u32 s8, 0
	v_cmp_le_u32_e32 vcc_lo, s33, v4
	v_cmp_le_u32_e64 s8, s33, v5
	v_sub_co_u32 v6, s18, v5, s33
	s_subb_u32 s19, s9, 0
	s_cmp_lg_u32 s18, 0
	s_delay_alu instid0(VALU_DEP_2)
	v_cndmask_b32_e64 v7, 0, -1, s8
	s_subb_u32 s18, s19, 0
	s_cmp_eq_u32 s19, 0
	v_mov_b32_e32 v9, s18
	v_cndmask_b32_e64 v8, 0, -1, vcc_lo
	s_cselect_b32 vcc_lo, -1, 0
	s_cmp_eq_u32 s9, 0
	v_cndmask_b32_e32 v7, -1, v7, vcc_lo
	s_cselect_b32 vcc_lo, -1, 0
	v_cndmask_b32_e32 v8, -1, v8, vcc_lo
	s_delay_alu instid0(VALU_DEP_2) | instskip(NEXT) | instid1(VALU_DEP_2)
	v_cmp_ne_u32_e32 vcc_lo, 0, v7
	v_cmp_ne_u32_e64 s8, 0, v8
	v_cndmask_b32_e32 v7, s19, v9, vcc_lo
	v_cndmask_b32_e32 v6, v5, v6, vcc_lo
	s_delay_alu instid0(VALU_DEP_2) | instskip(NEXT) | instid1(VALU_DEP_2)
	v_cndmask_b32_e64 v5, s9, v7, s8
	v_cndmask_b32_e64 v4, v4, v6, s8
	s_cbranch_execnz .LBB213_171
.LBB213_170:                            ;   in Loop: Header=BB213_31 Depth=1
	v_cvt_f32_u32_e32 v4, s33
	s_sub_i32 s8, 0, s33
	s_delay_alu instid0(VALU_DEP_1) | instskip(SKIP_2) | instid1(VALU_DEP_1)
	v_rcp_iflag_f32_e32 v4, v4
	s_waitcnt_depctr 0xfff
	v_mul_f32_e32 v4, 0x4f7ffffe, v4
	v_cvt_u32_f32_e32 v4, v4
	s_delay_alu instid0(VALU_DEP_1) | instskip(NEXT) | instid1(VALU_DEP_1)
	v_mul_lo_u32 v5, s8, v4
	v_mul_hi_u32 v5, v4, v5
	s_delay_alu instid0(VALU_DEP_1) | instskip(NEXT) | instid1(VALU_DEP_1)
	v_add_nc_u32_e32 v4, v4, v5
	v_mul_hi_u32 v4, s87, v4
	s_delay_alu instid0(VALU_DEP_1) | instskip(NEXT) | instid1(VALU_DEP_1)
	v_mul_lo_u32 v4, v4, s33
	v_sub_nc_u32_e32 v4, s87, v4
	s_delay_alu instid0(VALU_DEP_1) | instskip(SKIP_1) | instid1(VALU_DEP_2)
	v_subrev_nc_u32_e32 v5, s33, v4
	v_cmp_le_u32_e32 vcc_lo, s33, v4
	v_cndmask_b32_e32 v4, v4, v5, vcc_lo
	s_delay_alu instid0(VALU_DEP_1) | instskip(SKIP_1) | instid1(VALU_DEP_2)
	v_subrev_nc_u32_e32 v5, s33, v4
	v_cmp_le_u32_e32 vcc_lo, s33, v4
	v_cndmask_b32_e32 v12, v4, v5, vcc_lo
	s_delay_alu instid0(VALU_DEP_1)
	v_dual_mov_b32 v4, v12 :: v_dual_mov_b32 v5, v13
.LBB213_171:                            ;   in Loop: Header=BB213_31 Depth=1
	s_delay_alu instid0(VALU_DEP_1) | instskip(NEXT) | instid1(VALU_DEP_2)
	v_sub_co_u32 v4, vcc_lo, s87, v4
	v_sub_co_ci_u32_e32 v5, vcc_lo, s27, v5, vcc_lo
	s_mov_b32 s8, 0
	s_mov_b32 s9, exec_lo
                                        ; implicit-def: $vgpr6
	s_delay_alu instid0(VALU_DEP_1)
	v_cmpx_gt_u64_e64 v[4:5], v[0:1]
	s_cbranch_execz .LBB213_180
; %bb.172:                              ;   in Loop: Header=BB213_31 Depth=1
	v_dual_mov_b32 v6, v24 :: v_dual_mov_b32 v7, v25
	v_dual_mov_b32 v9, v1 :: v_dual_mov_b32 v8, v0
	s_mov_b32 s18, 0
                                        ; implicit-def: $sgpr19
	s_branch .LBB213_174
.LBB213_173:                            ;   in Loop: Header=BB213_174 Depth=2
	s_or_b32 exec_lo, exec_lo, s8
	s_waitcnt vmcnt(0) lgkmcnt(0)
	s_barrier
	buffer_gl0_inv
	ds_load_b32 v12, v13 offset:3072
	v_add_co_u32 v8, vcc_lo, v8, s33
	v_add_co_ci_u32_e32 v9, vcc_lo, 0, v9, vcc_lo
	s_waitcnt lgkmcnt(0)
	s_barrier
	buffer_gl0_inv
	v_cmp_ge_u64_e32 vcc_lo, v[8:9], v[4:5]
	v_cmp_neq_f16_e64 s8, 0, v12
	s_delay_alu instid0(VALU_DEP_1)
	s_or_b32 s25, vcc_lo, s8
	v_add_co_u32 v6, vcc_lo, v6, s34
	s_and_b32 s25, exec_lo, s25
	v_add_co_ci_u32_e32 v7, vcc_lo, s35, v7, vcc_lo
	s_or_b32 s18, s25, s18
	s_and_not1_b32 s19, s19, exec_lo
	s_and_b32 s8, s8, exec_lo
	s_delay_alu instid0(SALU_CYCLE_1)
	s_or_b32 s19, s19, s8
	s_and_not1_b32 exec_lo, exec_lo, s18
	s_cbranch_execz .LBB213_179
.LBB213_174:                            ;   Parent Loop BB213_31 Depth=1
                                        ; =>  This Inner Loop Header: Depth=2
	s_delay_alu instid0(VALU_DEP_1)
	v_cmp_gt_u64_e32 vcc_lo, s[36:37], v[8:9]
	v_mov_b32_e32 v12, 0
	s_and_saveexec_b32 s8, vcc_lo
	s_cbranch_execz .LBB213_176
; %bb.175:                              ;   in Loop: Header=BB213_174 Depth=2
	global_load_u16 v12, v[6:7], off
.LBB213_176:                            ;   in Loop: Header=BB213_174 Depth=2
	s_or_b32 exec_lo, exec_lo, s8
	s_and_saveexec_b32 s8, vcc_lo
	s_cbranch_execz .LBB213_173
; %bb.177:                              ;   in Loop: Header=BB213_174 Depth=2
	s_waitcnt vmcnt(0)
	v_cmp_lt_i16_e32 vcc_lo, -1, v12
	v_dual_cndmask_b32 v31, 0xffff, v47 :: v_dual_and_b32 v30, 0xffff, v12
	v_cmp_o_f16_e32 vcc_lo, v12, v12
	s_delay_alu instid0(VALU_DEP_2) | instskip(NEXT) | instid1(VALU_DEP_1)
	v_xor_b32_e32 v30, v31, v30
	v_cndmask_b32_e32 v30, 0xffff, v30, vcc_lo
	s_delay_alu instid0(VALU_DEP_1) | instskip(NEXT) | instid1(VALU_DEP_1)
	v_and_b32_e32 v30, v30, v29
	v_cmp_eq_u32_e32 vcc_lo, v30, v28
	s_and_b32 exec_lo, exec_lo, vcc_lo
	s_cbranch_execz .LBB213_173
; %bb.178:                              ;   in Loop: Header=BB213_174 Depth=2
	v_perm_b32 v12, v12, s96, 0x5040100
	ds_store_b32 v13, v12 offset:3072
	s_branch .LBB213_173
.LBB213_179:                            ;   in Loop: Header=BB213_31 Depth=1
	s_or_b32 exec_lo, exec_lo, s18
	v_lshrrev_b32_e32 v6, 16, v12
	s_and_b32 s8, s19, exec_lo
.LBB213_180:                            ;   in Loop: Header=BB213_31 Depth=1
	s_or_b32 exec_lo, exec_lo, s9
	s_mov_b32 s74, -1
	s_mov_b32 s25, 0
	s_mov_b32 s73, 0
.LBB213_181:                            ;   in Loop: Header=BB213_31 Depth=1
	s_or_not1_b32 s8, s8, exec_lo
.LBB213_182:                            ;   in Loop: Header=BB213_31 Depth=1
	s_or_b32 exec_lo, exec_lo, s46
	s_mov_b32 s26, 0
                                        ; implicit-def: $vgpr7
	s_and_saveexec_b32 s75, s8
	s_cbranch_execz .LBB213_295
; %bb.183:                              ;   in Loop: Header=BB213_31 Depth=1
	v_dual_mov_b32 v4, 1 :: v_dual_mov_b32 v7, 1
	v_mov_b32_e32 v5, 0
	s_xor_b32 s9, s58, -1
	s_delay_alu instid0(SALU_CYCLE_1)
	s_and_saveexec_b32 s8, s9
	s_cbranch_execz .LBB213_193
; %bb.184:                              ;   in Loop: Header=BB213_31 Depth=1
	s_mov_b32 s18, exec_lo
                                        ; implicit-def: $sgpr19
                                        ; implicit-def: $sgpr9
	v_cmpx_ge_u64_e64 s[12:13], v[2:3]
	s_xor_b32 s18, exec_lo, s18
	s_cbranch_execz .LBB213_190
; %bb.185:                              ;   in Loop: Header=BB213_31 Depth=1
	ds_load_b64 v[4:5], v13 offset:5120
	s_waitcnt lgkmcnt(0)
	v_cmp_ne_u64_e32 vcc_lo, 0, v[4:5]
	s_cbranch_vccnz .LBB213_189
; %bb.186:                              ;   in Loop: Header=BB213_31 Depth=1
	s_and_saveexec_b32 s9, s5
	s_cbranch_execz .LBB213_188
; %bb.187:                              ;   in Loop: Header=BB213_31 Depth=1
	v_dual_mov_b32 v4, s12 :: v_dual_mov_b32 v5, s13
	ds_store_b64 v13, v[4:5] offset:5128
.LBB213_188:                            ;   in Loop: Header=BB213_31 Depth=1
	s_or_b32 exec_lo, exec_lo, s9
	s_waitcnt lgkmcnt(0)
	s_barrier
	buffer_gl0_inv
.LBB213_189:                            ;   in Loop: Header=BB213_31 Depth=1
	s_lshl_b32 s9, 1, s22
	v_or_b32_e32 v29, s20, v29
	v_and_or_b32 v28, v28, s21, s9
	s_mov_b32 s9, 0
	s_mov_b32 s19, 8
.LBB213_190:                            ;   in Loop: Header=BB213_31 Depth=1
	s_or_saveexec_b32 s18, s18
	v_mov_b32_e32 v7, s19
	s_xor_b32 exec_lo, exec_lo, s18
; %bb.191:                              ;   in Loop: Header=BB213_31 Depth=1
	v_sub_co_u32 v2, vcc_lo, v2, s12
	v_subrev_co_ci_u32_e32 v3, vcc_lo, s13, v3, vcc_lo
	v_mov_b32_e32 v7, 0
	s_or_b32 s9, s9, exec_lo
; %bb.192:                              ;   in Loop: Header=BB213_31 Depth=1
	s_or_b32 exec_lo, exec_lo, s18
	s_delay_alu instid0(VALU_DEP_2)
	v_dual_mov_b32 v5, v3 :: v_dual_mov_b32 v4, v2
	s_and_b32 s26, s9, exec_lo
.LBB213_193:                            ;   in Loop: Header=BB213_31 Depth=1
	s_or_b32 exec_lo, exec_lo, s8
	s_mov_b32 s8, -1
                                        ; implicit-def: $sgpr9
                                        ; implicit-def: $sgpr18
                                        ; implicit-def: $sgpr19
	s_and_saveexec_b32 s76, s26
	s_cbranch_execz .LBB213_294
; %bb.194:                              ;   in Loop: Header=BB213_31 Depth=1
	v_cmp_eq_u64_e32 vcc_lo, 1, v[4:5]
	s_cmp_eq_u64 s[14:15], 1
                                        ; implicit-def: $sgpr77
                                        ; implicit-def: $sgpr79
                                        ; implicit-def: $sgpr78
	s_cselect_b32 s8, -1, 0
	s_delay_alu instid0(SALU_CYCLE_1)
	s_and_b32 s59, s8, vcc_lo
	s_mov_b32 s8, -1
	s_and_saveexec_b32 s46, s59
	s_cbranch_execz .LBB213_228
; %bb.195:                              ;   in Loop: Header=BB213_31 Depth=1
	ds_load_b64 v[2:3], v13 offset:5120
	s_waitcnt lgkmcnt(0)
	s_barrier
	buffer_gl0_inv
	v_readfirstlane_b32 s18, v2
	v_readfirstlane_b32 s19, v3
	s_and_saveexec_b32 s8, s6
	s_cbranch_execz .LBB213_197
; %bb.196:                              ;   in Loop: Header=BB213_31 Depth=1
	ds_store_b16 v44, v13
.LBB213_197:                            ;   in Loop: Header=BB213_31 Depth=1
	s_or_b32 exec_lo, exec_lo, s8
	s_lshl_b32 s8, 2, s22
	v_or_b32_e32 v29, s20, v29
	v_and_or_b32 v28, v28, s21, s8
	s_cmp_eq_u64 s[18:19], 0
	s_waitcnt lgkmcnt(0)
	s_barrier
	buffer_gl0_inv
	s_cbranch_scc1 .LBB213_211
; %bb.198:                              ;   in Loop: Header=BB213_31 Depth=1
	s_add_u32 s26, s85, s18
	s_addc_u32 s9, s86, s19
	s_mov_b32 s8, s61
	s_delay_alu instid0(SALU_CYCLE_1)
	s_cmp_lg_u64 s[8:9], 0
	s_cbranch_scc0 .LBB213_246
; %bb.199:                              ;   in Loop: Header=BB213_31 Depth=1
	v_cvt_f32_u32_e32 v2, s33
	s_sub_u32 s56, 0, s33
	s_subb_u32 s57, 0, 0
	s_delay_alu instid0(VALU_DEP_1) | instskip(NEXT) | instid1(VALU_DEP_1)
	v_fmac_f32_e64 v2, 0, 0x4f800000
	v_rcp_f32_e32 v2, v2
	s_waitcnt_depctr 0xfff
	v_mul_f32_e32 v2, 0x5f7ffffc, v2
	s_delay_alu instid0(VALU_DEP_1) | instskip(NEXT) | instid1(VALU_DEP_1)
	v_mul_f32_e32 v3, 0x2f800000, v2
	v_trunc_f32_e32 v3, v3
	s_delay_alu instid0(VALU_DEP_1) | instskip(SKIP_1) | instid1(VALU_DEP_2)
	v_fmac_f32_e32 v2, 0xcf800000, v3
	v_cvt_u32_f32_e32 v3, v3
	v_cvt_u32_f32_e32 v2, v2
	s_delay_alu instid0(VALU_DEP_2) | instskip(NEXT) | instid1(VALU_DEP_2)
	v_readfirstlane_b32 s8, v3
	v_readfirstlane_b32 s47, v2
	s_delay_alu instid0(VALU_DEP_2) | instskip(NEXT) | instid1(VALU_DEP_1)
	s_mul_i32 s58, s56, s8
	s_mul_hi_u32 s78, s56, s47
	s_mul_i32 s77, s57, s47
	s_add_i32 s58, s78, s58
	s_mul_i32 s79, s56, s47
	s_add_i32 s58, s58, s77
	s_mul_hi_u32 s78, s47, s79
	s_mul_hi_u32 vcc_lo, s8, s79
	s_mul_i32 s77, s8, s79
	s_mul_hi_u32 s79, s47, s58
	s_mul_i32 s47, s47, s58
	s_mul_hi_u32 s3, s8, s58
	s_add_u32 s47, s78, s47
	s_addc_u32 s78, 0, s79
	s_add_u32 s47, s47, s77
	s_mul_i32 s58, s8, s58
	s_addc_u32 s47, s78, vcc_lo
	s_addc_u32 s3, s3, 0
	s_add_u32 s47, s47, s58
	s_addc_u32 s3, 0, s3
	v_add_co_u32 v2, s47, v2, s47
	s_delay_alu instid0(VALU_DEP_1) | instskip(SKIP_1) | instid1(VALU_DEP_1)
	s_cmp_lg_u32 s47, 0
	s_addc_u32 s3, s8, s3
	v_readfirstlane_b32 s47, v2
	s_mul_i32 s8, s56, s3
	s_delay_alu instid0(VALU_DEP_1)
	s_mul_hi_u32 s58, s56, s47
	s_mul_i32 s57, s57, s47
	s_add_i32 s8, s58, s8
	s_mul_i32 s56, s56, s47
	s_add_i32 s8, s8, s57
	s_mul_hi_u32 s58, s3, s56
	s_mul_i32 s77, s3, s56
	s_mul_hi_u32 s56, s47, s56
	s_mul_hi_u32 s78, s47, s8
	s_mul_i32 s47, s47, s8
	s_mul_hi_u32 s57, s3, s8
	s_add_u32 s47, s56, s47
	s_addc_u32 s56, 0, s78
	s_add_u32 s47, s47, s77
	s_mul_i32 s8, s3, s8
	s_addc_u32 s47, s56, s58
	s_addc_u32 s56, s57, 0
	s_add_u32 s8, s47, s8
	s_addc_u32 s47, 0, s56
	v_add_co_u32 v2, s8, v2, s8
	s_delay_alu instid0(VALU_DEP_1) | instskip(SKIP_1) | instid1(VALU_DEP_1)
	s_cmp_lg_u32 s8, 0
	s_addc_u32 s3, s3, s47
	v_readfirstlane_b32 s8, v2
	s_mul_i32 s56, s26, s3
	s_mul_hi_u32 s47, s26, s3
	s_mul_hi_u32 s57, s9, s3
	s_mul_i32 s3, s9, s3
	s_mul_hi_u32 s58, s26, s8
	s_mul_hi_u32 s77, s9, s8
	s_mul_i32 s8, s9, s8
	s_add_u32 s56, s58, s56
	s_addc_u32 s47, 0, s47
	s_add_u32 s8, s56, s8
	s_addc_u32 s8, s47, s77
	s_addc_u32 s47, s57, 0
	s_add_u32 s3, s8, s3
	s_addc_u32 s8, 0, s47
	s_mul_hi_u32 s47, s33, s3
	s_mul_i32 s3, s33, s3
	s_mul_i32 s8, s33, s8
	v_sub_co_u32 v2, s3, s26, s3
	s_add_i32 s47, s47, s8
	s_cmp_lg_u32 s3, 0
	s_delay_alu instid0(VALU_DEP_1) | instskip(SKIP_3) | instid1(VALU_DEP_2)
	v_sub_co_u32 v3, s3, v2, s33
	s_subb_u32 s47, s9, s47
	s_cmp_lg_u32 s3, 0
	v_cmp_le_u32_e32 vcc_lo, s33, v2
	v_cmp_le_u32_e64 s8, s33, v3
	v_sub_co_u32 v6, s3, v3, s33
	s_subb_u32 s56, s47, 0
	s_cmp_lg_u32 s3, 0
	s_delay_alu instid0(VALU_DEP_2)
	v_cndmask_b32_e64 v7, 0, -1, s8
	s_subb_u32 s3, s56, 0
	s_cmp_eq_u32 s56, 0
	v_mov_b32_e32 v9, s3
	v_cndmask_b32_e64 v8, 0, -1, vcc_lo
	s_cselect_b32 vcc_lo, -1, 0
	s_cmp_eq_u32 s47, 0
	v_cndmask_b32_e32 v7, -1, v7, vcc_lo
	s_cselect_b32 vcc_lo, -1, 0
	v_cndmask_b32_e32 v8, -1, v8, vcc_lo
	s_delay_alu instid0(VALU_DEP_2) | instskip(NEXT) | instid1(VALU_DEP_2)
	v_cmp_ne_u32_e32 vcc_lo, 0, v7
	v_cmp_ne_u32_e64 s8, 0, v8
	v_cndmask_b32_e32 v7, s56, v9, vcc_lo
	v_cndmask_b32_e32 v6, v3, v6, vcc_lo
	s_delay_alu instid0(VALU_DEP_2) | instskip(NEXT) | instid1(VALU_DEP_2)
	v_cndmask_b32_e64 v3, s47, v7, s8
	v_cndmask_b32_e64 v2, v2, v6, s8
	s_cbranch_execnz .LBB213_201
.LBB213_200:                            ;   in Loop: Header=BB213_31 Depth=1
	v_cvt_f32_u32_e32 v2, s33
	s_sub_i32 s8, 0, s33
	s_delay_alu instid0(VALU_DEP_1) | instskip(SKIP_2) | instid1(VALU_DEP_1)
	v_rcp_iflag_f32_e32 v2, v2
	s_waitcnt_depctr 0xfff
	v_mul_f32_e32 v2, 0x4f7ffffe, v2
	v_cvt_u32_f32_e32 v2, v2
	s_delay_alu instid0(VALU_DEP_1) | instskip(NEXT) | instid1(VALU_DEP_1)
	v_mul_lo_u32 v3, s8, v2
	v_mul_hi_u32 v3, v2, v3
	s_delay_alu instid0(VALU_DEP_1) | instskip(NEXT) | instid1(VALU_DEP_1)
	v_add_nc_u32_e32 v2, v2, v3
	v_mul_hi_u32 v2, s26, v2
	s_delay_alu instid0(VALU_DEP_1) | instskip(NEXT) | instid1(VALU_DEP_1)
	v_mul_lo_u32 v2, v2, s33
	v_sub_nc_u32_e32 v2, s26, v2
	s_delay_alu instid0(VALU_DEP_1) | instskip(SKIP_1) | instid1(VALU_DEP_2)
	v_subrev_nc_u32_e32 v3, s33, v2
	v_cmp_le_u32_e32 vcc_lo, s33, v2
	v_cndmask_b32_e32 v2, v2, v3, vcc_lo
	s_delay_alu instid0(VALU_DEP_1) | instskip(SKIP_1) | instid1(VALU_DEP_2)
	v_subrev_nc_u32_e32 v3, s33, v2
	v_cmp_le_u32_e32 vcc_lo, s33, v2
	v_cndmask_b32_e32 v12, v2, v3, vcc_lo
	s_delay_alu instid0(VALU_DEP_1)
	v_dual_mov_b32 v2, v12 :: v_dual_mov_b32 v3, v13
.LBB213_201:                            ;   in Loop: Header=BB213_31 Depth=1
	s_delay_alu instid0(VALU_DEP_1) | instskip(NEXT) | instid1(VALU_DEP_2)
	v_sub_co_u32 v2, vcc_lo, s26, v2
	v_sub_co_ci_u32_e32 v3, vcc_lo, s9, v3, vcc_lo
	s_mov_b32 s8, 0
	s_mov_b32 s9, exec_lo
                                        ; implicit-def: $vgpr6
	s_delay_alu instid0(VALU_DEP_1)
	v_cmpx_gt_u64_e64 v[2:3], v[0:1]
	s_cbranch_execz .LBB213_213
; %bb.202:                              ;   in Loop: Header=BB213_31 Depth=1
	v_dual_mov_b32 v8, v43 :: v_dual_mov_b32 v7, v1
	v_mov_b32_e32 v6, v0
	s_mov_b32 s26, 0
                                        ; implicit-def: $sgpr47
	s_set_inst_prefetch_distance 0x1
	s_branch .LBB213_204
	.p2align	6
.LBB213_203:                            ;   in Loop: Header=BB213_204 Depth=2
	s_or_b32 exec_lo, exec_lo, s8
	s_waitcnt lgkmcnt(0)
	s_barrier
	buffer_gl0_inv
	ds_load_b32 v9, v13 offset:3072
	v_add_co_u32 v6, vcc_lo, v6, s33
	v_add_co_ci_u32_e32 v7, vcc_lo, 0, v7, vcc_lo
	v_add_nc_u32_e32 v8, s93, v8
	s_waitcnt lgkmcnt(0)
	s_barrier
	s_delay_alu instid0(VALU_DEP_2) | instskip(SKIP_2) | instid1(VALU_DEP_1)
	v_cmp_ge_u64_e32 vcc_lo, v[6:7], v[2:3]
	buffer_gl0_inv
	v_cmp_neq_f16_e64 s8, 0, v9
	s_or_b32 s3, vcc_lo, s8
	s_delay_alu instid0(SALU_CYCLE_1) | instskip(NEXT) | instid1(SALU_CYCLE_1)
	s_and_b32 s3, exec_lo, s3
	s_or_b32 s26, s3, s26
	s_and_not1_b32 s3, s47, exec_lo
	s_and_b32 s8, s8, exec_lo
	s_delay_alu instid0(SALU_CYCLE_1)
	s_or_b32 s47, s3, s8
	s_and_not1_b32 exec_lo, exec_lo, s26
	s_cbranch_execz .LBB213_212
.LBB213_204:                            ;   Parent Loop BB213_31 Depth=1
                                        ; =>  This Inner Loop Header: Depth=2
	s_delay_alu instid0(VALU_DEP_1)
	v_cmp_gt_u64_e32 vcc_lo, s[18:19], v[6:7]
	v_mov_b32_e32 v9, 0
	s_and_saveexec_b32 s8, vcc_lo
	s_cbranch_execz .LBB213_206
; %bb.205:                              ;   in Loop: Header=BB213_204 Depth=2
	ds_load_u16 v9, v8
.LBB213_206:                            ;   in Loop: Header=BB213_204 Depth=2
	s_or_b32 exec_lo, exec_lo, s8
	s_and_saveexec_b32 s8, vcc_lo
	s_cbranch_execz .LBB213_203
; %bb.207:                              ;   in Loop: Header=BB213_204 Depth=2
	s_waitcnt lgkmcnt(0)
	v_cmp_lt_i16_e32 vcc_lo, -1, v9
	v_and_b32_e32 v12, 0xffff, v9
	v_cndmask_b32_e32 v30, 0xffff, v47, vcc_lo
	v_cmp_o_f16_e32 vcc_lo, v9, v9
	s_delay_alu instid0(VALU_DEP_2) | instskip(NEXT) | instid1(VALU_DEP_1)
	v_xor_b32_e32 v12, v30, v12
	v_cndmask_b32_e32 v12, 0xffff, v12, vcc_lo
	s_delay_alu instid0(VALU_DEP_1) | instskip(NEXT) | instid1(VALU_DEP_1)
	v_and_b32_e32 v12, v12, v29
	v_cmp_eq_u32_e32 vcc_lo, v12, v28
	s_and_b32 exec_lo, exec_lo, vcc_lo
	s_cbranch_execz .LBB213_203
; %bb.208:                              ;   in Loop: Header=BB213_204 Depth=2
	v_perm_b32 v9, v9, s96, 0x5040100
	ds_store_b32 v13, v9 offset:3072
	s_branch .LBB213_203
.LBB213_209:                            ;   in Loop: Header=BB213_31 Depth=1
                                        ; implicit-def: $vgpr4_vgpr5
	s_branch .LBB213_154
.LBB213_210:                            ;   in Loop: Header=BB213_31 Depth=1
                                        ; implicit-def: $vgpr4_vgpr5
	s_branch .LBB213_170
.LBB213_211:                            ;   in Loop: Header=BB213_31 Depth=1
	s_mov_b32 s77, -1
	s_mov_b32 s8, 0
                                        ; implicit-def: $sgpr78
                                        ; implicit-def: $vgpr6
	s_mov_b32 s79, s77
	s_cbranch_execnz .LBB213_214
	s_branch .LBB213_227
.LBB213_212:                            ;   in Loop: Header=BB213_31 Depth=1
	s_set_inst_prefetch_distance 0x2
	s_or_b32 exec_lo, exec_lo, s26
	v_lshrrev_b32_e32 v6, 16, v9
	s_and_b32 s8, s47, exec_lo
.LBB213_213:                            ;   in Loop: Header=BB213_31 Depth=1
	s_or_b32 exec_lo, exec_lo, s9
	s_mov_b32 s78, -1
	s_mov_b32 s77, 0
	s_delay_alu instid0(SALU_CYCLE_1)
	s_mov_b32 s79, s77
	s_branch .LBB213_227
.LBB213_214:                            ;   in Loop: Header=BB213_31 Depth=1
	s_mov_b32 s26, s61
	s_delay_alu instid0(SALU_CYCLE_1)
	s_cmp_lg_u64 s[26:27], 0
	s_cbranch_scc0 .LBB213_247
; %bb.215:                              ;   in Loop: Header=BB213_31 Depth=1
	v_cvt_f32_u32_e32 v2, s33
	s_sub_u32 s9, 0, s33
	s_subb_u32 s18, 0, 0
	s_delay_alu instid0(VALU_DEP_1) | instskip(NEXT) | instid1(VALU_DEP_1)
	v_fmac_f32_e64 v2, 0, 0x4f800000
	v_rcp_f32_e32 v2, v2
	s_waitcnt_depctr 0xfff
	v_mul_f32_e32 v2, 0x5f7ffffc, v2
	s_delay_alu instid0(VALU_DEP_1) | instskip(NEXT) | instid1(VALU_DEP_1)
	v_mul_f32_e32 v3, 0x2f800000, v2
	v_trunc_f32_e32 v3, v3
	s_delay_alu instid0(VALU_DEP_1) | instskip(SKIP_1) | instid1(VALU_DEP_2)
	v_fmac_f32_e32 v2, 0xcf800000, v3
	v_cvt_u32_f32_e32 v3, v3
	v_cvt_u32_f32_e32 v2, v2
	s_delay_alu instid0(VALU_DEP_2) | instskip(NEXT) | instid1(VALU_DEP_2)
	v_readfirstlane_b32 s3, v3
	v_readfirstlane_b32 s8, v2
	s_delay_alu instid0(VALU_DEP_2) | instskip(NEXT) | instid1(VALU_DEP_1)
	s_mul_i32 s19, s9, s3
	s_mul_hi_u32 s47, s9, s8
	s_mul_i32 s26, s18, s8
	s_add_i32 s19, s47, s19
	s_mul_i32 s56, s9, s8
	s_add_i32 s19, s19, s26
	s_mul_hi_u32 s47, s8, s56
	s_mul_hi_u32 s57, s3, s56
	s_mul_i32 s26, s3, s56
	s_mul_hi_u32 s56, s8, s19
	s_mul_i32 s8, s8, s19
	s_mul_hi_u32 s58, s3, s19
	s_add_u32 s8, s47, s8
	s_addc_u32 s47, 0, s56
	s_add_u32 s8, s8, s26
	s_mul_i32 s19, s3, s19
	s_addc_u32 s8, s47, s57
	s_addc_u32 s26, s58, 0
	s_add_u32 s8, s8, s19
	s_addc_u32 s19, 0, s26
	v_add_co_u32 v2, s8, v2, s8
	s_delay_alu instid0(VALU_DEP_1) | instskip(SKIP_1) | instid1(VALU_DEP_1)
	s_cmp_lg_u32 s8, 0
	s_addc_u32 s3, s3, s19
	v_readfirstlane_b32 s8, v2
	s_mul_i32 s19, s9, s3
	s_delay_alu instid0(VALU_DEP_1)
	s_mul_hi_u32 s26, s9, s8
	s_mul_i32 s18, s18, s8
	s_add_i32 s19, s26, s19
	s_mul_i32 s9, s9, s8
	s_add_i32 s19, s19, s18
	s_mul_hi_u32 s26, s3, s9
	s_mul_i32 s47, s3, s9
	s_mul_hi_u32 s9, s8, s9
	s_mul_hi_u32 s56, s8, s19
	s_mul_i32 s8, s8, s19
	s_mul_hi_u32 s18, s3, s19
	s_add_u32 s8, s9, s8
	s_addc_u32 s9, 0, s56
	s_add_u32 s8, s8, s47
	s_mul_i32 s19, s3, s19
	s_addc_u32 s8, s9, s26
	s_addc_u32 s9, s18, 0
	s_add_u32 s8, s8, s19
	s_addc_u32 s9, 0, s9
	v_add_co_u32 v2, s8, v2, s8
	s_delay_alu instid0(VALU_DEP_1) | instskip(SKIP_1) | instid1(VALU_DEP_1)
	s_cmp_lg_u32 s8, 0
	s_addc_u32 s3, s3, s9
	v_readfirstlane_b32 s8, v2
	s_mul_i32 s18, s87, s3
	s_mul_hi_u32 s9, s87, s3
	s_mul_hi_u32 s19, s27, s3
	s_mul_i32 s3, s27, s3
	s_mul_hi_u32 s26, s87, s8
	s_mul_hi_u32 s47, s27, s8
	s_mul_i32 s8, s27, s8
	s_add_u32 s18, s26, s18
	s_addc_u32 s9, 0, s9
	s_add_u32 s8, s18, s8
	s_addc_u32 s8, s9, s47
	s_addc_u32 s9, s19, 0
	s_add_u32 s3, s8, s3
	s_addc_u32 s8, 0, s9
	s_mul_hi_u32 s9, s33, s3
	s_mul_i32 s3, s33, s3
	s_mul_i32 s8, s33, s8
	v_sub_co_u32 v2, s3, s87, s3
	s_add_i32 s9, s9, s8
	s_cmp_lg_u32 s3, 0
	s_delay_alu instid0(VALU_DEP_1) | instskip(SKIP_3) | instid1(VALU_DEP_2)
	v_sub_co_u32 v3, s3, v2, s33
	s_subb_u32 s9, s27, s9
	s_cmp_lg_u32 s3, 0
	v_cmp_le_u32_e32 vcc_lo, s33, v2
	v_cmp_le_u32_e64 s8, s33, v3
	v_sub_co_u32 v6, s3, v3, s33
	s_subb_u32 s18, s9, 0
	s_cmp_lg_u32 s3, 0
	s_delay_alu instid0(VALU_DEP_2)
	v_cndmask_b32_e64 v7, 0, -1, s8
	s_subb_u32 s3, s18, 0
	s_cmp_eq_u32 s18, 0
	v_mov_b32_e32 v9, s3
	v_cndmask_b32_e64 v8, 0, -1, vcc_lo
	s_cselect_b32 vcc_lo, -1, 0
	s_cmp_eq_u32 s9, 0
	v_cndmask_b32_e32 v7, -1, v7, vcc_lo
	s_cselect_b32 vcc_lo, -1, 0
	v_cndmask_b32_e32 v8, -1, v8, vcc_lo
	s_delay_alu instid0(VALU_DEP_2) | instskip(NEXT) | instid1(VALU_DEP_2)
	v_cmp_ne_u32_e32 vcc_lo, 0, v7
	v_cmp_ne_u32_e64 s8, 0, v8
	v_cndmask_b32_e32 v7, s18, v9, vcc_lo
	v_cndmask_b32_e32 v6, v3, v6, vcc_lo
	s_delay_alu instid0(VALU_DEP_2) | instskip(NEXT) | instid1(VALU_DEP_2)
	v_cndmask_b32_e64 v3, s9, v7, s8
	v_cndmask_b32_e64 v2, v2, v6, s8
	s_cbranch_execnz .LBB213_217
.LBB213_216:                            ;   in Loop: Header=BB213_31 Depth=1
	v_cvt_f32_u32_e32 v2, s33
	s_sub_i32 s3, 0, s33
	s_delay_alu instid0(VALU_DEP_1) | instskip(SKIP_2) | instid1(VALU_DEP_1)
	v_rcp_iflag_f32_e32 v2, v2
	s_waitcnt_depctr 0xfff
	v_mul_f32_e32 v2, 0x4f7ffffe, v2
	v_cvt_u32_f32_e32 v2, v2
	s_delay_alu instid0(VALU_DEP_1) | instskip(NEXT) | instid1(VALU_DEP_1)
	v_mul_lo_u32 v3, s3, v2
	v_mul_hi_u32 v3, v2, v3
	s_delay_alu instid0(VALU_DEP_1) | instskip(NEXT) | instid1(VALU_DEP_1)
	v_add_nc_u32_e32 v2, v2, v3
	v_mul_hi_u32 v2, s87, v2
	s_delay_alu instid0(VALU_DEP_1) | instskip(NEXT) | instid1(VALU_DEP_1)
	v_mul_lo_u32 v2, v2, s33
	v_sub_nc_u32_e32 v2, s87, v2
	s_delay_alu instid0(VALU_DEP_1) | instskip(SKIP_1) | instid1(VALU_DEP_2)
	v_subrev_nc_u32_e32 v3, s33, v2
	v_cmp_le_u32_e32 vcc_lo, s33, v2
	v_cndmask_b32_e32 v2, v2, v3, vcc_lo
	s_delay_alu instid0(VALU_DEP_1) | instskip(SKIP_1) | instid1(VALU_DEP_2)
	v_subrev_nc_u32_e32 v3, s33, v2
	v_cmp_le_u32_e32 vcc_lo, s33, v2
	v_cndmask_b32_e32 v12, v2, v3, vcc_lo
	s_delay_alu instid0(VALU_DEP_1)
	v_dual_mov_b32 v2, v12 :: v_dual_mov_b32 v3, v13
.LBB213_217:                            ;   in Loop: Header=BB213_31 Depth=1
	s_delay_alu instid0(VALU_DEP_1) | instskip(NEXT) | instid1(VALU_DEP_2)
	v_sub_co_u32 v2, vcc_lo, s87, v2
	v_sub_co_ci_u32_e32 v3, vcc_lo, s27, v3, vcc_lo
	s_mov_b32 s8, 0
	s_mov_b32 s9, exec_lo
                                        ; implicit-def: $vgpr6
	s_delay_alu instid0(VALU_DEP_1)
	v_cmpx_gt_u64_e64 v[2:3], v[0:1]
	s_cbranch_execz .LBB213_226
; %bb.218:                              ;   in Loop: Header=BB213_31 Depth=1
	v_dual_mov_b32 v6, v24 :: v_dual_mov_b32 v7, v25
	v_dual_mov_b32 v9, v1 :: v_dual_mov_b32 v8, v0
	s_mov_b32 s18, 0
                                        ; implicit-def: $sgpr19
	s_branch .LBB213_220
.LBB213_219:                            ;   in Loop: Header=BB213_220 Depth=2
	s_or_b32 exec_lo, exec_lo, s8
	s_waitcnt vmcnt(0) lgkmcnt(0)
	s_barrier
	buffer_gl0_inv
	ds_load_b32 v12, v13 offset:3072
	v_add_co_u32 v8, vcc_lo, v8, s33
	v_add_co_ci_u32_e32 v9, vcc_lo, 0, v9, vcc_lo
	s_waitcnt lgkmcnt(0)
	s_barrier
	buffer_gl0_inv
	v_cmp_ge_u64_e32 vcc_lo, v[8:9], v[2:3]
	v_cmp_neq_f16_e64 s8, 0, v12
	s_delay_alu instid0(VALU_DEP_1)
	s_or_b32 s3, vcc_lo, s8
	v_add_co_u32 v6, vcc_lo, v6, s34
	s_and_b32 s3, exec_lo, s3
	v_add_co_ci_u32_e32 v7, vcc_lo, s35, v7, vcc_lo
	s_or_b32 s18, s3, s18
	s_and_not1_b32 s3, s19, exec_lo
	s_and_b32 s8, s8, exec_lo
	s_delay_alu instid0(SALU_CYCLE_1)
	s_or_b32 s19, s3, s8
	s_and_not1_b32 exec_lo, exec_lo, s18
	s_cbranch_execz .LBB213_225
.LBB213_220:                            ;   Parent Loop BB213_31 Depth=1
                                        ; =>  This Inner Loop Header: Depth=2
	s_delay_alu instid0(VALU_DEP_1)
	v_cmp_gt_u64_e32 vcc_lo, s[36:37], v[8:9]
	v_mov_b32_e32 v12, 0
	s_and_saveexec_b32 s8, vcc_lo
	s_cbranch_execz .LBB213_222
; %bb.221:                              ;   in Loop: Header=BB213_220 Depth=2
	global_load_u16 v12, v[6:7], off
.LBB213_222:                            ;   in Loop: Header=BB213_220 Depth=2
	s_or_b32 exec_lo, exec_lo, s8
	s_and_saveexec_b32 s8, vcc_lo
	s_cbranch_execz .LBB213_219
; %bb.223:                              ;   in Loop: Header=BB213_220 Depth=2
	s_waitcnt vmcnt(0)
	v_cmp_lt_i16_e32 vcc_lo, -1, v12
	v_dual_cndmask_b32 v31, 0xffff, v47 :: v_dual_and_b32 v30, 0xffff, v12
	v_cmp_o_f16_e32 vcc_lo, v12, v12
	s_delay_alu instid0(VALU_DEP_2) | instskip(NEXT) | instid1(VALU_DEP_1)
	v_xor_b32_e32 v30, v31, v30
	v_cndmask_b32_e32 v30, 0xffff, v30, vcc_lo
	s_delay_alu instid0(VALU_DEP_1) | instskip(NEXT) | instid1(VALU_DEP_1)
	v_and_b32_e32 v30, v30, v29
	v_cmp_eq_u32_e32 vcc_lo, v30, v28
	s_and_b32 exec_lo, exec_lo, vcc_lo
	s_cbranch_execz .LBB213_219
; %bb.224:                              ;   in Loop: Header=BB213_220 Depth=2
	v_perm_b32 v12, v12, s96, 0x5040100
	ds_store_b32 v13, v12 offset:3072
	s_branch .LBB213_219
.LBB213_225:                            ;   in Loop: Header=BB213_31 Depth=1
	s_or_b32 exec_lo, exec_lo, s18
	v_lshrrev_b32_e32 v6, 16, v12
	s_and_b32 s8, s19, exec_lo
.LBB213_226:                            ;   in Loop: Header=BB213_31 Depth=1
	s_or_b32 exec_lo, exec_lo, s9
	s_mov_b32 s79, -1
	s_mov_b32 s77, 0
	s_mov_b32 s78, 0
.LBB213_227:                            ;   in Loop: Header=BB213_31 Depth=1
	s_or_not1_b32 s8, s8, exec_lo
.LBB213_228:                            ;   in Loop: Header=BB213_31 Depth=1
	s_or_b32 exec_lo, exec_lo, s46
	s_mov_b32 s26, 0
                                        ; implicit-def: $vgpr7
	s_and_saveexec_b32 s58, s8
	s_cbranch_execz .LBB213_293
; %bb.229:                              ;   in Loop: Header=BB213_31 Depth=1
	v_dual_mov_b32 v2, 1 :: v_dual_mov_b32 v7, 1
	v_mov_b32_e32 v3, 0
	s_xor_b32 s3, s59, -1
	s_delay_alu instid0(SALU_CYCLE_1)
	s_and_saveexec_b32 s8, s3
	s_cbranch_execz .LBB213_239
; %bb.230:                              ;   in Loop: Header=BB213_31 Depth=1
                                        ; implicit-def: $sgpr19
                                        ; implicit-def: $sgpr9
	s_mov_b32 s3, exec_lo
	v_cmpx_ge_u64_e64 s[14:15], v[4:5]
	s_xor_b32 s18, exec_lo, s3
	s_cbranch_execz .LBB213_236
; %bb.231:                              ;   in Loop: Header=BB213_31 Depth=1
	ds_load_b64 v[2:3], v13 offset:5120
	s_waitcnt lgkmcnt(0)
	v_cmp_ne_u64_e32 vcc_lo, 0, v[2:3]
	s_cbranch_vccnz .LBB213_235
; %bb.232:                              ;   in Loop: Header=BB213_31 Depth=1
	s_and_saveexec_b32 s9, s5
	s_cbranch_execz .LBB213_234
; %bb.233:                              ;   in Loop: Header=BB213_31 Depth=1
	v_dual_mov_b32 v2, s14 :: v_dual_mov_b32 v3, s15
	ds_store_b64 v13, v[2:3] offset:5128
.LBB213_234:                            ;   in Loop: Header=BB213_31 Depth=1
	s_or_b32 exec_lo, exec_lo, s9
	s_waitcnt lgkmcnt(0)
	s_barrier
	buffer_gl0_inv
.LBB213_235:                            ;   in Loop: Header=BB213_31 Depth=1
	s_lshl_b32 s3, 2, s22
	v_or_b32_e32 v29, s20, v29
	v_and_or_b32 v28, v28, s21, s3
	s_mov_b32 s9, 0
	s_mov_b32 s19, 8
.LBB213_236:                            ;   in Loop: Header=BB213_31 Depth=1
	s_or_saveexec_b32 s18, s18
	v_mov_b32_e32 v7, s19
	s_xor_b32 exec_lo, exec_lo, s18
; %bb.237:                              ;   in Loop: Header=BB213_31 Depth=1
	v_sub_co_u32 v4, vcc_lo, v4, s14
	v_subrev_co_ci_u32_e32 v5, vcc_lo, s15, v5, vcc_lo
	v_mov_b32_e32 v7, 0
	s_or_b32 s9, s9, exec_lo
; %bb.238:                              ;   in Loop: Header=BB213_31 Depth=1
	s_or_b32 exec_lo, exec_lo, s18
	s_delay_alu instid0(VALU_DEP_2)
	v_dual_mov_b32 v2, v4 :: v_dual_mov_b32 v3, v5
	s_and_b32 s26, s9, exec_lo
.LBB213_239:                            ;   in Loop: Header=BB213_31 Depth=1
	s_or_b32 exec_lo, exec_lo, s8
	s_mov_b32 s19, -1
                                        ; implicit-def: $sgpr8
                                        ; implicit-def: $sgpr18
                                        ; implicit-def: $sgpr9
	s_and_saveexec_b32 s59, s26
	s_cbranch_execz .LBB213_292
; %bb.240:                              ;   in Loop: Header=BB213_31 Depth=1
	v_cmp_eq_u64_e32 vcc_lo, 1, v[2:3]
	s_cmp_eq_u64 s[16:17], 1
	s_mov_b32 s26, -1
	s_cselect_b32 s3, -1, 0
                                        ; implicit-def: $sgpr8
                                        ; implicit-def: $sgpr18
                                        ; implicit-def: $sgpr9
	s_delay_alu instid0(SALU_CYCLE_1) | instskip(NEXT) | instid1(SALU_CYCLE_1)
	s_and_b32 s46, s3, vcc_lo
	s_and_saveexec_b32 s47, s46
	s_cbranch_execz .LBB213_279
; %bb.241:                              ;   in Loop: Header=BB213_31 Depth=1
	ds_load_b64 v[4:5], v13 offset:5120
	s_waitcnt lgkmcnt(0)
	s_barrier
	buffer_gl0_inv
	v_readfirstlane_b32 s18, v4
	v_readfirstlane_b32 s19, v5
	s_and_saveexec_b32 s8, s6
	s_cbranch_execz .LBB213_243
; %bb.242:                              ;   in Loop: Header=BB213_31 Depth=1
	ds_store_b16 v44, v13
.LBB213_243:                            ;   in Loop: Header=BB213_31 Depth=1
	s_or_b32 exec_lo, exec_lo, s8
	v_or_b32_e32 v28, s20, v28
	v_or_b32_e32 v29, s20, v29
	s_cmp_eq_u64 s[18:19], 0
	s_waitcnt lgkmcnt(0)
	s_barrier
	buffer_gl0_inv
	s_cbranch_scc1 .LBB213_248
; %bb.244:                              ;   in Loop: Header=BB213_31 Depth=1
	s_add_u32 s26, s85, s18
	s_addc_u32 s9, s86, s19
	s_mov_b32 s8, s61
	v_writelane_b32 v51, s88, 9
	s_cmp_lg_u64 s[8:9], 0
	s_cbranch_scc0 .LBB213_249
; %bb.245:                              ;   in Loop: Header=BB213_31 Depth=1
	v_cvt_f32_u32_e32 v4, s33
	s_sub_u32 s56, 0, s33
	s_subb_u32 s57, 0, 0
	s_delay_alu instid0(VALU_DEP_1) | instskip(NEXT) | instid1(VALU_DEP_1)
	v_fmac_f32_e64 v4, 0, 0x4f800000
	v_rcp_f32_e32 v4, v4
	s_waitcnt_depctr 0xfff
	v_mul_f32_e32 v4, 0x5f7ffffc, v4
	s_delay_alu instid0(VALU_DEP_1) | instskip(NEXT) | instid1(VALU_DEP_1)
	v_mul_f32_e32 v5, 0x2f800000, v4
	v_trunc_f32_e32 v5, v5
	s_delay_alu instid0(VALU_DEP_1) | instskip(SKIP_1) | instid1(VALU_DEP_2)
	v_fmac_f32_e32 v4, 0xcf800000, v5
	v_cvt_u32_f32_e32 v5, v5
	v_cvt_u32_f32_e32 v4, v4
	s_delay_alu instid0(VALU_DEP_2) | instskip(NEXT) | instid1(VALU_DEP_2)
	v_readfirstlane_b32 s3, v5
	v_readfirstlane_b32 s8, v4
	s_delay_alu instid0(VALU_DEP_2) | instskip(NEXT) | instid1(VALU_DEP_1)
	s_mul_i32 vcc_lo, s56, s3
	s_mul_hi_u32 s43, s56, s8
	s_mul_i32 s42, s57, s8
	s_add_i32 s43, s43, vcc_lo
	s_mul_i32 s50, s56, s8
	s_add_i32 s43, s43, s42
	s_mul_hi_u32 s51, s8, s50
	s_mul_hi_u32 vcc_lo, s3, s50
	s_mul_i32 s42, s3, s50
	s_mul_hi_u32 s50, s8, s43
	s_mul_i32 s8, s8, s43
	s_mul_hi_u32 s88, s3, s43
	s_add_u32 s8, s51, s8
	s_addc_u32 s50, 0, s50
	s_add_u32 s8, s8, s42
	s_mul_i32 s43, s3, s43
	s_addc_u32 s8, s50, vcc_lo
	s_addc_u32 s42, s88, 0
	s_add_u32 s8, s8, s43
	s_addc_u32 s42, 0, s42
	v_add_co_u32 v4, s8, v4, s8
	s_delay_alu instid0(VALU_DEP_1) | instskip(SKIP_1) | instid1(VALU_DEP_1)
	s_cmp_lg_u32 s8, 0
	s_addc_u32 s3, s3, s42
	v_readfirstlane_b32 s8, v4
	s_mul_i32 s42, s56, s3
	s_delay_alu instid0(VALU_DEP_1)
	s_mul_hi_u32 s43, s56, s8
	s_mul_i32 s57, s57, s8
	s_add_i32 s42, s43, s42
	s_mul_i32 s56, s56, s8
	s_add_i32 s42, s42, s57
	s_mul_hi_u32 s51, s8, s56
	s_mul_hi_u32 s57, s8, s42
	s_mul_i32 s8, s8, s42
	s_mul_i32 s50, s3, s56
	s_add_u32 s8, s51, s8
	s_mul_hi_u32 s43, s3, s56
	s_addc_u32 s51, 0, s57
	s_mul_hi_u32 s56, s3, s42
	s_add_u32 s8, s8, s50
	s_mul_i32 s42, s3, s42
	s_addc_u32 s8, s51, s43
	s_addc_u32 s43, s56, 0
	s_add_u32 s8, s8, s42
	s_addc_u32 s42, 0, s43
	v_add_co_u32 v4, s8, v4, s8
	s_delay_alu instid0(VALU_DEP_1) | instskip(SKIP_1) | instid1(VALU_DEP_1)
	s_cmp_lg_u32 s8, 0
	s_addc_u32 s3, s3, s42
	v_readfirstlane_b32 s8, v4
	s_mul_i32 s43, s26, s3
	s_mul_hi_u32 s42, s26, s3
	s_mul_hi_u32 s50, s9, s3
	s_mul_i32 s3, s9, s3
	s_mul_hi_u32 s51, s26, s8
	s_mul_hi_u32 s56, s9, s8
	s_mul_i32 s8, s9, s8
	s_add_u32 s43, s51, s43
	s_addc_u32 s42, 0, s42
	s_add_u32 s8, s43, s8
	s_addc_u32 s8, s42, s56
	s_addc_u32 s42, s50, 0
	s_add_u32 s3, s8, s3
	s_addc_u32 s8, 0, s42
	s_mul_hi_u32 s42, s33, s3
	s_mul_i32 s3, s33, s3
	s_mul_i32 s8, s33, s8
	v_sub_co_u32 v4, s3, s26, s3
	s_add_i32 s42, s42, s8
	s_cmp_lg_u32 s3, 0
	s_delay_alu instid0(VALU_DEP_1) | instskip(SKIP_3) | instid1(VALU_DEP_2)
	v_sub_co_u32 v5, s3, v4, s33
	s_subb_u32 s42, s9, s42
	s_cmp_lg_u32 s3, 0
	v_cmp_le_u32_e32 vcc_lo, s33, v4
	v_cmp_le_u32_e64 s8, s33, v5
	v_sub_co_u32 v6, s3, v5, s33
	s_subb_u32 s43, s42, 0
	s_cmp_lg_u32 s3, 0
	s_delay_alu instid0(VALU_DEP_2)
	v_cndmask_b32_e64 v7, 0, -1, s8
	s_subb_u32 s3, s43, 0
	s_cmp_eq_u32 s43, 0
	v_mov_b32_e32 v9, s3
	v_cndmask_b32_e64 v8, 0, -1, vcc_lo
	s_cselect_b32 vcc_lo, -1, 0
	s_cmp_eq_u32 s42, 0
	v_cndmask_b32_e32 v7, -1, v7, vcc_lo
	s_cselect_b32 vcc_lo, -1, 0
	v_cndmask_b32_e32 v8, -1, v8, vcc_lo
	s_delay_alu instid0(VALU_DEP_2) | instskip(NEXT) | instid1(VALU_DEP_2)
	v_cmp_ne_u32_e32 vcc_lo, 0, v7
	v_cmp_ne_u32_e64 s8, 0, v8
	v_cndmask_b32_e32 v7, s43, v9, vcc_lo
	v_cndmask_b32_e32 v6, v5, v6, vcc_lo
	s_delay_alu instid0(VALU_DEP_2) | instskip(NEXT) | instid1(VALU_DEP_2)
	v_cndmask_b32_e64 v5, s42, v7, s8
	v_cndmask_b32_e64 v4, v4, v6, s8
	s_mov_b32 s8, 0
	s_branch .LBB213_250
.LBB213_246:                            ;   in Loop: Header=BB213_31 Depth=1
                                        ; implicit-def: $vgpr2_vgpr3
	s_branch .LBB213_200
.LBB213_247:                            ;   in Loop: Header=BB213_31 Depth=1
                                        ; implicit-def: $vgpr2_vgpr3
	s_branch .LBB213_216
.LBB213_248:                            ;   in Loop: Header=BB213_31 Depth=1
	s_mov_b32 s8, -1
	s_mov_b32 s26, 0
                                        ; implicit-def: $sgpr9
                                        ; implicit-def: $vgpr6
	s_branch .LBB213_262
.LBB213_249:                            ;   in Loop: Header=BB213_31 Depth=1
	s_mov_b32 s8, -1
                                        ; implicit-def: $vgpr4_vgpr5
.LBB213_250:                            ;   in Loop: Header=BB213_31 Depth=1
	s_delay_alu instid0(SALU_CYCLE_1)
	s_and_not1_b32 vcc_lo, exec_lo, s8
	s_cbranch_vccnz .LBB213_252
; %bb.251:                              ;   in Loop: Header=BB213_31 Depth=1
	v_cvt_f32_u32_e32 v4, s33
	s_sub_i32 s3, 0, s33
	s_delay_alu instid0(VALU_DEP_1) | instskip(SKIP_2) | instid1(VALU_DEP_1)
	v_rcp_iflag_f32_e32 v4, v4
	s_waitcnt_depctr 0xfff
	v_mul_f32_e32 v4, 0x4f7ffffe, v4
	v_cvt_u32_f32_e32 v4, v4
	s_delay_alu instid0(VALU_DEP_1) | instskip(NEXT) | instid1(VALU_DEP_1)
	v_mul_lo_u32 v5, s3, v4
	v_mul_hi_u32 v5, v4, v5
	s_delay_alu instid0(VALU_DEP_1) | instskip(NEXT) | instid1(VALU_DEP_1)
	v_add_nc_u32_e32 v4, v4, v5
	v_mul_hi_u32 v4, s26, v4
	s_delay_alu instid0(VALU_DEP_1) | instskip(NEXT) | instid1(VALU_DEP_1)
	v_mul_lo_u32 v4, v4, s33
	v_sub_nc_u32_e32 v4, s26, v4
	s_delay_alu instid0(VALU_DEP_1) | instskip(SKIP_1) | instid1(VALU_DEP_2)
	v_subrev_nc_u32_e32 v5, s33, v4
	v_cmp_le_u32_e32 vcc_lo, s33, v4
	v_cndmask_b32_e32 v4, v4, v5, vcc_lo
	s_delay_alu instid0(VALU_DEP_1) | instskip(SKIP_1) | instid1(VALU_DEP_2)
	v_subrev_nc_u32_e32 v5, s33, v4
	v_cmp_le_u32_e32 vcc_lo, s33, v4
	v_cndmask_b32_e32 v12, v4, v5, vcc_lo
	s_delay_alu instid0(VALU_DEP_1)
	v_dual_mov_b32 v4, v12 :: v_dual_mov_b32 v5, v13
.LBB213_252:                            ;   in Loop: Header=BB213_31 Depth=1
	s_delay_alu instid0(VALU_DEP_1) | instskip(NEXT) | instid1(VALU_DEP_2)
	v_sub_co_u32 v4, vcc_lo, s26, v4
	v_sub_co_ci_u32_e32 v5, vcc_lo, s9, v5, vcc_lo
	s_mov_b32 s26, 0
	s_mov_b32 s9, exec_lo
                                        ; implicit-def: $vgpr6
	s_delay_alu instid0(VALU_DEP_1)
	v_cmpx_gt_u64_e64 v[4:5], v[0:1]
	v_readlane_b32 s88, v51, 9
	s_cbranch_execz .LBB213_261
; %bb.253:                              ;   in Loop: Header=BB213_31 Depth=1
	v_dual_mov_b32 v8, v43 :: v_dual_mov_b32 v7, v1
	v_mov_b32_e32 v6, v0
                                        ; implicit-def: $sgpr56
	s_set_inst_prefetch_distance 0x1
	s_branch .LBB213_255
	.p2align	6
.LBB213_254:                            ;   in Loop: Header=BB213_255 Depth=2
	s_or_b32 exec_lo, exec_lo, s8
	s_waitcnt lgkmcnt(0)
	s_barrier
	buffer_gl0_inv
	ds_load_b32 v9, v13 offset:3072
	v_add_co_u32 v6, vcc_lo, v6, s33
	v_add_co_ci_u32_e32 v7, vcc_lo, 0, v7, vcc_lo
	v_add_nc_u32_e32 v8, s93, v8
	s_waitcnt lgkmcnt(0)
	s_barrier
	s_delay_alu instid0(VALU_DEP_2) | instskip(SKIP_2) | instid1(VALU_DEP_1)
	v_cmp_ge_u64_e32 vcc_lo, v[6:7], v[4:5]
	buffer_gl0_inv
	v_cmp_neq_f16_e64 s8, 0, v9
	s_or_b32 s3, vcc_lo, s8
	s_delay_alu instid0(SALU_CYCLE_1) | instskip(NEXT) | instid1(SALU_CYCLE_1)
	s_and_b32 s3, exec_lo, s3
	s_or_b32 s26, s3, s26
	s_and_not1_b32 s3, s56, exec_lo
	s_and_b32 s8, s8, exec_lo
	s_delay_alu instid0(SALU_CYCLE_1)
	s_or_b32 s56, s3, s8
	s_and_not1_b32 exec_lo, exec_lo, s26
	s_cbranch_execz .LBB213_260
.LBB213_255:                            ;   Parent Loop BB213_31 Depth=1
                                        ; =>  This Inner Loop Header: Depth=2
	s_delay_alu instid0(VALU_DEP_1)
	v_cmp_gt_u64_e32 vcc_lo, s[18:19], v[6:7]
	v_mov_b32_e32 v9, 0
	s_and_saveexec_b32 s8, vcc_lo
	s_cbranch_execz .LBB213_257
; %bb.256:                              ;   in Loop: Header=BB213_255 Depth=2
	ds_load_u16 v9, v8
.LBB213_257:                            ;   in Loop: Header=BB213_255 Depth=2
	s_or_b32 exec_lo, exec_lo, s8
	s_and_saveexec_b32 s8, vcc_lo
	s_cbranch_execz .LBB213_254
; %bb.258:                              ;   in Loop: Header=BB213_255 Depth=2
	s_waitcnt lgkmcnt(0)
	v_cmp_lt_i16_e32 vcc_lo, -1, v9
	v_and_b32_e32 v12, 0xffff, v9
	v_cndmask_b32_e32 v30, 0xffff, v47, vcc_lo
	v_cmp_o_f16_e32 vcc_lo, v9, v9
	s_delay_alu instid0(VALU_DEP_2) | instskip(NEXT) | instid1(VALU_DEP_1)
	v_xor_b32_e32 v12, v30, v12
	v_cndmask_b32_e32 v12, 0xffff, v12, vcc_lo
	s_delay_alu instid0(VALU_DEP_1) | instskip(NEXT) | instid1(VALU_DEP_1)
	v_and_b32_e32 v12, v12, v29
	v_cmp_eq_u32_e32 vcc_lo, v12, v28
	s_and_b32 exec_lo, exec_lo, vcc_lo
	s_cbranch_execz .LBB213_254
; %bb.259:                              ;   in Loop: Header=BB213_255 Depth=2
	v_perm_b32 v9, v9, s96, 0x5040100
	ds_store_b32 v13, v9 offset:3072
	s_branch .LBB213_254
.LBB213_260:                            ;   in Loop: Header=BB213_31 Depth=1
	s_set_inst_prefetch_distance 0x2
	s_or_b32 exec_lo, exec_lo, s26
	v_lshrrev_b32_e32 v6, 16, v9
	s_and_b32 s26, s56, exec_lo
.LBB213_261:                            ;   in Loop: Header=BB213_31 Depth=1
	s_or_b32 exec_lo, exec_lo, s9
	s_mov_b32 s9, -1
	s_mov_b32 s8, 0
.LBB213_262:                            ;   in Loop: Header=BB213_31 Depth=1
	s_delay_alu instid0(SALU_CYCLE_1)
	s_and_b32 vcc_lo, exec_lo, s8
	s_mov_b32 s18, s8
	s_cbranch_vccz .LBB213_278
; %bb.263:                              ;   in Loop: Header=BB213_31 Depth=1
	s_mov_b32 s26, s61
	s_delay_alu instid0(SALU_CYCLE_1)
	s_cmp_lg_u64 s[26:27], 0
	s_cbranch_scc0 .LBB213_265
; %bb.264:                              ;   in Loop: Header=BB213_31 Depth=1
	v_cvt_f32_u32_e32 v4, s33
	s_sub_u32 s9, 0, s33
	s_subb_u32 s18, 0, 0
	s_delay_alu instid0(VALU_DEP_1) | instskip(NEXT) | instid1(VALU_DEP_1)
	v_fmac_f32_e64 v4, 0, 0x4f800000
	v_rcp_f32_e32 v4, v4
	s_waitcnt_depctr 0xfff
	v_mul_f32_e32 v4, 0x5f7ffffc, v4
	s_delay_alu instid0(VALU_DEP_1) | instskip(NEXT) | instid1(VALU_DEP_1)
	v_mul_f32_e32 v5, 0x2f800000, v4
	v_trunc_f32_e32 v5, v5
	s_delay_alu instid0(VALU_DEP_1) | instskip(SKIP_1) | instid1(VALU_DEP_2)
	v_fmac_f32_e32 v4, 0xcf800000, v5
	v_cvt_u32_f32_e32 v5, v5
	v_cvt_u32_f32_e32 v4, v4
	s_delay_alu instid0(VALU_DEP_2) | instskip(NEXT) | instid1(VALU_DEP_2)
	v_readfirstlane_b32 s3, v5
	v_readfirstlane_b32 s8, v4
	s_delay_alu instid0(VALU_DEP_2) | instskip(NEXT) | instid1(VALU_DEP_1)
	s_mul_i32 s19, s9, s3
	s_mul_hi_u32 s42, s9, s8
	s_mul_i32 s26, s18, s8
	s_add_i32 s19, s42, s19
	s_mul_i32 s43, s9, s8
	s_add_i32 s19, s19, s26
	s_mul_hi_u32 s42, s8, s43
	s_mul_hi_u32 s50, s3, s43
	s_mul_i32 s26, s3, s43
	s_mul_hi_u32 s43, s8, s19
	s_mul_i32 s8, s8, s19
	s_mul_hi_u32 s51, s3, s19
	s_add_u32 s8, s42, s8
	s_addc_u32 s42, 0, s43
	s_add_u32 s8, s8, s26
	s_mul_i32 s19, s3, s19
	s_addc_u32 s8, s42, s50
	s_addc_u32 s26, s51, 0
	s_add_u32 s8, s8, s19
	s_addc_u32 s19, 0, s26
	v_add_co_u32 v4, s8, v4, s8
	s_delay_alu instid0(VALU_DEP_1) | instskip(SKIP_1) | instid1(VALU_DEP_1)
	s_cmp_lg_u32 s8, 0
	s_addc_u32 s3, s3, s19
	v_readfirstlane_b32 s8, v4
	s_mul_i32 s19, s9, s3
	s_delay_alu instid0(VALU_DEP_1)
	s_mul_hi_u32 s26, s9, s8
	s_mul_i32 s18, s18, s8
	s_add_i32 s19, s26, s19
	s_mul_i32 s9, s9, s8
	s_add_i32 s19, s19, s18
	s_mul_hi_u32 s26, s3, s9
	s_mul_i32 s42, s3, s9
	s_mul_hi_u32 s9, s8, s9
	s_mul_hi_u32 s43, s8, s19
	s_mul_i32 s8, s8, s19
	s_mul_hi_u32 s18, s3, s19
	s_add_u32 s8, s9, s8
	s_addc_u32 s9, 0, s43
	s_add_u32 s8, s8, s42
	s_mul_i32 s19, s3, s19
	s_addc_u32 s8, s9, s26
	s_addc_u32 s9, s18, 0
	s_add_u32 s8, s8, s19
	s_addc_u32 s9, 0, s9
	v_add_co_u32 v4, s8, v4, s8
	s_delay_alu instid0(VALU_DEP_1) | instskip(SKIP_1) | instid1(VALU_DEP_1)
	s_cmp_lg_u32 s8, 0
	s_addc_u32 s3, s3, s9
	v_readfirstlane_b32 s8, v4
	s_mul_i32 s18, s87, s3
	s_mul_hi_u32 s9, s87, s3
	s_mul_hi_u32 s19, s27, s3
	s_mul_i32 s3, s27, s3
	s_mul_hi_u32 s26, s87, s8
	s_mul_hi_u32 s42, s27, s8
	s_mul_i32 s8, s27, s8
	s_add_u32 s18, s26, s18
	s_addc_u32 s9, 0, s9
	s_add_u32 s8, s18, s8
	s_addc_u32 s8, s9, s42
	s_addc_u32 s9, s19, 0
	s_add_u32 s3, s8, s3
	s_addc_u32 s8, 0, s9
	s_mul_hi_u32 s9, s33, s3
	s_mul_i32 s3, s33, s3
	s_mul_i32 s8, s33, s8
	v_sub_co_u32 v4, s3, s87, s3
	s_add_i32 s9, s9, s8
	s_cmp_lg_u32 s3, 0
	s_delay_alu instid0(VALU_DEP_1) | instskip(SKIP_3) | instid1(VALU_DEP_2)
	v_sub_co_u32 v5, s3, v4, s33
	s_subb_u32 s9, s27, s9
	s_cmp_lg_u32 s3, 0
	v_cmp_le_u32_e32 vcc_lo, s33, v4
	v_cmp_le_u32_e64 s8, s33, v5
	v_sub_co_u32 v6, s3, v5, s33
	s_subb_u32 s18, s9, 0
	s_cmp_lg_u32 s3, 0
	s_delay_alu instid0(VALU_DEP_2)
	v_cndmask_b32_e64 v7, 0, -1, s8
	s_subb_u32 s3, s18, 0
	s_cmp_eq_u32 s18, 0
	v_mov_b32_e32 v9, s3
	v_cndmask_b32_e64 v8, 0, -1, vcc_lo
	s_cselect_b32 vcc_lo, -1, 0
	s_cmp_eq_u32 s9, 0
	v_cndmask_b32_e32 v7, -1, v7, vcc_lo
	s_cselect_b32 vcc_lo, -1, 0
	v_cndmask_b32_e32 v8, -1, v8, vcc_lo
	s_delay_alu instid0(VALU_DEP_2) | instskip(NEXT) | instid1(VALU_DEP_2)
	v_cmp_ne_u32_e32 vcc_lo, 0, v7
	v_cmp_ne_u32_e64 s8, 0, v8
	v_cndmask_b32_e32 v7, s18, v9, vcc_lo
	v_cndmask_b32_e32 v6, v5, v6, vcc_lo
	s_delay_alu instid0(VALU_DEP_2) | instskip(NEXT) | instid1(VALU_DEP_2)
	v_cndmask_b32_e64 v5, s9, v7, s8
	v_cndmask_b32_e64 v4, v4, v6, s8
	s_mov_b32 s8, 0
	s_branch .LBB213_266
.LBB213_265:                            ;   in Loop: Header=BB213_31 Depth=1
	s_mov_b32 s8, -1
                                        ; implicit-def: $vgpr4_vgpr5
.LBB213_266:                            ;   in Loop: Header=BB213_31 Depth=1
	s_delay_alu instid0(SALU_CYCLE_1)
	s_and_not1_b32 vcc_lo, exec_lo, s8
	s_cbranch_vccnz .LBB213_268
; %bb.267:                              ;   in Loop: Header=BB213_31 Depth=1
	v_cvt_f32_u32_e32 v4, s33
	s_sub_i32 s3, 0, s33
	s_delay_alu instid0(VALU_DEP_1) | instskip(SKIP_2) | instid1(VALU_DEP_1)
	v_rcp_iflag_f32_e32 v4, v4
	s_waitcnt_depctr 0xfff
	v_mul_f32_e32 v4, 0x4f7ffffe, v4
	v_cvt_u32_f32_e32 v4, v4
	s_delay_alu instid0(VALU_DEP_1) | instskip(NEXT) | instid1(VALU_DEP_1)
	v_mul_lo_u32 v5, s3, v4
	v_mul_hi_u32 v5, v4, v5
	s_delay_alu instid0(VALU_DEP_1) | instskip(NEXT) | instid1(VALU_DEP_1)
	v_add_nc_u32_e32 v4, v4, v5
	v_mul_hi_u32 v4, s87, v4
	s_delay_alu instid0(VALU_DEP_1) | instskip(NEXT) | instid1(VALU_DEP_1)
	v_mul_lo_u32 v4, v4, s33
	v_sub_nc_u32_e32 v4, s87, v4
	s_delay_alu instid0(VALU_DEP_1) | instskip(SKIP_1) | instid1(VALU_DEP_2)
	v_subrev_nc_u32_e32 v5, s33, v4
	v_cmp_le_u32_e32 vcc_lo, s33, v4
	v_cndmask_b32_e32 v4, v4, v5, vcc_lo
	s_delay_alu instid0(VALU_DEP_1) | instskip(SKIP_1) | instid1(VALU_DEP_2)
	v_subrev_nc_u32_e32 v5, s33, v4
	v_cmp_le_u32_e32 vcc_lo, s33, v4
	v_cndmask_b32_e32 v12, v4, v5, vcc_lo
	s_delay_alu instid0(VALU_DEP_1)
	v_dual_mov_b32 v4, v12 :: v_dual_mov_b32 v5, v13
.LBB213_268:                            ;   in Loop: Header=BB213_31 Depth=1
	s_delay_alu instid0(VALU_DEP_1) | instskip(NEXT) | instid1(VALU_DEP_2)
	v_sub_co_u32 v4, vcc_lo, s87, v4
	v_sub_co_ci_u32_e32 v5, vcc_lo, s27, v5, vcc_lo
	s_mov_b32 s26, 0
	s_mov_b32 s9, exec_lo
                                        ; implicit-def: $vgpr6
	s_delay_alu instid0(VALU_DEP_1)
	v_cmpx_gt_u64_e64 v[4:5], v[0:1]
	s_cbranch_execz .LBB213_277
; %bb.269:                              ;   in Loop: Header=BB213_31 Depth=1
	v_dual_mov_b32 v6, v24 :: v_dual_mov_b32 v7, v25
	v_dual_mov_b32 v9, v1 :: v_dual_mov_b32 v8, v0
	s_mov_b32 s18, 0
                                        ; implicit-def: $sgpr19
	s_branch .LBB213_271
.LBB213_270:                            ;   in Loop: Header=BB213_271 Depth=2
	s_or_b32 exec_lo, exec_lo, s8
	s_waitcnt vmcnt(0) lgkmcnt(0)
	s_barrier
	buffer_gl0_inv
	ds_load_b32 v12, v13 offset:3072
	v_add_co_u32 v8, vcc_lo, v8, s33
	v_add_co_ci_u32_e32 v9, vcc_lo, 0, v9, vcc_lo
	s_waitcnt lgkmcnt(0)
	s_barrier
	buffer_gl0_inv
	v_cmp_ge_u64_e32 vcc_lo, v[8:9], v[4:5]
	v_cmp_neq_f16_e64 s8, 0, v12
	s_delay_alu instid0(VALU_DEP_1)
	s_or_b32 s3, vcc_lo, s8
	v_add_co_u32 v6, vcc_lo, v6, s34
	s_and_b32 s3, exec_lo, s3
	v_add_co_ci_u32_e32 v7, vcc_lo, s35, v7, vcc_lo
	s_or_b32 s18, s3, s18
	s_and_not1_b32 s3, s19, exec_lo
	s_and_b32 s8, s8, exec_lo
	s_delay_alu instid0(SALU_CYCLE_1)
	s_or_b32 s19, s3, s8
	s_and_not1_b32 exec_lo, exec_lo, s18
	s_cbranch_execz .LBB213_276
.LBB213_271:                            ;   Parent Loop BB213_31 Depth=1
                                        ; =>  This Inner Loop Header: Depth=2
	s_delay_alu instid0(VALU_DEP_1)
	v_cmp_gt_u64_e32 vcc_lo, s[36:37], v[8:9]
	v_mov_b32_e32 v12, 0
	s_and_saveexec_b32 s8, vcc_lo
	s_cbranch_execz .LBB213_273
; %bb.272:                              ;   in Loop: Header=BB213_271 Depth=2
	global_load_u16 v12, v[6:7], off
.LBB213_273:                            ;   in Loop: Header=BB213_271 Depth=2
	s_or_b32 exec_lo, exec_lo, s8
	s_and_saveexec_b32 s8, vcc_lo
	s_cbranch_execz .LBB213_270
; %bb.274:                              ;   in Loop: Header=BB213_271 Depth=2
	s_waitcnt vmcnt(0)
	v_cmp_lt_i16_e32 vcc_lo, -1, v12
	v_dual_cndmask_b32 v31, 0xffff, v47 :: v_dual_and_b32 v30, 0xffff, v12
	v_cmp_o_f16_e32 vcc_lo, v12, v12
	s_delay_alu instid0(VALU_DEP_2) | instskip(NEXT) | instid1(VALU_DEP_1)
	v_xor_b32_e32 v30, v31, v30
	v_cndmask_b32_e32 v30, 0xffff, v30, vcc_lo
	s_delay_alu instid0(VALU_DEP_1) | instskip(NEXT) | instid1(VALU_DEP_1)
	v_and_b32_e32 v30, v30, v29
	v_cmp_eq_u32_e32 vcc_lo, v30, v28
	s_and_b32 exec_lo, exec_lo, vcc_lo
	s_cbranch_execz .LBB213_270
; %bb.275:                              ;   in Loop: Header=BB213_271 Depth=2
	v_perm_b32 v12, v12, s96, 0x5040100
	ds_store_b32 v13, v12 offset:3072
	s_branch .LBB213_270
.LBB213_276:                            ;   in Loop: Header=BB213_31 Depth=1
	s_or_b32 exec_lo, exec_lo, s18
	v_lshrrev_b32_e32 v6, 16, v12
	s_and_b32 s26, s19, exec_lo
.LBB213_277:                            ;   in Loop: Header=BB213_31 Depth=1
	s_or_b32 exec_lo, exec_lo, s9
	s_mov_b32 s18, -1
	s_mov_b32 s8, 0
	s_mov_b32 s9, 0
.LBB213_278:                            ;   in Loop: Header=BB213_31 Depth=1
	s_or_not1_b32 s26, s26, exec_lo
.LBB213_279:                            ;   in Loop: Header=BB213_31 Depth=1
	s_or_b32 exec_lo, exec_lo, s47
	s_mov_b32 s47, 0
                                        ; implicit-def: $vgpr7
                                        ; implicit-def: $vgpr4_vgpr5
	s_and_saveexec_b32 s19, s26
	s_cbranch_execz .LBB213_291
; %bb.280:                              ;   in Loop: Header=BB213_31 Depth=1
	v_dual_mov_b32 v4, 1 :: v_dual_mov_b32 v7, 1
	v_mov_b32_e32 v5, 0
	s_xor_b32 s3, s46, -1
	s_delay_alu instid0(SALU_CYCLE_1)
	s_and_saveexec_b32 s26, s3
	s_cbranch_execz .LBB213_290
; %bb.281:                              ;   in Loop: Header=BB213_31 Depth=1
                                        ; implicit-def: $sgpr47
	s_mov_b32 s3, exec_lo
	v_cmpx_ge_u64_e64 s[16:17], v[2:3]
	s_xor_b32 s46, exec_lo, s3
	s_cbranch_execz .LBB213_287
; %bb.282:                              ;   in Loop: Header=BB213_31 Depth=1
	ds_load_b64 v[4:5], v13 offset:5120
	s_waitcnt lgkmcnt(0)
	v_cmp_ne_u64_e32 vcc_lo, 0, v[4:5]
	s_cbranch_vccnz .LBB213_286
; %bb.283:                              ;   in Loop: Header=BB213_31 Depth=1
	s_and_saveexec_b32 s47, s5
	s_cbranch_execz .LBB213_285
; %bb.284:                              ;   in Loop: Header=BB213_31 Depth=1
	v_dual_mov_b32 v4, s16 :: v_dual_mov_b32 v5, s17
	ds_store_b64 v13, v[4:5] offset:5128
.LBB213_285:                            ;   in Loop: Header=BB213_31 Depth=1
	s_or_b32 exec_lo, exec_lo, s47
	s_waitcnt lgkmcnt(0)
	s_barrier
	buffer_gl0_inv
.LBB213_286:                            ;   in Loop: Header=BB213_31 Depth=1
	v_or_b32_e32 v28, s20, v28
	v_or_b32_e32 v29, s20, v29
	s_mov_b32 s47, 8
.LBB213_287:                            ;   in Loop: Header=BB213_31 Depth=1
	s_or_saveexec_b32 s46, s46
	v_mov_b32_e32 v7, s47
	s_xor_b32 exec_lo, exec_lo, s46
; %bb.288:                              ;   in Loop: Header=BB213_31 Depth=1
	v_sub_co_u32 v2, vcc_lo, v2, s16
	v_subrev_co_ci_u32_e32 v3, vcc_lo, s17, v3, vcc_lo
	v_mov_b32_e32 v7, 8
; %bb.289:                              ;   in Loop: Header=BB213_31 Depth=1
	s_or_b32 exec_lo, exec_lo, s46
	s_delay_alu instid0(VALU_DEP_2)
	v_dual_mov_b32 v5, v3 :: v_dual_mov_b32 v4, v2
.LBB213_290:                            ;   in Loop: Header=BB213_31 Depth=1
	s_or_b32 exec_lo, exec_lo, s26
	s_delay_alu instid0(SALU_CYCLE_1)
	s_mov_b32 s47, exec_lo
.LBB213_291:                            ;   in Loop: Header=BB213_31 Depth=1
	s_or_b32 exec_lo, exec_lo, s19
	s_delay_alu instid0(VALU_DEP_1)
	v_dual_mov_b32 v2, v4 :: v_dual_mov_b32 v3, v5
	s_or_not1_b32 s19, s47, exec_lo
.LBB213_292:                            ;   in Loop: Header=BB213_31 Depth=1
	s_or_b32 exec_lo, exec_lo, s59
	s_delay_alu instid0(SALU_CYCLE_1)
	s_and_not1_b32 s3, s77, exec_lo
	s_and_b32 s8, s8, exec_lo
	v_dual_mov_b32 v5, v3 :: v_dual_mov_b32 v4, v2
	s_or_b32 s77, s3, s8
	s_and_not1_b32 s3, s79, exec_lo
	s_and_b32 s8, s18, exec_lo
	s_and_not1_b32 s18, s78, exec_lo
	s_and_b32 s9, s9, exec_lo
	s_or_b32 s79, s3, s8
	s_or_b32 s78, s18, s9
	s_and_b32 s26, s19, exec_lo
.LBB213_293:                            ;   in Loop: Header=BB213_31 Depth=1
	s_or_b32 exec_lo, exec_lo, s58
	s_delay_alu instid0(SALU_CYCLE_1)
	s_and_b32 s19, s77, exec_lo
	s_and_b32 s18, s79, exec_lo
	;; [unrolled: 1-line block ×3, first 2 shown]
	s_or_not1_b32 s8, s26, exec_lo
.LBB213_294:                            ;   in Loop: Header=BB213_31 Depth=1
	s_or_b32 exec_lo, exec_lo, s76
	s_delay_alu instid0(SALU_CYCLE_1)
	s_and_not1_b32 s25, s25, exec_lo
	s_and_b32 s19, s19, exec_lo
	v_dual_mov_b32 v2, v4 :: v_dual_mov_b32 v3, v5
	s_or_b32 s25, s25, s19
	s_and_not1_b32 s19, s74, exec_lo
	s_and_b32 s18, s18, exec_lo
	s_and_not1_b32 s26, s73, exec_lo
	s_and_b32 s9, s9, exec_lo
	s_or_b32 s74, s19, s18
	s_or_b32 s73, s26, s9
	s_and_b32 s26, s8, exec_lo
.LBB213_295:                            ;   in Loop: Header=BB213_31 Depth=1
	s_or_b32 exec_lo, exec_lo, s75
	s_delay_alu instid0(SALU_CYCLE_1)
	s_and_b32 s19, s25, exec_lo
	s_and_b32 s18, s74, exec_lo
	;; [unrolled: 1-line block ×3, first 2 shown]
	s_or_not1_b32 s25, s26, exec_lo
.LBB213_296:                            ;   in Loop: Header=BB213_31 Depth=1
	s_or_b32 exec_lo, exec_lo, s24
	s_mov_b32 s8, 0
	s_mov_b32 s24, 0
	s_and_saveexec_b32 s26, s25
	s_delay_alu instid0(SALU_CYCLE_1)
	s_xor_b32 s25, exec_lo, s26
; %bb.297:                              ;   in Loop: Header=BB213_31 Depth=1
	v_cmp_ne_u32_e32 vcc_lo, 8, v7
	v_cmp_eq_u32_e64 s8, 8, v7
	s_and_not1_b32 s19, s19, exec_lo
	s_and_not1_b32 s18, s18, exec_lo
	;; [unrolled: 1-line block ×3, first 2 shown]
	s_and_b32 s24, vcc_lo, exec_lo
	s_and_b32 s8, s8, exec_lo
; %bb.298:                              ;   in Loop: Header=BB213_31 Depth=1
	s_or_b32 exec_lo, exec_lo, s25
	s_delay_alu instid0(SALU_CYCLE_1)
	s_and_not1_b32 s23, s23, exec_lo
	s_and_b32 s19, s19, exec_lo
	s_and_b32 s18, s18, exec_lo
	s_or_b32 s23, s23, s19
	s_and_not1_b32 s19, s70, exec_lo
	s_and_not1_b32 s25, s60, exec_lo
	s_and_b32 s9, s9, exec_lo
	s_or_b32 s70, s19, s18
	s_or_b32 s60, s25, s9
	s_and_b32 s24, s24, exec_lo
	s_and_b32 s25, s8, exec_lo
.LBB213_299:                            ;   in Loop: Header=BB213_31 Depth=1
	s_or_b32 exec_lo, exec_lo, s72
	s_delay_alu instid0(SALU_CYCLE_1)
	s_and_b32 vcc_lo, exec_lo, s71
	s_cbranch_vccz .LBB213_118
.LBB213_300:                            ;   in Loop: Header=BB213_31 Depth=1
	s_cmp_eq_u64 s[16:17], 1
                                        ; implicit-def: $sgpr18
                                        ; implicit-def: $sgpr19
                                        ; implicit-def: $sgpr23
	s_cselect_b32 s8, -1, 0
	s_delay_alu instid0(SALU_CYCLE_1)
	s_and_b32 s46, s8, s7
	s_mov_b32 s7, -1
	s_and_saveexec_b32 s47, s46
	s_cbranch_execz .LBB213_332
; %bb.301:                              ;   in Loop: Header=BB213_31 Depth=1
	ds_load_b64 v[2:3], v13 offset:5120
	s_waitcnt lgkmcnt(0)
	s_barrier
	buffer_gl0_inv
	v_readfirstlane_b32 s8, v2
	v_readfirstlane_b32 s9, v3
	s_and_saveexec_b32 s7, s6
	s_cbranch_execz .LBB213_303
; %bb.302:                              ;   in Loop: Header=BB213_31 Depth=1
	ds_store_b16 v44, v13
.LBB213_303:                            ;   in Loop: Header=BB213_31 Depth=1
	s_or_b32 exec_lo, exec_lo, s7
	v_or_b32_e32 v49, s20, v49
	v_or_b32_e32 v48, s20, v48
	s_cmp_eq_u64 s[8:9], 0
	s_waitcnt lgkmcnt(0)
	s_barrier
	buffer_gl0_inv
	s_cbranch_scc1 .LBB213_315
; %bb.304:                              ;   in Loop: Header=BB213_31 Depth=1
	s_add_u32 s23, s85, s8
	s_addc_u32 s19, s86, s9
	s_mov_b32 s18, s61
	s_delay_alu instid0(SALU_CYCLE_1)
	s_cmp_lg_u64 s[18:19], 0
	s_cbranch_scc0 .LBB213_359
; %bb.305:                              ;   in Loop: Header=BB213_31 Depth=1
	v_cvt_f32_u32_e32 v2, s33
	s_sub_u32 s26, 0, s33
	s_subb_u32 s56, 0, 0
	s_delay_alu instid0(VALU_DEP_1) | instskip(NEXT) | instid1(VALU_DEP_1)
	v_fmac_f32_e64 v2, 0, 0x4f800000
	v_rcp_f32_e32 v2, v2
	s_waitcnt_depctr 0xfff
	v_mul_f32_e32 v2, 0x5f7ffffc, v2
	s_delay_alu instid0(VALU_DEP_1) | instskip(NEXT) | instid1(VALU_DEP_1)
	v_mul_f32_e32 v3, 0x2f800000, v2
	v_trunc_f32_e32 v3, v3
	s_delay_alu instid0(VALU_DEP_1) | instskip(SKIP_1) | instid1(VALU_DEP_2)
	v_fmac_f32_e32 v2, 0xcf800000, v3
	v_cvt_u32_f32_e32 v3, v3
	v_cvt_u32_f32_e32 v2, v2
	s_delay_alu instid0(VALU_DEP_2) | instskip(NEXT) | instid1(VALU_DEP_2)
	v_readfirstlane_b32 s7, v3
	v_readfirstlane_b32 s18, v2
	s_delay_alu instid0(VALU_DEP_2) | instskip(NEXT) | instid1(VALU_DEP_1)
	s_mul_i32 s57, s26, s7
	s_mul_hi_u32 s59, s26, s18
	s_mul_i32 s58, s56, s18
	s_add_i32 s57, s59, s57
	s_mul_i32 s60, s26, s18
	s_add_i32 s57, s57, s58
	s_mul_hi_u32 s59, s18, s60
	s_mul_hi_u32 s70, s7, s60
	s_mul_i32 s58, s7, s60
	s_mul_hi_u32 s60, s18, s57
	s_mul_i32 s18, s18, s57
	s_mul_hi_u32 s71, s7, s57
	s_add_u32 s18, s59, s18
	s_addc_u32 s59, 0, s60
	s_add_u32 s18, s18, s58
	s_mul_i32 s57, s7, s57
	s_addc_u32 s18, s59, s70
	s_addc_u32 s58, s71, 0
	s_add_u32 s18, s18, s57
	s_addc_u32 s57, 0, s58
	v_add_co_u32 v2, s18, v2, s18
	s_delay_alu instid0(VALU_DEP_1) | instskip(SKIP_1) | instid1(VALU_DEP_1)
	s_cmp_lg_u32 s18, 0
	s_addc_u32 s7, s7, s57
	v_readfirstlane_b32 s18, v2
	s_mul_i32 s57, s26, s7
	s_delay_alu instid0(VALU_DEP_1)
	s_mul_hi_u32 s58, s26, s18
	s_mul_i32 s56, s56, s18
	s_add_i32 s57, s58, s57
	s_mul_i32 s26, s26, s18
	s_add_i32 s57, s57, s56
	s_mul_hi_u32 s58, s7, s26
	s_mul_i32 s59, s7, s26
	s_mul_hi_u32 s26, s18, s26
	s_mul_hi_u32 s60, s18, s57
	s_mul_i32 s18, s18, s57
	s_mul_hi_u32 s56, s7, s57
	s_add_u32 s18, s26, s18
	s_addc_u32 s26, 0, s60
	s_add_u32 s18, s18, s59
	s_mul_i32 s57, s7, s57
	s_addc_u32 s18, s26, s58
	s_addc_u32 s26, s56, 0
	s_add_u32 s18, s18, s57
	s_addc_u32 s26, 0, s26
	v_add_co_u32 v2, s18, v2, s18
	s_delay_alu instid0(VALU_DEP_1) | instskip(SKIP_1) | instid1(VALU_DEP_1)
	s_cmp_lg_u32 s18, 0
	s_addc_u32 s7, s7, s26
	v_readfirstlane_b32 s18, v2
	s_mul_i32 s56, s23, s7
	s_mul_hi_u32 s26, s23, s7
	s_mul_hi_u32 s57, s19, s7
	s_mul_i32 s7, s19, s7
	s_mul_hi_u32 s58, s23, s18
	s_mul_hi_u32 s59, s19, s18
	s_mul_i32 s18, s19, s18
	s_add_u32 s56, s58, s56
	s_addc_u32 s26, 0, s26
	s_add_u32 s18, s56, s18
	s_addc_u32 s18, s26, s59
	s_addc_u32 s26, s57, 0
	s_add_u32 s7, s18, s7
	s_addc_u32 s18, 0, s26
	s_mul_hi_u32 s26, s33, s7
	s_mul_i32 s7, s33, s7
	s_mul_i32 s18, s33, s18
	v_sub_co_u32 v2, s7, s23, s7
	s_add_i32 s26, s26, s18
	s_cmp_lg_u32 s7, 0
	s_delay_alu instid0(VALU_DEP_1) | instskip(SKIP_2) | instid1(VALU_DEP_1)
	v_sub_co_u32 v3, s7, v2, s33
	s_subb_u32 s18, s19, s26
	s_cmp_lg_u32 s7, 0
	v_cmp_le_u32_e32 vcc_lo, s33, v3
	v_sub_co_u32 v4, s7, v3, s33
	s_subb_u32 s26, s18, 0
	s_cmp_lg_u32 s7, 0
	v_cndmask_b32_e64 v5, 0, -1, vcc_lo
	s_subb_u32 s7, s26, 0
	s_cmp_eq_u32 s26, 0
	v_mov_b32_e32 v7, s7
	s_cselect_b32 vcc_lo, -1, 0
	s_cmp_eq_u32 s18, 0
	v_cndmask_b32_e32 v5, -1, v5, vcc_lo
	v_cmp_le_u32_e32 vcc_lo, s33, v2
	s_cselect_b32 s7, -1, 0
	v_cndmask_b32_e64 v6, 0, -1, vcc_lo
	s_delay_alu instid0(VALU_DEP_3) | instskip(NEXT) | instid1(VALU_DEP_2)
	v_cmp_ne_u32_e32 vcc_lo, 0, v5
	v_cndmask_b32_e64 v5, -1, v6, s7
	v_cndmask_b32_e32 v6, s26, v7, vcc_lo
	v_cndmask_b32_e32 v4, v3, v4, vcc_lo
	s_delay_alu instid0(VALU_DEP_3) | instskip(NEXT) | instid1(VALU_DEP_3)
	v_cmp_ne_u32_e32 vcc_lo, 0, v5
	v_cndmask_b32_e32 v3, s18, v6, vcc_lo
	s_delay_alu instid0(VALU_DEP_3)
	v_cndmask_b32_e32 v2, v2, v4, vcc_lo
	s_cbranch_execnz .LBB213_307
.LBB213_306:                            ;   in Loop: Header=BB213_31 Depth=1
	v_cvt_f32_u32_e32 v2, s33
	s_sub_i32 s7, 0, s33
	s_delay_alu instid0(VALU_DEP_1) | instskip(SKIP_2) | instid1(VALU_DEP_1)
	v_rcp_iflag_f32_e32 v2, v2
	s_waitcnt_depctr 0xfff
	v_mul_f32_e32 v2, 0x4f7ffffe, v2
	v_cvt_u32_f32_e32 v2, v2
	s_delay_alu instid0(VALU_DEP_1) | instskip(NEXT) | instid1(VALU_DEP_1)
	v_mul_lo_u32 v3, s7, v2
	v_mul_hi_u32 v3, v2, v3
	s_delay_alu instid0(VALU_DEP_1) | instskip(NEXT) | instid1(VALU_DEP_1)
	v_add_nc_u32_e32 v2, v2, v3
	v_mul_hi_u32 v2, s23, v2
	s_delay_alu instid0(VALU_DEP_1) | instskip(NEXT) | instid1(VALU_DEP_1)
	v_mul_lo_u32 v2, v2, s33
	v_sub_nc_u32_e32 v2, s23, v2
	s_delay_alu instid0(VALU_DEP_1) | instskip(SKIP_1) | instid1(VALU_DEP_2)
	v_subrev_nc_u32_e32 v3, s33, v2
	v_cmp_le_u32_e32 vcc_lo, s33, v2
	v_cndmask_b32_e32 v2, v2, v3, vcc_lo
	s_delay_alu instid0(VALU_DEP_1) | instskip(SKIP_1) | instid1(VALU_DEP_2)
	v_subrev_nc_u32_e32 v3, s33, v2
	v_cmp_le_u32_e32 vcc_lo, s33, v2
	v_cndmask_b32_e32 v12, v2, v3, vcc_lo
	s_delay_alu instid0(VALU_DEP_1)
	v_dual_mov_b32 v2, v12 :: v_dual_mov_b32 v3, v13
.LBB213_307:                            ;   in Loop: Header=BB213_31 Depth=1
	s_delay_alu instid0(VALU_DEP_1) | instskip(NEXT) | instid1(VALU_DEP_2)
	v_sub_co_u32 v2, vcc_lo, s23, v2
	v_sub_co_ci_u32_e32 v3, vcc_lo, s19, v3, vcc_lo
	s_mov_b32 s7, 0
	s_mov_b32 s18, exec_lo
                                        ; implicit-def: $vgpr50
	s_delay_alu instid0(VALU_DEP_1)
	v_cmpx_gt_u64_e64 v[2:3], v[0:1]
	s_cbranch_execz .LBB213_317
; %bb.308:                              ;   in Loop: Header=BB213_31 Depth=1
	v_dual_mov_b32 v6, v43 :: v_dual_mov_b32 v5, v1
	v_mov_b32_e32 v4, v0
	s_mov_b32 s19, 0
                                        ; implicit-def: $sgpr23
	s_set_inst_prefetch_distance 0x1
	s_branch .LBB213_310
	.p2align	6
.LBB213_309:                            ;   in Loop: Header=BB213_310 Depth=2
	s_or_b32 exec_lo, exec_lo, s7
	s_waitcnt lgkmcnt(0)
	s_barrier
	buffer_gl0_inv
	ds_load_b32 v7, v13 offset:3072
	v_add_co_u32 v4, vcc_lo, v4, s33
	v_add_co_ci_u32_e32 v5, vcc_lo, 0, v5, vcc_lo
	v_add_nc_u32_e32 v6, s93, v6
	s_waitcnt lgkmcnt(0)
	s_barrier
	s_delay_alu instid0(VALU_DEP_2) | instskip(SKIP_2) | instid1(VALU_DEP_1)
	v_cmp_ge_u64_e32 vcc_lo, v[4:5], v[2:3]
	buffer_gl0_inv
	v_cmp_neq_f16_e64 s7, 0, v7
	s_or_b32 s26, vcc_lo, s7
	s_delay_alu instid0(SALU_CYCLE_1) | instskip(NEXT) | instid1(SALU_CYCLE_1)
	s_and_b32 s26, exec_lo, s26
	s_or_b32 s19, s26, s19
	s_and_not1_b32 s23, s23, exec_lo
	s_and_b32 s7, s7, exec_lo
	s_delay_alu instid0(SALU_CYCLE_1)
	s_or_b32 s23, s23, s7
	s_and_not1_b32 exec_lo, exec_lo, s19
	s_cbranch_execz .LBB213_316
.LBB213_310:                            ;   Parent Loop BB213_31 Depth=1
                                        ; =>  This Inner Loop Header: Depth=2
	s_delay_alu instid0(VALU_DEP_1)
	v_cmp_gt_u64_e32 vcc_lo, s[8:9], v[4:5]
	v_mov_b32_e32 v7, 0
	s_and_saveexec_b32 s7, vcc_lo
	s_cbranch_execz .LBB213_312
; %bb.311:                              ;   in Loop: Header=BB213_310 Depth=2
	ds_load_u16 v7, v6
.LBB213_312:                            ;   in Loop: Header=BB213_310 Depth=2
	s_or_b32 exec_lo, exec_lo, s7
	s_and_saveexec_b32 s7, vcc_lo
	s_cbranch_execz .LBB213_309
; %bb.313:                              ;   in Loop: Header=BB213_310 Depth=2
	s_waitcnt lgkmcnt(0)
	v_cmp_lt_i16_e32 vcc_lo, -1, v7
	v_and_b32_e32 v8, 0xffff, v7
	v_cndmask_b32_e32 v9, 0xffff, v47, vcc_lo
	v_cmp_o_f16_e32 vcc_lo, v7, v7
	s_delay_alu instid0(VALU_DEP_2) | instskip(NEXT) | instid1(VALU_DEP_1)
	v_xor_b32_e32 v8, v9, v8
	v_cndmask_b32_e32 v8, 0xffff, v8, vcc_lo
	s_delay_alu instid0(VALU_DEP_1) | instskip(NEXT) | instid1(VALU_DEP_1)
	v_and_b32_e32 v8, v8, v48
	v_cmp_eq_u32_e32 vcc_lo, v8, v49
	s_and_b32 exec_lo, exec_lo, vcc_lo
	s_cbranch_execz .LBB213_309
; %bb.314:                              ;   in Loop: Header=BB213_310 Depth=2
	v_perm_b32 v7, v7, s96, 0x5040100
	ds_store_b32 v13, v7 offset:3072
	s_branch .LBB213_309
.LBB213_315:                            ;   in Loop: Header=BB213_31 Depth=1
	s_mov_b32 s18, -1
	s_mov_b32 s7, 0
                                        ; implicit-def: $sgpr19
                                        ; implicit-def: $vgpr50
	s_mov_b32 s23, s18
	s_cbranch_execnz .LBB213_318
	s_branch .LBB213_331
.LBB213_316:                            ;   in Loop: Header=BB213_31 Depth=1
	s_set_inst_prefetch_distance 0x2
	s_or_b32 exec_lo, exec_lo, s19
	v_lshrrev_b32_e32 v50, 16, v7
	s_and_b32 s7, s23, exec_lo
.LBB213_317:                            ;   in Loop: Header=BB213_31 Depth=1
	s_or_b32 exec_lo, exec_lo, s18
	s_mov_b32 s18, 0
	s_mov_b32 s19, -1
	s_mov_b32 s23, s18
	s_branch .LBB213_331
.LBB213_318:                            ;   in Loop: Header=BB213_31 Depth=1
	s_mov_b32 s26, s61
	s_delay_alu instid0(SALU_CYCLE_1)
	s_cmp_lg_u64 s[26:27], 0
	s_cbranch_scc0 .LBB213_360
; %bb.319:                              ;   in Loop: Header=BB213_31 Depth=1
	v_cvt_f32_u32_e32 v2, s33
	s_sub_u32 s9, 0, s33
	s_subb_u32 s18, 0, 0
	s_delay_alu instid0(VALU_DEP_1) | instskip(NEXT) | instid1(VALU_DEP_1)
	v_fmac_f32_e64 v2, 0, 0x4f800000
	v_rcp_f32_e32 v2, v2
	s_waitcnt_depctr 0xfff
	v_mul_f32_e32 v2, 0x5f7ffffc, v2
	s_delay_alu instid0(VALU_DEP_1) | instskip(NEXT) | instid1(VALU_DEP_1)
	v_mul_f32_e32 v3, 0x2f800000, v2
	v_trunc_f32_e32 v3, v3
	s_delay_alu instid0(VALU_DEP_1) | instskip(SKIP_1) | instid1(VALU_DEP_2)
	v_fmac_f32_e32 v2, 0xcf800000, v3
	v_cvt_u32_f32_e32 v3, v3
	v_cvt_u32_f32_e32 v2, v2
	s_delay_alu instid0(VALU_DEP_2) | instskip(NEXT) | instid1(VALU_DEP_2)
	v_readfirstlane_b32 s7, v3
	v_readfirstlane_b32 s8, v2
	s_delay_alu instid0(VALU_DEP_2) | instskip(NEXT) | instid1(VALU_DEP_1)
	s_mul_i32 s19, s9, s7
	s_mul_hi_u32 s26, s9, s8
	s_mul_i32 s23, s18, s8
	s_add_i32 s19, s26, s19
	s_mul_i32 s56, s9, s8
	s_add_i32 s19, s19, s23
	s_mul_hi_u32 s26, s8, s56
	s_mul_hi_u32 s57, s7, s56
	s_mul_i32 s23, s7, s56
	s_mul_hi_u32 s56, s8, s19
	s_mul_i32 s8, s8, s19
	s_mul_hi_u32 s58, s7, s19
	s_add_u32 s8, s26, s8
	s_addc_u32 s26, 0, s56
	s_add_u32 s8, s8, s23
	s_mul_i32 s19, s7, s19
	s_addc_u32 s8, s26, s57
	s_addc_u32 s23, s58, 0
	s_add_u32 s8, s8, s19
	s_addc_u32 s19, 0, s23
	v_add_co_u32 v2, s8, v2, s8
	s_delay_alu instid0(VALU_DEP_1) | instskip(SKIP_1) | instid1(VALU_DEP_1)
	s_cmp_lg_u32 s8, 0
	s_addc_u32 s7, s7, s19
	v_readfirstlane_b32 s8, v2
	s_mul_i32 s19, s9, s7
	s_delay_alu instid0(VALU_DEP_1)
	s_mul_hi_u32 s23, s9, s8
	s_mul_i32 s18, s18, s8
	s_add_i32 s19, s23, s19
	s_mul_i32 s9, s9, s8
	s_add_i32 s19, s19, s18
	s_mul_hi_u32 s23, s7, s9
	s_mul_i32 s26, s7, s9
	s_mul_hi_u32 s9, s8, s9
	s_mul_hi_u32 s56, s8, s19
	s_mul_i32 s8, s8, s19
	s_mul_hi_u32 s18, s7, s19
	s_add_u32 s8, s9, s8
	s_addc_u32 s9, 0, s56
	s_add_u32 s8, s8, s26
	s_mul_i32 s19, s7, s19
	s_addc_u32 s8, s9, s23
	s_addc_u32 s9, s18, 0
	s_add_u32 s8, s8, s19
	s_addc_u32 s9, 0, s9
	v_add_co_u32 v2, s8, v2, s8
	s_delay_alu instid0(VALU_DEP_1) | instskip(SKIP_1) | instid1(VALU_DEP_1)
	s_cmp_lg_u32 s8, 0
	s_addc_u32 s7, s7, s9
	v_readfirstlane_b32 s8, v2
	s_mul_i32 s18, s87, s7
	s_mul_hi_u32 s9, s87, s7
	s_mul_hi_u32 s19, s27, s7
	s_mul_i32 s7, s27, s7
	s_mul_hi_u32 s23, s87, s8
	s_mul_hi_u32 s26, s27, s8
	s_mul_i32 s8, s27, s8
	s_add_u32 s18, s23, s18
	s_addc_u32 s9, 0, s9
	s_add_u32 s8, s18, s8
	s_addc_u32 s8, s9, s26
	s_addc_u32 s9, s19, 0
	s_add_u32 s7, s8, s7
	s_addc_u32 s8, 0, s9
	s_mul_hi_u32 s9, s33, s7
	s_mul_i32 s7, s33, s7
	s_mul_i32 s8, s33, s8
	v_sub_co_u32 v2, s7, s87, s7
	s_add_i32 s9, s9, s8
	s_cmp_lg_u32 s7, 0
	s_delay_alu instid0(VALU_DEP_1) | instskip(SKIP_2) | instid1(VALU_DEP_1)
	v_sub_co_u32 v3, s7, v2, s33
	s_subb_u32 s8, s27, s9
	s_cmp_lg_u32 s7, 0
	v_cmp_le_u32_e32 vcc_lo, s33, v3
	v_sub_co_u32 v4, s7, v3, s33
	s_subb_u32 s9, s8, 0
	s_cmp_lg_u32 s7, 0
	v_cndmask_b32_e64 v5, 0, -1, vcc_lo
	s_subb_u32 s7, s9, 0
	s_cmp_eq_u32 s9, 0
	v_mov_b32_e32 v7, s7
	s_cselect_b32 vcc_lo, -1, 0
	s_cmp_eq_u32 s8, 0
	v_cndmask_b32_e32 v5, -1, v5, vcc_lo
	v_cmp_le_u32_e32 vcc_lo, s33, v2
	s_cselect_b32 s7, -1, 0
	v_cndmask_b32_e64 v6, 0, -1, vcc_lo
	s_delay_alu instid0(VALU_DEP_3) | instskip(NEXT) | instid1(VALU_DEP_2)
	v_cmp_ne_u32_e32 vcc_lo, 0, v5
	v_cndmask_b32_e64 v5, -1, v6, s7
	v_cndmask_b32_e32 v6, s9, v7, vcc_lo
	v_cndmask_b32_e32 v4, v3, v4, vcc_lo
	s_delay_alu instid0(VALU_DEP_3) | instskip(NEXT) | instid1(VALU_DEP_3)
	v_cmp_ne_u32_e32 vcc_lo, 0, v5
	v_cndmask_b32_e32 v3, s8, v6, vcc_lo
	s_delay_alu instid0(VALU_DEP_3)
	v_cndmask_b32_e32 v2, v2, v4, vcc_lo
	s_cbranch_execnz .LBB213_321
.LBB213_320:                            ;   in Loop: Header=BB213_31 Depth=1
	v_cvt_f32_u32_e32 v2, s33
	s_sub_i32 s7, 0, s33
	s_delay_alu instid0(VALU_DEP_1) | instskip(SKIP_2) | instid1(VALU_DEP_1)
	v_rcp_iflag_f32_e32 v2, v2
	s_waitcnt_depctr 0xfff
	v_mul_f32_e32 v2, 0x4f7ffffe, v2
	v_cvt_u32_f32_e32 v2, v2
	s_delay_alu instid0(VALU_DEP_1) | instskip(NEXT) | instid1(VALU_DEP_1)
	v_mul_lo_u32 v3, s7, v2
	v_mul_hi_u32 v3, v2, v3
	s_delay_alu instid0(VALU_DEP_1) | instskip(NEXT) | instid1(VALU_DEP_1)
	v_add_nc_u32_e32 v2, v2, v3
	v_mul_hi_u32 v2, s87, v2
	s_delay_alu instid0(VALU_DEP_1) | instskip(NEXT) | instid1(VALU_DEP_1)
	v_mul_lo_u32 v2, v2, s33
	v_sub_nc_u32_e32 v2, s87, v2
	s_delay_alu instid0(VALU_DEP_1) | instskip(SKIP_1) | instid1(VALU_DEP_2)
	v_subrev_nc_u32_e32 v3, s33, v2
	v_cmp_le_u32_e32 vcc_lo, s33, v2
	v_cndmask_b32_e32 v2, v2, v3, vcc_lo
	s_delay_alu instid0(VALU_DEP_1) | instskip(SKIP_1) | instid1(VALU_DEP_2)
	v_subrev_nc_u32_e32 v3, s33, v2
	v_cmp_le_u32_e32 vcc_lo, s33, v2
	v_cndmask_b32_e32 v12, v2, v3, vcc_lo
	s_delay_alu instid0(VALU_DEP_1)
	v_dual_mov_b32 v2, v12 :: v_dual_mov_b32 v3, v13
.LBB213_321:                            ;   in Loop: Header=BB213_31 Depth=1
	s_delay_alu instid0(VALU_DEP_1) | instskip(NEXT) | instid1(VALU_DEP_2)
	v_sub_co_u32 v2, vcc_lo, s87, v2
	v_sub_co_ci_u32_e32 v3, vcc_lo, s27, v3, vcc_lo
	s_mov_b32 s7, 0
	s_mov_b32 s8, exec_lo
                                        ; implicit-def: $vgpr50
	s_delay_alu instid0(VALU_DEP_1)
	v_cmpx_gt_u64_e64 v[2:3], v[0:1]
	s_cbranch_execz .LBB213_330
; %bb.322:                              ;   in Loop: Header=BB213_31 Depth=1
	v_dual_mov_b32 v4, v24 :: v_dual_mov_b32 v5, v25
	v_dual_mov_b32 v7, v1 :: v_dual_mov_b32 v6, v0
	s_mov_b32 s9, 0
                                        ; implicit-def: $sgpr18
	s_branch .LBB213_324
.LBB213_323:                            ;   in Loop: Header=BB213_324 Depth=2
	s_or_b32 exec_lo, exec_lo, s7
	s_waitcnt vmcnt(0) lgkmcnt(0)
	s_barrier
	buffer_gl0_inv
	ds_load_b32 v8, v13 offset:3072
	v_add_co_u32 v6, vcc_lo, v6, s33
	v_add_co_ci_u32_e32 v7, vcc_lo, 0, v7, vcc_lo
	s_waitcnt lgkmcnt(0)
	s_barrier
	buffer_gl0_inv
	v_cmp_ge_u64_e32 vcc_lo, v[6:7], v[2:3]
	v_cmp_neq_f16_e64 s7, 0, v8
	s_delay_alu instid0(VALU_DEP_1)
	s_or_b32 s19, vcc_lo, s7
	v_add_co_u32 v4, vcc_lo, v4, s34
	s_and_b32 s19, exec_lo, s19
	v_add_co_ci_u32_e32 v5, vcc_lo, s35, v5, vcc_lo
	s_or_b32 s9, s19, s9
	s_and_not1_b32 s18, s18, exec_lo
	s_and_b32 s7, s7, exec_lo
	s_delay_alu instid0(SALU_CYCLE_1)
	s_or_b32 s18, s18, s7
	s_and_not1_b32 exec_lo, exec_lo, s9
	s_cbranch_execz .LBB213_329
.LBB213_324:                            ;   Parent Loop BB213_31 Depth=1
                                        ; =>  This Inner Loop Header: Depth=2
	s_delay_alu instid0(VALU_DEP_1)
	v_cmp_gt_u64_e32 vcc_lo, s[36:37], v[6:7]
	v_mov_b32_e32 v8, 0
	s_and_saveexec_b32 s7, vcc_lo
	s_cbranch_execz .LBB213_326
; %bb.325:                              ;   in Loop: Header=BB213_324 Depth=2
	global_load_u16 v8, v[4:5], off
.LBB213_326:                            ;   in Loop: Header=BB213_324 Depth=2
	s_or_b32 exec_lo, exec_lo, s7
	s_and_saveexec_b32 s7, vcc_lo
	s_cbranch_execz .LBB213_323
; %bb.327:                              ;   in Loop: Header=BB213_324 Depth=2
	s_waitcnt vmcnt(0)
	v_cmp_lt_i16_e32 vcc_lo, -1, v8
	v_dual_cndmask_b32 v12, 0xffff, v47 :: v_dual_and_b32 v9, 0xffff, v8
	v_cmp_o_f16_e32 vcc_lo, v8, v8
	s_delay_alu instid0(VALU_DEP_2) | instskip(NEXT) | instid1(VALU_DEP_1)
	v_xor_b32_e32 v9, v12, v9
	v_cndmask_b32_e32 v9, 0xffff, v9, vcc_lo
	s_delay_alu instid0(VALU_DEP_1) | instskip(NEXT) | instid1(VALU_DEP_1)
	v_and_b32_e32 v9, v9, v48
	v_cmp_eq_u32_e32 vcc_lo, v9, v49
	s_and_b32 exec_lo, exec_lo, vcc_lo
	s_cbranch_execz .LBB213_323
; %bb.328:                              ;   in Loop: Header=BB213_324 Depth=2
	v_perm_b32 v8, v8, s96, 0x5040100
	ds_store_b32 v13, v8 offset:3072
	s_branch .LBB213_323
.LBB213_329:                            ;   in Loop: Header=BB213_31 Depth=1
	s_or_b32 exec_lo, exec_lo, s9
	v_lshrrev_b32_e32 v50, 16, v8
	s_and_b32 s7, s18, exec_lo
.LBB213_330:                            ;   in Loop: Header=BB213_31 Depth=1
	s_or_b32 exec_lo, exec_lo, s8
	s_mov_b32 s19, 0
	s_mov_b32 s18, -1
	s_mov_b32 s23, 0
.LBB213_331:                            ;   in Loop: Header=BB213_31 Depth=1
	s_or_not1_b32 s7, s7, exec_lo
.LBB213_332:                            ;   in Loop: Header=BB213_31 Depth=1
	s_or_b32 exec_lo, exec_lo, s47
                                        ; implicit-def: $vgpr7
                                        ; implicit-def: $vgpr2_vgpr3
                                        ; implicit-def: $vgpr28
                                        ; implicit-def: $vgpr29
                                        ; implicit-def: $vgpr6
	s_and_saveexec_b32 s60, s7
	s_cbranch_execz .LBB213_495
; %bb.333:                              ;   in Loop: Header=BB213_31 Depth=1
	v_dual_mov_b32 v2, 1 :: v_dual_mov_b32 v7, 1
	v_mov_b32_e32 v3, 0
	s_xor_b32 s8, s46, -1
	s_mov_b32 s26, 0
	s_and_saveexec_b32 s7, s8
	s_cbranch_execz .LBB213_343
; %bb.334:                              ;   in Loop: Header=BB213_31 Depth=1
	s_mov_b32 s9, exec_lo
                                        ; implicit-def: $sgpr26
                                        ; implicit-def: $sgpr8
	v_cmpx_ge_u64_e64 s[16:17], v[26:27]
	s_xor_b32 s9, exec_lo, s9
	s_cbranch_execz .LBB213_340
; %bb.335:                              ;   in Loop: Header=BB213_31 Depth=1
	ds_load_b64 v[2:3], v13 offset:5120
	s_waitcnt lgkmcnt(0)
	v_cmp_ne_u64_e32 vcc_lo, 0, v[2:3]
	s_cbranch_vccnz .LBB213_339
; %bb.336:                              ;   in Loop: Header=BB213_31 Depth=1
	s_and_saveexec_b32 s8, s5
	s_cbranch_execz .LBB213_338
; %bb.337:                              ;   in Loop: Header=BB213_31 Depth=1
	v_dual_mov_b32 v2, s16 :: v_dual_mov_b32 v3, s17
	ds_store_b64 v13, v[2:3] offset:5128
.LBB213_338:                            ;   in Loop: Header=BB213_31 Depth=1
	s_or_b32 exec_lo, exec_lo, s8
	s_waitcnt lgkmcnt(0)
	s_barrier
	buffer_gl0_inv
.LBB213_339:                            ;   in Loop: Header=BB213_31 Depth=1
	v_or_b32_e32 v49, s20, v49
	v_or_b32_e32 v48, s20, v48
	s_mov_b32 s8, 0
	s_mov_b32 s26, 5
.LBB213_340:                            ;   in Loop: Header=BB213_31 Depth=1
	s_or_saveexec_b32 s9, s9
	v_mov_b32_e32 v7, s26
	s_xor_b32 exec_lo, exec_lo, s9
; %bb.341:                              ;   in Loop: Header=BB213_31 Depth=1
	v_sub_co_u32 v26, vcc_lo, v26, s16
	v_subrev_co_ci_u32_e32 v27, vcc_lo, s17, v27, vcc_lo
	v_mov_b32_e32 v7, 0
	s_or_b32 s8, s8, exec_lo
; %bb.342:                              ;   in Loop: Header=BB213_31 Depth=1
	s_or_b32 exec_lo, exec_lo, s9
	s_delay_alu instid0(VALU_DEP_2)
	v_dual_mov_b32 v2, v26 :: v_dual_mov_b32 v3, v27
	s_and_b32 s26, s8, exec_lo
.LBB213_343:                            ;   in Loop: Header=BB213_31 Depth=1
	s_or_b32 exec_lo, exec_lo, s7
	s_mov_b32 s17, -1
                                        ; implicit-def: $sgpr8
                                        ; implicit-def: $sgpr9
                                        ; implicit-def: $sgpr16
	s_and_saveexec_b32 s7, s26
	s_delay_alu instid0(SALU_CYCLE_1)
	s_xor_b32 s70, exec_lo, s7
	s_cbranch_execz .LBB213_492
; %bb.344:                              ;   in Loop: Header=BB213_31 Depth=1
	v_cmp_eq_u64_e32 vcc_lo, 1, v[2:3]
	s_cmp_eq_u64 s[14:15], 1
                                        ; implicit-def: $sgpr16
                                        ; implicit-def: $sgpr17
                                        ; implicit-def: $sgpr71
	s_cselect_b32 s7, -1, 0
	s_delay_alu instid0(SALU_CYCLE_1)
	s_and_b32 s46, s7, vcc_lo
	s_mov_b32 s7, -1
	s_and_saveexec_b32 s47, s46
	s_cbranch_execz .LBB213_378
; %bb.345:                              ;   in Loop: Header=BB213_31 Depth=1
	ds_load_b64 v[4:5], v13 offset:5120
	s_waitcnt lgkmcnt(0)
	s_barrier
	buffer_gl0_inv
	v_readfirstlane_b32 s8, v4
	v_readfirstlane_b32 s9, v5
	s_and_saveexec_b32 s7, s6
	s_cbranch_execz .LBB213_347
; %bb.346:                              ;   in Loop: Header=BB213_31 Depth=1
	ds_store_b16 v44, v13
.LBB213_347:                            ;   in Loop: Header=BB213_31 Depth=1
	s_or_b32 exec_lo, exec_lo, s7
	s_lshl_b32 s7, 2, s22
	v_or_b32_e32 v48, s20, v48
	v_and_or_b32 v49, v49, s21, s7
	s_cmp_eq_u64 s[8:9], 0
	s_waitcnt lgkmcnt(0)
	s_barrier
	buffer_gl0_inv
	s_cbranch_scc1 .LBB213_361
; %bb.348:                              ;   in Loop: Header=BB213_31 Depth=1
	s_add_u32 s26, s85, s8
	s_addc_u32 s17, s86, s9
	s_mov_b32 s16, s61
	s_delay_alu instid0(SALU_CYCLE_1)
	s_cmp_lg_u64 s[16:17], 0
	s_cbranch_scc0 .LBB213_405
; %bb.349:                              ;   in Loop: Header=BB213_31 Depth=1
	v_cvt_f32_u32_e32 v4, s33
	s_sub_u32 s56, 0, s33
	s_subb_u32 s57, 0, 0
	s_delay_alu instid0(VALU_DEP_1) | instskip(NEXT) | instid1(VALU_DEP_1)
	v_fmac_f32_e64 v4, 0, 0x4f800000
	v_rcp_f32_e32 v4, v4
	s_waitcnt_depctr 0xfff
	v_mul_f32_e32 v4, 0x5f7ffffc, v4
	s_delay_alu instid0(VALU_DEP_1) | instskip(NEXT) | instid1(VALU_DEP_1)
	v_mul_f32_e32 v5, 0x2f800000, v4
	v_trunc_f32_e32 v5, v5
	s_delay_alu instid0(VALU_DEP_1) | instskip(SKIP_1) | instid1(VALU_DEP_2)
	v_fmac_f32_e32 v4, 0xcf800000, v5
	v_cvt_u32_f32_e32 v5, v5
	v_cvt_u32_f32_e32 v4, v4
	s_delay_alu instid0(VALU_DEP_2) | instskip(NEXT) | instid1(VALU_DEP_2)
	v_readfirstlane_b32 s7, v5
	v_readfirstlane_b32 s16, v4
	s_delay_alu instid0(VALU_DEP_2) | instskip(NEXT) | instid1(VALU_DEP_1)
	s_mul_i32 s58, s56, s7
	s_mul_hi_u32 s71, s56, s16
	s_mul_i32 s59, s57, s16
	s_add_i32 s58, s71, s58
	s_mul_i32 s72, s56, s16
	s_add_i32 s58, s58, s59
	s_mul_hi_u32 s71, s16, s72
	s_mul_hi_u32 s73, s7, s72
	s_mul_i32 s59, s7, s72
	s_mul_hi_u32 s72, s16, s58
	s_mul_i32 s16, s16, s58
	s_mul_hi_u32 s74, s7, s58
	s_add_u32 s16, s71, s16
	s_addc_u32 s71, 0, s72
	s_add_u32 s16, s16, s59
	s_mul_i32 s58, s7, s58
	s_addc_u32 s16, s71, s73
	s_addc_u32 s59, s74, 0
	s_add_u32 s16, s16, s58
	s_addc_u32 s58, 0, s59
	v_add_co_u32 v4, s16, v4, s16
	s_delay_alu instid0(VALU_DEP_1) | instskip(SKIP_1) | instid1(VALU_DEP_1)
	s_cmp_lg_u32 s16, 0
	s_addc_u32 s7, s7, s58
	v_readfirstlane_b32 s16, v4
	s_mul_i32 s58, s56, s7
	s_delay_alu instid0(VALU_DEP_1)
	s_mul_hi_u32 s59, s56, s16
	s_mul_i32 s57, s57, s16
	s_add_i32 s58, s59, s58
	s_mul_i32 s56, s56, s16
	s_add_i32 s58, s58, s57
	s_mul_hi_u32 s59, s7, s56
	s_mul_i32 s71, s7, s56
	s_mul_hi_u32 s56, s16, s56
	s_mul_hi_u32 s72, s16, s58
	s_mul_i32 s16, s16, s58
	s_mul_hi_u32 s57, s7, s58
	s_add_u32 s16, s56, s16
	s_addc_u32 s56, 0, s72
	s_add_u32 s16, s16, s71
	s_mul_i32 s58, s7, s58
	s_addc_u32 s16, s56, s59
	s_addc_u32 s56, s57, 0
	s_add_u32 s16, s16, s58
	s_addc_u32 s56, 0, s56
	v_add_co_u32 v4, s16, v4, s16
	s_delay_alu instid0(VALU_DEP_1) | instskip(SKIP_1) | instid1(VALU_DEP_1)
	s_cmp_lg_u32 s16, 0
	s_addc_u32 s7, s7, s56
	v_readfirstlane_b32 s16, v4
	s_mul_i32 s57, s26, s7
	s_mul_hi_u32 s56, s26, s7
	s_mul_hi_u32 s58, s17, s7
	s_mul_i32 s7, s17, s7
	s_mul_hi_u32 s59, s26, s16
	s_mul_hi_u32 s71, s17, s16
	s_mul_i32 s16, s17, s16
	s_add_u32 s57, s59, s57
	s_addc_u32 s56, 0, s56
	s_add_u32 s16, s57, s16
	s_addc_u32 s16, s56, s71
	s_addc_u32 s56, s58, 0
	s_add_u32 s7, s16, s7
	s_addc_u32 s16, 0, s56
	s_mul_hi_u32 s56, s33, s7
	s_mul_i32 s7, s33, s7
	s_mul_i32 s16, s33, s16
	v_sub_co_u32 v4, s7, s26, s7
	s_add_i32 s56, s56, s16
	s_cmp_lg_u32 s7, 0
	s_delay_alu instid0(VALU_DEP_1) | instskip(SKIP_3) | instid1(VALU_DEP_2)
	v_sub_co_u32 v5, s7, v4, s33
	s_subb_u32 s16, s17, s56
	s_cmp_lg_u32 s7, 0
	v_cmp_le_u32_e32 vcc_lo, s33, v4
	v_cmp_le_u32_e64 s7, s33, v5
	v_sub_co_u32 v6, s56, v5, s33
	s_subb_u32 s57, s16, 0
	s_cmp_lg_u32 s56, 0
	s_delay_alu instid0(VALU_DEP_2)
	v_cndmask_b32_e64 v7, 0, -1, s7
	s_subb_u32 s56, s57, 0
	s_cmp_eq_u32 s57, 0
	v_mov_b32_e32 v9, s56
	v_cndmask_b32_e64 v8, 0, -1, vcc_lo
	s_cselect_b32 vcc_lo, -1, 0
	s_cmp_eq_u32 s16, 0
	v_cndmask_b32_e32 v7, -1, v7, vcc_lo
	s_cselect_b32 vcc_lo, -1, 0
	v_cndmask_b32_e32 v8, -1, v8, vcc_lo
	s_delay_alu instid0(VALU_DEP_2) | instskip(NEXT) | instid1(VALU_DEP_2)
	v_cmp_ne_u32_e32 vcc_lo, 0, v7
	v_cmp_ne_u32_e64 s7, 0, v8
	v_cndmask_b32_e32 v7, s57, v9, vcc_lo
	v_cndmask_b32_e32 v6, v5, v6, vcc_lo
	s_delay_alu instid0(VALU_DEP_2) | instskip(NEXT) | instid1(VALU_DEP_2)
	v_cndmask_b32_e64 v5, s16, v7, s7
	v_cndmask_b32_e64 v4, v4, v6, s7
	s_cbranch_execnz .LBB213_351
.LBB213_350:                            ;   in Loop: Header=BB213_31 Depth=1
	v_cvt_f32_u32_e32 v4, s33
	s_sub_i32 s7, 0, s33
	s_delay_alu instid0(VALU_DEP_1) | instskip(SKIP_2) | instid1(VALU_DEP_1)
	v_rcp_iflag_f32_e32 v4, v4
	s_waitcnt_depctr 0xfff
	v_mul_f32_e32 v4, 0x4f7ffffe, v4
	v_cvt_u32_f32_e32 v4, v4
	s_delay_alu instid0(VALU_DEP_1) | instskip(NEXT) | instid1(VALU_DEP_1)
	v_mul_lo_u32 v5, s7, v4
	v_mul_hi_u32 v5, v4, v5
	s_delay_alu instid0(VALU_DEP_1) | instskip(NEXT) | instid1(VALU_DEP_1)
	v_add_nc_u32_e32 v4, v4, v5
	v_mul_hi_u32 v4, s26, v4
	s_delay_alu instid0(VALU_DEP_1) | instskip(NEXT) | instid1(VALU_DEP_1)
	v_mul_lo_u32 v4, v4, s33
	v_sub_nc_u32_e32 v4, s26, v4
	s_delay_alu instid0(VALU_DEP_1) | instskip(SKIP_1) | instid1(VALU_DEP_2)
	v_subrev_nc_u32_e32 v5, s33, v4
	v_cmp_le_u32_e32 vcc_lo, s33, v4
	v_cndmask_b32_e32 v4, v4, v5, vcc_lo
	s_delay_alu instid0(VALU_DEP_1) | instskip(SKIP_1) | instid1(VALU_DEP_2)
	v_subrev_nc_u32_e32 v5, s33, v4
	v_cmp_le_u32_e32 vcc_lo, s33, v4
	v_cndmask_b32_e32 v12, v4, v5, vcc_lo
	s_delay_alu instid0(VALU_DEP_1)
	v_dual_mov_b32 v4, v12 :: v_dual_mov_b32 v5, v13
.LBB213_351:                            ;   in Loop: Header=BB213_31 Depth=1
	s_delay_alu instid0(VALU_DEP_1) | instskip(NEXT) | instid1(VALU_DEP_2)
	v_sub_co_u32 v4, vcc_lo, s26, v4
	v_sub_co_ci_u32_e32 v5, vcc_lo, s17, v5, vcc_lo
	s_mov_b32 s7, 0
	s_mov_b32 s16, exec_lo
                                        ; implicit-def: $vgpr50
	s_delay_alu instid0(VALU_DEP_1)
	v_cmpx_gt_u64_e64 v[4:5], v[0:1]
	s_cbranch_execz .LBB213_363
; %bb.352:                              ;   in Loop: Header=BB213_31 Depth=1
	v_dual_mov_b32 v8, v43 :: v_dual_mov_b32 v7, v1
	v_mov_b32_e32 v6, v0
	s_mov_b32 s17, 0
                                        ; implicit-def: $sgpr26
	s_set_inst_prefetch_distance 0x1
	s_branch .LBB213_354
	.p2align	6
.LBB213_353:                            ;   in Loop: Header=BB213_354 Depth=2
	s_or_b32 exec_lo, exec_lo, s7
	s_waitcnt lgkmcnt(0)
	s_barrier
	buffer_gl0_inv
	ds_load_b32 v9, v13 offset:3072
	v_add_co_u32 v6, vcc_lo, v6, s33
	v_add_co_ci_u32_e32 v7, vcc_lo, 0, v7, vcc_lo
	v_add_nc_u32_e32 v8, s93, v8
	s_waitcnt lgkmcnt(0)
	s_barrier
	s_delay_alu instid0(VALU_DEP_2) | instskip(SKIP_2) | instid1(VALU_DEP_1)
	v_cmp_ge_u64_e32 vcc_lo, v[6:7], v[4:5]
	buffer_gl0_inv
	v_cmp_neq_f16_e64 s7, 0, v9
	s_or_b32 s56, vcc_lo, s7
	s_delay_alu instid0(SALU_CYCLE_1) | instskip(NEXT) | instid1(SALU_CYCLE_1)
	s_and_b32 s56, exec_lo, s56
	s_or_b32 s17, s56, s17
	s_and_not1_b32 s26, s26, exec_lo
	s_and_b32 s7, s7, exec_lo
	s_delay_alu instid0(SALU_CYCLE_1)
	s_or_b32 s26, s26, s7
	s_and_not1_b32 exec_lo, exec_lo, s17
	s_cbranch_execz .LBB213_362
.LBB213_354:                            ;   Parent Loop BB213_31 Depth=1
                                        ; =>  This Inner Loop Header: Depth=2
	s_delay_alu instid0(VALU_DEP_1)
	v_cmp_gt_u64_e32 vcc_lo, s[8:9], v[6:7]
	v_mov_b32_e32 v9, 0
	s_and_saveexec_b32 s7, vcc_lo
	s_cbranch_execz .LBB213_356
; %bb.355:                              ;   in Loop: Header=BB213_354 Depth=2
	ds_load_u16 v9, v8
.LBB213_356:                            ;   in Loop: Header=BB213_354 Depth=2
	s_or_b32 exec_lo, exec_lo, s7
	s_and_saveexec_b32 s7, vcc_lo
	s_cbranch_execz .LBB213_353
; %bb.357:                              ;   in Loop: Header=BB213_354 Depth=2
	s_waitcnt lgkmcnt(0)
	v_cmp_lt_i16_e32 vcc_lo, -1, v9
	v_and_b32_e32 v12, 0xffff, v9
	v_cndmask_b32_e32 v26, 0xffff, v47, vcc_lo
	v_cmp_o_f16_e32 vcc_lo, v9, v9
	s_delay_alu instid0(VALU_DEP_2) | instskip(NEXT) | instid1(VALU_DEP_1)
	v_xor_b32_e32 v12, v26, v12
	v_cndmask_b32_e32 v12, 0xffff, v12, vcc_lo
	s_delay_alu instid0(VALU_DEP_1) | instskip(NEXT) | instid1(VALU_DEP_1)
	v_and_b32_e32 v12, v12, v48
	v_cmp_eq_u32_e32 vcc_lo, v12, v49
	s_and_b32 exec_lo, exec_lo, vcc_lo
	s_cbranch_execz .LBB213_353
; %bb.358:                              ;   in Loop: Header=BB213_354 Depth=2
	v_perm_b32 v9, v9, s96, 0x5040100
	ds_store_b32 v13, v9 offset:3072
	s_branch .LBB213_353
.LBB213_359:                            ;   in Loop: Header=BB213_31 Depth=1
                                        ; implicit-def: $vgpr2_vgpr3
	s_branch .LBB213_306
.LBB213_360:                            ;   in Loop: Header=BB213_31 Depth=1
                                        ; implicit-def: $vgpr2_vgpr3
	s_branch .LBB213_320
.LBB213_361:                            ;   in Loop: Header=BB213_31 Depth=1
	s_mov_b32 s16, -1
	s_mov_b32 s7, 0
                                        ; implicit-def: $sgpr17
                                        ; implicit-def: $vgpr50
	s_mov_b32 s71, s16
	s_cbranch_execnz .LBB213_364
	s_branch .LBB213_377
.LBB213_362:                            ;   in Loop: Header=BB213_31 Depth=1
	s_set_inst_prefetch_distance 0x2
	s_or_b32 exec_lo, exec_lo, s17
	v_lshrrev_b32_e32 v50, 16, v9
	s_and_b32 s7, s26, exec_lo
.LBB213_363:                            ;   in Loop: Header=BB213_31 Depth=1
	s_or_b32 exec_lo, exec_lo, s16
	s_mov_b32 s16, 0
	s_mov_b32 s17, -1
	s_mov_b32 s71, s16
	s_branch .LBB213_377
.LBB213_364:                            ;   in Loop: Header=BB213_31 Depth=1
	s_mov_b32 s26, s61
	s_delay_alu instid0(SALU_CYCLE_1)
	s_cmp_lg_u64 s[26:27], 0
	s_cbranch_scc0 .LBB213_406
; %bb.365:                              ;   in Loop: Header=BB213_31 Depth=1
	v_cvt_f32_u32_e32 v4, s33
	s_sub_u32 s9, 0, s33
	s_subb_u32 s16, 0, 0
	s_delay_alu instid0(VALU_DEP_1) | instskip(NEXT) | instid1(VALU_DEP_1)
	v_fmac_f32_e64 v4, 0, 0x4f800000
	v_rcp_f32_e32 v4, v4
	s_waitcnt_depctr 0xfff
	v_mul_f32_e32 v4, 0x5f7ffffc, v4
	s_delay_alu instid0(VALU_DEP_1) | instskip(NEXT) | instid1(VALU_DEP_1)
	v_mul_f32_e32 v5, 0x2f800000, v4
	v_trunc_f32_e32 v5, v5
	s_delay_alu instid0(VALU_DEP_1) | instskip(SKIP_1) | instid1(VALU_DEP_2)
	v_fmac_f32_e32 v4, 0xcf800000, v5
	v_cvt_u32_f32_e32 v5, v5
	v_cvt_u32_f32_e32 v4, v4
	s_delay_alu instid0(VALU_DEP_2) | instskip(NEXT) | instid1(VALU_DEP_2)
	v_readfirstlane_b32 s7, v5
	v_readfirstlane_b32 s8, v4
	s_delay_alu instid0(VALU_DEP_2) | instskip(NEXT) | instid1(VALU_DEP_1)
	s_mul_i32 s17, s9, s7
	s_mul_hi_u32 s56, s9, s8
	s_mul_i32 s26, s16, s8
	s_add_i32 s17, s56, s17
	s_mul_i32 s57, s9, s8
	s_add_i32 s17, s17, s26
	s_mul_hi_u32 s56, s8, s57
	s_mul_hi_u32 s58, s7, s57
	s_mul_i32 s26, s7, s57
	s_mul_hi_u32 s57, s8, s17
	s_mul_i32 s8, s8, s17
	s_mul_hi_u32 s59, s7, s17
	s_add_u32 s8, s56, s8
	s_addc_u32 s56, 0, s57
	s_add_u32 s8, s8, s26
	s_mul_i32 s17, s7, s17
	s_addc_u32 s8, s56, s58
	s_addc_u32 s26, s59, 0
	s_add_u32 s8, s8, s17
	s_addc_u32 s17, 0, s26
	v_add_co_u32 v4, s8, v4, s8
	s_delay_alu instid0(VALU_DEP_1) | instskip(SKIP_1) | instid1(VALU_DEP_1)
	s_cmp_lg_u32 s8, 0
	s_addc_u32 s7, s7, s17
	v_readfirstlane_b32 s8, v4
	s_mul_i32 s17, s9, s7
	s_delay_alu instid0(VALU_DEP_1)
	s_mul_hi_u32 s26, s9, s8
	s_mul_i32 s16, s16, s8
	s_add_i32 s17, s26, s17
	s_mul_i32 s9, s9, s8
	s_add_i32 s17, s17, s16
	s_mul_hi_u32 s26, s7, s9
	s_mul_i32 s56, s7, s9
	s_mul_hi_u32 s9, s8, s9
	s_mul_hi_u32 s57, s8, s17
	s_mul_i32 s8, s8, s17
	s_mul_hi_u32 s16, s7, s17
	s_add_u32 s8, s9, s8
	s_addc_u32 s9, 0, s57
	s_add_u32 s8, s8, s56
	s_mul_i32 s17, s7, s17
	s_addc_u32 s8, s9, s26
	s_addc_u32 s9, s16, 0
	s_add_u32 s8, s8, s17
	s_addc_u32 s9, 0, s9
	v_add_co_u32 v4, s8, v4, s8
	s_delay_alu instid0(VALU_DEP_1) | instskip(SKIP_1) | instid1(VALU_DEP_1)
	s_cmp_lg_u32 s8, 0
	s_addc_u32 s7, s7, s9
	v_readfirstlane_b32 s8, v4
	s_mul_i32 s16, s87, s7
	s_mul_hi_u32 s9, s87, s7
	s_mul_hi_u32 s17, s27, s7
	s_mul_i32 s7, s27, s7
	s_mul_hi_u32 s26, s87, s8
	s_mul_hi_u32 s56, s27, s8
	s_mul_i32 s8, s27, s8
	s_add_u32 s16, s26, s16
	s_addc_u32 s9, 0, s9
	s_add_u32 s8, s16, s8
	s_addc_u32 s8, s9, s56
	s_addc_u32 s9, s17, 0
	s_add_u32 s7, s8, s7
	s_addc_u32 s8, 0, s9
	s_mul_hi_u32 s9, s33, s7
	s_mul_i32 s7, s33, s7
	s_mul_i32 s8, s33, s8
	v_sub_co_u32 v4, s7, s87, s7
	s_add_i32 s9, s9, s8
	s_cmp_lg_u32 s7, 0
	s_delay_alu instid0(VALU_DEP_1) | instskip(SKIP_2) | instid1(VALU_DEP_1)
	v_sub_co_u32 v5, s7, v4, s33
	s_subb_u32 s8, s27, s9
	s_cmp_lg_u32 s7, 0
	v_cmp_le_u32_e32 vcc_lo, s33, v5
	v_sub_co_u32 v6, s7, v5, s33
	s_subb_u32 s9, s8, 0
	s_cmp_lg_u32 s7, 0
	v_cndmask_b32_e64 v7, 0, -1, vcc_lo
	s_subb_u32 s7, s9, 0
	s_cmp_eq_u32 s9, 0
	v_mov_b32_e32 v9, s7
	s_cselect_b32 vcc_lo, -1, 0
	s_cmp_eq_u32 s8, 0
	v_cndmask_b32_e32 v7, -1, v7, vcc_lo
	v_cmp_le_u32_e32 vcc_lo, s33, v4
	s_cselect_b32 s7, -1, 0
	v_cndmask_b32_e64 v8, 0, -1, vcc_lo
	s_delay_alu instid0(VALU_DEP_3) | instskip(NEXT) | instid1(VALU_DEP_2)
	v_cmp_ne_u32_e32 vcc_lo, 0, v7
	v_cndmask_b32_e64 v7, -1, v8, s7
	v_cndmask_b32_e32 v8, s9, v9, vcc_lo
	v_cndmask_b32_e32 v6, v5, v6, vcc_lo
	s_delay_alu instid0(VALU_DEP_3) | instskip(NEXT) | instid1(VALU_DEP_3)
	v_cmp_ne_u32_e32 vcc_lo, 0, v7
	v_cndmask_b32_e32 v5, s8, v8, vcc_lo
	s_delay_alu instid0(VALU_DEP_3)
	v_cndmask_b32_e32 v4, v4, v6, vcc_lo
	s_cbranch_execnz .LBB213_367
.LBB213_366:                            ;   in Loop: Header=BB213_31 Depth=1
	v_cvt_f32_u32_e32 v4, s33
	s_sub_i32 s7, 0, s33
	s_delay_alu instid0(VALU_DEP_1) | instskip(SKIP_2) | instid1(VALU_DEP_1)
	v_rcp_iflag_f32_e32 v4, v4
	s_waitcnt_depctr 0xfff
	v_mul_f32_e32 v4, 0x4f7ffffe, v4
	v_cvt_u32_f32_e32 v4, v4
	s_delay_alu instid0(VALU_DEP_1) | instskip(NEXT) | instid1(VALU_DEP_1)
	v_mul_lo_u32 v5, s7, v4
	v_mul_hi_u32 v5, v4, v5
	s_delay_alu instid0(VALU_DEP_1) | instskip(NEXT) | instid1(VALU_DEP_1)
	v_add_nc_u32_e32 v4, v4, v5
	v_mul_hi_u32 v4, s87, v4
	s_delay_alu instid0(VALU_DEP_1) | instskip(NEXT) | instid1(VALU_DEP_1)
	v_mul_lo_u32 v4, v4, s33
	v_sub_nc_u32_e32 v4, s87, v4
	s_delay_alu instid0(VALU_DEP_1) | instskip(SKIP_1) | instid1(VALU_DEP_2)
	v_subrev_nc_u32_e32 v5, s33, v4
	v_cmp_le_u32_e32 vcc_lo, s33, v4
	v_cndmask_b32_e32 v4, v4, v5, vcc_lo
	s_delay_alu instid0(VALU_DEP_1) | instskip(SKIP_1) | instid1(VALU_DEP_2)
	v_subrev_nc_u32_e32 v5, s33, v4
	v_cmp_le_u32_e32 vcc_lo, s33, v4
	v_cndmask_b32_e32 v12, v4, v5, vcc_lo
	s_delay_alu instid0(VALU_DEP_1)
	v_dual_mov_b32 v4, v12 :: v_dual_mov_b32 v5, v13
.LBB213_367:                            ;   in Loop: Header=BB213_31 Depth=1
	s_delay_alu instid0(VALU_DEP_1) | instskip(NEXT) | instid1(VALU_DEP_2)
	v_sub_co_u32 v4, vcc_lo, s87, v4
	v_sub_co_ci_u32_e32 v5, vcc_lo, s27, v5, vcc_lo
	s_mov_b32 s7, 0
	s_mov_b32 s8, exec_lo
                                        ; implicit-def: $vgpr50
	s_delay_alu instid0(VALU_DEP_1)
	v_cmpx_gt_u64_e64 v[4:5], v[0:1]
	s_cbranch_execz .LBB213_376
; %bb.368:                              ;   in Loop: Header=BB213_31 Depth=1
	v_dual_mov_b32 v6, v24 :: v_dual_mov_b32 v7, v25
	v_dual_mov_b32 v9, v1 :: v_dual_mov_b32 v8, v0
	s_mov_b32 s9, 0
                                        ; implicit-def: $sgpr16
	s_branch .LBB213_370
.LBB213_369:                            ;   in Loop: Header=BB213_370 Depth=2
	s_or_b32 exec_lo, exec_lo, s7
	s_waitcnt vmcnt(0) lgkmcnt(0)
	s_barrier
	buffer_gl0_inv
	ds_load_b32 v12, v13 offset:3072
	v_add_co_u32 v8, vcc_lo, v8, s33
	v_add_co_ci_u32_e32 v9, vcc_lo, 0, v9, vcc_lo
	s_waitcnt lgkmcnt(0)
	s_barrier
	buffer_gl0_inv
	v_cmp_ge_u64_e32 vcc_lo, v[8:9], v[4:5]
	v_cmp_neq_f16_e64 s7, 0, v12
	s_delay_alu instid0(VALU_DEP_1)
	s_or_b32 s17, vcc_lo, s7
	v_add_co_u32 v6, vcc_lo, v6, s34
	s_and_b32 s17, exec_lo, s17
	v_add_co_ci_u32_e32 v7, vcc_lo, s35, v7, vcc_lo
	s_or_b32 s9, s17, s9
	s_and_not1_b32 s16, s16, exec_lo
	s_and_b32 s7, s7, exec_lo
	s_delay_alu instid0(SALU_CYCLE_1)
	s_or_b32 s16, s16, s7
	s_and_not1_b32 exec_lo, exec_lo, s9
	s_cbranch_execz .LBB213_375
.LBB213_370:                            ;   Parent Loop BB213_31 Depth=1
                                        ; =>  This Inner Loop Header: Depth=2
	s_delay_alu instid0(VALU_DEP_1)
	v_cmp_gt_u64_e32 vcc_lo, s[36:37], v[8:9]
	v_mov_b32_e32 v12, 0
	s_and_saveexec_b32 s7, vcc_lo
	s_cbranch_execz .LBB213_372
; %bb.371:                              ;   in Loop: Header=BB213_370 Depth=2
	global_load_u16 v12, v[6:7], off
.LBB213_372:                            ;   in Loop: Header=BB213_370 Depth=2
	s_or_b32 exec_lo, exec_lo, s7
	s_and_saveexec_b32 s7, vcc_lo
	s_cbranch_execz .LBB213_369
; %bb.373:                              ;   in Loop: Header=BB213_370 Depth=2
	s_waitcnt vmcnt(0)
	v_cmp_lt_i16_e32 vcc_lo, -1, v12
	v_dual_cndmask_b32 v27, 0xffff, v47 :: v_dual_and_b32 v26, 0xffff, v12
	v_cmp_o_f16_e32 vcc_lo, v12, v12
	s_delay_alu instid0(VALU_DEP_2) | instskip(NEXT) | instid1(VALU_DEP_1)
	v_xor_b32_e32 v26, v27, v26
	v_cndmask_b32_e32 v26, 0xffff, v26, vcc_lo
	s_delay_alu instid0(VALU_DEP_1) | instskip(NEXT) | instid1(VALU_DEP_1)
	v_and_b32_e32 v26, v26, v48
	v_cmp_eq_u32_e32 vcc_lo, v26, v49
	s_and_b32 exec_lo, exec_lo, vcc_lo
	s_cbranch_execz .LBB213_369
; %bb.374:                              ;   in Loop: Header=BB213_370 Depth=2
	v_perm_b32 v12, v12, s96, 0x5040100
	ds_store_b32 v13, v12 offset:3072
	s_branch .LBB213_369
.LBB213_375:                            ;   in Loop: Header=BB213_31 Depth=1
	s_or_b32 exec_lo, exec_lo, s9
	v_lshrrev_b32_e32 v50, 16, v12
	s_and_b32 s7, s16, exec_lo
.LBB213_376:                            ;   in Loop: Header=BB213_31 Depth=1
	s_or_b32 exec_lo, exec_lo, s8
	s_mov_b32 s17, 0
	s_mov_b32 s16, -1
	s_mov_b32 s71, 0
.LBB213_377:                            ;   in Loop: Header=BB213_31 Depth=1
	s_or_not1_b32 s7, s7, exec_lo
.LBB213_378:                            ;   in Loop: Header=BB213_31 Depth=1
	s_or_b32 exec_lo, exec_lo, s47
	s_mov_b32 s26, 0
                                        ; implicit-def: $vgpr7
	s_and_saveexec_b32 s72, s7
	s_cbranch_execz .LBB213_491
; %bb.379:                              ;   in Loop: Header=BB213_31 Depth=1
	v_dual_mov_b32 v4, 1 :: v_dual_mov_b32 v7, 1
	v_mov_b32_e32 v5, 0
	s_xor_b32 s8, s46, -1
	s_delay_alu instid0(SALU_CYCLE_1)
	s_and_saveexec_b32 s7, s8
	s_cbranch_execz .LBB213_389
; %bb.380:                              ;   in Loop: Header=BB213_31 Depth=1
	s_mov_b32 s9, exec_lo
                                        ; implicit-def: $sgpr26
                                        ; implicit-def: $sgpr8
	v_cmpx_ge_u64_e64 s[14:15], v[2:3]
	s_xor_b32 s9, exec_lo, s9
	s_cbranch_execz .LBB213_386
; %bb.381:                              ;   in Loop: Header=BB213_31 Depth=1
	ds_load_b64 v[4:5], v13 offset:5120
	s_waitcnt lgkmcnt(0)
	v_cmp_ne_u64_e32 vcc_lo, 0, v[4:5]
	s_cbranch_vccnz .LBB213_385
; %bb.382:                              ;   in Loop: Header=BB213_31 Depth=1
	s_and_saveexec_b32 s8, s5
	s_cbranch_execz .LBB213_384
; %bb.383:                              ;   in Loop: Header=BB213_31 Depth=1
	v_dual_mov_b32 v4, s14 :: v_dual_mov_b32 v5, s15
	ds_store_b64 v13, v[4:5] offset:5128
.LBB213_384:                            ;   in Loop: Header=BB213_31 Depth=1
	s_or_b32 exec_lo, exec_lo, s8
	s_waitcnt lgkmcnt(0)
	s_barrier
	buffer_gl0_inv
.LBB213_385:                            ;   in Loop: Header=BB213_31 Depth=1
	s_lshl_b32 s8, 2, s22
	v_or_b32_e32 v48, s20, v48
	v_and_or_b32 v49, v49, s21, s8
	s_mov_b32 s8, 0
	s_mov_b32 s26, 5
.LBB213_386:                            ;   in Loop: Header=BB213_31 Depth=1
	s_or_saveexec_b32 s9, s9
	v_mov_b32_e32 v7, s26
	s_xor_b32 exec_lo, exec_lo, s9
; %bb.387:                              ;   in Loop: Header=BB213_31 Depth=1
	v_sub_co_u32 v2, vcc_lo, v2, s14
	v_subrev_co_ci_u32_e32 v3, vcc_lo, s15, v3, vcc_lo
	v_mov_b32_e32 v7, 0
	s_or_b32 s8, s8, exec_lo
; %bb.388:                              ;   in Loop: Header=BB213_31 Depth=1
	s_or_b32 exec_lo, exec_lo, s9
	s_delay_alu instid0(VALU_DEP_2)
	v_dual_mov_b32 v5, v3 :: v_dual_mov_b32 v4, v2
	s_and_b32 s26, s8, exec_lo
.LBB213_389:                            ;   in Loop: Header=BB213_31 Depth=1
	s_or_b32 exec_lo, exec_lo, s7
	s_mov_b32 s7, -1
                                        ; implicit-def: $sgpr8
                                        ; implicit-def: $sgpr9
                                        ; implicit-def: $sgpr14
	s_and_saveexec_b32 s73, s26
	s_cbranch_execz .LBB213_490
; %bb.390:                              ;   in Loop: Header=BB213_31 Depth=1
	v_cmp_eq_u64_e32 vcc_lo, 1, v[4:5]
	s_cmp_eq_u64 s[12:13], 1
                                        ; implicit-def: $sgpr14
                                        ; implicit-def: $sgpr15
                                        ; implicit-def: $sgpr74
	s_cselect_b32 s7, -1, 0
	s_delay_alu instid0(SALU_CYCLE_1)
	s_and_b32 s46, s7, vcc_lo
	s_mov_b32 s7, -1
	s_and_saveexec_b32 s47, s46
	s_cbranch_execz .LBB213_424
; %bb.391:                              ;   in Loop: Header=BB213_31 Depth=1
	ds_load_b64 v[2:3], v13 offset:5120
	s_waitcnt lgkmcnt(0)
	s_barrier
	buffer_gl0_inv
	v_readfirstlane_b32 s8, v2
	v_readfirstlane_b32 s9, v3
	s_and_saveexec_b32 s7, s6
	s_cbranch_execz .LBB213_393
; %bb.392:                              ;   in Loop: Header=BB213_31 Depth=1
	ds_store_b16 v44, v13
.LBB213_393:                            ;   in Loop: Header=BB213_31 Depth=1
	s_or_b32 exec_lo, exec_lo, s7
	s_lshl_b32 s7, 1, s22
	v_or_b32_e32 v48, s20, v48
	v_and_or_b32 v49, v49, s21, s7
	s_cmp_eq_u64 s[8:9], 0
	s_waitcnt lgkmcnt(0)
	s_barrier
	buffer_gl0_inv
	s_cbranch_scc1 .LBB213_407
; %bb.394:                              ;   in Loop: Header=BB213_31 Depth=1
	s_add_u32 s26, s85, s8
	s_addc_u32 s15, s86, s9
	s_mov_b32 s14, s61
	s_delay_alu instid0(SALU_CYCLE_1)
	s_cmp_lg_u64 s[14:15], 0
	s_cbranch_scc0 .LBB213_442
; %bb.395:                              ;   in Loop: Header=BB213_31 Depth=1
	v_cvt_f32_u32_e32 v2, s33
	s_sub_u32 s56, 0, s33
	s_subb_u32 s57, 0, 0
	s_delay_alu instid0(VALU_DEP_1) | instskip(NEXT) | instid1(VALU_DEP_1)
	v_fmac_f32_e64 v2, 0, 0x4f800000
	v_rcp_f32_e32 v2, v2
	s_waitcnt_depctr 0xfff
	v_mul_f32_e32 v2, 0x5f7ffffc, v2
	s_delay_alu instid0(VALU_DEP_1) | instskip(NEXT) | instid1(VALU_DEP_1)
	v_mul_f32_e32 v3, 0x2f800000, v2
	v_trunc_f32_e32 v3, v3
	s_delay_alu instid0(VALU_DEP_1) | instskip(SKIP_1) | instid1(VALU_DEP_2)
	v_fmac_f32_e32 v2, 0xcf800000, v3
	v_cvt_u32_f32_e32 v3, v3
	v_cvt_u32_f32_e32 v2, v2
	s_delay_alu instid0(VALU_DEP_2) | instskip(NEXT) | instid1(VALU_DEP_2)
	v_readfirstlane_b32 s7, v3
	v_readfirstlane_b32 s14, v2
	s_delay_alu instid0(VALU_DEP_2) | instskip(NEXT) | instid1(VALU_DEP_1)
	s_mul_i32 s58, s56, s7
	s_mul_hi_u32 s74, s56, s14
	s_mul_i32 s59, s57, s14
	s_add_i32 s58, s74, s58
	s_mul_i32 s75, s56, s14
	s_add_i32 s58, s58, s59
	s_mul_hi_u32 s74, s14, s75
	s_mul_hi_u32 s76, s7, s75
	s_mul_i32 s59, s7, s75
	s_mul_hi_u32 s75, s14, s58
	s_mul_i32 s14, s14, s58
	s_mul_hi_u32 s77, s7, s58
	s_add_u32 s14, s74, s14
	s_addc_u32 s74, 0, s75
	s_add_u32 s14, s14, s59
	s_mul_i32 s58, s7, s58
	s_addc_u32 s14, s74, s76
	s_addc_u32 s59, s77, 0
	s_add_u32 s14, s14, s58
	s_addc_u32 s58, 0, s59
	v_add_co_u32 v2, s14, v2, s14
	s_delay_alu instid0(VALU_DEP_1) | instskip(SKIP_1) | instid1(VALU_DEP_1)
	s_cmp_lg_u32 s14, 0
	s_addc_u32 s7, s7, s58
	v_readfirstlane_b32 s14, v2
	s_mul_i32 s58, s56, s7
	s_delay_alu instid0(VALU_DEP_1)
	s_mul_hi_u32 s59, s56, s14
	s_mul_i32 s57, s57, s14
	s_add_i32 s58, s59, s58
	s_mul_i32 s56, s56, s14
	s_add_i32 s58, s58, s57
	s_mul_hi_u32 s59, s7, s56
	s_mul_i32 s74, s7, s56
	s_mul_hi_u32 s56, s14, s56
	s_mul_hi_u32 s75, s14, s58
	s_mul_i32 s14, s14, s58
	s_mul_hi_u32 s57, s7, s58
	s_add_u32 s14, s56, s14
	s_addc_u32 s56, 0, s75
	s_add_u32 s14, s14, s74
	s_mul_i32 s58, s7, s58
	s_addc_u32 s14, s56, s59
	s_addc_u32 s56, s57, 0
	s_add_u32 s14, s14, s58
	s_addc_u32 s56, 0, s56
	v_add_co_u32 v2, s14, v2, s14
	s_delay_alu instid0(VALU_DEP_1) | instskip(SKIP_1) | instid1(VALU_DEP_1)
	s_cmp_lg_u32 s14, 0
	s_addc_u32 s7, s7, s56
	v_readfirstlane_b32 s14, v2
	s_mul_i32 s57, s26, s7
	s_mul_hi_u32 s56, s26, s7
	s_mul_hi_u32 s58, s15, s7
	s_mul_i32 s7, s15, s7
	s_mul_hi_u32 s59, s26, s14
	s_mul_hi_u32 s74, s15, s14
	s_mul_i32 s14, s15, s14
	s_add_u32 s57, s59, s57
	s_addc_u32 s56, 0, s56
	s_add_u32 s14, s57, s14
	s_addc_u32 s14, s56, s74
	s_addc_u32 s56, s58, 0
	s_add_u32 s7, s14, s7
	s_addc_u32 s14, 0, s56
	s_mul_hi_u32 s56, s33, s7
	s_mul_i32 s7, s33, s7
	s_mul_i32 s14, s33, s14
	v_sub_co_u32 v2, s7, s26, s7
	s_add_i32 s56, s56, s14
	s_cmp_lg_u32 s7, 0
	s_delay_alu instid0(VALU_DEP_1) | instskip(SKIP_3) | instid1(VALU_DEP_2)
	v_sub_co_u32 v3, s7, v2, s33
	s_subb_u32 s14, s15, s56
	s_cmp_lg_u32 s7, 0
	v_cmp_le_u32_e32 vcc_lo, s33, v2
	v_cmp_le_u32_e64 s7, s33, v3
	v_sub_co_u32 v6, s56, v3, s33
	s_subb_u32 s57, s14, 0
	s_cmp_lg_u32 s56, 0
	s_delay_alu instid0(VALU_DEP_2)
	v_cndmask_b32_e64 v7, 0, -1, s7
	s_subb_u32 s56, s57, 0
	s_cmp_eq_u32 s57, 0
	v_mov_b32_e32 v9, s56
	v_cndmask_b32_e64 v8, 0, -1, vcc_lo
	s_cselect_b32 vcc_lo, -1, 0
	s_cmp_eq_u32 s14, 0
	v_cndmask_b32_e32 v7, -1, v7, vcc_lo
	s_cselect_b32 vcc_lo, -1, 0
	v_cndmask_b32_e32 v8, -1, v8, vcc_lo
	s_delay_alu instid0(VALU_DEP_2) | instskip(NEXT) | instid1(VALU_DEP_2)
	v_cmp_ne_u32_e32 vcc_lo, 0, v7
	v_cmp_ne_u32_e64 s7, 0, v8
	v_cndmask_b32_e32 v7, s57, v9, vcc_lo
	v_cndmask_b32_e32 v6, v3, v6, vcc_lo
	s_delay_alu instid0(VALU_DEP_2) | instskip(NEXT) | instid1(VALU_DEP_2)
	v_cndmask_b32_e64 v3, s14, v7, s7
	v_cndmask_b32_e64 v2, v2, v6, s7
	s_cbranch_execnz .LBB213_397
.LBB213_396:                            ;   in Loop: Header=BB213_31 Depth=1
	v_cvt_f32_u32_e32 v2, s33
	s_sub_i32 s7, 0, s33
	s_delay_alu instid0(VALU_DEP_1) | instskip(SKIP_2) | instid1(VALU_DEP_1)
	v_rcp_iflag_f32_e32 v2, v2
	s_waitcnt_depctr 0xfff
	v_mul_f32_e32 v2, 0x4f7ffffe, v2
	v_cvt_u32_f32_e32 v2, v2
	s_delay_alu instid0(VALU_DEP_1) | instskip(NEXT) | instid1(VALU_DEP_1)
	v_mul_lo_u32 v3, s7, v2
	v_mul_hi_u32 v3, v2, v3
	s_delay_alu instid0(VALU_DEP_1) | instskip(NEXT) | instid1(VALU_DEP_1)
	v_add_nc_u32_e32 v2, v2, v3
	v_mul_hi_u32 v2, s26, v2
	s_delay_alu instid0(VALU_DEP_1) | instskip(NEXT) | instid1(VALU_DEP_1)
	v_mul_lo_u32 v2, v2, s33
	v_sub_nc_u32_e32 v2, s26, v2
	s_delay_alu instid0(VALU_DEP_1) | instskip(SKIP_1) | instid1(VALU_DEP_2)
	v_subrev_nc_u32_e32 v3, s33, v2
	v_cmp_le_u32_e32 vcc_lo, s33, v2
	v_cndmask_b32_e32 v2, v2, v3, vcc_lo
	s_delay_alu instid0(VALU_DEP_1) | instskip(SKIP_1) | instid1(VALU_DEP_2)
	v_subrev_nc_u32_e32 v3, s33, v2
	v_cmp_le_u32_e32 vcc_lo, s33, v2
	v_cndmask_b32_e32 v12, v2, v3, vcc_lo
	s_delay_alu instid0(VALU_DEP_1)
	v_dual_mov_b32 v2, v12 :: v_dual_mov_b32 v3, v13
.LBB213_397:                            ;   in Loop: Header=BB213_31 Depth=1
	s_delay_alu instid0(VALU_DEP_1) | instskip(NEXT) | instid1(VALU_DEP_2)
	v_sub_co_u32 v2, vcc_lo, s26, v2
	v_sub_co_ci_u32_e32 v3, vcc_lo, s15, v3, vcc_lo
	s_mov_b32 s7, 0
	s_mov_b32 s14, exec_lo
                                        ; implicit-def: $vgpr50
	s_delay_alu instid0(VALU_DEP_1)
	v_cmpx_gt_u64_e64 v[2:3], v[0:1]
	s_cbranch_execz .LBB213_409
; %bb.398:                              ;   in Loop: Header=BB213_31 Depth=1
	v_dual_mov_b32 v8, v43 :: v_dual_mov_b32 v7, v1
	v_mov_b32_e32 v6, v0
	s_mov_b32 s15, 0
                                        ; implicit-def: $sgpr26
	s_set_inst_prefetch_distance 0x1
	s_branch .LBB213_400
	.p2align	6
.LBB213_399:                            ;   in Loop: Header=BB213_400 Depth=2
	s_or_b32 exec_lo, exec_lo, s7
	s_waitcnt lgkmcnt(0)
	s_barrier
	buffer_gl0_inv
	ds_load_b32 v9, v13 offset:3072
	v_add_co_u32 v6, vcc_lo, v6, s33
	v_add_co_ci_u32_e32 v7, vcc_lo, 0, v7, vcc_lo
	v_add_nc_u32_e32 v8, s93, v8
	s_waitcnt lgkmcnt(0)
	s_barrier
	s_delay_alu instid0(VALU_DEP_2) | instskip(SKIP_2) | instid1(VALU_DEP_1)
	v_cmp_ge_u64_e32 vcc_lo, v[6:7], v[2:3]
	buffer_gl0_inv
	v_cmp_neq_f16_e64 s7, 0, v9
	s_or_b32 s56, vcc_lo, s7
	s_delay_alu instid0(SALU_CYCLE_1) | instskip(NEXT) | instid1(SALU_CYCLE_1)
	s_and_b32 s56, exec_lo, s56
	s_or_b32 s15, s56, s15
	s_and_not1_b32 s26, s26, exec_lo
	s_and_b32 s7, s7, exec_lo
	s_delay_alu instid0(SALU_CYCLE_1)
	s_or_b32 s26, s26, s7
	s_and_not1_b32 exec_lo, exec_lo, s15
	s_cbranch_execz .LBB213_408
.LBB213_400:                            ;   Parent Loop BB213_31 Depth=1
                                        ; =>  This Inner Loop Header: Depth=2
	s_delay_alu instid0(VALU_DEP_1)
	v_cmp_gt_u64_e32 vcc_lo, s[8:9], v[6:7]
	v_mov_b32_e32 v9, 0
	s_and_saveexec_b32 s7, vcc_lo
	s_cbranch_execz .LBB213_402
; %bb.401:                              ;   in Loop: Header=BB213_400 Depth=2
	ds_load_u16 v9, v8
.LBB213_402:                            ;   in Loop: Header=BB213_400 Depth=2
	s_or_b32 exec_lo, exec_lo, s7
	s_and_saveexec_b32 s7, vcc_lo
	s_cbranch_execz .LBB213_399
; %bb.403:                              ;   in Loop: Header=BB213_400 Depth=2
	s_waitcnt lgkmcnt(0)
	v_cmp_lt_i16_e32 vcc_lo, -1, v9
	v_and_b32_e32 v12, 0xffff, v9
	v_cndmask_b32_e32 v26, 0xffff, v47, vcc_lo
	v_cmp_o_f16_e32 vcc_lo, v9, v9
	s_delay_alu instid0(VALU_DEP_2) | instskip(NEXT) | instid1(VALU_DEP_1)
	v_xor_b32_e32 v12, v26, v12
	v_cndmask_b32_e32 v12, 0xffff, v12, vcc_lo
	s_delay_alu instid0(VALU_DEP_1) | instskip(NEXT) | instid1(VALU_DEP_1)
	v_and_b32_e32 v12, v12, v48
	v_cmp_eq_u32_e32 vcc_lo, v12, v49
	s_and_b32 exec_lo, exec_lo, vcc_lo
	s_cbranch_execz .LBB213_399
; %bb.404:                              ;   in Loop: Header=BB213_400 Depth=2
	v_perm_b32 v9, v9, s96, 0x5040100
	ds_store_b32 v13, v9 offset:3072
	s_branch .LBB213_399
.LBB213_405:                            ;   in Loop: Header=BB213_31 Depth=1
                                        ; implicit-def: $vgpr4_vgpr5
	s_branch .LBB213_350
.LBB213_406:                            ;   in Loop: Header=BB213_31 Depth=1
                                        ; implicit-def: $vgpr4_vgpr5
	s_branch .LBB213_366
.LBB213_407:                            ;   in Loop: Header=BB213_31 Depth=1
	s_mov_b32 s14, -1
	s_mov_b32 s7, 0
                                        ; implicit-def: $sgpr15
                                        ; implicit-def: $vgpr50
	s_mov_b32 s74, s14
	s_cbranch_execnz .LBB213_410
	s_branch .LBB213_423
.LBB213_408:                            ;   in Loop: Header=BB213_31 Depth=1
	s_set_inst_prefetch_distance 0x2
	s_or_b32 exec_lo, exec_lo, s15
	v_lshrrev_b32_e32 v50, 16, v9
	s_and_b32 s7, s26, exec_lo
.LBB213_409:                            ;   in Loop: Header=BB213_31 Depth=1
	s_or_b32 exec_lo, exec_lo, s14
	s_mov_b32 s14, 0
	s_mov_b32 s15, -1
	s_mov_b32 s74, s14
	s_branch .LBB213_423
.LBB213_410:                            ;   in Loop: Header=BB213_31 Depth=1
	s_mov_b32 s26, s61
	s_delay_alu instid0(SALU_CYCLE_1)
	s_cmp_lg_u64 s[26:27], 0
	s_cbranch_scc0 .LBB213_443
; %bb.411:                              ;   in Loop: Header=BB213_31 Depth=1
	v_cvt_f32_u32_e32 v2, s33
	s_sub_u32 s9, 0, s33
	s_subb_u32 s14, 0, 0
	s_delay_alu instid0(VALU_DEP_1) | instskip(NEXT) | instid1(VALU_DEP_1)
	v_fmac_f32_e64 v2, 0, 0x4f800000
	v_rcp_f32_e32 v2, v2
	s_waitcnt_depctr 0xfff
	v_mul_f32_e32 v2, 0x5f7ffffc, v2
	s_delay_alu instid0(VALU_DEP_1) | instskip(NEXT) | instid1(VALU_DEP_1)
	v_mul_f32_e32 v3, 0x2f800000, v2
	v_trunc_f32_e32 v3, v3
	s_delay_alu instid0(VALU_DEP_1) | instskip(SKIP_1) | instid1(VALU_DEP_2)
	v_fmac_f32_e32 v2, 0xcf800000, v3
	v_cvt_u32_f32_e32 v3, v3
	v_cvt_u32_f32_e32 v2, v2
	s_delay_alu instid0(VALU_DEP_2) | instskip(NEXT) | instid1(VALU_DEP_2)
	v_readfirstlane_b32 s7, v3
	v_readfirstlane_b32 s8, v2
	s_delay_alu instid0(VALU_DEP_2) | instskip(NEXT) | instid1(VALU_DEP_1)
	s_mul_i32 s15, s9, s7
	s_mul_hi_u32 s56, s9, s8
	s_mul_i32 s26, s14, s8
	s_add_i32 s15, s56, s15
	s_mul_i32 s57, s9, s8
	s_add_i32 s15, s15, s26
	s_mul_hi_u32 s56, s8, s57
	s_mul_hi_u32 s58, s7, s57
	s_mul_i32 s26, s7, s57
	s_mul_hi_u32 s57, s8, s15
	s_mul_i32 s8, s8, s15
	s_mul_hi_u32 s59, s7, s15
	s_add_u32 s8, s56, s8
	s_addc_u32 s56, 0, s57
	s_add_u32 s8, s8, s26
	s_mul_i32 s15, s7, s15
	s_addc_u32 s8, s56, s58
	s_addc_u32 s26, s59, 0
	s_add_u32 s8, s8, s15
	s_addc_u32 s15, 0, s26
	v_add_co_u32 v2, s8, v2, s8
	s_delay_alu instid0(VALU_DEP_1) | instskip(SKIP_1) | instid1(VALU_DEP_1)
	s_cmp_lg_u32 s8, 0
	s_addc_u32 s7, s7, s15
	v_readfirstlane_b32 s8, v2
	s_mul_i32 s15, s9, s7
	s_delay_alu instid0(VALU_DEP_1)
	s_mul_hi_u32 s26, s9, s8
	s_mul_i32 s14, s14, s8
	s_add_i32 s15, s26, s15
	s_mul_i32 s9, s9, s8
	s_add_i32 s15, s15, s14
	s_mul_hi_u32 s26, s7, s9
	s_mul_i32 s56, s7, s9
	s_mul_hi_u32 s9, s8, s9
	s_mul_hi_u32 s57, s8, s15
	s_mul_i32 s8, s8, s15
	s_mul_hi_u32 s14, s7, s15
	s_add_u32 s8, s9, s8
	s_addc_u32 s9, 0, s57
	s_add_u32 s8, s8, s56
	s_mul_i32 s15, s7, s15
	s_addc_u32 s8, s9, s26
	s_addc_u32 s9, s14, 0
	s_add_u32 s8, s8, s15
	s_addc_u32 s9, 0, s9
	v_add_co_u32 v2, s8, v2, s8
	s_delay_alu instid0(VALU_DEP_1) | instskip(SKIP_1) | instid1(VALU_DEP_1)
	s_cmp_lg_u32 s8, 0
	s_addc_u32 s7, s7, s9
	v_readfirstlane_b32 s8, v2
	s_mul_i32 s14, s87, s7
	s_mul_hi_u32 s9, s87, s7
	s_mul_hi_u32 s15, s27, s7
	s_mul_i32 s7, s27, s7
	s_mul_hi_u32 s26, s87, s8
	s_mul_hi_u32 s56, s27, s8
	s_mul_i32 s8, s27, s8
	s_add_u32 s14, s26, s14
	s_addc_u32 s9, 0, s9
	s_add_u32 s8, s14, s8
	s_addc_u32 s8, s9, s56
	s_addc_u32 s9, s15, 0
	s_add_u32 s7, s8, s7
	s_addc_u32 s8, 0, s9
	s_mul_hi_u32 s9, s33, s7
	s_mul_i32 s7, s33, s7
	s_mul_i32 s8, s33, s8
	v_sub_co_u32 v2, s7, s87, s7
	s_add_i32 s9, s9, s8
	s_cmp_lg_u32 s7, 0
	s_delay_alu instid0(VALU_DEP_1) | instskip(SKIP_3) | instid1(VALU_DEP_2)
	v_sub_co_u32 v3, s7, v2, s33
	s_subb_u32 s8, s27, s9
	s_cmp_lg_u32 s7, 0
	v_cmp_le_u32_e32 vcc_lo, s33, v2
	v_cmp_le_u32_e64 s7, s33, v3
	v_sub_co_u32 v6, s9, v3, s33
	s_subb_u32 s14, s8, 0
	s_cmp_lg_u32 s9, 0
	s_delay_alu instid0(VALU_DEP_2)
	v_cndmask_b32_e64 v7, 0, -1, s7
	s_subb_u32 s9, s14, 0
	s_cmp_eq_u32 s14, 0
	v_mov_b32_e32 v9, s9
	v_cndmask_b32_e64 v8, 0, -1, vcc_lo
	s_cselect_b32 vcc_lo, -1, 0
	s_cmp_eq_u32 s8, 0
	v_cndmask_b32_e32 v7, -1, v7, vcc_lo
	s_cselect_b32 vcc_lo, -1, 0
	v_cndmask_b32_e32 v8, -1, v8, vcc_lo
	s_delay_alu instid0(VALU_DEP_2) | instskip(NEXT) | instid1(VALU_DEP_2)
	v_cmp_ne_u32_e32 vcc_lo, 0, v7
	v_cmp_ne_u32_e64 s7, 0, v8
	v_cndmask_b32_e32 v7, s14, v9, vcc_lo
	v_cndmask_b32_e32 v6, v3, v6, vcc_lo
	s_delay_alu instid0(VALU_DEP_2) | instskip(NEXT) | instid1(VALU_DEP_2)
	v_cndmask_b32_e64 v3, s8, v7, s7
	v_cndmask_b32_e64 v2, v2, v6, s7
	s_cbranch_execnz .LBB213_413
.LBB213_412:                            ;   in Loop: Header=BB213_31 Depth=1
	v_cvt_f32_u32_e32 v2, s33
	s_sub_i32 s7, 0, s33
	s_delay_alu instid0(VALU_DEP_1) | instskip(SKIP_2) | instid1(VALU_DEP_1)
	v_rcp_iflag_f32_e32 v2, v2
	s_waitcnt_depctr 0xfff
	v_mul_f32_e32 v2, 0x4f7ffffe, v2
	v_cvt_u32_f32_e32 v2, v2
	s_delay_alu instid0(VALU_DEP_1) | instskip(NEXT) | instid1(VALU_DEP_1)
	v_mul_lo_u32 v3, s7, v2
	v_mul_hi_u32 v3, v2, v3
	s_delay_alu instid0(VALU_DEP_1) | instskip(NEXT) | instid1(VALU_DEP_1)
	v_add_nc_u32_e32 v2, v2, v3
	v_mul_hi_u32 v2, s87, v2
	s_delay_alu instid0(VALU_DEP_1) | instskip(NEXT) | instid1(VALU_DEP_1)
	v_mul_lo_u32 v2, v2, s33
	v_sub_nc_u32_e32 v2, s87, v2
	s_delay_alu instid0(VALU_DEP_1) | instskip(SKIP_1) | instid1(VALU_DEP_2)
	v_subrev_nc_u32_e32 v3, s33, v2
	v_cmp_le_u32_e32 vcc_lo, s33, v2
	v_cndmask_b32_e32 v2, v2, v3, vcc_lo
	s_delay_alu instid0(VALU_DEP_1) | instskip(SKIP_1) | instid1(VALU_DEP_2)
	v_subrev_nc_u32_e32 v3, s33, v2
	v_cmp_le_u32_e32 vcc_lo, s33, v2
	v_cndmask_b32_e32 v12, v2, v3, vcc_lo
	s_delay_alu instid0(VALU_DEP_1)
	v_dual_mov_b32 v2, v12 :: v_dual_mov_b32 v3, v13
.LBB213_413:                            ;   in Loop: Header=BB213_31 Depth=1
	s_delay_alu instid0(VALU_DEP_1) | instskip(NEXT) | instid1(VALU_DEP_2)
	v_sub_co_u32 v2, vcc_lo, s87, v2
	v_sub_co_ci_u32_e32 v3, vcc_lo, s27, v3, vcc_lo
	s_mov_b32 s7, 0
	s_mov_b32 s8, exec_lo
                                        ; implicit-def: $vgpr50
	s_delay_alu instid0(VALU_DEP_1)
	v_cmpx_gt_u64_e64 v[2:3], v[0:1]
	s_cbranch_execz .LBB213_422
; %bb.414:                              ;   in Loop: Header=BB213_31 Depth=1
	v_dual_mov_b32 v6, v24 :: v_dual_mov_b32 v7, v25
	v_dual_mov_b32 v9, v1 :: v_dual_mov_b32 v8, v0
	s_mov_b32 s9, 0
                                        ; implicit-def: $sgpr14
	s_branch .LBB213_416
.LBB213_415:                            ;   in Loop: Header=BB213_416 Depth=2
	s_or_b32 exec_lo, exec_lo, s7
	s_waitcnt vmcnt(0) lgkmcnt(0)
	s_barrier
	buffer_gl0_inv
	ds_load_b32 v12, v13 offset:3072
	v_add_co_u32 v8, vcc_lo, v8, s33
	v_add_co_ci_u32_e32 v9, vcc_lo, 0, v9, vcc_lo
	s_waitcnt lgkmcnt(0)
	s_barrier
	buffer_gl0_inv
	v_cmp_ge_u64_e32 vcc_lo, v[8:9], v[2:3]
	v_cmp_neq_f16_e64 s7, 0, v12
	s_delay_alu instid0(VALU_DEP_1)
	s_or_b32 s15, vcc_lo, s7
	v_add_co_u32 v6, vcc_lo, v6, s34
	s_and_b32 s15, exec_lo, s15
	v_add_co_ci_u32_e32 v7, vcc_lo, s35, v7, vcc_lo
	s_or_b32 s9, s15, s9
	s_and_not1_b32 s14, s14, exec_lo
	s_and_b32 s7, s7, exec_lo
	s_delay_alu instid0(SALU_CYCLE_1)
	s_or_b32 s14, s14, s7
	s_and_not1_b32 exec_lo, exec_lo, s9
	s_cbranch_execz .LBB213_421
.LBB213_416:                            ;   Parent Loop BB213_31 Depth=1
                                        ; =>  This Inner Loop Header: Depth=2
	s_delay_alu instid0(VALU_DEP_1)
	v_cmp_gt_u64_e32 vcc_lo, s[36:37], v[8:9]
	v_mov_b32_e32 v12, 0
	s_and_saveexec_b32 s7, vcc_lo
	s_cbranch_execz .LBB213_418
; %bb.417:                              ;   in Loop: Header=BB213_416 Depth=2
	global_load_u16 v12, v[6:7], off
.LBB213_418:                            ;   in Loop: Header=BB213_416 Depth=2
	s_or_b32 exec_lo, exec_lo, s7
	s_and_saveexec_b32 s7, vcc_lo
	s_cbranch_execz .LBB213_415
; %bb.419:                              ;   in Loop: Header=BB213_416 Depth=2
	s_waitcnt vmcnt(0)
	v_cmp_lt_i16_e32 vcc_lo, -1, v12
	v_dual_cndmask_b32 v27, 0xffff, v47 :: v_dual_and_b32 v26, 0xffff, v12
	v_cmp_o_f16_e32 vcc_lo, v12, v12
	s_delay_alu instid0(VALU_DEP_2) | instskip(NEXT) | instid1(VALU_DEP_1)
	v_xor_b32_e32 v26, v27, v26
	v_cndmask_b32_e32 v26, 0xffff, v26, vcc_lo
	s_delay_alu instid0(VALU_DEP_1) | instskip(NEXT) | instid1(VALU_DEP_1)
	v_and_b32_e32 v26, v26, v48
	v_cmp_eq_u32_e32 vcc_lo, v26, v49
	s_and_b32 exec_lo, exec_lo, vcc_lo
	s_cbranch_execz .LBB213_415
; %bb.420:                              ;   in Loop: Header=BB213_416 Depth=2
	v_perm_b32 v12, v12, s96, 0x5040100
	ds_store_b32 v13, v12 offset:3072
	s_branch .LBB213_415
.LBB213_421:                            ;   in Loop: Header=BB213_31 Depth=1
	s_or_b32 exec_lo, exec_lo, s9
	v_lshrrev_b32_e32 v50, 16, v12
	s_and_b32 s7, s14, exec_lo
.LBB213_422:                            ;   in Loop: Header=BB213_31 Depth=1
	s_or_b32 exec_lo, exec_lo, s8
	s_mov_b32 s15, 0
	s_mov_b32 s14, -1
	s_mov_b32 s74, 0
.LBB213_423:                            ;   in Loop: Header=BB213_31 Depth=1
	s_or_not1_b32 s7, s7, exec_lo
.LBB213_424:                            ;   in Loop: Header=BB213_31 Depth=1
	s_or_b32 exec_lo, exec_lo, s47
	s_mov_b32 s26, 0
                                        ; implicit-def: $vgpr7
	s_and_saveexec_b32 s58, s7
	s_cbranch_execz .LBB213_489
; %bb.425:                              ;   in Loop: Header=BB213_31 Depth=1
	v_dual_mov_b32 v2, 1 :: v_dual_mov_b32 v7, 1
	v_mov_b32_e32 v3, 0
	s_xor_b32 s8, s46, -1
	s_delay_alu instid0(SALU_CYCLE_1)
	s_and_saveexec_b32 s7, s8
	s_cbranch_execz .LBB213_435
; %bb.426:                              ;   in Loop: Header=BB213_31 Depth=1
	s_mov_b32 s9, exec_lo
                                        ; implicit-def: $sgpr26
                                        ; implicit-def: $sgpr8
	v_cmpx_ge_u64_e64 s[12:13], v[4:5]
	s_xor_b32 s9, exec_lo, s9
	s_cbranch_execz .LBB213_432
; %bb.427:                              ;   in Loop: Header=BB213_31 Depth=1
	ds_load_b64 v[2:3], v13 offset:5120
	s_waitcnt lgkmcnt(0)
	v_cmp_ne_u64_e32 vcc_lo, 0, v[2:3]
	s_cbranch_vccnz .LBB213_431
; %bb.428:                              ;   in Loop: Header=BB213_31 Depth=1
	s_and_saveexec_b32 s8, s5
	s_cbranch_execz .LBB213_430
; %bb.429:                              ;   in Loop: Header=BB213_31 Depth=1
	v_dual_mov_b32 v2, s12 :: v_dual_mov_b32 v3, s13
	ds_store_b64 v13, v[2:3] offset:5128
.LBB213_430:                            ;   in Loop: Header=BB213_31 Depth=1
	s_or_b32 exec_lo, exec_lo, s8
	s_waitcnt lgkmcnt(0)
	s_barrier
	buffer_gl0_inv
.LBB213_431:                            ;   in Loop: Header=BB213_31 Depth=1
	s_lshl_b32 s8, 1, s22
	v_or_b32_e32 v48, s20, v48
	v_and_or_b32 v49, v49, s21, s8
	s_mov_b32 s8, 0
	s_mov_b32 s26, 5
.LBB213_432:                            ;   in Loop: Header=BB213_31 Depth=1
	s_or_saveexec_b32 s9, s9
	v_mov_b32_e32 v7, s26
	s_xor_b32 exec_lo, exec_lo, s9
; %bb.433:                              ;   in Loop: Header=BB213_31 Depth=1
	v_sub_co_u32 v4, vcc_lo, v4, s12
	v_subrev_co_ci_u32_e32 v5, vcc_lo, s13, v5, vcc_lo
	v_mov_b32_e32 v7, 0
	s_or_b32 s8, s8, exec_lo
; %bb.434:                              ;   in Loop: Header=BB213_31 Depth=1
	s_or_b32 exec_lo, exec_lo, s9
	s_delay_alu instid0(VALU_DEP_2)
	v_dual_mov_b32 v2, v4 :: v_dual_mov_b32 v3, v5
	s_and_b32 s26, s8, exec_lo
.LBB213_435:                            ;   in Loop: Header=BB213_31 Depth=1
	s_or_b32 exec_lo, exec_lo, s7
	s_mov_b32 s12, -1
                                        ; implicit-def: $sgpr7
                                        ; implicit-def: $sgpr8
                                        ; implicit-def: $sgpr9
	s_and_saveexec_b32 s22, s26
	s_cbranch_execz .LBB213_488
; %bb.436:                              ;   in Loop: Header=BB213_31 Depth=1
	v_cmp_eq_u64_e32 vcc_lo, 1, v[2:3]
	s_cmp_eq_u64 s[10:11], 1
	s_mov_b32 s13, -1
	s_cselect_b32 s7, -1, 0
                                        ; implicit-def: $sgpr8
                                        ; implicit-def: $sgpr9
	s_delay_alu instid0(SALU_CYCLE_1) | instskip(NEXT) | instid1(SALU_CYCLE_1)
	s_and_b32 s46, s7, vcc_lo
                                        ; implicit-def: $sgpr7
	s_and_saveexec_b32 s47, s46
	s_cbranch_execz .LBB213_475
; %bb.437:                              ;   in Loop: Header=BB213_31 Depth=1
	ds_load_b64 v[4:5], v13 offset:5120
	s_waitcnt lgkmcnt(0)
	s_barrier
	buffer_gl0_inv
	v_readfirstlane_b32 s8, v4
	v_readfirstlane_b32 s9, v5
	s_and_saveexec_b32 s7, s6
	s_cbranch_execz .LBB213_439
; %bb.438:                              ;   in Loop: Header=BB213_31 Depth=1
	ds_store_b16 v44, v13
.LBB213_439:                            ;   in Loop: Header=BB213_31 Depth=1
	s_or_b32 exec_lo, exec_lo, s7
	v_and_b32_e32 v49, s21, v49
	v_or_b32_e32 v48, s20, v48
	s_cmp_eq_u64 s[8:9], 0
	s_waitcnt lgkmcnt(0)
	s_barrier
	buffer_gl0_inv
	s_cbranch_scc1 .LBB213_444
; %bb.440:                              ;   in Loop: Header=BB213_31 Depth=1
	s_add_u32 s26, s85, s8
	s_addc_u32 s13, s86, s9
	s_mov_b32 s12, s61
	s_delay_alu instid0(SALU_CYCLE_1)
	s_cmp_lg_u64 s[12:13], 0
	s_cbranch_scc0 .LBB213_445
; %bb.441:                              ;   in Loop: Header=BB213_31 Depth=1
	v_cvt_f32_u32_e32 v4, s33
	s_sub_u32 s56, 0, s33
	s_subb_u32 s57, 0, 0
	s_delay_alu instid0(VALU_DEP_1) | instskip(NEXT) | instid1(VALU_DEP_1)
	v_fmac_f32_e64 v4, 0, 0x4f800000
	v_rcp_f32_e32 v4, v4
	s_waitcnt_depctr 0xfff
	v_mul_f32_e32 v4, 0x5f7ffffc, v4
	s_delay_alu instid0(VALU_DEP_1) | instskip(NEXT) | instid1(VALU_DEP_1)
	v_mul_f32_e32 v5, 0x2f800000, v4
	v_trunc_f32_e32 v5, v5
	s_delay_alu instid0(VALU_DEP_1) | instskip(SKIP_1) | instid1(VALU_DEP_2)
	v_fmac_f32_e32 v4, 0xcf800000, v5
	v_cvt_u32_f32_e32 v5, v5
	v_cvt_u32_f32_e32 v4, v4
	s_delay_alu instid0(VALU_DEP_2) | instskip(NEXT) | instid1(VALU_DEP_2)
	v_readfirstlane_b32 s7, v5
	v_readfirstlane_b32 s12, v4
	s_delay_alu instid0(VALU_DEP_2) | instskip(NEXT) | instid1(VALU_DEP_1)
	s_mul_i32 s59, s56, s7
	s_mul_hi_u32 s76, s56, s12
	s_mul_i32 s75, s57, s12
	s_add_i32 s59, s76, s59
	s_mul_i32 s77, s56, s12
	s_add_i32 s59, s59, s75
	s_mul_hi_u32 s76, s12, s77
	s_mul_hi_u32 s78, s7, s77
	s_mul_i32 s75, s7, s77
	s_mul_hi_u32 s77, s12, s59
	s_mul_i32 s12, s12, s59
	s_mul_hi_u32 s79, s7, s59
	s_add_u32 s12, s76, s12
	s_addc_u32 s76, 0, s77
	s_add_u32 s12, s12, s75
	s_mul_i32 s59, s7, s59
	s_addc_u32 s12, s76, s78
	s_addc_u32 s75, s79, 0
	s_add_u32 s12, s12, s59
	s_addc_u32 s59, 0, s75
	v_add_co_u32 v4, s12, v4, s12
	s_delay_alu instid0(VALU_DEP_1) | instskip(SKIP_1) | instid1(VALU_DEP_1)
	s_cmp_lg_u32 s12, 0
	s_addc_u32 s7, s7, s59
	v_readfirstlane_b32 s12, v4
	s_mul_i32 s59, s56, s7
	s_delay_alu instid0(VALU_DEP_1)
	s_mul_hi_u32 s75, s56, s12
	s_mul_i32 s57, s57, s12
	s_add_i32 s59, s75, s59
	s_mul_i32 s56, s56, s12
	s_add_i32 s59, s59, s57
	s_mul_hi_u32 s75, s7, s56
	s_mul_i32 s76, s7, s56
	s_mul_hi_u32 s56, s12, s56
	s_mul_hi_u32 s77, s12, s59
	s_mul_i32 s12, s12, s59
	s_mul_hi_u32 s57, s7, s59
	s_add_u32 s12, s56, s12
	s_addc_u32 s56, 0, s77
	s_add_u32 s12, s12, s76
	s_mul_i32 s59, s7, s59
	s_addc_u32 s12, s56, s75
	s_addc_u32 s56, s57, 0
	s_add_u32 s12, s12, s59
	s_addc_u32 s56, 0, s56
	v_add_co_u32 v4, s12, v4, s12
	s_delay_alu instid0(VALU_DEP_1) | instskip(SKIP_1) | instid1(VALU_DEP_1)
	s_cmp_lg_u32 s12, 0
	s_addc_u32 s7, s7, s56
	v_readfirstlane_b32 s12, v4
	s_mul_i32 s57, s26, s7
	s_mul_hi_u32 s56, s26, s7
	s_mul_hi_u32 s59, s13, s7
	s_mul_i32 s7, s13, s7
	s_mul_hi_u32 s75, s26, s12
	s_mul_hi_u32 s76, s13, s12
	s_mul_i32 s12, s13, s12
	s_add_u32 s57, s75, s57
	s_addc_u32 s56, 0, s56
	s_add_u32 s12, s57, s12
	s_addc_u32 s12, s56, s76
	s_addc_u32 s56, s59, 0
	s_add_u32 s7, s12, s7
	s_addc_u32 s12, 0, s56
	s_mul_hi_u32 s56, s33, s7
	s_mul_i32 s7, s33, s7
	s_mul_i32 s12, s33, s12
	v_sub_co_u32 v4, s7, s26, s7
	s_add_i32 s56, s56, s12
	s_cmp_lg_u32 s7, 0
	s_delay_alu instid0(VALU_DEP_1) | instskip(SKIP_3) | instid1(VALU_DEP_2)
	v_sub_co_u32 v5, s7, v4, s33
	s_subb_u32 s12, s13, s56
	s_cmp_lg_u32 s7, 0
	v_cmp_le_u32_e32 vcc_lo, s33, v4
	v_cmp_le_u32_e64 s7, s33, v5
	v_sub_co_u32 v6, s56, v5, s33
	s_subb_u32 s57, s12, 0
	s_cmp_lg_u32 s56, 0
	s_delay_alu instid0(VALU_DEP_2)
	v_cndmask_b32_e64 v7, 0, -1, s7
	s_subb_u32 s56, s57, 0
	s_cmp_eq_u32 s57, 0
	v_mov_b32_e32 v9, s56
	v_cndmask_b32_e64 v8, 0, -1, vcc_lo
	s_cselect_b32 vcc_lo, -1, 0
	s_cmp_eq_u32 s12, 0
	v_cndmask_b32_e32 v7, -1, v7, vcc_lo
	s_cselect_b32 vcc_lo, -1, 0
	v_cndmask_b32_e32 v8, -1, v8, vcc_lo
	s_delay_alu instid0(VALU_DEP_2) | instskip(NEXT) | instid1(VALU_DEP_2)
	v_cmp_ne_u32_e32 vcc_lo, 0, v7
	v_cmp_ne_u32_e64 s7, 0, v8
	v_cndmask_b32_e32 v7, s57, v9, vcc_lo
	v_cndmask_b32_e32 v6, v5, v6, vcc_lo
	s_delay_alu instid0(VALU_DEP_2) | instskip(NEXT) | instid1(VALU_DEP_2)
	v_cndmask_b32_e64 v5, s12, v7, s7
	v_cndmask_b32_e64 v4, v4, v6, s7
	s_mov_b32 s7, 0
	s_branch .LBB213_446
.LBB213_442:                            ;   in Loop: Header=BB213_31 Depth=1
                                        ; implicit-def: $vgpr2_vgpr3
	s_branch .LBB213_396
.LBB213_443:                            ;   in Loop: Header=BB213_31 Depth=1
                                        ; implicit-def: $vgpr2_vgpr3
	s_branch .LBB213_412
.LBB213_444:                            ;   in Loop: Header=BB213_31 Depth=1
	s_mov_b32 s7, -1
	s_mov_b32 s13, 0
                                        ; implicit-def: $sgpr8
                                        ; implicit-def: $vgpr50
	s_branch .LBB213_458
.LBB213_445:                            ;   in Loop: Header=BB213_31 Depth=1
	s_mov_b32 s7, -1
                                        ; implicit-def: $vgpr4_vgpr5
.LBB213_446:                            ;   in Loop: Header=BB213_31 Depth=1
	s_delay_alu instid0(SALU_CYCLE_1)
	s_and_not1_b32 vcc_lo, exec_lo, s7
	s_cbranch_vccnz .LBB213_448
; %bb.447:                              ;   in Loop: Header=BB213_31 Depth=1
	v_cvt_f32_u32_e32 v4, s33
	s_sub_i32 s7, 0, s33
	s_delay_alu instid0(VALU_DEP_1) | instskip(SKIP_2) | instid1(VALU_DEP_1)
	v_rcp_iflag_f32_e32 v4, v4
	s_waitcnt_depctr 0xfff
	v_mul_f32_e32 v4, 0x4f7ffffe, v4
	v_cvt_u32_f32_e32 v4, v4
	s_delay_alu instid0(VALU_DEP_1) | instskip(NEXT) | instid1(VALU_DEP_1)
	v_mul_lo_u32 v5, s7, v4
	v_mul_hi_u32 v5, v4, v5
	s_delay_alu instid0(VALU_DEP_1) | instskip(NEXT) | instid1(VALU_DEP_1)
	v_add_nc_u32_e32 v4, v4, v5
	v_mul_hi_u32 v4, s26, v4
	s_delay_alu instid0(VALU_DEP_1) | instskip(NEXT) | instid1(VALU_DEP_1)
	v_mul_lo_u32 v4, v4, s33
	v_sub_nc_u32_e32 v4, s26, v4
	s_delay_alu instid0(VALU_DEP_1) | instskip(SKIP_1) | instid1(VALU_DEP_2)
	v_subrev_nc_u32_e32 v5, s33, v4
	v_cmp_le_u32_e32 vcc_lo, s33, v4
	v_cndmask_b32_e32 v4, v4, v5, vcc_lo
	s_delay_alu instid0(VALU_DEP_1) | instskip(SKIP_1) | instid1(VALU_DEP_2)
	v_subrev_nc_u32_e32 v5, s33, v4
	v_cmp_le_u32_e32 vcc_lo, s33, v4
	v_cndmask_b32_e32 v12, v4, v5, vcc_lo
	s_delay_alu instid0(VALU_DEP_1)
	v_dual_mov_b32 v4, v12 :: v_dual_mov_b32 v5, v13
.LBB213_448:                            ;   in Loop: Header=BB213_31 Depth=1
	s_delay_alu instid0(VALU_DEP_1) | instskip(NEXT) | instid1(VALU_DEP_2)
	v_sub_co_u32 v4, vcc_lo, s26, v4
	v_sub_co_ci_u32_e32 v5, vcc_lo, s13, v5, vcc_lo
	s_mov_b32 s13, 0
	s_mov_b32 s12, exec_lo
                                        ; implicit-def: $vgpr50
	s_delay_alu instid0(VALU_DEP_1)
	v_cmpx_gt_u64_e64 v[4:5], v[0:1]
	s_cbranch_execz .LBB213_457
; %bb.449:                              ;   in Loop: Header=BB213_31 Depth=1
	v_dual_mov_b32 v8, v43 :: v_dual_mov_b32 v7, v1
	v_mov_b32_e32 v6, v0
                                        ; implicit-def: $sgpr26
	s_set_inst_prefetch_distance 0x1
	s_branch .LBB213_451
	.p2align	6
.LBB213_450:                            ;   in Loop: Header=BB213_451 Depth=2
	s_or_b32 exec_lo, exec_lo, s7
	s_waitcnt lgkmcnt(0)
	s_barrier
	buffer_gl0_inv
	ds_load_b32 v9, v13 offset:3072
	v_add_co_u32 v6, vcc_lo, v6, s33
	v_add_co_ci_u32_e32 v7, vcc_lo, 0, v7, vcc_lo
	v_add_nc_u32_e32 v8, s93, v8
	s_waitcnt lgkmcnt(0)
	s_barrier
	s_delay_alu instid0(VALU_DEP_2) | instskip(SKIP_2) | instid1(VALU_DEP_1)
	v_cmp_ge_u64_e32 vcc_lo, v[6:7], v[4:5]
	buffer_gl0_inv
	v_cmp_neq_f16_e64 s7, 0, v9
	s_or_b32 s56, vcc_lo, s7
	s_delay_alu instid0(SALU_CYCLE_1) | instskip(NEXT) | instid1(SALU_CYCLE_1)
	s_and_b32 s56, exec_lo, s56
	s_or_b32 s13, s56, s13
	s_and_not1_b32 s26, s26, exec_lo
	s_and_b32 s7, s7, exec_lo
	s_delay_alu instid0(SALU_CYCLE_1)
	s_or_b32 s26, s26, s7
	s_and_not1_b32 exec_lo, exec_lo, s13
	s_cbranch_execz .LBB213_456
.LBB213_451:                            ;   Parent Loop BB213_31 Depth=1
                                        ; =>  This Inner Loop Header: Depth=2
	s_delay_alu instid0(VALU_DEP_1)
	v_cmp_gt_u64_e32 vcc_lo, s[8:9], v[6:7]
	v_mov_b32_e32 v9, 0
	s_and_saveexec_b32 s7, vcc_lo
	s_cbranch_execz .LBB213_453
; %bb.452:                              ;   in Loop: Header=BB213_451 Depth=2
	ds_load_u16 v9, v8
.LBB213_453:                            ;   in Loop: Header=BB213_451 Depth=2
	s_or_b32 exec_lo, exec_lo, s7
	s_and_saveexec_b32 s7, vcc_lo
	s_cbranch_execz .LBB213_450
; %bb.454:                              ;   in Loop: Header=BB213_451 Depth=2
	s_waitcnt lgkmcnt(0)
	v_cmp_lt_i16_e32 vcc_lo, -1, v9
	v_and_b32_e32 v12, 0xffff, v9
	v_cndmask_b32_e32 v26, 0xffff, v47, vcc_lo
	v_cmp_o_f16_e32 vcc_lo, v9, v9
	s_delay_alu instid0(VALU_DEP_2) | instskip(NEXT) | instid1(VALU_DEP_1)
	v_xor_b32_e32 v12, v26, v12
	v_cndmask_b32_e32 v12, 0xffff, v12, vcc_lo
	s_delay_alu instid0(VALU_DEP_1) | instskip(NEXT) | instid1(VALU_DEP_1)
	v_and_b32_e32 v12, v12, v48
	v_cmp_eq_u32_e32 vcc_lo, v12, v49
	s_and_b32 exec_lo, exec_lo, vcc_lo
	s_cbranch_execz .LBB213_450
; %bb.455:                              ;   in Loop: Header=BB213_451 Depth=2
	v_perm_b32 v9, v9, s96, 0x5040100
	ds_store_b32 v13, v9 offset:3072
	s_branch .LBB213_450
.LBB213_456:                            ;   in Loop: Header=BB213_31 Depth=1
	s_set_inst_prefetch_distance 0x2
	s_or_b32 exec_lo, exec_lo, s13
	v_lshrrev_b32_e32 v50, 16, v9
	s_and_b32 s13, s26, exec_lo
.LBB213_457:                            ;   in Loop: Header=BB213_31 Depth=1
	s_or_b32 exec_lo, exec_lo, s12
	s_mov_b32 s7, 0
	s_mov_b32 s8, -1
.LBB213_458:                            ;   in Loop: Header=BB213_31 Depth=1
	s_and_b32 vcc_lo, exec_lo, s7
	s_mov_b32 s9, s7
	s_cbranch_vccz .LBB213_474
; %bb.459:                              ;   in Loop: Header=BB213_31 Depth=1
	s_mov_b32 s26, s61
	s_delay_alu instid0(SALU_CYCLE_1)
	s_cmp_lg_u64 s[26:27], 0
	s_cbranch_scc0 .LBB213_461
; %bb.460:                              ;   in Loop: Header=BB213_31 Depth=1
	v_cvt_f32_u32_e32 v4, s33
	s_sub_u32 s9, 0, s33
	s_subb_u32 s12, 0, 0
	s_delay_alu instid0(VALU_DEP_1) | instskip(NEXT) | instid1(VALU_DEP_1)
	v_fmac_f32_e64 v4, 0, 0x4f800000
	v_rcp_f32_e32 v4, v4
	s_waitcnt_depctr 0xfff
	v_mul_f32_e32 v4, 0x5f7ffffc, v4
	s_delay_alu instid0(VALU_DEP_1) | instskip(NEXT) | instid1(VALU_DEP_1)
	v_mul_f32_e32 v5, 0x2f800000, v4
	v_trunc_f32_e32 v5, v5
	s_delay_alu instid0(VALU_DEP_1) | instskip(SKIP_1) | instid1(VALU_DEP_2)
	v_fmac_f32_e32 v4, 0xcf800000, v5
	v_cvt_u32_f32_e32 v5, v5
	v_cvt_u32_f32_e32 v4, v4
	s_delay_alu instid0(VALU_DEP_2) | instskip(NEXT) | instid1(VALU_DEP_2)
	v_readfirstlane_b32 s7, v5
	v_readfirstlane_b32 s8, v4
	s_delay_alu instid0(VALU_DEP_2) | instskip(NEXT) | instid1(VALU_DEP_1)
	s_mul_i32 s13, s9, s7
	s_mul_hi_u32 s56, s9, s8
	s_mul_i32 s26, s12, s8
	s_add_i32 s13, s56, s13
	s_mul_i32 s57, s9, s8
	s_add_i32 s13, s13, s26
	s_mul_hi_u32 s56, s8, s57
	s_mul_hi_u32 s59, s7, s57
	s_mul_i32 s26, s7, s57
	s_mul_hi_u32 s57, s8, s13
	s_mul_i32 s8, s8, s13
	s_mul_hi_u32 s75, s7, s13
	s_add_u32 s8, s56, s8
	s_addc_u32 s56, 0, s57
	s_add_u32 s8, s8, s26
	s_mul_i32 s13, s7, s13
	s_addc_u32 s8, s56, s59
	s_addc_u32 s26, s75, 0
	s_add_u32 s8, s8, s13
	s_addc_u32 s13, 0, s26
	v_add_co_u32 v4, s8, v4, s8
	s_delay_alu instid0(VALU_DEP_1) | instskip(SKIP_1) | instid1(VALU_DEP_1)
	s_cmp_lg_u32 s8, 0
	s_addc_u32 s7, s7, s13
	v_readfirstlane_b32 s8, v4
	s_mul_i32 s13, s9, s7
	s_delay_alu instid0(VALU_DEP_1)
	s_mul_hi_u32 s26, s9, s8
	s_mul_i32 s12, s12, s8
	s_add_i32 s13, s26, s13
	s_mul_i32 s9, s9, s8
	s_add_i32 s13, s13, s12
	s_mul_hi_u32 s26, s7, s9
	s_mul_i32 s56, s7, s9
	s_mul_hi_u32 s9, s8, s9
	s_mul_hi_u32 s57, s8, s13
	s_mul_i32 s8, s8, s13
	s_mul_hi_u32 s12, s7, s13
	s_add_u32 s8, s9, s8
	s_addc_u32 s9, 0, s57
	s_add_u32 s8, s8, s56
	s_mul_i32 s13, s7, s13
	s_addc_u32 s8, s9, s26
	s_addc_u32 s9, s12, 0
	s_add_u32 s8, s8, s13
	s_addc_u32 s9, 0, s9
	v_add_co_u32 v4, s8, v4, s8
	s_delay_alu instid0(VALU_DEP_1) | instskip(SKIP_1) | instid1(VALU_DEP_1)
	s_cmp_lg_u32 s8, 0
	s_addc_u32 s7, s7, s9
	v_readfirstlane_b32 s8, v4
	s_mul_i32 s12, s87, s7
	s_mul_hi_u32 s9, s87, s7
	s_mul_hi_u32 s13, s27, s7
	s_mul_i32 s7, s27, s7
	s_mul_hi_u32 s26, s87, s8
	s_mul_hi_u32 s56, s27, s8
	s_mul_i32 s8, s27, s8
	s_add_u32 s12, s26, s12
	s_addc_u32 s9, 0, s9
	s_add_u32 s8, s12, s8
	s_addc_u32 s8, s9, s56
	s_addc_u32 s9, s13, 0
	s_add_u32 s7, s8, s7
	s_addc_u32 s8, 0, s9
	s_mul_hi_u32 s9, s33, s7
	s_mul_i32 s7, s33, s7
	s_mul_i32 s8, s33, s8
	v_sub_co_u32 v4, s7, s87, s7
	s_add_i32 s9, s9, s8
	s_cmp_lg_u32 s7, 0
	s_delay_alu instid0(VALU_DEP_1) | instskip(SKIP_3) | instid1(VALU_DEP_2)
	v_sub_co_u32 v5, s7, v4, s33
	s_subb_u32 s8, s27, s9
	s_cmp_lg_u32 s7, 0
	v_cmp_le_u32_e32 vcc_lo, s33, v4
	v_cmp_le_u32_e64 s7, s33, v5
	v_sub_co_u32 v6, s9, v5, s33
	s_subb_u32 s12, s8, 0
	s_cmp_lg_u32 s9, 0
	s_delay_alu instid0(VALU_DEP_2)
	v_cndmask_b32_e64 v7, 0, -1, s7
	s_subb_u32 s9, s12, 0
	s_cmp_eq_u32 s12, 0
	v_mov_b32_e32 v9, s9
	v_cndmask_b32_e64 v8, 0, -1, vcc_lo
	s_cselect_b32 vcc_lo, -1, 0
	s_cmp_eq_u32 s8, 0
	v_cndmask_b32_e32 v7, -1, v7, vcc_lo
	s_cselect_b32 vcc_lo, -1, 0
	v_cndmask_b32_e32 v8, -1, v8, vcc_lo
	s_delay_alu instid0(VALU_DEP_2) | instskip(NEXT) | instid1(VALU_DEP_2)
	v_cmp_ne_u32_e32 vcc_lo, 0, v7
	v_cmp_ne_u32_e64 s7, 0, v8
	v_cndmask_b32_e32 v7, s12, v9, vcc_lo
	v_cndmask_b32_e32 v6, v5, v6, vcc_lo
	s_delay_alu instid0(VALU_DEP_2) | instskip(NEXT) | instid1(VALU_DEP_2)
	v_cndmask_b32_e64 v5, s8, v7, s7
	v_cndmask_b32_e64 v4, v4, v6, s7
	s_mov_b32 s7, 0
	s_branch .LBB213_462
.LBB213_461:                            ;   in Loop: Header=BB213_31 Depth=1
	s_mov_b32 s7, -1
                                        ; implicit-def: $vgpr4_vgpr5
.LBB213_462:                            ;   in Loop: Header=BB213_31 Depth=1
	s_delay_alu instid0(SALU_CYCLE_1)
	s_and_not1_b32 vcc_lo, exec_lo, s7
	s_cbranch_vccnz .LBB213_464
; %bb.463:                              ;   in Loop: Header=BB213_31 Depth=1
	v_cvt_f32_u32_e32 v4, s33
	s_sub_i32 s7, 0, s33
	s_delay_alu instid0(VALU_DEP_1) | instskip(SKIP_2) | instid1(VALU_DEP_1)
	v_rcp_iflag_f32_e32 v4, v4
	s_waitcnt_depctr 0xfff
	v_mul_f32_e32 v4, 0x4f7ffffe, v4
	v_cvt_u32_f32_e32 v4, v4
	s_delay_alu instid0(VALU_DEP_1) | instskip(NEXT) | instid1(VALU_DEP_1)
	v_mul_lo_u32 v5, s7, v4
	v_mul_hi_u32 v5, v4, v5
	s_delay_alu instid0(VALU_DEP_1) | instskip(NEXT) | instid1(VALU_DEP_1)
	v_add_nc_u32_e32 v4, v4, v5
	v_mul_hi_u32 v4, s87, v4
	s_delay_alu instid0(VALU_DEP_1) | instskip(NEXT) | instid1(VALU_DEP_1)
	v_mul_lo_u32 v4, v4, s33
	v_sub_nc_u32_e32 v4, s87, v4
	s_delay_alu instid0(VALU_DEP_1) | instskip(SKIP_1) | instid1(VALU_DEP_2)
	v_subrev_nc_u32_e32 v5, s33, v4
	v_cmp_le_u32_e32 vcc_lo, s33, v4
	v_cndmask_b32_e32 v4, v4, v5, vcc_lo
	s_delay_alu instid0(VALU_DEP_1) | instskip(SKIP_1) | instid1(VALU_DEP_2)
	v_subrev_nc_u32_e32 v5, s33, v4
	v_cmp_le_u32_e32 vcc_lo, s33, v4
	v_cndmask_b32_e32 v12, v4, v5, vcc_lo
	s_delay_alu instid0(VALU_DEP_1)
	v_dual_mov_b32 v4, v12 :: v_dual_mov_b32 v5, v13
.LBB213_464:                            ;   in Loop: Header=BB213_31 Depth=1
	s_delay_alu instid0(VALU_DEP_1) | instskip(NEXT) | instid1(VALU_DEP_2)
	v_sub_co_u32 v4, vcc_lo, s87, v4
	v_sub_co_ci_u32_e32 v5, vcc_lo, s27, v5, vcc_lo
	s_mov_b32 s13, 0
	s_mov_b32 s8, exec_lo
                                        ; implicit-def: $vgpr50
	s_delay_alu instid0(VALU_DEP_1)
	v_cmpx_gt_u64_e64 v[4:5], v[0:1]
	s_cbranch_execz .LBB213_473
; %bb.465:                              ;   in Loop: Header=BB213_31 Depth=1
	v_dual_mov_b32 v6, v24 :: v_dual_mov_b32 v7, v25
	v_dual_mov_b32 v9, v1 :: v_dual_mov_b32 v8, v0
	s_mov_b32 s9, 0
                                        ; implicit-def: $sgpr12
	s_branch .LBB213_467
.LBB213_466:                            ;   in Loop: Header=BB213_467 Depth=2
	s_or_b32 exec_lo, exec_lo, s7
	s_waitcnt vmcnt(0) lgkmcnt(0)
	s_barrier
	buffer_gl0_inv
	ds_load_b32 v12, v13 offset:3072
	v_add_co_u32 v8, vcc_lo, v8, s33
	v_add_co_ci_u32_e32 v9, vcc_lo, 0, v9, vcc_lo
	s_waitcnt lgkmcnt(0)
	s_barrier
	buffer_gl0_inv
	v_cmp_ge_u64_e32 vcc_lo, v[8:9], v[4:5]
	v_cmp_neq_f16_e64 s7, 0, v12
	s_delay_alu instid0(VALU_DEP_1)
	s_or_b32 s13, vcc_lo, s7
	v_add_co_u32 v6, vcc_lo, v6, s34
	s_and_b32 s13, exec_lo, s13
	v_add_co_ci_u32_e32 v7, vcc_lo, s35, v7, vcc_lo
	s_or_b32 s9, s13, s9
	s_and_not1_b32 s12, s12, exec_lo
	s_and_b32 s7, s7, exec_lo
	s_delay_alu instid0(SALU_CYCLE_1)
	s_or_b32 s12, s12, s7
	s_and_not1_b32 exec_lo, exec_lo, s9
	s_cbranch_execz .LBB213_472
.LBB213_467:                            ;   Parent Loop BB213_31 Depth=1
                                        ; =>  This Inner Loop Header: Depth=2
	s_delay_alu instid0(VALU_DEP_1)
	v_cmp_gt_u64_e32 vcc_lo, s[36:37], v[8:9]
	v_mov_b32_e32 v12, 0
	s_and_saveexec_b32 s7, vcc_lo
	s_cbranch_execz .LBB213_469
; %bb.468:                              ;   in Loop: Header=BB213_467 Depth=2
	global_load_u16 v12, v[6:7], off
.LBB213_469:                            ;   in Loop: Header=BB213_467 Depth=2
	s_or_b32 exec_lo, exec_lo, s7
	s_and_saveexec_b32 s7, vcc_lo
	s_cbranch_execz .LBB213_466
; %bb.470:                              ;   in Loop: Header=BB213_467 Depth=2
	s_waitcnt vmcnt(0)
	v_cmp_lt_i16_e32 vcc_lo, -1, v12
	v_dual_cndmask_b32 v27, 0xffff, v47 :: v_dual_and_b32 v26, 0xffff, v12
	v_cmp_o_f16_e32 vcc_lo, v12, v12
	s_delay_alu instid0(VALU_DEP_2) | instskip(NEXT) | instid1(VALU_DEP_1)
	v_xor_b32_e32 v26, v27, v26
	v_cndmask_b32_e32 v26, 0xffff, v26, vcc_lo
	s_delay_alu instid0(VALU_DEP_1) | instskip(NEXT) | instid1(VALU_DEP_1)
	v_and_b32_e32 v26, v26, v48
	v_cmp_eq_u32_e32 vcc_lo, v26, v49
	s_and_b32 exec_lo, exec_lo, vcc_lo
	s_cbranch_execz .LBB213_466
; %bb.471:                              ;   in Loop: Header=BB213_467 Depth=2
	v_perm_b32 v12, v12, s96, 0x5040100
	ds_store_b32 v13, v12 offset:3072
	s_branch .LBB213_466
.LBB213_472:                            ;   in Loop: Header=BB213_31 Depth=1
	s_or_b32 exec_lo, exec_lo, s9
	v_lshrrev_b32_e32 v50, 16, v12
	s_and_b32 s13, s12, exec_lo
.LBB213_473:                            ;   in Loop: Header=BB213_31 Depth=1
	s_or_b32 exec_lo, exec_lo, s8
	s_mov_b32 s8, 0
	s_mov_b32 s7, -1
	s_mov_b32 s9, 0
.LBB213_474:                            ;   in Loop: Header=BB213_31 Depth=1
	s_or_not1_b32 s13, s13, exec_lo
.LBB213_475:                            ;   in Loop: Header=BB213_31 Depth=1
	s_or_b32 exec_lo, exec_lo, s47
	s_mov_b32 s26, 0
                                        ; implicit-def: $vgpr7
                                        ; implicit-def: $vgpr4_vgpr5
	s_and_saveexec_b32 s12, s13
	s_cbranch_execz .LBB213_487
; %bb.476:                              ;   in Loop: Header=BB213_31 Depth=1
	v_dual_mov_b32 v4, 1 :: v_dual_mov_b32 v7, 1
	v_mov_b32_e32 v5, 0
	s_xor_b32 s26, s46, -1
	s_delay_alu instid0(SALU_CYCLE_1)
	s_and_saveexec_b32 s13, s26
	s_cbranch_execz .LBB213_486
; %bb.477:                              ;   in Loop: Header=BB213_31 Depth=1
	s_mov_b32 s26, exec_lo
                                        ; implicit-def: $sgpr46
	v_cmpx_ge_u64_e64 s[10:11], v[2:3]
	s_xor_b32 s26, exec_lo, s26
	s_cbranch_execz .LBB213_483
; %bb.478:                              ;   in Loop: Header=BB213_31 Depth=1
	ds_load_b64 v[4:5], v13 offset:5120
	s_waitcnt lgkmcnt(0)
	v_cmp_ne_u64_e32 vcc_lo, 0, v[4:5]
	s_cbranch_vccnz .LBB213_482
; %bb.479:                              ;   in Loop: Header=BB213_31 Depth=1
	s_and_saveexec_b32 s46, s5
	s_cbranch_execz .LBB213_481
; %bb.480:                              ;   in Loop: Header=BB213_31 Depth=1
	v_dual_mov_b32 v4, s10 :: v_dual_mov_b32 v5, s11
	ds_store_b64 v13, v[4:5] offset:5128
.LBB213_481:                            ;   in Loop: Header=BB213_31 Depth=1
	s_or_b32 exec_lo, exec_lo, s46
	s_waitcnt lgkmcnt(0)
	s_barrier
	buffer_gl0_inv
.LBB213_482:                            ;   in Loop: Header=BB213_31 Depth=1
	v_and_b32_e32 v49, s21, v49
	v_or_b32_e32 v48, s20, v48
	s_mov_b32 s46, 5
.LBB213_483:                            ;   in Loop: Header=BB213_31 Depth=1
	s_or_saveexec_b32 s20, s26
	v_mov_b32_e32 v7, s46
	s_xor_b32 exec_lo, exec_lo, s20
; %bb.484:                              ;   in Loop: Header=BB213_31 Depth=1
	v_sub_co_u32 v2, vcc_lo, v2, s10
	v_subrev_co_ci_u32_e32 v3, vcc_lo, s11, v3, vcc_lo
	v_mov_b32_e32 v7, 5
; %bb.485:                              ;   in Loop: Header=BB213_31 Depth=1
	s_or_b32 exec_lo, exec_lo, s20
	s_delay_alu instid0(VALU_DEP_2)
	v_dual_mov_b32 v5, v3 :: v_dual_mov_b32 v4, v2
.LBB213_486:                            ;   in Loop: Header=BB213_31 Depth=1
	s_or_b32 exec_lo, exec_lo, s13
	s_delay_alu instid0(SALU_CYCLE_1)
	s_mov_b32 s26, exec_lo
.LBB213_487:                            ;   in Loop: Header=BB213_31 Depth=1
	s_or_b32 exec_lo, exec_lo, s12
	s_delay_alu instid0(VALU_DEP_1)
	v_dual_mov_b32 v2, v4 :: v_dual_mov_b32 v3, v5
	s_or_not1_b32 s12, s26, exec_lo
.LBB213_488:                            ;   in Loop: Header=BB213_31 Depth=1
	s_or_b32 exec_lo, exec_lo, s22
	s_delay_alu instid0(SALU_CYCLE_1)
	s_and_not1_b32 s10, s14, exec_lo
	s_and_b32 s7, s7, exec_lo
	s_and_b32 s8, s8, exec_lo
	s_or_b32 s14, s10, s7
	s_and_not1_b32 s7, s15, exec_lo
	s_and_not1_b32 s10, s74, exec_lo
	s_and_b32 s9, s9, exec_lo
	v_dual_mov_b32 v5, v3 :: v_dual_mov_b32 v4, v2
	s_or_b32 s15, s7, s8
	s_or_b32 s74, s10, s9
	s_and_b32 s26, s12, exec_lo
.LBB213_489:                            ;   in Loop: Header=BB213_31 Depth=1
	s_or_b32 exec_lo, exec_lo, s58
	s_delay_alu instid0(SALU_CYCLE_1)
	s_and_b32 s14, s14, exec_lo
	s_and_b32 s9, s15, exec_lo
	;; [unrolled: 1-line block ×3, first 2 shown]
	s_or_not1_b32 s7, s26, exec_lo
.LBB213_490:                            ;   in Loop: Header=BB213_31 Depth=1
	s_or_b32 exec_lo, exec_lo, s73
	s_delay_alu instid0(SALU_CYCLE_1)
	s_and_not1_b32 s10, s16, exec_lo
	s_and_b32 s11, s14, exec_lo
	s_and_b32 s9, s9, exec_lo
	s_or_b32 s16, s10, s11
	s_and_not1_b32 s10, s17, exec_lo
	s_and_not1_b32 s11, s71, exec_lo
	s_and_b32 s8, s8, exec_lo
	v_dual_mov_b32 v2, v4 :: v_dual_mov_b32 v3, v5
	s_or_b32 s17, s10, s9
	s_or_b32 s71, s11, s8
	s_and_b32 s26, s7, exec_lo
.LBB213_491:                            ;   in Loop: Header=BB213_31 Depth=1
	s_or_b32 exec_lo, exec_lo, s72
	s_delay_alu instid0(SALU_CYCLE_1)
	s_and_b32 s16, s16, exec_lo
	s_and_b32 s9, s17, exec_lo
	s_and_b32 s8, s71, exec_lo
	s_or_not1_b32 s17, s26, exec_lo
.LBB213_492:                            ;   in Loop: Header=BB213_31 Depth=1
	s_or_b32 exec_lo, exec_lo, s70
	s_mov_b32 s7, s25
	s_mov_b32 s10, s24
	s_and_saveexec_b32 s11, s17
; %bb.493:                              ;   in Loop: Header=BB213_31 Depth=1
	v_cmp_eq_u32_e32 vcc_lo, 5, v7
	v_cmp_ne_u32_e64 s7, 5, v7
	s_and_not1_b32 s10, s24, exec_lo
	s_and_not1_b32 s12, s25, exec_lo
	;; [unrolled: 1-line block ×3, first 2 shown]
	s_and_b32 s13, vcc_lo, exec_lo
	s_and_b32 s7, s7, exec_lo
	s_and_not1_b32 s9, s9, exec_lo
	s_and_not1_b32 s8, s8, exec_lo
	s_or_b32 s10, s10, s7
	s_or_b32 s7, s12, s13
; %bb.494:                              ;   in Loop: Header=BB213_31 Depth=1
	s_or_b32 exec_lo, exec_lo, s11
	s_delay_alu instid0(SALU_CYCLE_1)
	s_and_not1_b32 s3, s18, exec_lo
	s_and_b32 s11, s16, exec_lo
	s_and_b32 s9, s9, exec_lo
	s_or_b32 s18, s3, s11
	s_and_not1_b32 s3, s19, exec_lo
	s_and_not1_b32 s11, s23, exec_lo
	s_and_b32 s8, s8, exec_lo
	v_dual_mov_b32 v28, v49 :: v_dual_mov_b32 v29, v48
	v_mov_b32_e32 v6, v50
	s_or_b32 s19, s3, s9
	s_or_b32 s23, s11, s8
	s_and_not1_b32 s3, s24, exec_lo
	s_and_b32 s8, s10, exec_lo
	s_and_not1_b32 s9, s25, exec_lo
	s_and_b32 s7, s7, exec_lo
	s_or_b32 s24, s3, s8
	s_or_b32 s25, s9, s7
.LBB213_495:                            ;   in Loop: Header=BB213_31 Depth=1
	s_or_b32 exec_lo, exec_lo, s60
	s_mov_b32 s70, s23
	s_mov_b32 s60, s23
	s_and_saveexec_b32 s7, s25
.LBB213_496:                            ;   in Loop: Header=BB213_31 Depth=1
	v_mov_b32_e32 v7, 0
	s_and_not1_b32 s23, s23, exec_lo
	s_and_not1_b32 s18, s18, exec_lo
	;; [unrolled: 1-line block ×5, first 2 shown]
	s_or_b32 s24, s24, exec_lo
.LBB213_497:                            ;   in Loop: Header=BB213_31 Depth=1
	s_or_b32 exec_lo, exec_lo, s7
	s_delay_alu instid0(SALU_CYCLE_1)
	s_and_not1_b32 s3, s55, exec_lo
	s_and_b32 s7, s23, exec_lo
	s_and_not1_b32 s9, s104, exec_lo
	s_or_b32 s55, s3, s7
	s_and_not1_b32 s3, s54, exec_lo
	s_and_b32 s7, s18, exec_lo
	s_and_b32 s10, s19, exec_lo
	s_or_b32 s54, s3, s7
	s_or_b32 s104, s9, s10
	s_and_not1_b32 s3, vcc_hi, exec_lo
	s_and_b32 s7, s70, exec_lo
	s_and_not1_b32 s9, s103, exec_lo
	s_and_b32 s10, s60, exec_lo
	s_mov_b32 s8, -1
	s_or_b32 vcc_hi, s3, s7
	s_or_b32 s103, s9, s10
                                        ; implicit-def: $vgpr48
                                        ; implicit-def: $vgpr49
                                        ; implicit-def: $vgpr26_vgpr27
                                        ; implicit-def: $vgpr50
	s_and_saveexec_b32 s3, s24
	s_delay_alu instid0(SALU_CYCLE_1)
	s_xor_b32 s7, exec_lo, s3
	s_cbranch_execz .LBB213_30
; %bb.498:                              ;   in Loop: Header=BB213_31 Depth=1
	s_mov_b32 s9, -1
	s_mov_b32 s10, exec_lo
	v_cmpx_eq_u32_e32 0, v7
	s_cbranch_execz .LBB213_29
; %bb.499:                              ;   in Loop: Header=BB213_31 Depth=1
	s_xor_b32 s98, s98, 1
	s_add_i32 s11, s94, -2
	s_cmp_eq_u32 s94, 0
	s_mov_b32 s94, s11
	s_cselect_b32 s8, -1, 0
	s_xor_b32 s9, exec_lo, -1
	s_or_not1_b32 s8, s8, exec_lo
	s_branch .LBB213_29
.LBB213_500:
	s_or_b32 exec_lo, exec_lo, s95
	s_xor_b32 s7, s102, -1
	s_xor_b32 s9, s100, -1
	s_xor_b32 s10, s101, -1
	s_xor_b32 s3, s97, -1
	s_xor_b32 s6, s99, -1
	s_mov_b32 s8, 0
	s_and_saveexec_b32 s11, s3
	s_delay_alu instid0(SALU_CYCLE_1)
	s_xor_b32 s12, exec_lo, s11
	s_cbranch_execz .LBB213_559
; %bb.501:
	s_and_saveexec_b32 s3, s10
	s_delay_alu instid0(SALU_CYCLE_1)
	s_xor_b32 s13, exec_lo, s3
	s_cbranch_execz .LBB213_557
; %bb.502:
	;; [unrolled: 5-line block ×4, first 2 shown]
	s_and_saveexec_b32 s3, s6
	s_delay_alu instid0(SALU_CYCLE_1)
	s_xor_b32 s6, exec_lo, s3
; %bb.505:
	v_and_b32_e32 v2, 0x8000, v28
	v_mov_b32_e32 v3, 0xffff
	s_delay_alu instid0(VALU_DEP_2) | instskip(NEXT) | instid1(VALU_DEP_2)
	v_cmp_eq_u32_e32 vcc_lo, 0, v2
	v_cndmask_b32_e32 v2, 0x8000, v3, vcc_lo
	s_delay_alu instid0(VALU_DEP_1)
	v_xor_b32_e32 v6, v2, v28
; %bb.506:
	s_or_b32 exec_lo, exec_lo, s6
	s_and_saveexec_b32 s6, s5
	s_load_b64 s[42:43], s[0:1], 0x0
	s_cbranch_execz .LBB213_508
; %bb.507:
	v_mov_b32_e32 v2, 0
	s_delay_alu instid0(VALU_DEP_1)
	v_mov_b32_e32 v3, v2
	ds_store_b64 v2, v[2:3] offset:5136
.LBB213_508:
	s_or_b32 exec_lo, exec_lo, s6
	v_mov_b32_e32 v18, 0
	s_waitcnt lgkmcnt(0)
	s_barrier
	buffer_gl0_inv
	s_and_saveexec_b32 s5, s4
	s_cbranch_execz .LBB213_510
; %bb.509:
	global_load_u16 v18, v[10:11], off
.LBB213_510:
	s_or_b32 exec_lo, exec_lo, s5
	s_load_b64 s[22:23], s[0:1], 0x440
	v_readlane_b32 s8, v51, 0
	v_readlane_b32 s9, v51, 1
	s_add_u32 s3, s36, 31
	s_addc_u32 s7, s37, 0
	s_and_b32 s6, s3, 0xffffffe0
	s_mul_i32 s3, s8, s41
	s_mul_hi_u32 s5, s8, s40
	s_mul_i32 s8, s8, s40
	s_add_i32 s3, s5, s3
	s_mul_i32 s5, s9, s40
	v_mov_b32_e32 v17, 0x8000
	s_add_i32 s9, s3, s5
	v_cmp_lt_i16_e32 vcc_lo, -1, v6
	s_lshl_b64 s[16:17], s[8:9], 1
	s_clause 0x1
	s_load_b64 s[8:9], s[0:1], 0x368
	s_load_b64 s[10:11], s[0:1], 0x510
	v_readlane_b32 s18, v51, 2
	v_readlane_b32 s19, v51, 3
	v_dual_cndmask_b32 v3, 0xffff, v17 :: v_dual_and_b32 v2, 0xffff, v6
	s_waitcnt lgkmcnt(0)
	s_mul_i32 s3, s22, s53
	s_mul_hi_u32 s5, s22, s52
	v_cmp_o_f16_e32 vcc_lo, v6, v6
	s_add_i32 s3, s5, s3
	s_mul_i32 s5, s23, s52
	v_xor_b32_e32 v2, v3, v2
	s_add_i32 s1, s3, s5
	s_add_u32 s3, s18, s16
	s_addc_u32 s18, s19, s17
	s_lshl_b64 s[16:17], s[28:29], 1
	s_mul_i32 s0, s22, s52
	s_add_u32 s5, s3, s16
	s_addc_u32 s16, s18, s17
	v_readlane_b32 s18, v51, 4
	v_readlane_b32 s19, v51, 5
	s_lshl_b64 s[0:1], s[0:1], 3
	v_cndmask_b32_e32 v16, 0xffff, v2, vcc_lo
	v_cmp_gt_u64_e32 vcc_lo, s[6:7], v[0:1]
	s_add_u32 s3, s18, s0
	s_addc_u32 s18, s19, s1
	s_lshl_b64 s[0:1], s[44:45], 3
	s_mov_b32 s21, -1
	s_add_u32 s17, s3, s0
	s_addc_u32 s18, s18, s1
	s_mov_b32 s19, 0
	s_mov_b32 s1, 0
	s_and_saveexec_b32 s20, vcc_lo
	s_cbranch_execz .LBB213_528
; %bb.511:
	v_add_nc_u32_e32 v6, s33, v0
	v_readlane_b32 s22, v51, 7
	v_readlane_b32 s23, v51, 8
	s_add_u32 s0, s42, s48
	s_addc_u32 s1, s43, s49
	v_mad_u64_u32 v[2:3], null, s30, v6, 0
	s_add_u32 s0, s0, s22
	s_addc_u32 s1, s1, s23
	v_mov_b32_e32 v13, v1
	s_mov_b32 s21, 0
                                        ; implicit-def: $sgpr22
                                        ; implicit-def: $vgpr8_vgpr9
	v_mov_b32_e32 v12, v0
	s_delay_alu instid0(VALU_DEP_3) | instskip(NEXT) | instid1(VALU_DEP_1)
	v_mad_u64_u32 v[4:5], null, s31, v6, v[3:4]
	v_mov_b32_e32 v3, v4
	s_delay_alu instid0(VALU_DEP_1) | instskip(SKIP_1) | instid1(VALU_DEP_2)
	v_lshlrev_b64 v[4:5], 1, v[2:3]
	v_mov_b32_e32 v3, 0
	v_add_co_u32 v4, s0, s0, v4
	s_delay_alu instid0(VALU_DEP_1)
	v_add_co_ci_u32_e64 v5, s0, s1, v5, s0
	s_branch .LBB213_513
.LBB213_512:                            ;   in Loop: Header=BB213_513 Depth=1
	s_or_b32 exec_lo, exec_lo, s23
	s_xor_b32 s0, s25, -1
	s_and_b32 s1, exec_lo, s1
	v_dual_mov_b32 v13, v7 :: v_dual_mov_b32 v12, v6
	s_or_b32 s21, s1, s21
	s_waitcnt vmcnt(0)
	v_mov_b32_e32 v18, v19
	s_and_not1_b32 s1, s22, exec_lo
	s_and_b32 s0, s0, exec_lo
	s_delay_alu instid0(SALU_CYCLE_1)
	s_or_b32 s22, s1, s0
	s_and_not1_b32 exec_lo, exec_lo, s21
	s_cbranch_execz .LBB213_527
.LBB213_513:                            ; =>This Inner Loop Header: Depth=1
	v_add_co_u32 v6, s0, v12, s33
	s_delay_alu instid0(VALU_DEP_1) | instskip(SKIP_2) | instid1(VALU_DEP_2)
	v_add_co_ci_u32_e64 v7, s0, 0, v13, s0
	v_mov_b32_e32 v19, 0
	s_mov_b32 s1, exec_lo
	v_cmpx_gt_u64_e64 s[36:37], v[6:7]
	s_cbranch_execz .LBB213_515
; %bb.514:                              ;   in Loop: Header=BB213_513 Depth=1
	global_load_u16 v19, v[4:5], off
.LBB213_515:                            ;   in Loop: Header=BB213_513 Depth=1
	s_or_b32 exec_lo, exec_lo, s1
	s_mov_b32 s23, 0
	s_mov_b32 s1, exec_lo
	v_cmpx_gt_u64_e64 s[36:37], v[12:13]
	s_cbranch_execz .LBB213_517
; %bb.516:                              ;   in Loop: Header=BB213_513 Depth=1
	s_waitcnt vmcnt(0)
	v_cmp_lt_i16_e64 s0, -1, v18
	v_and_b32_e32 v2, 0xffff, v18
	s_delay_alu instid0(VALU_DEP_2) | instskip(SKIP_1) | instid1(VALU_DEP_2)
	v_cndmask_b32_e64 v14, 0xffff, v17, s0
	v_cmp_o_f16_e64 s0, v18, v18
	v_xor_b32_e32 v2, v14, v2
	s_delay_alu instid0(VALU_DEP_1) | instskip(NEXT) | instid1(VALU_DEP_1)
	v_cndmask_b32_e64 v2, 0xffff, v2, s0
	v_cmp_gt_u32_e64 s0, v2, v16
	s_delay_alu instid0(VALU_DEP_1) | instskip(SKIP_1) | instid1(VALU_DEP_1)
	v_cndmask_b32_e64 v14, 0, 1, s0
	v_cmp_lt_u32_e64 s0, v2, v16
	v_cndmask_b32_e64 v2, 0, 1, s0
	s_delay_alu instid0(VALU_DEP_1) | instskip(NEXT) | instid1(VALU_DEP_1)
	v_cndmask_b32_e64 v2, v2, v14, s88
	v_and_b32_e32 v2, 1, v2
	s_delay_alu instid0(VALU_DEP_1) | instskip(NEXT) | instid1(VALU_DEP_1)
	v_cmp_eq_u32_e64 s0, 1, v2
	s_and_b32 s23, s0, exec_lo
.LBB213_517:                            ;   in Loop: Header=BB213_513 Depth=1
	s_or_b32 exec_lo, exec_lo, s1
	v_cndmask_b32_e64 v2, 0, 1, s23
	s_delay_alu instid0(VALU_DEP_1) | instskip(NEXT) | instid1(VALU_DEP_1)
	v_cmp_ne_u32_e64 s0, 0, v2
	s_cmp_lg_u32 s0, 0
	s_cselect_b32 s1, -1, 0
	s_delay_alu instid0(SALU_CYCLE_1) | instskip(NEXT) | instid1(SALU_CYCLE_1)
	s_and_b32 s1, s2, s1
	s_and_saveexec_b32 s24, s1
	s_cbranch_execz .LBB213_521
; %bb.518:                              ;   in Loop: Header=BB213_513 Depth=1
	s_mov_b32 s27, exec_lo
	s_bcnt1_i32_b32 s25, s0
	v_mbcnt_lo_u32_b32 v14, s27, 0
	s_mov_b32 s26, exec_lo
                                        ; implicit-def: $vgpr8_vgpr9
	s_delay_alu instid0(VALU_DEP_1)
	v_cmpx_eq_u32_e32 0, v14
	s_cbranch_execz .LBB213_520
; %bb.519:                              ;   in Loop: Header=BB213_513 Depth=1
	s_bcnt1_i32_b32 s1, s27
	s_delay_alu instid0(SALU_CYCLE_1) | instskip(NEXT) | instid1(SALU_CYCLE_1)
	s_mul_i32 s1, s25, s1
	v_mov_b32_e32 v2, s1
	s_waitcnt lgkmcnt(0)
	ds_add_rtn_u64 v[8:9], v3, v[2:3] offset:5136
.LBB213_520:                            ;   in Loop: Header=BB213_513 Depth=1
	s_or_b32 exec_lo, exec_lo, s26
	s_waitcnt lgkmcnt(0)
	v_readfirstlane_b32 s27, v9
	v_readfirstlane_b32 s26, v8
	s_delay_alu instid0(VALU_DEP_1)
	v_mad_u64_u32 v[8:9], null, s25, v14, s[26:27]
.LBB213_521:                            ;   in Loop: Header=BB213_513 Depth=1
	s_or_b32 exec_lo, exec_lo, s24
	s_waitcnt lgkmcnt(1)
	ds_bpermute_b32 v8, v3, v8
	s_waitcnt lgkmcnt(1)
	ds_bpermute_b32 v9, v3, v9
	s_mov_b32 s1, -1
	s_mov_b32 s26, -1
                                        ; implicit-def: $sgpr25
	s_and_saveexec_b32 s24, s23
	s_cbranch_execz .LBB213_525
; %bb.522:                              ;   in Loop: Header=BB213_513 Depth=1
	v_and_b32_e32 v2, s0, v40
	s_mov_b32 s23, 0
	s_mov_b32 s25, exec_lo
	s_delay_alu instid0(VALU_DEP_1) | instskip(SKIP_1) | instid1(VALU_DEP_1)
	v_bcnt_u32_b32 v2, v2, 0
	s_waitcnt lgkmcnt(1)
	v_add_co_u32 v14, s0, v8, v2
	s_waitcnt lgkmcnt(0)
	v_add_co_ci_u32_e64 v15, s0, 0, v9, s0
	s_delay_alu instid0(VALU_DEP_1)
	v_cmpx_gt_u64_e64 s[38:39], v[14:15]
	s_cbranch_execz .LBB213_524
; %bb.523:                              ;   in Loop: Header=BB213_513 Depth=1
	v_mul_lo_u32 v2, v15, s8
	v_mul_lo_u32 v24, v14, s9
	v_mad_u64_u32 v[20:21], null, v14, s8, 0
	v_mul_lo_u32 v15, v15, s10
	v_mul_lo_u32 v25, v14, s11
	v_mad_u64_u32 v[22:23], null, v14, s10, 0
	s_mov_b32 s23, exec_lo
	s_delay_alu instid0(VALU_DEP_4) | instskip(NEXT) | instid1(VALU_DEP_2)
	v_add3_u32 v21, v21, v24, v2
	v_add3_u32 v23, v23, v25, v15
	s_delay_alu instid0(VALU_DEP_2) | instskip(NEXT) | instid1(VALU_DEP_2)
	v_lshlrev_b64 v[14:15], 1, v[20:21]
	v_lshlrev_b64 v[20:21], 3, v[22:23]
	s_delay_alu instid0(VALU_DEP_2) | instskip(NEXT) | instid1(VALU_DEP_1)
	v_add_co_u32 v14, s0, s5, v14
	v_add_co_ci_u32_e64 v15, s0, s16, v15, s0
	s_delay_alu instid0(VALU_DEP_3) | instskip(NEXT) | instid1(VALU_DEP_1)
	v_add_co_u32 v20, s0, s17, v20
	v_add_co_ci_u32_e64 v21, s0, s18, v21, s0
	s_waitcnt vmcnt(0)
	global_store_b16 v[14:15], v18, off
	global_store_b64 v[20:21], v[12:13], off
.LBB213_524:                            ;   in Loop: Header=BB213_513 Depth=1
	s_or_b32 exec_lo, exec_lo, s25
	s_mov_b32 s25, -1
	s_or_not1_b32 s26, s23, exec_lo
.LBB213_525:                            ;   in Loop: Header=BB213_513 Depth=1
	s_or_b32 exec_lo, exec_lo, s24
	s_and_saveexec_b32 s23, s26
	s_cbranch_execz .LBB213_512
; %bb.526:                              ;   in Loop: Header=BB213_513 Depth=1
	v_cmp_le_u64_e64 s0, s[6:7], v[6:7]
	v_add_co_u32 v4, s1, v4, s34
	s_delay_alu instid0(VALU_DEP_1) | instskip(SKIP_1) | instid1(VALU_DEP_3)
	v_add_co_ci_u32_e64 v5, s1, s35, v5, s1
	s_and_not1_b32 s25, s25, exec_lo
	s_or_not1_b32 s1, s0, exec_lo
	s_branch .LBB213_512
.LBB213_527:
	s_or_b32 exec_lo, exec_lo, s21
	s_delay_alu instid0(SALU_CYCLE_1)
	s_mov_b32 s1, exec_lo
	s_or_not1_b32 s21, s22, exec_lo
.LBB213_528:
	s_or_b32 exec_lo, exec_lo, s20
	s_and_saveexec_b32 s3, s21
	s_cbranch_execz .LBB213_551
; %bb.529:
	v_mov_b32_e32 v13, 0
	s_waitcnt vmcnt(0) lgkmcnt(0)
	s_waitcnt_vscnt null, 0x0
	s_barrier
	buffer_gl0_inv
	s_and_saveexec_b32 s0, s4
	s_cbranch_execz .LBB213_531
; %bb.530:
	global_load_u16 v13, v[10:11], off
.LBB213_531:
	s_or_b32 exec_lo, exec_lo, s0
	s_mov_b32 s0, 0
	s_and_saveexec_b32 s4, vcc_lo
	s_cbranch_execz .LBB213_550
; %bb.532:
	v_add_nc_u32_e32 v6, s33, v0
	v_readlane_b32 s20, v51, 7
	v_readlane_b32 s21, v51, 8
	s_add_u32 s0, s42, s48
	s_addc_u32 s19, s43, s49
	v_mad_u64_u32 v[2:3], null, s30, v6, 0
	s_add_u32 s0, s0, s20
	s_addc_u32 s19, s19, s21
	v_mov_b32_e32 v12, 0x8000
	s_mov_b32 s20, 0
	s_delay_alu instid0(VALU_DEP_2) | instskip(SKIP_1) | instid1(VALU_DEP_2)
	v_mad_u64_u32 v[4:5], null, s31, v6, v[3:4]
	v_mov_b32_e32 v5, 0
                                        ; implicit-def: $vgpr6_vgpr7
	v_mov_b32_e32 v3, v4
	s_delay_alu instid0(VALU_DEP_1) | instskip(NEXT) | instid1(VALU_DEP_1)
	v_lshlrev_b64 v[2:3], 1, v[2:3]
	v_add_co_u32 v2, vcc_lo, s0, v2
	s_delay_alu instid0(VALU_DEP_2)
	v_add_co_ci_u32_e32 v3, vcc_lo, s19, v3, vcc_lo
                                        ; implicit-def: $sgpr19
	s_branch .LBB213_535
.LBB213_533:                            ;   in Loop: Header=BB213_535 Depth=1
	s_or_b32 exec_lo, exec_lo, s22
	v_dual_mov_b32 v13, v14 :: v_dual_mov_b32 v0, v8
	v_mov_b32_e32 v1, v9
	s_or_not1_b32 s24, s23, exec_lo
	s_or_not1_b32 s23, s0, exec_lo
.LBB213_534:                            ;   in Loop: Header=BB213_535 Depth=1
	s_or_b32 exec_lo, exec_lo, s21
	s_xor_b32 s0, s24, -1
	s_and_b32 s21, exec_lo, s23
	s_delay_alu instid0(SALU_CYCLE_1) | instskip(SKIP_2) | instid1(SALU_CYCLE_1)
	s_or_b32 s20, s21, s20
	s_and_not1_b32 s19, s19, exec_lo
	s_and_b32 s0, s0, exec_lo
	s_or_b32 s19, s19, s0
	s_and_not1_b32 exec_lo, exec_lo, s20
	s_cbranch_execz .LBB213_548
.LBB213_535:                            ; =>This Inner Loop Header: Depth=1
	v_add_co_u32 v8, vcc_lo, v0, s33
	v_add_co_ci_u32_e32 v9, vcc_lo, 0, v1, vcc_lo
	v_mov_b32_e32 v14, 0
	s_mov_b32 s0, exec_lo
	s_delay_alu instid0(VALU_DEP_2)
	v_cmpx_gt_u64_e64 s[36:37], v[8:9]
	s_cbranch_execz .LBB213_537
; %bb.536:                              ;   in Loop: Header=BB213_535 Depth=1
	global_load_u16 v14, v[2:3], off
.LBB213_537:                            ;   in Loop: Header=BB213_535 Depth=1
	s_or_b32 exec_lo, exec_lo, s0
	s_waitcnt vmcnt(0)
	v_cmp_lt_i16_e32 vcc_lo, -1, v13
	v_and_b32_e32 v4, 0xffff, v13
	v_cndmask_b32_e32 v10, 0xffff, v12, vcc_lo
	v_cmp_o_f16_e32 vcc_lo, v13, v13
	s_delay_alu instid0(VALU_DEP_2) | instskip(NEXT) | instid1(VALU_DEP_1)
	v_xor_b32_e32 v4, v10, v4
	v_cndmask_b32_e32 v4, 0xffff, v4, vcc_lo
	v_cmp_gt_u64_e32 vcc_lo, s[36:37], v[0:1]
	s_delay_alu instid0(VALU_DEP_2) | instskip(NEXT) | instid1(VALU_DEP_1)
	v_cmp_eq_u32_e64 s0, v4, v16
	s_and_b32 s22, vcc_lo, s0
	s_delay_alu instid0(SALU_CYCLE_1) | instskip(NEXT) | instid1(VALU_DEP_1)
	v_cndmask_b32_e64 v4, 0, 1, s22
	v_cmp_ne_u32_e32 vcc_lo, 0, v4
	s_cmp_lg_u32 vcc_lo, 0
	s_cselect_b32 s0, -1, 0
	s_delay_alu instid0(SALU_CYCLE_1) | instskip(NEXT) | instid1(SALU_CYCLE_1)
	s_and_b32 s0, s2, s0
	s_and_saveexec_b32 s21, s0
	s_cbranch_execz .LBB213_541
; %bb.538:                              ;   in Loop: Header=BB213_535 Depth=1
	s_mov_b32 s25, exec_lo
	s_bcnt1_i32_b32 s23, vcc_lo
	v_mbcnt_lo_u32_b32 v10, s25, 0
	s_mov_b32 s24, exec_lo
                                        ; implicit-def: $vgpr6_vgpr7
	s_delay_alu instid0(VALU_DEP_1)
	v_cmpx_eq_u32_e32 0, v10
	s_cbranch_execz .LBB213_540
; %bb.539:                              ;   in Loop: Header=BB213_535 Depth=1
	s_bcnt1_i32_b32 s0, s25
	s_delay_alu instid0(SALU_CYCLE_1) | instskip(NEXT) | instid1(SALU_CYCLE_1)
	s_mul_i32 s0, s23, s0
	v_mov_b32_e32 v4, s0
	ds_add_rtn_u64 v[6:7], v5, v[4:5] offset:5136
.LBB213_540:                            ;   in Loop: Header=BB213_535 Depth=1
	s_or_b32 exec_lo, exec_lo, s24
	s_waitcnt lgkmcnt(0)
	v_readfirstlane_b32 s25, v7
	v_readfirstlane_b32 s24, v6
	s_delay_alu instid0(VALU_DEP_1)
	v_mad_u64_u32 v[6:7], null, s23, v10, s[24:25]
.LBB213_541:                            ;   in Loop: Header=BB213_535 Depth=1
	s_or_b32 exec_lo, exec_lo, s21
	ds_bpermute_b32 v6, v5, v6
	ds_bpermute_b32 v7, v5, v7
	s_cmp_eq_u32 vcc_lo, 0
	s_mov_b32 s23, -1
	s_cselect_b32 s21, -1, 0
	s_mov_b32 s24, -1
	s_waitcnt lgkmcnt(0)
	v_cmp_gt_u64_e64 s0, s[38:39], v[6:7]
	s_delay_alu instid0(VALU_DEP_1) | instskip(NEXT) | instid1(SALU_CYCLE_1)
	s_or_b32 s0, s21, s0
	s_and_saveexec_b32 s21, s0
	s_cbranch_execz .LBB213_534
; %bb.542:                              ;   in Loop: Header=BB213_535 Depth=1
	v_and_b32_e32 v4, vcc_lo, v40
	v_sub_co_u32 v10, vcc_lo, s38, v6
	v_sub_co_ci_u32_e32 v11, vcc_lo, s39, v7, vcc_lo
	s_delay_alu instid0(VALU_DEP_3) | instskip(SKIP_1) | instid1(VALU_DEP_1)
	v_bcnt_u32_b32 v4, v4, 0
	s_mov_b32 s0, -1
	v_bcnt_u32_b32 v4, 0, v4
	s_delay_alu instid0(VALU_DEP_1) | instskip(SKIP_1) | instid1(SALU_CYCLE_1)
	v_cmp_gt_u64_e32 vcc_lo, v[10:11], v[4:5]
	s_and_b32 s25, s22, vcc_lo
	s_and_saveexec_b32 s22, s25
	s_cbranch_execz .LBB213_546
; %bb.543:                              ;   in Loop: Header=BB213_535 Depth=1
	v_add_co_u32 v10, vcc_lo, v6, v4
	v_add_co_ci_u32_e32 v11, vcc_lo, 0, v7, vcc_lo
	s_mov_b32 s24, 0
	s_mov_b32 s23, exec_lo
	s_delay_alu instid0(VALU_DEP_1)
	v_cmpx_gt_u64_e64 s[38:39], v[10:11]
	s_cbranch_execz .LBB213_545
; %bb.544:                              ;   in Loop: Header=BB213_535 Depth=1
	v_mul_lo_u32 v4, v11, s8
	v_mul_lo_u32 v15, v10, s9
	v_mad_u64_u32 v[17:18], null, v10, s8, 0
	v_mul_lo_u32 v11, v11, s10
	v_mul_lo_u32 v21, v10, s11
	v_mad_u64_u32 v[19:20], null, v10, s10, 0
	s_mov_b32 s24, exec_lo
	s_delay_alu instid0(VALU_DEP_4) | instskip(NEXT) | instid1(VALU_DEP_2)
	v_add3_u32 v18, v18, v15, v4
	v_add3_u32 v20, v20, v21, v11
	s_delay_alu instid0(VALU_DEP_2) | instskip(NEXT) | instid1(VALU_DEP_2)
	v_lshlrev_b64 v[10:11], 1, v[17:18]
	v_lshlrev_b64 v[17:18], 3, v[19:20]
	s_delay_alu instid0(VALU_DEP_2) | instskip(NEXT) | instid1(VALU_DEP_3)
	v_add_co_u32 v10, vcc_lo, s5, v10
	v_add_co_ci_u32_e32 v11, vcc_lo, s16, v11, vcc_lo
	s_delay_alu instid0(VALU_DEP_3) | instskip(NEXT) | instid1(VALU_DEP_4)
	v_add_co_u32 v17, vcc_lo, s17, v17
	v_add_co_ci_u32_e32 v18, vcc_lo, s18, v18, vcc_lo
	global_store_b16 v[10:11], v13, off
	global_store_b64 v[17:18], v[0:1], off
.LBB213_545:                            ;   in Loop: Header=BB213_535 Depth=1
	s_or_b32 exec_lo, exec_lo, s23
	s_delay_alu instid0(SALU_CYCLE_1)
	s_xor_b32 s23, exec_lo, -1
	s_or_not1_b32 s24, s24, exec_lo
.LBB213_546:                            ;   in Loop: Header=BB213_535 Depth=1
	s_or_b32 exec_lo, exec_lo, s22
	s_and_saveexec_b32 s22, s24
	s_cbranch_execz .LBB213_533
; %bb.547:                              ;   in Loop: Header=BB213_535 Depth=1
	v_cmp_le_u64_e32 vcc_lo, s[6:7], v[8:9]
	v_add_co_u32 v2, s0, v2, s34
	s_delay_alu instid0(VALU_DEP_1)
	v_add_co_ci_u32_e64 v3, s0, s35, v3, s0
	s_or_b32 s23, s23, exec_lo
	s_or_not1_b32 s0, vcc_lo, exec_lo
	s_branch .LBB213_533
.LBB213_548:
	s_or_b32 exec_lo, exec_lo, s20
	s_mov_b32 s0, 0
	s_and_saveexec_b32 s2, s19
	s_delay_alu instid0(SALU_CYCLE_1)
	s_xor_b32 s2, exec_lo, s2
	s_cbranch_execnz .LBB213_583
.LBB213_549:
	s_or_b32 exec_lo, exec_lo, s2
	s_delay_alu instid0(SALU_CYCLE_1)
	s_and_b32 s0, s0, exec_lo
.LBB213_550:
	s_or_b32 exec_lo, exec_lo, s4
	s_delay_alu instid0(SALU_CYCLE_1)
	s_and_b32 s19, s0, exec_lo
	s_and_not1_b32 s1, s1, exec_lo
.LBB213_551:
	s_or_b32 exec_lo, exec_lo, s3
	s_and_saveexec_b32 s0, s1
	s_delay_alu instid0(SALU_CYCLE_1)
	s_xor_b32 s0, exec_lo, s0
	s_cbranch_execnz .LBB213_577
.LBB213_552:
	s_or_b32 exec_lo, exec_lo, s0
	s_delay_alu instid0(SALU_CYCLE_1)
	s_and_b32 s8, s19, exec_lo
.LBB213_553:
	s_and_not1_saveexec_b32 s0, s15
	s_cbranch_execnz .LBB213_573
.LBB213_554:
	s_or_b32 exec_lo, exec_lo, s0
	s_delay_alu instid0(SALU_CYCLE_1)
	s_and_b32 s8, s8, exec_lo
.LBB213_555:
	s_and_not1_saveexec_b32 s0, s14
	s_cbranch_execnz .LBB213_569
.LBB213_556:
	s_or_b32 exec_lo, exec_lo, s0
	s_delay_alu instid0(SALU_CYCLE_1)
	s_and_b32 s8, s8, exec_lo
.LBB213_557:
	s_and_not1_saveexec_b32 s0, s13
	s_cbranch_execnz .LBB213_565
.LBB213_558:
	s_or_b32 exec_lo, exec_lo, s0
	s_delay_alu instid0(SALU_CYCLE_1)
	s_and_b32 s8, s8, exec_lo
.LBB213_559:
	s_and_not1_saveexec_b32 s0, s12
	s_cbranch_execnz .LBB213_563
; %bb.560:
	s_or_b32 exec_lo, exec_lo, s0
	s_and_saveexec_b32 s0, s8
.LBB213_561:
	; divergent unreachable
.LBB213_562:
	s_nop 0
	s_sendmsg sendmsg(MSG_DEALLOC_VGPRS)
	s_endpgm
.LBB213_563:
	s_cbranch_execnz .LBB213_567
; %bb.564:
	s_or_b32 s8, s8, exec_lo
	s_or_b32 exec_lo, exec_lo, s0
	s_and_saveexec_b32 s0, s8
	s_cbranch_execnz .LBB213_561
	s_branch .LBB213_562
.LBB213_565:
	s_cbranch_execnz .LBB213_571
; %bb.566:
	s_or_b32 s8, s8, exec_lo
	s_branch .LBB213_558
.LBB213_567:
	s_trap 2
	s_sendmsg_rtn_b32 s0, sendmsg(MSG_RTN_GET_DOORBELL)
	s_mov_b32 ttmp2, m0
	s_waitcnt lgkmcnt(0)
	s_and_b32 s0, s0, 0x3ff
	s_delay_alu instid0(SALU_CYCLE_1) | instskip(NEXT) | instid1(SALU_CYCLE_1)
	s_bitset1_b32 s0, 10
	s_mov_b32 m0, s0
	s_sendmsg sendmsg(MSG_INTERRUPT)
	s_mov_b32 m0, ttmp2
.LBB213_568:                            ; =>This Inner Loop Header: Depth=1
	s_sethalt 5
	s_branch .LBB213_568
.LBB213_569:
	s_cbranch_execnz .LBB213_575
; %bb.570:
	s_or_b32 s8, s8, exec_lo
	s_branch .LBB213_556
.LBB213_571:
	s_trap 2
	s_sendmsg_rtn_b32 s0, sendmsg(MSG_RTN_GET_DOORBELL)
	s_mov_b32 ttmp2, m0
	s_waitcnt lgkmcnt(0)
	s_and_b32 s0, s0, 0x3ff
	s_delay_alu instid0(SALU_CYCLE_1) | instskip(NEXT) | instid1(SALU_CYCLE_1)
	s_bitset1_b32 s0, 10
	s_mov_b32 m0, s0
	s_sendmsg sendmsg(MSG_INTERRUPT)
	s_mov_b32 m0, ttmp2
.LBB213_572:                            ; =>This Inner Loop Header: Depth=1
	s_sethalt 5
	s_branch .LBB213_572
.LBB213_573:
	s_cbranch_execnz .LBB213_579
; %bb.574:
	s_or_b32 s8, s8, exec_lo
	s_branch .LBB213_554
.LBB213_575:
	s_trap 2
	s_sendmsg_rtn_b32 s0, sendmsg(MSG_RTN_GET_DOORBELL)
	s_mov_b32 ttmp2, m0
	s_waitcnt lgkmcnt(0)
	s_and_b32 s0, s0, 0x3ff
	s_delay_alu instid0(SALU_CYCLE_1) | instskip(NEXT) | instid1(SALU_CYCLE_1)
	s_bitset1_b32 s0, 10
	s_mov_b32 m0, s0
	s_sendmsg sendmsg(MSG_INTERRUPT)
	s_mov_b32 m0, ttmp2
.LBB213_576:                            ; =>This Inner Loop Header: Depth=1
	s_sethalt 5
	s_branch .LBB213_576
.LBB213_577:
	s_cbranch_execnz .LBB213_581
; %bb.578:
	s_or_b32 s19, s19, exec_lo
	s_branch .LBB213_552
.LBB213_579:
	s_trap 2
	s_sendmsg_rtn_b32 s0, sendmsg(MSG_RTN_GET_DOORBELL)
	s_mov_b32 ttmp2, m0
	s_waitcnt lgkmcnt(0)
	s_and_b32 s0, s0, 0x3ff
	s_delay_alu instid0(SALU_CYCLE_1) | instskip(NEXT) | instid1(SALU_CYCLE_1)
	s_bitset1_b32 s0, 10
	s_mov_b32 m0, s0
	s_sendmsg sendmsg(MSG_INTERRUPT)
	s_mov_b32 m0, ttmp2
.LBB213_580:                            ; =>This Inner Loop Header: Depth=1
	s_sethalt 5
	s_branch .LBB213_580
.LBB213_581:
	s_trap 2
	s_sendmsg_rtn_b32 s0, sendmsg(MSG_RTN_GET_DOORBELL)
	s_mov_b32 ttmp2, m0
	s_waitcnt lgkmcnt(0)
	s_and_b32 s0, s0, 0x3ff
	s_delay_alu instid0(SALU_CYCLE_1) | instskip(NEXT) | instid1(SALU_CYCLE_1)
	s_bitset1_b32 s0, 10
	s_mov_b32 m0, s0
	s_sendmsg sendmsg(MSG_INTERRUPT)
	s_mov_b32 m0, ttmp2
.LBB213_582:                            ; =>This Inner Loop Header: Depth=1
	s_sethalt 5
	s_branch .LBB213_582
.LBB213_583:
	s_cbranch_execnz .LBB213_585
; %bb.584:
	s_mov_b32 s0, exec_lo
	s_branch .LBB213_549
.LBB213_585:
	s_trap 2
	s_sendmsg_rtn_b32 s0, sendmsg(MSG_RTN_GET_DOORBELL)
	s_mov_b32 ttmp2, m0
	s_waitcnt lgkmcnt(0)
	s_and_b32 s0, s0, 0x3ff
	s_delay_alu instid0(SALU_CYCLE_1) | instskip(NEXT) | instid1(SALU_CYCLE_1)
	s_bitset1_b32 s0, 10
	s_mov_b32 m0, s0
	s_sendmsg sendmsg(MSG_INTERRUPT)
	s_mov_b32 m0, ttmp2
.LBB213_586:                            ; =>This Inner Loop Header: Depth=1
	s_sethalt 5
	s_branch .LBB213_586
	.section	.rodata,"a",@progbits
	.p2align	6, 0x0
	.amdhsa_kernel _ZN2at6native6sbtopk10gatherTopKIN3c104HalfEmLin1ELb0EEEvNS_4cuda6detail10TensorInfoIKT_T0_EESA_SA_bSA_SA_NS7_IS8_SA_EESA_NS7_IlSA_EESA_PS8_
		.amdhsa_group_segment_fixed_size 5152
		.amdhsa_private_segment_fixed_size 0
		.amdhsa_kernarg_size 1568
		.amdhsa_user_sgpr_count 13
		.amdhsa_user_sgpr_dispatch_ptr 0
		.amdhsa_user_sgpr_queue_ptr 0
		.amdhsa_user_sgpr_kernarg_segment_ptr 1
		.amdhsa_user_sgpr_dispatch_id 0
		.amdhsa_user_sgpr_private_segment_size 0
		.amdhsa_wavefront_size32 1
		.amdhsa_uses_dynamic_stack 0
		.amdhsa_enable_private_segment 0
		.amdhsa_system_sgpr_workgroup_id_x 1
		.amdhsa_system_sgpr_workgroup_id_y 1
		.amdhsa_system_sgpr_workgroup_id_z 1
		.amdhsa_system_sgpr_workgroup_info 0
		.amdhsa_system_vgpr_workitem_id 0
		.amdhsa_next_free_vgpr 52
		.amdhsa_next_free_sgpr 105
		.amdhsa_reserve_vcc 1
		.amdhsa_float_round_mode_32 0
		.amdhsa_float_round_mode_16_64 0
		.amdhsa_float_denorm_mode_32 3
		.amdhsa_float_denorm_mode_16_64 3
		.amdhsa_dx10_clamp 1
		.amdhsa_ieee_mode 1
		.amdhsa_fp16_overflow 0
		.amdhsa_workgroup_processor_mode 1
		.amdhsa_memory_ordered 1
		.amdhsa_forward_progress 0
		.amdhsa_shared_vgpr_count 0
		.amdhsa_exception_fp_ieee_invalid_op 0
		.amdhsa_exception_fp_denorm_src 0
		.amdhsa_exception_fp_ieee_div_zero 0
		.amdhsa_exception_fp_ieee_overflow 0
		.amdhsa_exception_fp_ieee_underflow 0
		.amdhsa_exception_fp_ieee_inexact 0
		.amdhsa_exception_int_div_zero 0
	.end_amdhsa_kernel
	.section	.text._ZN2at6native6sbtopk10gatherTopKIN3c104HalfEmLin1ELb0EEEvNS_4cuda6detail10TensorInfoIKT_T0_EESA_SA_bSA_SA_NS7_IS8_SA_EESA_NS7_IlSA_EESA_PS8_,"axG",@progbits,_ZN2at6native6sbtopk10gatherTopKIN3c104HalfEmLin1ELb0EEEvNS_4cuda6detail10TensorInfoIKT_T0_EESA_SA_bSA_SA_NS7_IS8_SA_EESA_NS7_IlSA_EESA_PS8_,comdat
.Lfunc_end213:
	.size	_ZN2at6native6sbtopk10gatherTopKIN3c104HalfEmLin1ELb0EEEvNS_4cuda6detail10TensorInfoIKT_T0_EESA_SA_bSA_SA_NS7_IS8_SA_EESA_NS7_IlSA_EESA_PS8_, .Lfunc_end213-_ZN2at6native6sbtopk10gatherTopKIN3c104HalfEmLin1ELb0EEEvNS_4cuda6detail10TensorInfoIKT_T0_EESA_SA_bSA_SA_NS7_IS8_SA_EESA_NS7_IlSA_EESA_PS8_
                                        ; -- End function
	.section	.AMDGPU.csdata,"",@progbits
; Kernel info:
; codeLenInByte = 32444
; NumSgprs: 107
; NumVgprs: 52
; ScratchSize: 0
; MemoryBound: 0
; FloatMode: 240
; IeeeMode: 1
; LDSByteSize: 5152 bytes/workgroup (compile time only)
; SGPRBlocks: 13
; VGPRBlocks: 6
; NumSGPRsForWavesPerEU: 107
; NumVGPRsForWavesPerEU: 52
; Occupancy: 16
; WaveLimiterHint : 1
; COMPUTE_PGM_RSRC2:SCRATCH_EN: 0
; COMPUTE_PGM_RSRC2:USER_SGPR: 13
; COMPUTE_PGM_RSRC2:TRAP_HANDLER: 0
; COMPUTE_PGM_RSRC2:TGID_X_EN: 1
; COMPUTE_PGM_RSRC2:TGID_Y_EN: 1
; COMPUTE_PGM_RSRC2:TGID_Z_EN: 1
; COMPUTE_PGM_RSRC2:TIDIG_COMP_CNT: 0
	.section	.text._ZN2at6native6mbtopk23computeBlockDigitCountsIN3c108BFloat16EmjLi1EEEvNS_4cuda6detail10TensorInfoIKT_T0_EEjPjjSA_iijT1_PSD_Ps,"axG",@progbits,_ZN2at6native6mbtopk23computeBlockDigitCountsIN3c108BFloat16EmjLi1EEEvNS_4cuda6detail10TensorInfoIKT_T0_EEjPjjSA_iijT1_PSD_Ps,comdat
	.protected	_ZN2at6native6mbtopk23computeBlockDigitCountsIN3c108BFloat16EmjLi1EEEvNS_4cuda6detail10TensorInfoIKT_T0_EEjPjjSA_iijT1_PSD_Ps ; -- Begin function _ZN2at6native6mbtopk23computeBlockDigitCountsIN3c108BFloat16EmjLi1EEEvNS_4cuda6detail10TensorInfoIKT_T0_EEjPjjSA_iijT1_PSD_Ps
	.globl	_ZN2at6native6mbtopk23computeBlockDigitCountsIN3c108BFloat16EmjLi1EEEvNS_4cuda6detail10TensorInfoIKT_T0_EEjPjjSA_iijT1_PSD_Ps
	.p2align	8
	.type	_ZN2at6native6mbtopk23computeBlockDigitCountsIN3c108BFloat16EmjLi1EEEvNS_4cuda6detail10TensorInfoIKT_T0_EEjPjjSA_iijT1_PSD_Ps,@function
_ZN2at6native6mbtopk23computeBlockDigitCountsIN3c108BFloat16EmjLi1EEEvNS_4cuda6detail10TensorInfoIKT_T0_EEjPjjSA_iijT1_PSD_Ps: ; @_ZN2at6native6mbtopk23computeBlockDigitCountsIN3c108BFloat16EmjLi1EEEvNS_4cuda6detail10TensorInfoIKT_T0_EEjPjjSA_iijT1_PSD_Ps
; %bb.0:
	s_clause 0x2
	s_load_b128 s[8:11], s[0:1], 0x1c0
	s_load_b32 s5, s[0:1], 0x1b0
	s_load_b64 s[2:3], s[0:1], 0x1e0
	s_waitcnt lgkmcnt(0)
	v_cvt_f32_u32_e32 v1, s10
	s_sub_i32 s6, 0, s10
	s_mul_i32 s3, s3, s15
	s_delay_alu instid0(SALU_CYCLE_1) | instskip(NEXT) | instid1(VALU_DEP_1)
	s_add_i32 s3, s3, s14
	v_rcp_iflag_f32_e32 v1, v1
	s_mul_i32 s14, s3, s2
	s_delay_alu instid0(SALU_CYCLE_1) | instskip(SKIP_3) | instid1(VALU_DEP_1)
	s_add_i32 s14, s14, s13
	s_mov_b32 s13, 0
	s_waitcnt_depctr 0xfff
	v_mul_f32_e32 v1, 0x4f7ffffe, v1
	v_cvt_u32_f32_e32 v1, v1
	s_delay_alu instid0(VALU_DEP_1) | instskip(NEXT) | instid1(VALU_DEP_1)
	v_readfirstlane_b32 s4, v1
	s_mul_i32 s6, s6, s4
	s_delay_alu instid0(SALU_CYCLE_1) | instskip(NEXT) | instid1(SALU_CYCLE_1)
	s_mul_hi_u32 s2, s4, s6
	s_add_i32 s4, s4, s2
	s_delay_alu instid0(SALU_CYCLE_1) | instskip(NEXT) | instid1(SALU_CYCLE_1)
	s_mul_hi_u32 s2, s14, s4
	s_mul_i32 s3, s2, s10
	s_add_i32 s4, s2, 1
	s_sub_i32 s3, s14, s3
	s_delay_alu instid0(SALU_CYCLE_1)
	s_sub_i32 s6, s3, s10
	s_cmp_ge_u32 s3, s10
	s_cselect_b32 s2, s4, s2
	s_cselect_b32 s3, s6, s3
	s_add_i32 s4, s2, 1
	s_cmp_ge_u32 s3, s10
	s_cselect_b32 s12, s4, s2
	s_delay_alu instid0(SALU_CYCLE_1)
	s_cmp_ge_u32 s12, s5
	s_cbranch_scc1 .LBB214_23
; %bb.1:
	s_load_b128 s[4:7], s[0:1], 0x1d0
	s_lshl_b64 s[2:3], s[12:13], 2
	v_cmp_gt_u32_e32 vcc_lo, 0x100, v0
	v_lshlrev_b32_e32 v1, 2, v0
	s_waitcnt lgkmcnt(0)
	s_add_u32 s4, s4, s2
	s_addc_u32 s5, s5, s3
	s_and_saveexec_b32 s2, vcc_lo
	s_cbranch_execz .LBB214_3
; %bb.2:
	v_mov_b32_e32 v2, 0
	ds_store_b32 v1, v2
.LBB214_3:
	s_or_b32 exec_lo, exec_lo, s2
	s_load_b32 s13, s[0:1], 0x1a0
	s_mul_i32 s2, s12, s10
	s_waitcnt lgkmcnt(0)
	s_sub_i32 s2, s14, s2
	s_barrier
	s_mul_i32 s3, s9, s2
	s_add_i32 s2, s2, 1
	s_lshl_b32 s16, s3, 8
	buffer_gl0_inv
	s_sub_i32 s3, s13, s16
	s_delay_alu instid0(SALU_CYCLE_1) | instskip(SKIP_4) | instid1(VALU_DEP_1)
	s_add_u32 s3, s3, 0xff
	s_addc_u32 s15, 0, 0
	s_cmp_lt_u32 s2, s10
	v_alignbit_b32 v2, s15, s3, 8
	s_mov_b32 s15, 0
	v_readfirstlane_b32 s3, v2
	s_delay_alu instid0(VALU_DEP_1) | instskip(NEXT) | instid1(SALU_CYCLE_1)
	s_cselect_b32 s9, s9, s3
	s_cmp_lt_i32 s9, 1
	s_cbranch_scc1 .LBB214_19
; %bb.4:
	s_clause 0x2
	s_load_b64 s[18:19], s[0:1], 0xd0
	s_load_b64 s[2:3], s[0:1], 0x1b8
	;; [unrolled: 1-line block ×3, first 2 shown]
	s_load_b32 s1, s[4:5], 0x0
	v_add_nc_u32_e32 v2, s16, v0
	s_waitcnt lgkmcnt(0)
	s_mul_i32 s0, s19, s12
	s_mul_hi_u32 s5, s18, s12
	s_mul_i32 s4, s18, s12
	s_add_i32 s5, s5, s0
	s_delay_alu instid0(SALU_CYCLE_1) | instskip(NEXT) | instid1(SALU_CYCLE_1)
	s_lshl_b64 s[18:19], s[4:5], 1
	s_add_u32 s5, s20, s18
	s_addc_u32 s10, s21, s19
	s_and_b32 s4, s8, 0xff
	s_cmp_eq_u32 s9, 1
	s_cbranch_scc1 .LBB214_14
; %bb.5:
	v_dual_mov_b32 v3, 1 :: v_dual_mov_b32 v4, 0x8000
	v_mov_b32_e32 v5, v2
	s_and_b32 s8, s9, 0x7ffffffe
	s_mov_b32 s12, 0
	s_branch .LBB214_7
.LBB214_6:                              ;   in Loop: Header=BB214_7 Depth=1
	s_or_b32 exec_lo, exec_lo, s15
	v_add_nc_u32_e32 v5, 0x200, v5
	s_add_i32 s12, s12, 2
	s_delay_alu instid0(SALU_CYCLE_1)
	s_cmp_eq_u32 s8, s12
	s_cbranch_scc1 .LBB214_13
.LBB214_7:                              ; =>This Inner Loop Header: Depth=1
	s_mov_b32 s15, exec_lo
	v_cmpx_gt_u32_e64 s13, v5
	s_cbranch_execz .LBB214_10
; %bb.8:                                ;   in Loop: Header=BB214_7 Depth=1
	v_mad_u64_u32 v[6:7], null, v5, s2, 0
	s_delay_alu instid0(VALU_DEP_1) | instskip(NEXT) | instid1(VALU_DEP_1)
	v_mad_u64_u32 v[8:9], null, v5, s3, v[7:8]
	v_mov_b32_e32 v7, v8
	s_delay_alu instid0(VALU_DEP_1) | instskip(NEXT) | instid1(VALU_DEP_1)
	v_lshlrev_b64 v[6:7], 1, v[6:7]
	v_add_co_u32 v6, s0, s5, v6
	s_delay_alu instid0(VALU_DEP_1)
	v_add_co_ci_u32_e64 v7, s0, s10, v7, s0
	global_load_u16 v6, v[6:7], off
	s_waitcnt vmcnt(0)
	v_cmp_lt_i16_e64 s0, -1, v6
	v_and_b32_e32 v7, 0xffff, v6
	v_lshlrev_b32_e32 v6, 16, v6
	s_delay_alu instid0(VALU_DEP_3) | instskip(NEXT) | instid1(VALU_DEP_2)
	v_cndmask_b32_e64 v8, 0xffff, v4, s0
	v_cmp_o_f32_e64 s0, v6, v6
	s_delay_alu instid0(VALU_DEP_2) | instskip(NEXT) | instid1(VALU_DEP_1)
	v_xor_b32_e32 v7, v8, v7
	v_cndmask_b32_e64 v6, 0xffff, v7, s0
	s_delay_alu instid0(VALU_DEP_1) | instskip(NEXT) | instid1(VALU_DEP_1)
	v_xor_b32_e32 v7, s1, v6
	v_and_b32_e32 v7, s11, v7
	s_delay_alu instid0(VALU_DEP_1) | instskip(NEXT) | instid1(VALU_DEP_1)
	v_cmp_eq_u32_e64 s0, 0, v7
	s_and_b32 exec_lo, exec_lo, s0
	s_cbranch_execz .LBB214_10
; %bb.9:                                ;   in Loop: Header=BB214_7 Depth=1
	v_bfe_u32 v6, v6, s4, 8
	s_delay_alu instid0(VALU_DEP_1)
	v_lshlrev_b32_e32 v6, 2, v6
	ds_add_u32 v6, v3
.LBB214_10:                             ;   in Loop: Header=BB214_7 Depth=1
	s_or_b32 exec_lo, exec_lo, s15
	v_add_nc_u32_e32 v6, 0x100, v5
	s_mov_b32 s15, exec_lo
	s_delay_alu instid0(VALU_DEP_1)
	v_cmpx_gt_u32_e64 s13, v6
	s_cbranch_execz .LBB214_6
; %bb.11:                               ;   in Loop: Header=BB214_7 Depth=1
	v_mad_u64_u32 v[7:8], null, v6, s2, 0
	s_delay_alu instid0(VALU_DEP_1) | instskip(NEXT) | instid1(VALU_DEP_1)
	v_mad_u64_u32 v[9:10], null, v6, s3, v[8:9]
	v_mov_b32_e32 v8, v9
	s_delay_alu instid0(VALU_DEP_1) | instskip(NEXT) | instid1(VALU_DEP_1)
	v_lshlrev_b64 v[6:7], 1, v[7:8]
	v_add_co_u32 v6, s0, s5, v6
	s_delay_alu instid0(VALU_DEP_1)
	v_add_co_ci_u32_e64 v7, s0, s10, v7, s0
	global_load_u16 v6, v[6:7], off
	s_waitcnt vmcnt(0)
	v_and_b32_e32 v7, 0xffff, v6
	v_cmp_lt_i16_e64 s0, -1, v6
	v_lshlrev_b32_e32 v6, 16, v6
	s_delay_alu instid0(VALU_DEP_2) | instskip(NEXT) | instid1(VALU_DEP_2)
	v_cndmask_b32_e64 v8, 0xffff, v4, s0
	v_cmp_o_f32_e64 s0, v6, v6
	s_delay_alu instid0(VALU_DEP_2) | instskip(NEXT) | instid1(VALU_DEP_1)
	v_xor_b32_e32 v7, v8, v7
	v_cndmask_b32_e64 v6, 0xffff, v7, s0
	s_delay_alu instid0(VALU_DEP_1) | instskip(NEXT) | instid1(VALU_DEP_1)
	v_xor_b32_e32 v7, s1, v6
	v_and_b32_e32 v7, s11, v7
	s_delay_alu instid0(VALU_DEP_1) | instskip(NEXT) | instid1(VALU_DEP_1)
	v_cmp_eq_u32_e64 s0, 0, v7
	s_and_b32 exec_lo, exec_lo, s0
	s_cbranch_execz .LBB214_6
; %bb.12:                               ;   in Loop: Header=BB214_7 Depth=1
	v_bfe_u32 v6, v6, s4, 8
	s_delay_alu instid0(VALU_DEP_1)
	v_lshlrev_b32_e32 v6, 2, v6
	ds_add_u32 v6, v3
	s_branch .LBB214_6
.LBB214_13:
	s_lshl_b32 s15, s8, 8
.LBB214_14:
	s_bitcmp0_b32 s9, 0
	s_cbranch_scc1 .LBB214_19
; %bb.15:
	v_add_nc_u32_e32 v2, s15, v2
	s_mov_b32 s8, exec_lo
	s_delay_alu instid0(VALU_DEP_1)
	v_cmpx_gt_u32_e64 s13, v2
	s_cbranch_execz .LBB214_18
; %bb.16:
	v_mad_u64_u32 v[3:4], null, v2, s2, 0
	s_delay_alu instid0(VALU_DEP_1) | instskip(NEXT) | instid1(VALU_DEP_1)
	v_mad_u64_u32 v[5:6], null, v2, s3, v[4:5]
	v_mov_b32_e32 v4, v5
	s_delay_alu instid0(VALU_DEP_1) | instskip(NEXT) | instid1(VALU_DEP_1)
	v_lshlrev_b64 v[2:3], 1, v[3:4]
	v_add_co_u32 v2, s0, s5, v2
	s_delay_alu instid0(VALU_DEP_1)
	v_add_co_ci_u32_e64 v3, s0, s10, v3, s0
	global_load_u16 v2, v[2:3], off
	v_mov_b32_e32 v3, 0x8000
	s_waitcnt vmcnt(0)
	v_cmp_lt_i16_e64 s0, -1, v2
	v_and_b32_e32 v4, 0xffff, v2
	v_lshlrev_b32_e32 v2, 16, v2
	s_delay_alu instid0(VALU_DEP_3) | instskip(NEXT) | instid1(VALU_DEP_2)
	v_cndmask_b32_e64 v3, 0xffff, v3, s0
	v_cmp_o_f32_e64 s0, v2, v2
	s_delay_alu instid0(VALU_DEP_2) | instskip(NEXT) | instid1(VALU_DEP_1)
	v_xor_b32_e32 v3, v3, v4
	v_cndmask_b32_e64 v2, 0xffff, v3, s0
	s_delay_alu instid0(VALU_DEP_1) | instskip(NEXT) | instid1(VALU_DEP_1)
	v_xor_b32_e32 v3, s1, v2
	v_and_b32_e32 v3, s11, v3
	s_delay_alu instid0(VALU_DEP_1) | instskip(NEXT) | instid1(VALU_DEP_1)
	v_cmp_eq_u32_e64 s0, 0, v3
	s_and_b32 exec_lo, exec_lo, s0
	s_cbranch_execz .LBB214_18
; %bb.17:
	v_bfe_u32 v2, v2, s4, 8
	s_delay_alu instid0(VALU_DEP_1)
	v_dual_mov_b32 v3, 1 :: v_dual_lshlrev_b32 v2, 2, v2
	ds_add_u32 v2, v3
.LBB214_18:
	s_or_b32 exec_lo, exec_lo, s8
.LBB214_19:
	v_mov_b32_e32 v2, 0
	s_waitcnt lgkmcnt(0)
	s_barrier
	buffer_gl0_inv
	s_and_saveexec_b32 s0, vcc_lo
	s_cbranch_execz .LBB214_21
; %bb.20:
	ds_load_b32 v2, v1
.LBB214_21:
	s_or_b32 exec_lo, exec_lo, s0
	s_and_saveexec_b32 s0, vcc_lo
	s_cbranch_execz .LBB214_23
; %bb.22:
	v_lshl_or_b32 v0, s14, 8, v0
	v_mov_b32_e32 v1, 0
	s_delay_alu instid0(VALU_DEP_1) | instskip(NEXT) | instid1(VALU_DEP_1)
	v_lshlrev_b64 v[0:1], 1, v[0:1]
	v_add_co_u32 v0, vcc_lo, s6, v0
	s_delay_alu instid0(VALU_DEP_2)
	v_add_co_ci_u32_e32 v1, vcc_lo, s7, v1, vcc_lo
	s_waitcnt lgkmcnt(0)
	global_store_b16 v[0:1], v2, off
.LBB214_23:
	s_nop 0
	s_sendmsg sendmsg(MSG_DEALLOC_VGPRS)
	s_endpgm
	.section	.rodata,"a",@progbits
	.p2align	6, 0x0
	.amdhsa_kernel _ZN2at6native6mbtopk23computeBlockDigitCountsIN3c108BFloat16EmjLi1EEEvNS_4cuda6detail10TensorInfoIKT_T0_EEjPjjSA_iijT1_PSD_Ps
		.amdhsa_group_segment_fixed_size 1024
		.amdhsa_private_segment_fixed_size 0
		.amdhsa_kernarg_size 736
		.amdhsa_user_sgpr_count 13
		.amdhsa_user_sgpr_dispatch_ptr 0
		.amdhsa_user_sgpr_queue_ptr 0
		.amdhsa_user_sgpr_kernarg_segment_ptr 1
		.amdhsa_user_sgpr_dispatch_id 0
		.amdhsa_user_sgpr_private_segment_size 0
		.amdhsa_wavefront_size32 1
		.amdhsa_uses_dynamic_stack 0
		.amdhsa_enable_private_segment 0
		.amdhsa_system_sgpr_workgroup_id_x 1
		.amdhsa_system_sgpr_workgroup_id_y 1
		.amdhsa_system_sgpr_workgroup_id_z 1
		.amdhsa_system_sgpr_workgroup_info 0
		.amdhsa_system_vgpr_workitem_id 0
		.amdhsa_next_free_vgpr 11
		.amdhsa_next_free_sgpr 22
		.amdhsa_reserve_vcc 1
		.amdhsa_float_round_mode_32 0
		.amdhsa_float_round_mode_16_64 0
		.amdhsa_float_denorm_mode_32 3
		.amdhsa_float_denorm_mode_16_64 3
		.amdhsa_dx10_clamp 1
		.amdhsa_ieee_mode 1
		.amdhsa_fp16_overflow 0
		.amdhsa_workgroup_processor_mode 1
		.amdhsa_memory_ordered 1
		.amdhsa_forward_progress 0
		.amdhsa_shared_vgpr_count 0
		.amdhsa_exception_fp_ieee_invalid_op 0
		.amdhsa_exception_fp_denorm_src 0
		.amdhsa_exception_fp_ieee_div_zero 0
		.amdhsa_exception_fp_ieee_overflow 0
		.amdhsa_exception_fp_ieee_underflow 0
		.amdhsa_exception_fp_ieee_inexact 0
		.amdhsa_exception_int_div_zero 0
	.end_amdhsa_kernel
	.section	.text._ZN2at6native6mbtopk23computeBlockDigitCountsIN3c108BFloat16EmjLi1EEEvNS_4cuda6detail10TensorInfoIKT_T0_EEjPjjSA_iijT1_PSD_Ps,"axG",@progbits,_ZN2at6native6mbtopk23computeBlockDigitCountsIN3c108BFloat16EmjLi1EEEvNS_4cuda6detail10TensorInfoIKT_T0_EEjPjjSA_iijT1_PSD_Ps,comdat
.Lfunc_end214:
	.size	_ZN2at6native6mbtopk23computeBlockDigitCountsIN3c108BFloat16EmjLi1EEEvNS_4cuda6detail10TensorInfoIKT_T0_EEjPjjSA_iijT1_PSD_Ps, .Lfunc_end214-_ZN2at6native6mbtopk23computeBlockDigitCountsIN3c108BFloat16EmjLi1EEEvNS_4cuda6detail10TensorInfoIKT_T0_EEjPjjSA_iijT1_PSD_Ps
                                        ; -- End function
	.section	.AMDGPU.csdata,"",@progbits
; Kernel info:
; codeLenInByte = 1268
; NumSgprs: 24
; NumVgprs: 11
; ScratchSize: 0
; MemoryBound: 0
; FloatMode: 240
; IeeeMode: 1
; LDSByteSize: 1024 bytes/workgroup (compile time only)
; SGPRBlocks: 2
; VGPRBlocks: 1
; NumSGPRsForWavesPerEU: 24
; NumVGPRsForWavesPerEU: 11
; Occupancy: 16
; WaveLimiterHint : 1
; COMPUTE_PGM_RSRC2:SCRATCH_EN: 0
; COMPUTE_PGM_RSRC2:USER_SGPR: 13
; COMPUTE_PGM_RSRC2:TRAP_HANDLER: 0
; COMPUTE_PGM_RSRC2:TGID_X_EN: 1
; COMPUTE_PGM_RSRC2:TGID_Y_EN: 1
; COMPUTE_PGM_RSRC2:TGID_Z_EN: 1
; COMPUTE_PGM_RSRC2:TIDIG_COMP_CNT: 0
	.section	.text._ZN2at6native6mbtopk10gatherTopKIN3c108BFloat16EmLi1EEEvNS_4cuda6detail10TensorInfoIKT_T0_EESA_SA_bjSA_NS7_IS8_SA_EESA_NS7_IlSA_EESA_jjPS8_PjSF_j,"axG",@progbits,_ZN2at6native6mbtopk10gatherTopKIN3c108BFloat16EmLi1EEEvNS_4cuda6detail10TensorInfoIKT_T0_EESA_SA_bjSA_NS7_IS8_SA_EESA_NS7_IlSA_EESA_jjPS8_PjSF_j,comdat
	.protected	_ZN2at6native6mbtopk10gatherTopKIN3c108BFloat16EmLi1EEEvNS_4cuda6detail10TensorInfoIKT_T0_EESA_SA_bjSA_NS7_IS8_SA_EESA_NS7_IlSA_EESA_jjPS8_PjSF_j ; -- Begin function _ZN2at6native6mbtopk10gatherTopKIN3c108BFloat16EmLi1EEEvNS_4cuda6detail10TensorInfoIKT_T0_EESA_SA_bjSA_NS7_IS8_SA_EESA_NS7_IlSA_EESA_jjPS8_PjSF_j
	.globl	_ZN2at6native6mbtopk10gatherTopKIN3c108BFloat16EmLi1EEEvNS_4cuda6detail10TensorInfoIKT_T0_EESA_SA_bjSA_NS7_IS8_SA_EESA_NS7_IlSA_EESA_jjPS8_PjSF_j
	.p2align	8
	.type	_ZN2at6native6mbtopk10gatherTopKIN3c108BFloat16EmLi1EEEvNS_4cuda6detail10TensorInfoIKT_T0_EESA_SA_bjSA_NS7_IS8_SA_EESA_NS7_IlSA_EESA_jjPS8_PjSF_j,@function
_ZN2at6native6mbtopk10gatherTopKIN3c108BFloat16EmLi1EEEvNS_4cuda6detail10TensorInfoIKT_T0_EESA_SA_bjSA_NS7_IS8_SA_EESA_NS7_IlSA_EESA_jjPS8_PjSF_j: ; @_ZN2at6native6mbtopk10gatherTopKIN3c108BFloat16EmLi1EEEvNS_4cuda6detail10TensorInfoIKT_T0_EESA_SA_bjSA_NS7_IS8_SA_EESA_NS7_IlSA_EESA_jjPS8_PjSF_j
; %bb.0:
	s_clause 0x1
	s_load_b64 s[2:3], s[0:1], 0x538
	s_load_b32 s4, s[0:1], 0x530
	s_waitcnt lgkmcnt(0)
	s_mul_i32 s3, s3, s15
	s_delay_alu instid0(SALU_CYCLE_1) | instskip(NEXT) | instid1(SALU_CYCLE_1)
	s_add_i32 s3, s3, s14
	s_mul_i32 s2, s3, s2
	s_delay_alu instid0(SALU_CYCLE_1) | instskip(NEXT) | instid1(SALU_CYCLE_1)
	s_add_i32 s2, s2, s13
	s_cmp_ge_u32 s2, s4
	s_cbranch_scc1 .LBB215_42
; %bb.1:
	s_load_b64 s[16:17], s[0:1], 0x510
	s_mov_b32 s19, 0
	s_waitcnt lgkmcnt(0)
	v_cvt_f32_u32_e32 v1, s17
	s_sub_i32 s4, 0, s17
	s_lshl_b32 s33, s16, 8
	s_delay_alu instid0(VALU_DEP_1) | instskip(SKIP_2) | instid1(VALU_DEP_1)
	v_rcp_iflag_f32_e32 v1, v1
	s_waitcnt_depctr 0xfff
	v_mul_f32_e32 v1, 0x4f7ffffe, v1
	v_cvt_u32_f32_e32 v1, v1
	s_delay_alu instid0(VALU_DEP_1) | instskip(NEXT) | instid1(VALU_DEP_1)
	v_readfirstlane_b32 s3, v1
	s_mul_i32 s4, s4, s3
	s_delay_alu instid0(SALU_CYCLE_1) | instskip(NEXT) | instid1(SALU_CYCLE_1)
	s_mul_hi_u32 s4, s3, s4
	s_add_i32 s3, s3, s4
	s_load_b128 s[4:7], s[0:1], 0x1a0
	s_mul_hi_u32 s3, s2, s3
	s_delay_alu instid0(SALU_CYCLE_1) | instskip(SKIP_2) | instid1(SALU_CYCLE_1)
	s_mul_i32 s8, s3, s17
	s_add_i32 s9, s3, 1
	s_sub_i32 s8, s2, s8
	s_sub_i32 s10, s8, s17
	s_cmp_ge_u32 s8, s17
	s_cselect_b32 s3, s9, s3
	s_cselect_b32 s8, s10, s8
	s_add_i32 s9, s3, 1
	s_cmp_ge_u32 s8, s17
	s_cselect_b32 s18, s9, s3
	s_delay_alu instid0(SALU_CYCLE_1) | instskip(NEXT) | instid1(SALU_CYCLE_1)
	s_mul_i32 s24, s18, s17
	s_sub_i32 s36, s2, s24
	s_delay_alu instid0(SALU_CYCLE_1) | instskip(NEXT) | instid1(SALU_CYCLE_1)
	s_add_i32 s2, s36, 1
	s_cmp_lt_u32 s2, s17
	s_cbranch_scc1 .LBB215_3
; %bb.2:
	s_mul_i32 s2, s36, s33
	s_waitcnt lgkmcnt(0)
	s_sub_u32 s2, s4, s2
	s_subb_u32 s3, s5, 0
	s_add_u32 s2, s2, 0xff
	s_addc_u32 s3, s3, 0
	s_delay_alu instid0(SALU_CYCLE_1) | instskip(NEXT) | instid1(SALU_CYCLE_1)
	s_ashr_i32 s8, s3, 31
	s_lshr_b32 s8, s8, 24
	s_delay_alu instid0(SALU_CYCLE_1) | instskip(SKIP_1) | instid1(SALU_CYCLE_1)
	s_add_u32 s2, s2, s8
	s_addc_u32 s3, s3, 0
	v_alignbit_b32 v1, s3, s2, 8
	s_delay_alu instid0(VALU_DEP_1)
	v_readfirstlane_b32 s16, v1
.LBB215_3:
	s_load_b128 s[8:11], s[0:1], 0x518
	s_lshl_b64 s[2:3], s[18:19], 1
	v_mov_b32_e32 v1, 0
	s_waitcnt lgkmcnt(0)
	s_add_u32 s2, s8, s2
	s_addc_u32 s3, s9, s3
	global_load_u16 v1, v1, s[2:3]
	s_clause 0x3
	s_load_b64 s[20:21], s[0:1], 0x0
	s_load_b64 s[28:29], s[0:1], 0xd0
	;; [unrolled: 1-line block ×4, first 2 shown]
	v_cmp_ne_u32_e64 s2, 0, v0
	v_cmp_eq_u32_e64 s3, 0, v0
	s_waitcnt vmcnt(0)
	v_readfirstlane_b32 s37, v1
	s_delay_alu instid0(VALU_DEP_2)
	s_and_saveexec_b32 s19, s3
	s_cbranch_execz .LBB215_19
; %bb.4:
	s_load_b64 s[8:9], s[0:1], 0x528
	s_mov_b32 s25, 0
	s_mov_b32 s38, 0
	s_lshl_b64 s[30:31], s[24:25], 2
	s_mov_b32 s24, 0
	s_add_u32 s12, s10, s30
	s_addc_u32 s13, s11, s31
	s_waitcnt lgkmcnt(0)
	s_add_u32 s14, s8, s30
	s_addc_u32 s15, s9, s31
	s_cmp_lt_u32 s17, 4
	s_cbranch_scc1 .LBB215_16
; %bb.5:
	s_mov_b32 s39, 0
.LBB215_6:                              ; =>This Inner Loop Header: Depth=1
	s_add_u32 s12, s10, s30
	s_addc_u32 s13, s11, s31
	s_add_u32 s34, s8, s30
	s_load_b128 s[12:15], s[12:13], 0x0
	s_addc_u32 s35, s9, s31
	s_cmp_ge_u32 s39, s36
	s_cbranch_scc0 .LBB215_13
; %bb.7:                                ;   in Loop: Header=BB215_6 Depth=1
	s_add_i32 s40, s39, 1
	s_delay_alu instid0(SALU_CYCLE_1)
	s_cmp_ge_u32 s40, s36
	s_cbranch_scc0 .LBB215_14
.LBB215_8:                              ;   in Loop: Header=BB215_6 Depth=1
	s_add_i32 s40, s40, 1
	s_delay_alu instid0(SALU_CYCLE_1)
	s_cmp_ge_u32 s40, s36
	s_cbranch_scc0 .LBB215_15
.LBB215_9:                              ;   in Loop: Header=BB215_6 Depth=1
	s_add_i32 s40, s40, 1
	s_delay_alu instid0(SALU_CYCLE_1)
	s_cmp_ge_u32 s40, s36
	s_cbranch_scc1 .LBB215_11
.LBB215_10:                             ;   in Loop: Header=BB215_6 Depth=1
	s_load_b32 s34, s[34:35], 0xc
	s_waitcnt lgkmcnt(0)
	s_add_i32 s25, s25, s15
	s_add_i32 s24, s34, s24
.LBB215_11:                             ;   in Loop: Header=BB215_6 Depth=1
	s_waitcnt lgkmcnt(0)
	s_add_i32 s12, s12, s38
	s_delay_alu instid0(SALU_CYCLE_1) | instskip(NEXT) | instid1(SALU_CYCLE_1)
	s_add_i32 s12, s12, s13
	s_add_i32 s12, s12, s14
	s_delay_alu instid0(SALU_CYCLE_1)
	s_add_i32 s38, s12, s15
	s_add_u32 s10, s10, 16
	s_addc_u32 s11, s11, 0
	s_add_u32 s8, s8, 16
	s_addc_u32 s9, s9, 0
	s_add_i32 s35, s40, 4
	s_add_u32 s14, s8, s30
	s_addc_u32 s15, s9, s31
	s_add_u32 s12, s10, s30
	s_addc_u32 s13, s11, s31
	s_add_i32 s34, s40, 1
	s_cmp_ge_u32 s35, s17
	s_cbranch_scc1 .LBB215_17
; %bb.12:                               ;   in Loop: Header=BB215_6 Depth=1
	s_mov_b32 s39, s34
	s_branch .LBB215_6
.LBB215_13:                             ;   in Loop: Header=BB215_6 Depth=1
	s_load_b32 s40, s[34:35], 0x0
	s_waitcnt lgkmcnt(0)
	s_add_i32 s25, s12, s25
	s_add_i32 s24, s40, s24
	;; [unrolled: 1-line block ×3, first 2 shown]
	s_delay_alu instid0(SALU_CYCLE_1)
	s_cmp_ge_u32 s40, s36
	s_cbranch_scc1 .LBB215_8
.LBB215_14:                             ;   in Loop: Header=BB215_6 Depth=1
	s_load_b32 s41, s[34:35], 0x4
	s_waitcnt lgkmcnt(0)
	s_add_i32 s25, s25, s13
	s_add_i32 s24, s41, s24
	;; [unrolled: 1-line block ×3, first 2 shown]
	s_delay_alu instid0(SALU_CYCLE_1)
	s_cmp_ge_u32 s40, s36
	s_cbranch_scc1 .LBB215_9
.LBB215_15:                             ;   in Loop: Header=BB215_6 Depth=1
	s_load_b32 s41, s[34:35], 0x8
	s_waitcnt lgkmcnt(0)
	s_add_i32 s25, s25, s14
	s_add_i32 s24, s41, s24
	;; [unrolled: 1-line block ×3, first 2 shown]
	s_delay_alu instid0(SALU_CYCLE_1)
	s_cmp_ge_u32 s40, s36
	s_cbranch_scc0 .LBB215_10
	s_branch .LBB215_11
.LBB215_16:
	s_mov_b32 s8, 0
	s_delay_alu instid0(SALU_CYCLE_1)
	s_cmp_ge_u32 s8, s17
	s_cbranch_scc0 .LBB215_40
	s_branch .LBB215_18
.LBB215_17:
	s_add_i32 s8, s39, 4
	s_delay_alu instid0(SALU_CYCLE_1)
	s_cmp_ge_u32 s8, s17
	s_cbranch_scc0 .LBB215_40
.LBB215_18:
	v_dual_mov_b32 v1, s24 :: v_dual_mov_b32 v2, s38
	v_dual_mov_b32 v3, s25 :: v_dual_mov_b32 v4, 0
	ds_store_b96 v4, v[1:3] offset:1056
.LBB215_19:
	s_or_b32 exec_lo, exec_lo, s19
	s_clause 0x1
	s_load_b128 s[8:11], s[0:1], 0x1b8
	s_load_b128 s[12:15], s[0:1], 0x360
	s_cmp_eq_u32 s16, 0
	s_waitcnt lgkmcnt(0)
	s_barrier
	buffer_gl0_inv
	s_cbranch_scc1 .LBB215_42
; %bb.20:
	s_mul_i32 s17, s29, s18
	s_mul_hi_u32 s19, s28, s18
	v_dual_mov_b32 v5, 0 :: v_dual_add_nc_u32 v10, -1, v0
	s_add_i32 s25, s19, s17
	s_mul_i32 s17, s27, s18
	s_mul_hi_u32 s19, s26, s18
	s_mul_i32 s24, s28, s18
	s_add_i32 s27, s19, s17
	s_mul_i32 s17, s23, s18
	s_mul_hi_u32 s19, s22, s18
	s_lshl_b64 s[24:25], s[24:25], 1
	s_mul_i32 s26, s26, s18
	s_add_i32 s23, s19, s17
	s_add_u32 s17, s20, s24
	ds_load_b96 v[1:3], v5 offset:1056
	s_addc_u32 s19, s21, s25
	s_lshl_b64 s[20:21], s[26:27], 1
	s_mul_i32 s22, s22, s18
	s_add_u32 s18, s10, s20
	s_addc_u32 s20, s11, s21
	s_lshl_b64 s[10:11], s[22:23], 3
	s_load_b32 s22, s[0:1], 0x1b0
	s_add_u32 s14, s14, s10
	s_sext_i32_i16 s10, s37
	s_addc_u32 s15, s15, s11
	s_and_b32 s11, 0xffff, s37
	s_cmp_gt_i32 s10, -1
	s_mov_b32 s10, 0x8000
	v_lshrrev_b32_e32 v4, 5, v0
	s_cselect_b32 s10, s10, 0xffff
	s_lshl_b32 s21, s37, 16
	s_xor_b32 s10, s10, s11
	v_cmp_o_f32_e64 s21, s21, s21
	s_waitcnt lgkmcnt(0)
	v_dual_mov_b32 v14, 0x8000 :: v_dual_add_nc_u32 v1, v1, v2
	v_add_lshl_u32 v8, v4, v0, 2
	v_lshlrev_b32_e32 v2, 3, v0
	s_and_b32 s11, s21, exec_lo
	s_cselect_b32 s21, s10, 0xffff
	s_load_b64 s[10:11], s[0:1], 0x508
	v_mad_u64_u32 v[6:7], null, s36, s33, v[0:1]
	v_lshrrev_b32_e32 v4, 2, v0
	v_lshrrev_b32_e32 v11, 5, v10
	v_mbcnt_lo_u32_b32 v9, -1, 0
	v_cmp_gt_u32_e64 s0, 32, v0
	s_bitcmp1_b32 s22, 0
	v_add_lshl_u32 v0, v4, v2, 2
	v_add_lshl_u32 v10, v11, v10, 2
	v_dual_mov_b32 v4, v6 :: v_dual_and_b32 v11, 15, v9
	v_bfe_i32 v12, v9, 4, 1
	v_add_nc_u32_e32 v13, -1, v9
	s_cselect_b32 s1, -1, 0
                                        ; implicit-def: $vgpr15
	s_branch .LBB215_23
.LBB215_21:                             ;   in Loop: Header=BB215_23 Depth=1
	s_or_b32 exec_lo, exec_lo, s22
	v_add_nc_u32_e32 v1, v2, v1
.LBB215_22:                             ;   in Loop: Header=BB215_23 Depth=1
	v_add_nc_u32_e32 v3, v16, v3
	v_add_nc_u32_e32 v4, 0x100, v4
	s_add_i32 s16, s16, -1
	s_delay_alu instid0(SALU_CYCLE_1)
	s_cmp_lg_u32 s16, 0
	s_cbranch_scc0 .LBB215_42
.LBB215_23:                             ; =>This Inner Loop Header: Depth=1
	v_mov_b32_e32 v2, v5
	v_mov_b32_e32 v6, v5
	s_mov_b32 s22, exec_lo
	v_cmpx_gt_u64_e64 s[4:5], v[4:5]
	s_cbranch_execz .LBB215_25
; %bb.24:                               ;   in Loop: Header=BB215_23 Depth=1
	v_mad_u64_u32 v[6:7], null, v4, s8, 0
	s_delay_alu instid0(VALU_DEP_1) | instskip(NEXT) | instid1(VALU_DEP_1)
	v_mov_b32_e32 v2, v7
	v_mad_u64_u32 v[15:16], null, v4, s9, v[2:3]
	s_delay_alu instid0(VALU_DEP_1) | instskip(NEXT) | instid1(VALU_DEP_1)
	v_mov_b32_e32 v7, v15
	v_lshlrev_b64 v[6:7], 1, v[6:7]
	s_delay_alu instid0(VALU_DEP_1) | instskip(NEXT) | instid1(VALU_DEP_2)
	v_add_co_u32 v6, vcc_lo, s17, v6
	v_add_co_ci_u32_e32 v7, vcc_lo, s19, v7, vcc_lo
	global_load_u16 v15, v[6:7], off
	s_waitcnt vmcnt(0)
	v_and_b32_e32 v2, 0xffff, v15
	v_cmp_lt_i16_e32 vcc_lo, -1, v15
	v_dual_cndmask_b32 v6, 0xffff, v14 :: v_dual_lshlrev_b32 v7, 16, v15
	s_delay_alu instid0(VALU_DEP_1) | instskip(NEXT) | instid1(VALU_DEP_2)
	v_cmp_o_f32_e32 vcc_lo, v7, v7
	v_xor_b32_e32 v2, v6, v2
	s_delay_alu instid0(VALU_DEP_1) | instskip(NEXT) | instid1(VALU_DEP_1)
	v_cndmask_b32_e32 v6, 0xffff, v2, vcc_lo
	v_cmp_lt_u32_e32 vcc_lo, s21, v6
	v_cndmask_b32_e64 v2, 0, 1, vcc_lo
	v_cmp_gt_u32_e32 vcc_lo, s21, v6
	v_cndmask_b32_e64 v7, 0, 1, vcc_lo
	v_cmp_eq_u32_e32 vcc_lo, s21, v6
	s_delay_alu instid0(VALU_DEP_2) | instskip(SKIP_1) | instid1(VALU_DEP_2)
	v_cndmask_b32_e64 v2, v7, v2, s1
	v_cndmask_b32_e64 v6, 0, 1, vcc_lo
	v_and_b32_e32 v2, 1, v2
.LBB215_25:                             ;   in Loop: Header=BB215_23 Depth=1
	s_or_b32 exec_lo, exec_lo, s22
	ds_store_b32 v8, v2
	s_waitcnt lgkmcnt(0)
	s_waitcnt_vscnt null, 0x0
	s_barrier
	buffer_gl0_inv
	s_and_saveexec_b32 s22, s0
	s_cbranch_execz .LBB215_27
; %bb.26:                               ;   in Loop: Header=BB215_23 Depth=1
	ds_load_2addr_b32 v[16:17], v0 offset1:1
	ds_load_2addr_b32 v[18:19], v0 offset0:2 offset1:3
	ds_load_2addr_b32 v[20:21], v0 offset0:4 offset1:5
	;; [unrolled: 1-line block ×3, first 2 shown]
	v_cmp_ne_u32_e32 vcc_lo, 0, v11
	; wave barrier
	s_waitcnt lgkmcnt(3)
	v_add_nc_u32_e32 v7, v17, v16
	s_waitcnt lgkmcnt(2)
	s_delay_alu instid0(VALU_DEP_1) | instskip(SKIP_1) | instid1(VALU_DEP_1)
	v_add3_u32 v7, v7, v18, v19
	s_waitcnt lgkmcnt(1)
	v_add3_u32 v7, v7, v20, v21
	s_waitcnt lgkmcnt(0)
	s_delay_alu instid0(VALU_DEP_1) | instskip(NEXT) | instid1(VALU_DEP_1)
	v_add3_u32 v7, v7, v22, v23
	v_mov_b32_dpp v17, v7 row_shr:1 row_mask:0xf bank_mask:0xf
	s_delay_alu instid0(VALU_DEP_1) | instskip(SKIP_1) | instid1(VALU_DEP_2)
	v_cndmask_b32_e32 v17, 0, v17, vcc_lo
	v_cmp_lt_u32_e32 vcc_lo, 1, v11
	v_add_nc_u32_e32 v7, v17, v7
	s_delay_alu instid0(VALU_DEP_1) | instskip(NEXT) | instid1(VALU_DEP_1)
	v_mov_b32_dpp v17, v7 row_shr:2 row_mask:0xf bank_mask:0xf
	v_cndmask_b32_e32 v17, 0, v17, vcc_lo
	v_cmp_lt_u32_e32 vcc_lo, 3, v11
	s_delay_alu instid0(VALU_DEP_2) | instskip(NEXT) | instid1(VALU_DEP_1)
	v_add_nc_u32_e32 v7, v7, v17
	v_mov_b32_dpp v17, v7 row_shr:4 row_mask:0xf bank_mask:0xf
	s_delay_alu instid0(VALU_DEP_1) | instskip(SKIP_1) | instid1(VALU_DEP_2)
	v_cndmask_b32_e32 v17, 0, v17, vcc_lo
	v_cmp_lt_u32_e32 vcc_lo, 7, v11
	v_add_nc_u32_e32 v7, v7, v17
	s_delay_alu instid0(VALU_DEP_1) | instskip(NEXT) | instid1(VALU_DEP_1)
	v_mov_b32_dpp v17, v7 row_shr:8 row_mask:0xf bank_mask:0xf
	v_cndmask_b32_e32 v17, 0, v17, vcc_lo
	v_cmp_gt_i32_e32 vcc_lo, 0, v13
	s_delay_alu instid0(VALU_DEP_2)
	v_add_nc_u32_e32 v7, v7, v17
	v_cndmask_b32_e32 v18, v13, v9, vcc_lo
	ds_swizzle_b32 v17, v7 offset:swizzle(BROADCAST,32,15)
	v_lshlrev_b32_e32 v18, 2, v18
	s_waitcnt lgkmcnt(0)
	v_and_b32_e32 v17, v12, v17
	s_delay_alu instid0(VALU_DEP_1) | instskip(SKIP_3) | instid1(VALU_DEP_1)
	v_add_nc_u32_e32 v7, v7, v17
	ds_bpermute_b32 v7, v18, v7
	s_waitcnt lgkmcnt(0)
	v_add_nc_u32_e32 v7, v7, v16
	v_cndmask_b32_e64 v7, v7, v2, s3
	ds_store_b32 v0, v7
	; wave barrier
	ds_load_2addr_b32 v[16:17], v0 offset0:1 offset1:2
	ds_load_2addr_b32 v[18:19], v0 offset0:3 offset1:4
	;; [unrolled: 1-line block ×3, first 2 shown]
	ds_load_b32 v22, v0 offset:28
	s_waitcnt lgkmcnt(3)
	v_add_nc_u32_e32 v7, v16, v7
	s_delay_alu instid0(VALU_DEP_1) | instskip(SKIP_1) | instid1(VALU_DEP_1)
	v_add_nc_u32_e32 v16, v17, v7
	s_waitcnt lgkmcnt(2)
	v_add_nc_u32_e32 v17, v18, v16
	s_delay_alu instid0(VALU_DEP_1) | instskip(SKIP_1) | instid1(VALU_DEP_1)
	v_add_nc_u32_e32 v18, v19, v17
	s_waitcnt lgkmcnt(1)
	v_add_nc_u32_e32 v19, v20, v18
	s_delay_alu instid0(VALU_DEP_1) | instskip(SKIP_1) | instid1(VALU_DEP_1)
	v_add_nc_u32_e32 v20, v21, v19
	s_waitcnt lgkmcnt(0)
	v_add_nc_u32_e32 v21, v22, v20
	ds_store_2addr_b32 v0, v7, v16 offset0:1 offset1:2
	ds_store_2addr_b32 v0, v17, v18 offset0:3 offset1:4
	;; [unrolled: 1-line block ×3, first 2 shown]
	ds_store_b32 v0, v21 offset:28
.LBB215_27:                             ;   in Loop: Header=BB215_23 Depth=1
	s_or_b32 exec_lo, exec_lo, s22
	v_mov_b32_e32 v7, 0
	s_waitcnt lgkmcnt(0)
	s_barrier
	buffer_gl0_inv
	s_and_saveexec_b32 s22, s2
	s_cbranch_execz .LBB215_29
; %bb.28:                               ;   in Loop: Header=BB215_23 Depth=1
	ds_load_b32 v7, v10
.LBB215_29:                             ;   in Loop: Header=BB215_23 Depth=1
	s_or_b32 exec_lo, exec_lo, s22
	ds_load_b32 v16, v5 offset:1048
	s_mov_b32 s22, exec_lo
	s_waitcnt lgkmcnt(0)
	s_barrier
	buffer_gl0_inv
	v_cmpx_ne_u32_e32 0, v2
	s_cbranch_execz .LBB215_31
; %bb.30:                               ;   in Loop: Header=BB215_23 Depth=1
	v_add_nc_u32_e32 v23, v7, v3
	s_delay_alu instid0(VALU_DEP_1) | instskip(NEXT) | instid1(VALU_DEP_1)
	v_mad_u64_u32 v[17:18], null, v23, s12, 0
	v_mov_b32_e32 v2, v18
	v_mad_u64_u32 v[19:20], null, v23, s10, 0
	s_delay_alu instid0(VALU_DEP_1) | instskip(NEXT) | instid1(VALU_DEP_3)
	v_mov_b32_e32 v7, v20
	v_mad_u64_u32 v[20:21], null, v23, s13, v[2:3]
	s_delay_alu instid0(VALU_DEP_2) | instskip(NEXT) | instid1(VALU_DEP_2)
	v_mad_u64_u32 v[21:22], null, v23, s11, v[7:8]
	v_mov_b32_e32 v18, v20
	s_delay_alu instid0(VALU_DEP_2) | instskip(NEXT) | instid1(VALU_DEP_2)
	v_mov_b32_e32 v20, v21
	v_lshlrev_b64 v[17:18], 1, v[17:18]
	s_delay_alu instid0(VALU_DEP_2) | instskip(NEXT) | instid1(VALU_DEP_2)
	v_lshlrev_b64 v[19:20], 3, v[19:20]
	v_add_co_u32 v17, vcc_lo, s18, v17
	s_delay_alu instid0(VALU_DEP_3) | instskip(NEXT) | instid1(VALU_DEP_3)
	v_add_co_ci_u32_e32 v18, vcc_lo, s20, v18, vcc_lo
	v_add_co_u32 v19, vcc_lo, s14, v19
	s_delay_alu instid0(VALU_DEP_4)
	v_add_co_ci_u32_e32 v20, vcc_lo, s15, v20, vcc_lo
	global_store_b16 v[17:18], v15, off
	global_store_b64 v[19:20], v[4:5], off
.LBB215_31:                             ;   in Loop: Header=BB215_23 Depth=1
	s_or_b32 exec_lo, exec_lo, s22
	v_mov_b32_e32 v2, v5
	s_delay_alu instid0(VALU_DEP_1)
	v_cmp_le_u64_e32 vcc_lo, s[6:7], v[1:2]
	s_cbranch_vccnz .LBB215_22
; %bb.32:                               ;   in Loop: Header=BB215_23 Depth=1
	ds_store_b32 v8, v6
	s_waitcnt lgkmcnt(0)
	s_waitcnt_vscnt null, 0x0
	s_barrier
	buffer_gl0_inv
	s_and_saveexec_b32 s22, s0
	s_cbranch_execz .LBB215_34
; %bb.33:                               ;   in Loop: Header=BB215_23 Depth=1
	ds_load_2addr_b32 v[17:18], v0 offset1:1
	ds_load_2addr_b32 v[19:20], v0 offset0:2 offset1:3
	ds_load_2addr_b32 v[21:22], v0 offset0:4 offset1:5
	ds_load_2addr_b32 v[23:24], v0 offset0:6 offset1:7
	v_cmp_ne_u32_e32 vcc_lo, 0, v11
	; wave barrier
	s_waitcnt lgkmcnt(3)
	v_add_nc_u32_e32 v2, v18, v17
	s_waitcnt lgkmcnt(2)
	s_delay_alu instid0(VALU_DEP_1) | instskip(SKIP_1) | instid1(VALU_DEP_1)
	v_add3_u32 v2, v2, v19, v20
	s_waitcnt lgkmcnt(1)
	v_add3_u32 v2, v2, v21, v22
	s_waitcnt lgkmcnt(0)
	s_delay_alu instid0(VALU_DEP_1) | instskip(NEXT) | instid1(VALU_DEP_1)
	v_add3_u32 v2, v2, v23, v24
	v_mov_b32_dpp v7, v2 row_shr:1 row_mask:0xf bank_mask:0xf
	s_delay_alu instid0(VALU_DEP_1) | instskip(SKIP_1) | instid1(VALU_DEP_2)
	v_cndmask_b32_e32 v7, 0, v7, vcc_lo
	v_cmp_lt_u32_e32 vcc_lo, 1, v11
	v_add_nc_u32_e32 v2, v7, v2
	s_delay_alu instid0(VALU_DEP_1) | instskip(NEXT) | instid1(VALU_DEP_1)
	v_mov_b32_dpp v7, v2 row_shr:2 row_mask:0xf bank_mask:0xf
	v_cndmask_b32_e32 v7, 0, v7, vcc_lo
	v_cmp_lt_u32_e32 vcc_lo, 3, v11
	s_delay_alu instid0(VALU_DEP_2) | instskip(NEXT) | instid1(VALU_DEP_1)
	v_add_nc_u32_e32 v2, v2, v7
	v_mov_b32_dpp v7, v2 row_shr:4 row_mask:0xf bank_mask:0xf
	s_delay_alu instid0(VALU_DEP_1) | instskip(SKIP_1) | instid1(VALU_DEP_2)
	v_cndmask_b32_e32 v7, 0, v7, vcc_lo
	v_cmp_lt_u32_e32 vcc_lo, 7, v11
	v_add_nc_u32_e32 v2, v2, v7
	s_delay_alu instid0(VALU_DEP_1) | instskip(NEXT) | instid1(VALU_DEP_1)
	v_mov_b32_dpp v7, v2 row_shr:8 row_mask:0xf bank_mask:0xf
	v_cndmask_b32_e32 v7, 0, v7, vcc_lo
	v_cmp_gt_i32_e32 vcc_lo, 0, v13
	v_cndmask_b32_e32 v18, v13, v9, vcc_lo
	s_delay_alu instid0(VALU_DEP_1) | instskip(NEXT) | instid1(VALU_DEP_4)
	v_lshlrev_b32_e32 v18, 2, v18
	v_add_nc_u32_e32 v2, v2, v7
	ds_swizzle_b32 v7, v2 offset:swizzle(BROADCAST,32,15)
	s_waitcnt lgkmcnt(0)
	v_and_b32_e32 v7, v12, v7
	s_delay_alu instid0(VALU_DEP_1) | instskip(SKIP_3) | instid1(VALU_DEP_1)
	v_add_nc_u32_e32 v2, v2, v7
	ds_bpermute_b32 v2, v18, v2
	s_waitcnt lgkmcnt(0)
	v_add_nc_u32_e32 v2, v2, v17
	v_cndmask_b32_e64 v2, v2, v6, s3
	ds_store_b32 v0, v2
	; wave barrier
	ds_load_2addr_b32 v[17:18], v0 offset0:1 offset1:2
	ds_load_2addr_b32 v[19:20], v0 offset0:3 offset1:4
	;; [unrolled: 1-line block ×3, first 2 shown]
	ds_load_b32 v7, v0 offset:28
	s_waitcnt lgkmcnt(3)
	v_add_nc_u32_e32 v2, v17, v2
	s_delay_alu instid0(VALU_DEP_1) | instskip(SKIP_1) | instid1(VALU_DEP_1)
	v_add_nc_u32_e32 v17, v18, v2
	s_waitcnt lgkmcnt(2)
	v_add_nc_u32_e32 v18, v19, v17
	s_delay_alu instid0(VALU_DEP_1) | instskip(SKIP_1) | instid1(VALU_DEP_1)
	v_add_nc_u32_e32 v19, v20, v18
	;; [unrolled: 4-line block ×3, first 2 shown]
	s_waitcnt lgkmcnt(0)
	v_add_nc_u32_e32 v7, v7, v21
	ds_store_2addr_b32 v0, v2, v17 offset0:1 offset1:2
	ds_store_2addr_b32 v0, v18, v19 offset0:3 offset1:4
	ds_store_2addr_b32 v0, v20, v21 offset0:5 offset1:6
	ds_store_b32 v0, v7 offset:28
.LBB215_34:                             ;   in Loop: Header=BB215_23 Depth=1
	s_or_b32 exec_lo, exec_lo, s22
	v_mov_b32_e32 v7, 0
	s_waitcnt lgkmcnt(0)
	s_barrier
	buffer_gl0_inv
	s_and_saveexec_b32 s22, s2
	s_cbranch_execz .LBB215_36
; %bb.35:                               ;   in Loop: Header=BB215_23 Depth=1
	ds_load_b32 v7, v10
.LBB215_36:                             ;   in Loop: Header=BB215_23 Depth=1
	s_or_b32 exec_lo, exec_lo, s22
	ds_load_b32 v2, v5 offset:1048
	s_mov_b32 s22, exec_lo
	s_waitcnt lgkmcnt(0)
	s_barrier
	buffer_gl0_inv
	v_cmpx_ne_u32_e32 0, v6
	s_cbranch_execz .LBB215_21
; %bb.37:                               ;   in Loop: Header=BB215_23 Depth=1
	v_dual_mov_b32 v7, v5 :: v_dual_add_nc_u32 v6, v7, v1
	s_delay_alu instid0(VALU_DEP_1)
	v_cmp_gt_u64_e32 vcc_lo, s[6:7], v[6:7]
	s_and_b32 exec_lo, exec_lo, vcc_lo
	s_cbranch_execz .LBB215_21
; %bb.38:                               ;   in Loop: Header=BB215_23 Depth=1
	v_mad_u64_u32 v[17:18], null, v6, s12, 0
	v_mad_u64_u32 v[19:20], null, v6, s10, 0
	s_delay_alu instid0(VALU_DEP_1) | instskip(NEXT) | instid1(VALU_DEP_1)
	v_dual_mov_b32 v7, v18 :: v_dual_mov_b32 v18, v20
	v_mad_u64_u32 v[20:21], null, v6, s13, v[7:8]
	s_delay_alu instid0(VALU_DEP_2) | instskip(NEXT) | instid1(VALU_DEP_2)
	v_mad_u64_u32 v[21:22], null, v6, s11, v[18:19]
	v_mov_b32_e32 v18, v20
	s_delay_alu instid0(VALU_DEP_2) | instskip(NEXT) | instid1(VALU_DEP_2)
	v_mov_b32_e32 v20, v21
	v_lshlrev_b64 v[6:7], 1, v[17:18]
	s_delay_alu instid0(VALU_DEP_2) | instskip(NEXT) | instid1(VALU_DEP_2)
	v_lshlrev_b64 v[17:18], 3, v[19:20]
	v_add_co_u32 v6, vcc_lo, s18, v6
	s_delay_alu instid0(VALU_DEP_3) | instskip(NEXT) | instid1(VALU_DEP_3)
	v_add_co_ci_u32_e32 v7, vcc_lo, s20, v7, vcc_lo
	v_add_co_u32 v17, vcc_lo, s14, v17
	s_delay_alu instid0(VALU_DEP_4)
	v_add_co_ci_u32_e32 v18, vcc_lo, s15, v18, vcc_lo
	global_store_b16 v[6:7], v15, off
	global_store_b64 v[17:18], v[4:5], off
	s_branch .LBB215_21
	.p2align	6
.LBB215_39:                             ;   in Loop: Header=BB215_40 Depth=1
	s_add_u32 s12, s12, 4
	s_addc_u32 s13, s13, 0
	s_waitcnt lgkmcnt(0)
	s_add_i32 s38, s9, s38
	s_add_u32 s14, s14, 4
	s_addc_u32 s15, s15, 0
	s_add_i32 s8, s8, 1
	s_delay_alu instid0(SALU_CYCLE_1)
	s_cmp_lt_u32 s8, s17
	s_cbranch_scc0 .LBB215_18
.LBB215_40:                             ; =>This Inner Loop Header: Depth=1
	s_load_b32 s9, s[12:13], 0x0
	s_cmp_ge_u32 s8, s36
	s_cbranch_scc1 .LBB215_39
; %bb.41:                               ;   in Loop: Header=BB215_40 Depth=1
	s_load_b32 s10, s[14:15], 0x0
	s_waitcnt lgkmcnt(0)
	s_add_i32 s25, s9, s25
	s_add_i32 s24, s10, s24
	s_branch .LBB215_39
.LBB215_42:
	s_nop 0
	s_sendmsg sendmsg(MSG_DEALLOC_VGPRS)
	s_endpgm
	.section	.rodata,"a",@progbits
	.p2align	6, 0x0
	.amdhsa_kernel _ZN2at6native6mbtopk10gatherTopKIN3c108BFloat16EmLi1EEEvNS_4cuda6detail10TensorInfoIKT_T0_EESA_SA_bjSA_NS7_IS8_SA_EESA_NS7_IlSA_EESA_jjPS8_PjSF_j
		.amdhsa_group_segment_fixed_size 1068
		.amdhsa_private_segment_fixed_size 0
		.amdhsa_kernarg_size 1592
		.amdhsa_user_sgpr_count 13
		.amdhsa_user_sgpr_dispatch_ptr 0
		.amdhsa_user_sgpr_queue_ptr 0
		.amdhsa_user_sgpr_kernarg_segment_ptr 1
		.amdhsa_user_sgpr_dispatch_id 0
		.amdhsa_user_sgpr_private_segment_size 0
		.amdhsa_wavefront_size32 1
		.amdhsa_uses_dynamic_stack 0
		.amdhsa_enable_private_segment 0
		.amdhsa_system_sgpr_workgroup_id_x 1
		.amdhsa_system_sgpr_workgroup_id_y 1
		.amdhsa_system_sgpr_workgroup_id_z 1
		.amdhsa_system_sgpr_workgroup_info 0
		.amdhsa_system_vgpr_workitem_id 0
		.amdhsa_next_free_vgpr 25
		.amdhsa_next_free_sgpr 42
		.amdhsa_reserve_vcc 1
		.amdhsa_float_round_mode_32 0
		.amdhsa_float_round_mode_16_64 0
		.amdhsa_float_denorm_mode_32 3
		.amdhsa_float_denorm_mode_16_64 3
		.amdhsa_dx10_clamp 1
		.amdhsa_ieee_mode 1
		.amdhsa_fp16_overflow 0
		.amdhsa_workgroup_processor_mode 1
		.amdhsa_memory_ordered 1
		.amdhsa_forward_progress 0
		.amdhsa_shared_vgpr_count 0
		.amdhsa_exception_fp_ieee_invalid_op 0
		.amdhsa_exception_fp_denorm_src 0
		.amdhsa_exception_fp_ieee_div_zero 0
		.amdhsa_exception_fp_ieee_overflow 0
		.amdhsa_exception_fp_ieee_underflow 0
		.amdhsa_exception_fp_ieee_inexact 0
		.amdhsa_exception_int_div_zero 0
	.end_amdhsa_kernel
	.section	.text._ZN2at6native6mbtopk10gatherTopKIN3c108BFloat16EmLi1EEEvNS_4cuda6detail10TensorInfoIKT_T0_EESA_SA_bjSA_NS7_IS8_SA_EESA_NS7_IlSA_EESA_jjPS8_PjSF_j,"axG",@progbits,_ZN2at6native6mbtopk10gatherTopKIN3c108BFloat16EmLi1EEEvNS_4cuda6detail10TensorInfoIKT_T0_EESA_SA_bjSA_NS7_IS8_SA_EESA_NS7_IlSA_EESA_jjPS8_PjSF_j,comdat
.Lfunc_end215:
	.size	_ZN2at6native6mbtopk10gatherTopKIN3c108BFloat16EmLi1EEEvNS_4cuda6detail10TensorInfoIKT_T0_EESA_SA_bjSA_NS7_IS8_SA_EESA_NS7_IlSA_EESA_jjPS8_PjSF_j, .Lfunc_end215-_ZN2at6native6mbtopk10gatherTopKIN3c108BFloat16EmLi1EEEvNS_4cuda6detail10TensorInfoIKT_T0_EESA_SA_bjSA_NS7_IS8_SA_EESA_NS7_IlSA_EESA_jjPS8_PjSF_j
                                        ; -- End function
	.section	.AMDGPU.csdata,"",@progbits
; Kernel info:
; codeLenInByte = 2760
; NumSgprs: 44
; NumVgprs: 25
; ScratchSize: 0
; MemoryBound: 0
; FloatMode: 240
; IeeeMode: 1
; LDSByteSize: 1068 bytes/workgroup (compile time only)
; SGPRBlocks: 5
; VGPRBlocks: 3
; NumSGPRsForWavesPerEU: 44
; NumVGPRsForWavesPerEU: 25
; Occupancy: 16
; WaveLimiterHint : 1
; COMPUTE_PGM_RSRC2:SCRATCH_EN: 0
; COMPUTE_PGM_RSRC2:USER_SGPR: 13
; COMPUTE_PGM_RSRC2:TRAP_HANDLER: 0
; COMPUTE_PGM_RSRC2:TGID_X_EN: 1
; COMPUTE_PGM_RSRC2:TGID_Y_EN: 1
; COMPUTE_PGM_RSRC2:TGID_Z_EN: 1
; COMPUTE_PGM_RSRC2:TIDIG_COMP_CNT: 0
	.section	.text._ZN2at6native6sbtopk10gatherTopKIN3c108BFloat16EmLi1ELb0EEEvNS_4cuda6detail10TensorInfoIKT_T0_EESA_SA_bSA_SA_NS7_IS8_SA_EESA_NS7_IlSA_EESA_PS8_,"axG",@progbits,_ZN2at6native6sbtopk10gatherTopKIN3c108BFloat16EmLi1ELb0EEEvNS_4cuda6detail10TensorInfoIKT_T0_EESA_SA_bSA_SA_NS7_IS8_SA_EESA_NS7_IlSA_EESA_PS8_,comdat
	.protected	_ZN2at6native6sbtopk10gatherTopKIN3c108BFloat16EmLi1ELb0EEEvNS_4cuda6detail10TensorInfoIKT_T0_EESA_SA_bSA_SA_NS7_IS8_SA_EESA_NS7_IlSA_EESA_PS8_ ; -- Begin function _ZN2at6native6sbtopk10gatherTopKIN3c108BFloat16EmLi1ELb0EEEvNS_4cuda6detail10TensorInfoIKT_T0_EESA_SA_bSA_SA_NS7_IS8_SA_EESA_NS7_IlSA_EESA_PS8_
	.globl	_ZN2at6native6sbtopk10gatherTopKIN3c108BFloat16EmLi1ELb0EEEvNS_4cuda6detail10TensorInfoIKT_T0_EESA_SA_bSA_SA_NS7_IS8_SA_EESA_NS7_IlSA_EESA_PS8_
	.p2align	8
	.type	_ZN2at6native6sbtopk10gatherTopKIN3c108BFloat16EmLi1ELb0EEEvNS_4cuda6detail10TensorInfoIKT_T0_EESA_SA_bSA_SA_NS7_IS8_SA_EESA_NS7_IlSA_EESA_PS8_,@function
_ZN2at6native6sbtopk10gatherTopKIN3c108BFloat16EmLi1ELb0EEEvNS_4cuda6detail10TensorInfoIKT_T0_EESA_SA_bSA_SA_NS7_IS8_SA_EESA_NS7_IlSA_EESA_PS8_: ; @_ZN2at6native6sbtopk10gatherTopKIN3c108BFloat16EmLi1ELb0EEEvNS_4cuda6detail10TensorInfoIKT_T0_EESA_SA_bSA_SA_NS7_IS8_SA_EESA_NS7_IlSA_EESA_PS8_
; %bb.0:
	s_clause 0x1
	s_load_b64 s[10:11], s[0:1], 0x520
	s_load_b128 s[36:39], s[0:1], 0x1b8
	s_add_u32 s8, s0, 0x520
	s_addc_u32 s9, s1, 0
	s_mov_b32 s43, 0
	s_waitcnt lgkmcnt(0)
	s_mul_i32 s2, s11, s15
	s_delay_alu instid0(SALU_CYCLE_1) | instskip(NEXT) | instid1(SALU_CYCLE_1)
	s_add_i32 s2, s2, s14
	s_mul_i32 s2, s2, s10
	s_delay_alu instid0(SALU_CYCLE_1) | instskip(NEXT) | instid1(SALU_CYCLE_1)
	s_add_i32 s42, s2, s13
	v_cmp_ge_u64_e64 s2, s[42:43], s[36:37]
	s_delay_alu instid0(VALU_DEP_1)
	s_and_b32 vcc_lo, exec_lo, s2
	s_cbranch_vccnz .LBB216_539
; %bb.1:
	s_clause 0x1
	s_load_b64 s[46:47], s[0:1], 0x440
	s_load_b64 s[2:3], s[0:1], 0x370
                                        ; implicit-def: $vgpr45 : SGPR spill to VGPR lane
	v_cmp_eq_u32_e64 s5, 0, v0
	s_waitcnt lgkmcnt(0)
	v_writelane_b32 v45, s2, 0
	v_writelane_b32 v45, s3, 1
	s_clause 0x2
	s_load_b64 s[50:51], s[0:1], 0x298
	s_load_b128 s[28:31], s[0:1], 0x1a0
	s_load_b64 s[2:3], s[0:1], 0x1c8
	s_waitcnt lgkmcnt(0)
	v_writelane_b32 v45, s2, 2
	v_writelane_b32 v45, s3, 3
	s_clause 0x1
	s_load_b64 s[2:3], s[0:1], 0xd0
	s_load_b64 s[36:37], s[0:1], 0x0
	s_and_saveexec_b32 s4, s5
	s_cbranch_execz .LBB216_3
; %bb.2:
	v_dual_mov_b32 v1, 0 :: v_dual_mov_b32 v4, s29
	s_delay_alu instid0(VALU_DEP_1)
	v_dual_mov_b32 v3, s28 :: v_dual_mov_b32 v2, v1
	ds_store_b32 v1, v1 offset:5144
	ds_store_b128 v1, v[1:4] offset:5120
.LBB216_3:
	s_or_b32 exec_lo, exec_lo, s4
	v_mad_u64_u32 v[2:3], null, v0, s38, 0
	s_load_b32 s6, s[0:1], 0x1b0
	s_waitcnt lgkmcnt(0)
	s_mul_i32 s3, s3, s42
	s_mul_hi_u32 s4, s2, s42
	v_mbcnt_lo_u32_b32 v30, -1, 0
	s_mul_i32 s2, s2, s42
	s_add_i32 s3, s4, s3
	v_dual_mov_b32 v1, v3 :: v_dual_lshlrev_b32 v14, 2, v0
	s_lshl_b64 s[40:41], s[2:3], 1
	v_cmp_gt_u32_e32 vcc_lo, 32, v0
	v_cmp_gt_i32_e64 s3, 4, v30
	s_delay_alu instid0(VALU_DEP_3)
	v_mad_u64_u32 v[3:4], null, v0, s39, v[1:2]
	s_add_u32 s54, s36, s40
	s_addc_u32 s55, s37, s41
	s_barrier
	buffer_gl0_inv
	s_load_b32 s7, s[8:9], 0xc
	v_lshlrev_b64 v[4:5], 1, v[2:3]
	s_bitcmp1_b32 s6, 0
	v_cmp_lt_u64_e64 s43, 0x600, s[28:29]
	s_cselect_b32 s4, -1, 0
	s_and_b32 s74, vcc_lo, s3
	s_xor_b32 s75, s4, -1
	v_add_co_u32 v10, vcc_lo, s54, v4
	v_lshrrev_b32_e32 v4, 3, v0
	v_mov_b32_e32 v13, 0
	v_add_co_ci_u32_e32 v11, vcc_lo, s55, v5, vcc_lo
	v_lshlrev_b32_e32 v34, 3, v0
	s_delay_alu instid0(VALU_DEP_3) | instskip(SKIP_2) | instid1(VALU_DEP_4)
	v_dual_mov_b32 v1, v13 :: v_dual_and_b32 v32, 0x7c, v4
	v_lshlrev_b64 v[4:5], v30, -1
	v_mov_b32_e32 v23, s30
	v_or_b32_e32 v9, 6, v34
	v_or_b32_e32 v12, 4, v34
	;; [unrolled: 1-line block ×3, first 2 shown]
	s_waitcnt lgkmcnt(0)
	s_and_b32 s33, s7, 0xffff
	v_not_b32_e32 v29, v4
	v_mad_u64_u32 v[16:17], null, s38, v9, 0
	v_mad_u64_u32 v[18:19], null, s38, v12, 0
	v_lshlrev_b32_e32 v31, 1, v0
	v_mad_u64_u32 v[20:21], null, s38, v22, 0
	s_bfe_u32 s11, s7, 0xb0005
	s_delay_alu instid0(VALU_DEP_4) | instskip(NEXT) | instid1(VALU_DEP_4)
	v_mov_b32_e32 v4, v17
	v_dual_mov_b32 v40, 0 :: v_dual_mov_b32 v5, v19
	s_add_u32 s76, s33, -1
	s_addc_u32 s77, 0, -1
	s_delay_alu instid0(VALU_DEP_3) | instskip(NEXT) | instid1(VALU_DEP_2)
	v_dual_mov_b32 v6, v21 :: v_dual_add_nc_u32 v33, 0xc00, v31
	v_mad_u64_u32 v[7:8], null, s39, v9, v[4:5]
	s_add_u32 s78, s76, s28
	s_addc_u32 s27, s77, s29
	s_cmp_lt_u32 s13, s10
	v_mad_u64_u32 v[8:9], null, s39, v12, v[5:6]
	s_cselect_b32 s10, 12, 18
	s_delay_alu instid0(VALU_DEP_2)
	v_mad_u64_u32 v[4:5], null, s39, v22, v[6:7]
	s_add_u32 s56, s8, s10
	s_addc_u32 s57, s9, 0
	s_add_i32 s8, s11, -1
	s_bfe_u32 s79, s33, 0x30005
	s_cmp_gt_u32 s8, 6
	v_cmp_gt_u64_e64 s3, s[28:29], v[0:1]
	s_cselect_b32 s80, -1, 0
	s_and_b32 s81, s11, 0x7f8
	s_cmp_lg_u32 s79, 0
	v_cmp_gt_u16_e64 s82, s7, 31
	v_lshlrev_b64 v[21:22], 3, v[2:3]
	s_mul_i32 s7, s39, s33
	s_mul_hi_u32 s8, s38, s33
	v_cmp_eq_u32_e64 s2, 0, v30
	v_dual_mov_b32 v15, v13 :: v_dual_mov_b32 v24, s31
	v_cmp_gt_u32_e64 s6, 2, v0
	v_dual_mov_b32 v17, v7 :: v_dual_mov_b32 v38, 0
	v_mov_b32_e32 v19, v8
	v_mov_b32_e32 v35, v4
	v_lshl_or_b32 v36, v30, 3, 0xc00
	v_mov_b32_e32 v37, 0x8000
	v_mov_b32_e32 v39, 0
	s_cselect_b32 s83, -1, 0
	s_add_i32 s9, s8, s7
	s_mul_i32 s8, s38, s33
	s_mov_b32 s53, 0
	s_lshl_b64 s[58:59], s[38:39], 1
	s_lshl_b64 s[60:61], s[38:39], 3
	s_lshl_b32 s84, s33, 1
	s_lshl_b64 s[34:35], s[8:9], 1
	s_mov_b32 s85, 14
	s_movk_i32 s87, 0x3f80
	s_mov_b32 s86, 0
	s_mov_b32 s89, 0
                                        ; implicit-def: $sgpr88
                                        ; implicit-def: $sgpr92
                                        ; implicit-def: $sgpr91
                                        ; implicit-def: $sgpr93
                                        ; implicit-def: $sgpr90
                                        ; implicit-def: $sgpr94
                                        ; implicit-def: $sgpr96
                                        ; implicit-def: $sgpr95
                                        ; implicit-def: $sgpr97
                                        ; implicit-def: $sgpr98
	s_branch .LBB216_6
.LBB216_4:                              ;   in Loop: Header=BB216_6 Depth=1
	s_or_b32 exec_lo, exec_lo, s10
	v_dual_mov_b32 v38, v26 :: v_dual_mov_b32 v39, v25
	v_dual_mov_b32 v24, v3 :: v_dual_mov_b32 v23, v2
	v_mov_b32_e32 v40, v6
	s_and_not1_b32 s10, s98, exec_lo
	s_and_b32 s9, s9, exec_lo
	s_and_not1_b32 s97, s97, exec_lo
	s_or_b32 s98, s10, s9
	s_and_not1_b32 s95, s95, exec_lo
	s_and_not1_b32 s96, s96, exec_lo
	s_and_not1_b32 s94, s94, exec_lo
	s_or_not1_b32 s8, s8, exec_lo
.LBB216_5:                              ;   in Loop: Header=BB216_6 Depth=1
	s_or_b32 exec_lo, exec_lo, s7
	s_delay_alu instid0(SALU_CYCLE_1) | instskip(NEXT) | instid1(SALU_CYCLE_1)
	s_and_b32 s7, exec_lo, s8
	s_or_b32 s86, s7, s86
	s_and_not1_b32 s7, s90, exec_lo
	s_and_b32 s8, s98, exec_lo
	s_and_not1_b32 s9, s93, exec_lo
	s_or_b32 s90, s7, s8
	s_and_b32 s7, s97, exec_lo
	s_and_not1_b32 s8, s91, exec_lo
	s_and_b32 s10, s95, exec_lo
	s_or_b32 s93, s9, s7
	s_or_b32 s91, s8, s10
	s_and_not1_b32 s7, s92, exec_lo
	s_and_b32 s8, s96, exec_lo
	s_and_not1_b32 s9, s88, exec_lo
	s_and_b32 s10, s94, exec_lo
	s_or_b32 s92, s7, s8
	s_or_b32 s88, s9, s10
	s_and_not1_b32 exec_lo, exec_lo, s86
	s_cbranch_execz .LBB216_475
.LBB216_6:                              ; =>This Loop Header: Depth=1
                                        ;     Child Loop BB216_11 Depth 2
                                        ;     Child Loop BB216_29 Depth 2
	;; [unrolled: 1-line block ×24, first 2 shown]
	ds_load_b128 v[2:5], v13 offset:5120
	s_waitcnt lgkmcnt(0)
	v_readfirstlane_b32 s63, v3
	v_readfirstlane_b32 s62, v2
	s_delay_alu instid0(VALU_DEP_1)
	s_cmp_lg_u64 s[62:63], 0
	s_cbranch_scc1 .LBB216_36
; %bb.7:                                ;   in Loop: Header=BB216_6 Depth=1
	s_and_b32 vcc_lo, exec_lo, s43
	s_cbranch_vccz .LBB216_19
; %bb.8:                                ;   in Loop: Header=BB216_6 Depth=1
	v_cmp_gt_u64_e32 vcc_lo, 0x601, v[4:5]
	s_mov_b32 s9, 0
	s_mov_b32 s7, 0
	s_cbranch_vccz .LBB216_20
; %bb.9:                                ;   in Loop: Header=BB216_6 Depth=1
	global_load_u16 v6, v13, s[56:57]
	global_load_u16 v7, v[10:11], off
	s_mov_b32 s11, 0
	s_waitcnt vmcnt(1)
	v_readfirstlane_b32 s7, v6
	v_and_b32_e32 v6, 0xffff, v6
	s_delay_alu instid0(VALU_DEP_2) | instskip(NEXT) | instid1(SALU_CYCLE_1)
	s_and_b32 s7, 0xffff, s7
	v_add_nc_u32_e32 v8, s7, v0
	s_mul_i32 s8, s59, s7
	s_mul_hi_u32 s10, s58, s7
	s_mul_i32 s12, s58, s7
	s_add_i32 s10, s10, s8
	v_mad_u64_u32 v[2:3], null, s58, v8, s[54:55]
	s_delay_alu instid0(VALU_DEP_1) | instskip(NEXT) | instid1(VALU_DEP_1)
	v_mad_u64_u32 v[4:5], null, s59, v8, v[3:4]
	v_mov_b32_e32 v3, v4
	v_dual_mov_b32 v5, v1 :: v_dual_mov_b32 v4, v0
	s_branch .LBB216_11
.LBB216_10:                             ;   in Loop: Header=BB216_11 Depth=2
	s_or_b32 exec_lo, exec_lo, s8
	v_add_co_u32 v2, vcc_lo, v2, s12
	v_add_co_ci_u32_e32 v3, vcc_lo, s10, v3, vcc_lo
	v_mov_b32_e32 v7, v8
	s_and_not1_b32 exec_lo, exec_lo, s11
	s_cbranch_execz .LBB216_21
.LBB216_11:                             ;   Parent Loop BB216_6 Depth=1
                                        ; =>  This Inner Loop Header: Depth=2
	s_delay_alu instid0(VALU_DEP_1) | instskip(NEXT) | instid1(VALU_DEP_2)
	v_add_co_u32 v4, vcc_lo, v4, v6
	v_add_co_ci_u32_e32 v5, vcc_lo, 0, v5, vcc_lo
	s_waitcnt lgkmcnt(0)
	v_dual_mov_b32 v9, 0 :: v_dual_mov_b32 v8, 0
	s_mov_b32 s8, exec_lo
	s_delay_alu instid0(VALU_DEP_2)
	v_cmp_le_u64_e32 vcc_lo, s[28:29], v[4:5]
	v_cmpx_gt_u64_e64 s[28:29], v[4:5]
	s_cbranch_execz .LBB216_13
; %bb.12:                               ;   in Loop: Header=BB216_11 Depth=2
	global_load_u16 v8, v[2:3], off
.LBB216_13:                             ;   in Loop: Header=BB216_11 Depth=2
	s_or_b32 exec_lo, exec_lo, s8
	s_waitcnt vmcnt(0)
	v_cmp_lt_i16_e64 s7, -1, v7
	v_and_b32_e32 v12, 0xffff, v7
	v_lshlrev_b32_e32 v26, 16, v7
	s_delay_alu instid0(VALU_DEP_3) | instskip(NEXT) | instid1(VALU_DEP_2)
	v_cndmask_b32_e64 v25, 0xffff, v37, s7
	v_cmp_o_f32_e64 s7, v26, v26
	s_delay_alu instid0(VALU_DEP_2) | instskip(NEXT) | instid1(VALU_DEP_1)
	v_xor_b32_e32 v12, v25, v12
	v_cndmask_b32_e64 v12, 0xffff, v12, s7
	s_delay_alu instid0(VALU_DEP_1) | instskip(NEXT) | instid1(VALU_DEP_1)
	v_and_b32_e32 v12, v12, v38
	v_cmp_eq_u32_e64 s7, v12, v39
	s_delay_alu instid0(VALU_DEP_1) | instskip(SKIP_1) | instid1(SALU_CYCLE_1)
	s_cmp_lg_u32 s7, 0
	s_cselect_b32 s8, -1, 0
	s_and_b32 s8, s2, s8
	s_delay_alu instid0(SALU_CYCLE_1)
	s_and_saveexec_b32 s13, s8
	s_cbranch_execz .LBB216_17
; %bb.14:                               ;   in Loop: Header=BB216_11 Depth=2
	s_mov_b32 s16, exec_lo
	s_bcnt1_i32_b32 s14, s7
	v_mbcnt_lo_u32_b32 v9, s16, 0
	s_mov_b32 s15, exec_lo
                                        ; implicit-def: $vgpr12
	s_delay_alu instid0(VALU_DEP_1)
	v_cmpx_eq_u32_e32 0, v9
	s_cbranch_execz .LBB216_16
; %bb.15:                               ;   in Loop: Header=BB216_11 Depth=2
	s_bcnt1_i32_b32 s8, s16
	s_delay_alu instid0(SALU_CYCLE_1) | instskip(NEXT) | instid1(SALU_CYCLE_1)
	s_mul_i32 s8, s14, s8
	v_mov_b32_e32 v12, s8
	ds_add_rtn_u32 v12, v13, v12 offset:5144
.LBB216_16:                             ;   in Loop: Header=BB216_11 Depth=2
	s_or_b32 exec_lo, exec_lo, s15
	s_waitcnt lgkmcnt(0)
	v_readfirstlane_b32 s8, v12
	s_delay_alu instid0(VALU_DEP_1)
	v_mad_u32_u24 v9, s14, v9, s8
.LBB216_17:                             ;   in Loop: Header=BB216_11 Depth=2
	s_or_b32 exec_lo, exec_lo, s13
	ds_bpermute_b32 v9, v13, v9
	s_and_b32 s8, exec_lo, vcc_lo
	s_delay_alu instid0(SALU_CYCLE_1)
	s_or_b32 s11, s8, s11
	s_and_saveexec_b32 s8, s7
	s_cbranch_execz .LBB216_10
; %bb.18:                               ;   in Loop: Header=BB216_11 Depth=2
	v_and_b32_e32 v12, s7, v29
	s_delay_alu instid0(VALU_DEP_1) | instskip(NEXT) | instid1(VALU_DEP_1)
	v_bcnt_u32_b32 v12, v12, 0
	v_lshlrev_b32_e32 v12, 1, v12
	s_waitcnt lgkmcnt(0)
	s_delay_alu instid0(VALU_DEP_1)
	v_lshl_add_u32 v9, v9, 1, v12
	ds_store_b16 v9, v7
	s_branch .LBB216_10
.LBB216_19:                             ;   in Loop: Header=BB216_6 Depth=1
	s_mov_b32 s7, 0
                                        ; implicit-def: $sgpr62_sgpr63
	s_cbranch_execnz .LBB216_24
	s_branch .LBB216_34
.LBB216_20:                             ;   in Loop: Header=BB216_6 Depth=1
	s_mov_b64 s[62:63], 0
	s_and_b32 vcc_lo, exec_lo, s9
	s_cbranch_vccnz .LBB216_24
	s_branch .LBB216_34
.LBB216_21:                             ;   in Loop: Header=BB216_6 Depth=1
	s_or_b32 exec_lo, exec_lo, s11
	s_waitcnt lgkmcnt(0)
	s_barrier
	buffer_gl0_inv
	s_and_saveexec_b32 s7, s5
	s_cbranch_execz .LBB216_23
; %bb.22:                               ;   in Loop: Header=BB216_6 Depth=1
	ds_load_b32 v2, v13 offset:5144
	s_waitcnt lgkmcnt(0)
	v_ashrrev_i32_e32 v3, 31, v2
	ds_store_b64 v13, v[2:3] offset:5120
.LBB216_23:                             ;   in Loop: Header=BB216_6 Depth=1
	s_or_b32 exec_lo, exec_lo, s7
	s_waitcnt lgkmcnt(0)
	s_mov_b32 s7, -1
	s_barrier
	s_mov_b64 s[62:63], 0
	s_and_b32 vcc_lo, exec_lo, s9
	s_cbranch_vccz .LBB216_34
.LBB216_24:                             ;   in Loop: Header=BB216_6 Depth=1
	v_mov_b32_e32 v6, 0
	s_and_saveexec_b32 s7, s3
	s_cbranch_execz .LBB216_26
; %bb.25:                               ;   in Loop: Header=BB216_6 Depth=1
	global_load_u16 v6, v[10:11], off
.LBB216_26:                             ;   in Loop: Header=BB216_6 Depth=1
	s_or_b32 exec_lo, exec_lo, s7
	s_and_saveexec_b32 s8, s3
	s_cbranch_execz .LBB216_31
; %bb.27:                               ;   in Loop: Header=BB216_6 Depth=1
	global_load_u16 v8, v13, s[56:57]
	s_mov_b32 s12, 0
	s_waitcnt vmcnt(0)
	v_readfirstlane_b32 s7, v8
	v_and_b32_e32 v8, 0xffff, v8
	s_delay_alu instid0(VALU_DEP_2) | instskip(NEXT) | instid1(SALU_CYCLE_1)
	s_and_b32 s7, 0xffff, s7
	v_add_nc_u32_e32 v7, s7, v0
	s_mul_i32 s10, s59, s7
	s_mul_hi_u32 s11, s58, s7
	s_lshl_b32 s9, s7, 1
	s_add_i32 s10, s11, s10
	v_mad_u64_u32 v[2:3], null, s58, v7, s[54:55]
	s_mul_i32 s11, s58, s7
	s_delay_alu instid0(VALU_DEP_1) | instskip(SKIP_1) | instid1(VALU_DEP_2)
	v_mad_u64_u32 v[4:5], null, s59, v7, v[3:4]
	v_mov_b32_e32 v7, v31
	v_mov_b32_e32 v3, v4
	v_dual_mov_b32 v5, v1 :: v_dual_mov_b32 v4, v0
	s_branch .LBB216_29
	.p2align	6
.LBB216_28:                             ;   in Loop: Header=BB216_29 Depth=2
	s_or_b32 exec_lo, exec_lo, s13
	s_delay_alu instid0(SALU_CYCLE_1)
	s_and_b32 s7, exec_lo, vcc_lo
	v_add_co_u32 v2, vcc_lo, v2, s11
	ds_store_b16 v7, v6
	s_waitcnt vmcnt(0)
	v_dual_mov_b32 v6, v9 :: v_dual_add_nc_u32 v7, s9, v7
	v_add_co_ci_u32_e32 v3, vcc_lo, s10, v3, vcc_lo
	s_or_b32 s12, s7, s12
	s_delay_alu instid0(SALU_CYCLE_1)
	s_and_not1_b32 exec_lo, exec_lo, s12
	s_cbranch_execz .LBB216_31
.LBB216_29:                             ;   Parent Loop BB216_6 Depth=1
                                        ; =>  This Inner Loop Header: Depth=2
	s_delay_alu instid0(VALU_DEP_1) | instskip(NEXT) | instid1(VALU_DEP_2)
	v_add_co_u32 v4, vcc_lo, v4, v8
	v_add_co_ci_u32_e32 v5, vcc_lo, 0, v5, vcc_lo
	v_mov_b32_e32 v9, 0
	s_mov_b32 s13, exec_lo
	s_delay_alu instid0(VALU_DEP_2)
	v_cmp_le_u64_e32 vcc_lo, s[28:29], v[4:5]
	v_cmpx_gt_u64_e64 s[28:29], v[4:5]
	s_cbranch_execz .LBB216_28
; %bb.30:                               ;   in Loop: Header=BB216_29 Depth=2
	global_load_u16 v9, v[2:3], off
	s_branch .LBB216_28
.LBB216_31:                             ;   in Loop: Header=BB216_6 Depth=1
	s_or_b32 exec_lo, exec_lo, s8
	s_waitcnt vmcnt(0) lgkmcnt(0)
	s_barrier
	buffer_gl0_inv
	s_and_saveexec_b32 s7, s5
	s_cbranch_execz .LBB216_33
; %bb.32:                               ;   in Loop: Header=BB216_6 Depth=1
	v_dual_mov_b32 v2, s28 :: v_dual_mov_b32 v3, s29
	ds_store_b64 v13, v[2:3] offset:5120
.LBB216_33:                             ;   in Loop: Header=BB216_6 Depth=1
	s_or_b32 exec_lo, exec_lo, s7
	s_mov_b32 s7, -1
	s_waitcnt lgkmcnt(0)
	s_barrier
                                        ; implicit-def: $sgpr62_sgpr63
.LBB216_34:                             ;   in Loop: Header=BB216_6 Depth=1
	s_and_b32 vcc_lo, exec_lo, s7
	s_cbranch_vccz .LBB216_36
; %bb.35:                               ;   in Loop: Header=BB216_6 Depth=1
	buffer_gl0_inv
	ds_load_b64 v[2:3], v13 offset:5120
	s_waitcnt lgkmcnt(0)
	v_readfirstlane_b32 s62, v2
.LBB216_36:                             ;   in Loop: Header=BB216_6 Depth=1
	s_delay_alu instid0(VALU_DEP_1)
	s_cmp_lt_i32 s62, 1
	s_cbranch_scc0 .LBB216_51
; %bb.37:                               ;   in Loop: Header=BB216_6 Depth=1
	global_load_u16 v2, v13, s[56:57]
	s_mov_b32 s8, s53
	s_mov_b32 s9, s29
	s_waitcnt vmcnt(0)
	v_readfirstlane_b32 s7, v2
	s_delay_alu instid0(VALU_DEP_1) | instskip(NEXT) | instid1(SALU_CYCLE_1)
	s_and_b32 s52, s7, 0xffff
	s_lshl_b32 s63, s52, 2
	s_cmp_lg_u64 s[8:9], 0
	s_cbranch_scc0 .LBB216_71
; %bb.38:                               ;   in Loop: Header=BB216_6 Depth=1
	v_cvt_f32_u32_e32 v2, s63
	s_sub_u32 s9, 0, s63
	s_subb_u32 s10, 0, 0
	s_delay_alu instid0(VALU_DEP_1) | instskip(NEXT) | instid1(VALU_DEP_1)
	v_fmac_f32_e64 v2, 0, 0x4f800000
	v_rcp_f32_e32 v2, v2
	s_waitcnt_depctr 0xfff
	v_mul_f32_e32 v2, 0x5f7ffffc, v2
	s_delay_alu instid0(VALU_DEP_1) | instskip(NEXT) | instid1(VALU_DEP_1)
	v_mul_f32_e32 v3, 0x2f800000, v2
	v_trunc_f32_e32 v3, v3
	s_delay_alu instid0(VALU_DEP_1) | instskip(SKIP_1) | instid1(VALU_DEP_2)
	v_fmac_f32_e32 v2, 0xcf800000, v3
	v_cvt_u32_f32_e32 v3, v3
	v_cvt_u32_f32_e32 v2, v2
	s_delay_alu instid0(VALU_DEP_2) | instskip(NEXT) | instid1(VALU_DEP_2)
	v_readfirstlane_b32 s7, v3
	v_readfirstlane_b32 s8, v2
	s_delay_alu instid0(VALU_DEP_2) | instskip(NEXT) | instid1(VALU_DEP_1)
	s_mul_i32 s11, s9, s7
	s_mul_hi_u32 s13, s9, s8
	s_mul_i32 s12, s10, s8
	s_add_i32 s11, s13, s11
	s_mul_i32 s14, s9, s8
	s_add_i32 s11, s11, s12
	s_mul_hi_u32 s13, s8, s14
	s_mul_hi_u32 s15, s7, s14
	s_mul_i32 s12, s7, s14
	s_mul_hi_u32 s14, s8, s11
	s_mul_i32 s8, s8, s11
	s_mul_hi_u32 s16, s7, s11
	s_add_u32 s8, s13, s8
	s_addc_u32 s13, 0, s14
	s_add_u32 s8, s8, s12
	s_mul_i32 s11, s7, s11
	s_addc_u32 s8, s13, s15
	s_addc_u32 s12, s16, 0
	s_add_u32 s8, s8, s11
	s_addc_u32 s11, 0, s12
	v_add_co_u32 v2, s8, v2, s8
	s_delay_alu instid0(VALU_DEP_1) | instskip(SKIP_1) | instid1(VALU_DEP_1)
	s_cmp_lg_u32 s8, 0
	s_addc_u32 s7, s7, s11
	v_readfirstlane_b32 s8, v2
	s_mul_i32 s11, s9, s7
	s_delay_alu instid0(VALU_DEP_1)
	s_mul_hi_u32 s12, s9, s8
	s_mul_i32 s10, s10, s8
	s_add_i32 s11, s12, s11
	s_mul_i32 s9, s9, s8
	s_add_i32 s11, s11, s10
	s_mul_hi_u32 s12, s7, s9
	s_mul_i32 s13, s7, s9
	s_mul_hi_u32 s9, s8, s9
	s_mul_hi_u32 s14, s8, s11
	s_mul_i32 s8, s8, s11
	s_mul_hi_u32 s10, s7, s11
	s_add_u32 s8, s9, s8
	s_addc_u32 s9, 0, s14
	s_add_u32 s8, s8, s13
	s_mul_i32 s11, s7, s11
	s_addc_u32 s8, s9, s12
	s_addc_u32 s9, s10, 0
	s_add_u32 s8, s8, s11
	s_addc_u32 s9, 0, s9
	v_add_co_u32 v2, s8, v2, s8
	s_delay_alu instid0(VALU_DEP_1) | instskip(SKIP_1) | instid1(VALU_DEP_1)
	s_cmp_lg_u32 s8, 0
	s_addc_u32 s7, s7, s9
	v_readfirstlane_b32 s8, v2
	s_mul_i32 s10, s28, s7
	s_mul_hi_u32 s9, s28, s7
	s_mul_hi_u32 s11, s29, s7
	s_mul_i32 s7, s29, s7
	s_mul_hi_u32 s12, s28, s8
	s_mul_hi_u32 s13, s29, s8
	s_mul_i32 s8, s29, s8
	s_add_u32 s10, s12, s10
	s_addc_u32 s9, 0, s9
	s_add_u32 s8, s10, s8
	s_addc_u32 s8, s9, s13
	s_addc_u32 s9, s11, 0
	s_add_u32 s7, s8, s7
	s_addc_u32 s8, 0, s9
	s_mul_hi_u32 s9, s63, s7
	s_mul_i32 s7, s63, s7
	s_mul_i32 s8, s63, s8
	v_sub_co_u32 v2, s7, s28, s7
	s_add_i32 s9, s9, s8
	s_cmp_lg_u32 s7, 0
	s_delay_alu instid0(VALU_DEP_1) | instskip(SKIP_2) | instid1(VALU_DEP_1)
	v_sub_co_u32 v3, s7, v2, s63
	s_subb_u32 s8, s29, s9
	s_cmp_lg_u32 s7, 0
	v_cmp_le_u32_e32 vcc_lo, s63, v3
	v_sub_co_u32 v4, s7, v3, s63
	s_subb_u32 s9, s8, 0
	s_cmp_lg_u32 s7, 0
	v_cndmask_b32_e64 v5, 0, -1, vcc_lo
	s_subb_u32 s7, s9, 0
	s_cmp_eq_u32 s9, 0
	v_mov_b32_e32 v7, s7
	s_cselect_b32 vcc_lo, -1, 0
	s_cmp_eq_u32 s8, 0
	v_cndmask_b32_e32 v5, -1, v5, vcc_lo
	v_cmp_le_u32_e32 vcc_lo, s63, v2
	s_cselect_b32 s7, -1, 0
	v_cndmask_b32_e64 v6, 0, -1, vcc_lo
	s_delay_alu instid0(VALU_DEP_3) | instskip(NEXT) | instid1(VALU_DEP_2)
	v_cmp_ne_u32_e32 vcc_lo, 0, v5
	v_cndmask_b32_e64 v5, -1, v6, s7
	v_cndmask_b32_e32 v6, s9, v7, vcc_lo
	v_cndmask_b32_e32 v4, v3, v4, vcc_lo
	s_delay_alu instid0(VALU_DEP_3) | instskip(NEXT) | instid1(VALU_DEP_3)
	v_cmp_ne_u32_e32 vcc_lo, 0, v5
	v_cndmask_b32_e32 v3, s8, v6, vcc_lo
	s_delay_alu instid0(VALU_DEP_3)
	v_cndmask_b32_e32 v2, v2, v4, vcc_lo
	s_cbranch_execnz .LBB216_40
.LBB216_39:                             ;   in Loop: Header=BB216_6 Depth=1
	v_cvt_f32_u32_e32 v2, s63
	s_sub_i32 s7, 0, s63
	s_delay_alu instid0(VALU_DEP_1) | instskip(SKIP_2) | instid1(VALU_DEP_1)
	v_rcp_iflag_f32_e32 v2, v2
	s_waitcnt_depctr 0xfff
	v_mul_f32_e32 v2, 0x4f7ffffe, v2
	v_cvt_u32_f32_e32 v2, v2
	s_delay_alu instid0(VALU_DEP_1) | instskip(NEXT) | instid1(VALU_DEP_1)
	v_mul_lo_u32 v3, s7, v2
	v_mul_hi_u32 v3, v2, v3
	s_delay_alu instid0(VALU_DEP_1) | instskip(NEXT) | instid1(VALU_DEP_1)
	v_add_nc_u32_e32 v2, v2, v3
	v_mul_hi_u32 v2, s28, v2
	s_delay_alu instid0(VALU_DEP_1) | instskip(NEXT) | instid1(VALU_DEP_1)
	v_mul_lo_u32 v2, v2, s63
	v_sub_nc_u32_e32 v2, s28, v2
	s_delay_alu instid0(VALU_DEP_1) | instskip(SKIP_1) | instid1(VALU_DEP_2)
	v_subrev_nc_u32_e32 v3, s63, v2
	v_cmp_le_u32_e32 vcc_lo, s63, v2
	v_cndmask_b32_e32 v2, v2, v3, vcc_lo
	s_delay_alu instid0(VALU_DEP_1) | instskip(SKIP_1) | instid1(VALU_DEP_2)
	v_subrev_nc_u32_e32 v3, s63, v2
	v_cmp_le_u32_e32 vcc_lo, s63, v2
	v_cndmask_b32_e32 v12, v2, v3, vcc_lo
	s_delay_alu instid0(VALU_DEP_1)
	v_dual_mov_b32 v2, v12 :: v_dual_mov_b32 v3, v13
.LBB216_40:                             ;   in Loop: Header=BB216_6 Depth=1
	s_delay_alu instid0(VALU_DEP_1) | instskip(NEXT) | instid1(VALU_DEP_2)
	v_sub_co_u32 v25, vcc_lo, s28, v2
	v_sub_co_ci_u32_e32 v26, vcc_lo, s29, v3, vcc_lo
	v_mov_b32_e32 v2, 0
	v_mov_b32_e32 v3, 0
	s_mov_b64 s[64:65], 0
	s_mov_b32 s99, exec_lo
	s_delay_alu instid0(VALU_DEP_1)
	v_dual_mov_b32 v5, v3 :: v_dual_mov_b32 v4, v2
	v_dual_mov_b32 v7, v3 :: v_dual_mov_b32 v6, v2
	;; [unrolled: 1-line block ×3, first 2 shown]
	v_cmpx_gt_u64_e64 v[25:26], v[14:15]
	s_cbranch_execz .LBB216_44
; %bb.41:                               ;   in Loop: Header=BB216_6 Depth=1
	v_dual_mov_b32 v28, v15 :: v_dual_mov_b32 v27, v14
	s_mul_i32 s7, s61, s52
	s_mul_hi_u32 s8, s60, s52
	s_and_b32 s100, s85, 0xfe
	s_add_i32 s101, s8, s7
	s_mul_i32 s102, s60, s52
	s_mov_b32 s103, 0
	s_mov_b64 s[66:67], s[54:55]
	s_mov_b64 s[68:69], 0
	s_mov_b64 s[70:71], 0
	s_mov_b64 s[72:73], 0
.LBB216_42:                             ;   Parent Loop BB216_6 Depth=1
                                        ; =>  This Inner Loop Header: Depth=2
	v_add_co_u32 v2, vcc_lo, s66, v21
	v_add_co_ci_u32_e32 v3, vcc_lo, s67, v22, vcc_lo
	v_add_co_u32 v4, vcc_lo, s66, v20
	v_add_co_ci_u32_e32 v5, vcc_lo, s67, v35, vcc_lo
	;; [unrolled: 2-line block ×4, first 2 shown]
	s_clause 0x3
	global_load_u16 v2, v[2:3], off
	global_load_u16 v3, v[4:5], off
	;; [unrolled: 1-line block ×4, first 2 shown]
	v_add_co_u32 v27, vcc_lo, v27, s63
	v_add_co_ci_u32_e32 v28, vcc_lo, 0, v28, vcc_lo
	s_delay_alu instid0(VALU_DEP_1)
	v_cmp_ge_u64_e32 vcc_lo, v[27:28], v[25:26]
	s_waitcnt vmcnt(3)
	v_cmp_lt_i16_e64 s7, -1, v2
	v_and_b32_e32 v6, 0xffff, v2
	v_lshlrev_b32_e32 v2, 16, v2
	s_waitcnt vmcnt(2)
	v_and_b32_e32 v8, 0xffff, v3
	s_waitcnt vmcnt(1)
	v_and_b32_e32 v12, 0xffff, v4
	v_cndmask_b32_e64 v7, 0xffff, v37, s7
	v_cmp_lt_i16_e64 s7, -1, v3
	v_lshlrev_b32_e32 v3, 16, v3
	v_cmp_o_f32_e64 s10, v2, v2
	s_waitcnt vmcnt(0)
	v_and_b32_e32 v42, 0xffff, v5
	v_xor_b32_e32 v6, v7, v6
	v_cndmask_b32_e64 v9, 0xffff, v37, s7
	v_cmp_lt_i16_e64 s7, -1, v4
	v_lshlrev_b32_e32 v4, 16, v4
	s_delay_alu instid0(VALU_DEP_4) | instskip(NEXT) | instid1(VALU_DEP_4)
	v_cndmask_b32_e64 v2, 0xffff, v6, s10
	v_xor_b32_e32 v7, v9, v8
	s_delay_alu instid0(VALU_DEP_4)
	v_cndmask_b32_e64 v41, 0xffff, v37, s7
	v_cmp_lt_i16_e64 s7, -1, v5
	v_lshlrev_b32_e32 v5, 16, v5
	v_cmp_o_f32_e64 s8, v4, v4
	v_and_b32_e32 v6, v2, v38
	v_bfe_u32 v2, v2, s100, 2
	v_cndmask_b32_e64 v43, 0xffff, v37, s7
	v_cmp_o_f32_e64 s7, v3, v3
	v_xor_b32_e32 v3, v41, v12
	v_cmp_o_f32_e64 s9, v5, v5
	v_cmp_eq_u32_e64 s11, 0, v2
	v_xor_b32_e32 v4, v43, v42
	v_cndmask_b32_e64 v5, 0xffff, v7, s7
	v_cndmask_b32_e64 v3, 0xffff, v3, s8
	v_cmp_eq_u32_e64 s7, v6, v39
	v_cmp_eq_u32_e64 s15, 1, v2
	v_cndmask_b32_e64 v4, 0xffff, v4, s9
	v_and_b32_e32 v7, v5, v38
	v_bfe_u32 v5, v5, s100, 2
	v_and_b32_e32 v8, v3, v38
	v_bfe_u32 v3, v3, s100, 2
	;; [unrolled: 2-line block ×3, first 2 shown]
	v_cmp_eq_u32_e64 s8, v7, v39
	v_cmp_eq_u32_e64 s12, 0, v5
	;; [unrolled: 1-line block ×4, first 2 shown]
	s_and_b32 s11, s7, s11
	v_cmp_eq_u32_e64 s10, v9, v39
	v_cmp_eq_u32_e64 s14, 0, v4
	;; [unrolled: 1-line block ×4, first 2 shown]
	v_cndmask_b32_e64 v2, 0, 1, s11
	s_and_b32 s11, s8, s12
	v_cmp_eq_u32_e64 s17, 1, v3
	v_cmp_eq_u32_e64 s21, 2, v3
	v_cmp_eq_u32_e64 s25, 3, v3
	v_cndmask_b32_e64 v3, 0, 1, s11
	s_and_b32 s11, s9, s13
	v_cmp_eq_u32_e64 s18, 1, v4
	v_cmp_eq_u32_e64 s22, 2, v4
	v_cmp_eq_u32_e64 s26, 3, v4
	;; [unrolled: 5-line block ×3, first 2 shown]
	v_cndmask_b32_e64 v5, 0, 1, s11
	v_cmp_ne_u32_e64 s11, 0, v2
	v_cmp_ne_u32_e64 s12, 0, v3
	;; [unrolled: 1-line block ×3, first 2 shown]
	s_delay_alu instid0(VALU_DEP_4) | instskip(NEXT) | instid1(VALU_DEP_4)
	v_cmp_ne_u32_e64 s14, 0, v5
	s_bcnt1_i32_b32 s11, s11
	s_delay_alu instid0(VALU_DEP_3) | instskip(NEXT) | instid1(VALU_DEP_2)
	s_bcnt1_i32_b32 s12, s12
	s_bcnt1_i32_b32 s13, s13
	s_add_i32 s11, s12, s11
	s_bcnt1_i32_b32 s14, s14
	s_add_i32 s11, s11, s13
	s_delay_alu instid0(SALU_CYCLE_1) | instskip(NEXT) | instid1(SALU_CYCLE_1)
	s_add_i32 s11, s11, s14
	s_add_u32 s72, s72, s11
	s_addc_u32 s73, s73, 0
	s_and_b32 s11, s7, s15
	v_mov_b32_e32 v2, s72
	v_cndmask_b32_e64 v4, 0, 1, s11
	s_and_b32 s11, s8, s16
	v_mov_b32_e32 v3, s73
	v_cndmask_b32_e64 v5, 0, 1, s11
	s_and_b32 s11, s9, s17
	s_delay_alu instid0(SALU_CYCLE_1) | instskip(SKIP_1) | instid1(VALU_DEP_2)
	v_cndmask_b32_e64 v6, 0, 1, s11
	s_and_b32 s11, s10, s18
	v_cmp_ne_u32_e64 s12, 0, v5
	v_cndmask_b32_e64 v7, 0, 1, s11
	v_cmp_ne_u32_e64 s11, 0, v4
	v_cmp_ne_u32_e64 s13, 0, v6
	s_delay_alu instid0(VALU_DEP_4) | instskip(NEXT) | instid1(VALU_DEP_3)
	s_bcnt1_i32_b32 s12, s12
	v_cmp_ne_u32_e64 s14, 0, v7
	s_delay_alu instid0(VALU_DEP_3) | instskip(NEXT) | instid1(VALU_DEP_2)
	s_bcnt1_i32_b32 s11, s11
	s_bcnt1_i32_b32 s13, s13
	s_add_i32 s11, s12, s11
	s_delay_alu instid0(VALU_DEP_1) | instskip(SKIP_1) | instid1(SALU_CYCLE_1)
	s_bcnt1_i32_b32 s14, s14
	s_add_i32 s11, s11, s13
	s_add_i32 s11, s11, s14
	s_delay_alu instid0(SALU_CYCLE_1) | instskip(SKIP_2) | instid1(SALU_CYCLE_1)
	s_add_u32 s70, s70, s11
	s_addc_u32 s71, s71, 0
	s_and_b32 s11, s7, s19
	v_cndmask_b32_e64 v4, 0, 1, s11
	s_and_b32 s11, s8, s20
	s_delay_alu instid0(SALU_CYCLE_1) | instskip(SKIP_1) | instid1(SALU_CYCLE_1)
	v_cndmask_b32_e64 v5, 0, 1, s11
	s_and_b32 s11, s9, s21
	v_cndmask_b32_e64 v6, 0, 1, s11
	s_and_b32 s11, s10, s22
	s_delay_alu instid0(VALU_DEP_2) | instskip(SKIP_3) | instid1(VALU_DEP_4)
	v_cmp_ne_u32_e64 s12, 0, v5
	v_cndmask_b32_e64 v7, 0, 1, s11
	v_cmp_ne_u32_e64 s11, 0, v4
	v_cmp_ne_u32_e64 s13, 0, v6
	s_bcnt1_i32_b32 s12, s12
	s_delay_alu instid0(VALU_DEP_3) | instskip(NEXT) | instid1(VALU_DEP_3)
	v_cmp_ne_u32_e64 s14, 0, v7
	s_bcnt1_i32_b32 s11, s11
	s_delay_alu instid0(VALU_DEP_2) | instskip(SKIP_1) | instid1(VALU_DEP_1)
	s_bcnt1_i32_b32 s13, s13
	s_add_i32 s11, s12, s11
	s_bcnt1_i32_b32 s14, s14
	s_add_i32 s11, s11, s13
	s_delay_alu instid0(SALU_CYCLE_1) | instskip(NEXT) | instid1(SALU_CYCLE_1)
	s_add_i32 s11, s11, s14
	s_add_u32 s68, s68, s11
	s_addc_u32 s69, s69, 0
	s_and_b32 s7, s7, s23
	s_delay_alu instid0(SALU_CYCLE_1) | instskip(SKIP_1) | instid1(SALU_CYCLE_1)
	v_cndmask_b32_e64 v4, 0, 1, s7
	s_and_b32 s7, s8, s24
	v_cndmask_b32_e64 v5, 0, 1, s7
	s_and_b32 s7, s9, s25
	s_delay_alu instid0(SALU_CYCLE_1) | instskip(SKIP_1) | instid1(VALU_DEP_2)
	v_cndmask_b32_e64 v6, 0, 1, s7
	s_and_b32 s7, s10, s26
	v_cmp_ne_u32_e64 s8, 0, v5
	v_cndmask_b32_e64 v7, 0, 1, s7
	v_cmp_ne_u32_e64 s7, 0, v4
	v_cmp_ne_u32_e64 s9, 0, v6
	v_mov_b32_e32 v4, s70
	s_bcnt1_i32_b32 s8, s8
	v_cmp_ne_u32_e64 s10, 0, v7
	v_mov_b32_e32 v6, s68
	s_bcnt1_i32_b32 s7, s7
	s_bcnt1_i32_b32 s9, s9
	s_add_i32 s7, s8, s7
	s_bcnt1_i32_b32 s8, s10
	s_add_i32 s7, s7, s9
	v_mov_b32_e32 v5, s71
	s_add_i32 s7, s7, s8
	v_mov_b32_e32 v7, s69
	s_add_u32 s64, s64, s7
	s_addc_u32 s65, s65, 0
	s_delay_alu instid0(SALU_CYCLE_1) | instskip(SKIP_3) | instid1(SALU_CYCLE_1)
	v_dual_mov_b32 v8, s64 :: v_dual_mov_b32 v9, s65
	s_add_u32 s66, s66, s102
	s_addc_u32 s67, s67, s101
	s_or_b32 s103, vcc_lo, s103
	s_and_not1_b32 exec_lo, exec_lo, s103
	s_cbranch_execnz .LBB216_42
; %bb.43:                               ;   in Loop: Header=BB216_6 Depth=1
	s_or_b32 exec_lo, exec_lo, s103
.LBB216_44:                             ;   in Loop: Header=BB216_6 Depth=1
	s_delay_alu instid0(SALU_CYCLE_1) | instskip(SKIP_3) | instid1(VALU_DEP_2)
	s_or_b32 exec_lo, exec_lo, s99
	v_add_co_u32 v25, vcc_lo, v25, v0
	v_add_co_ci_u32_e32 v26, vcc_lo, 0, v26, vcc_lo
	v_mov_b32_e32 v27, 0
	v_cmp_gt_u64_e32 vcc_lo, s[28:29], v[25:26]
	s_and_saveexec_b32 s8, vcc_lo
	s_cbranch_execz .LBB216_46
; %bb.45:                               ;   in Loop: Header=BB216_6 Depth=1
	v_mul_lo_u32 v12, v26, s38
	v_mul_lo_u32 v41, v25, s39
	v_mad_u64_u32 v[27:28], null, v25, s38, 0
	s_delay_alu instid0(VALU_DEP_1) | instskip(NEXT) | instid1(VALU_DEP_1)
	v_add3_u32 v28, v28, v41, v12
	v_lshlrev_b64 v[27:28], 1, v[27:28]
	s_delay_alu instid0(VALU_DEP_1) | instskip(NEXT) | instid1(VALU_DEP_1)
	v_add_co_u32 v27, s7, s54, v27
	v_add_co_ci_u32_e64 v28, s7, s55, v28, s7
	global_load_u16 v27, v[27:28], off
.LBB216_46:                             ;   in Loop: Header=BB216_6 Depth=1
	s_or_b32 exec_lo, exec_lo, s8
	s_and_saveexec_b32 s11, vcc_lo
	s_cbranch_execz .LBB216_53
; %bb.47:                               ;   in Loop: Header=BB216_6 Depth=1
	s_and_b32 s13, s85, 0xfe
	s_mov_b32 s12, 0
	s_branch .LBB216_49
.LBB216_48:                             ;   in Loop: Header=BB216_49 Depth=2
	s_or_b32 exec_lo, exec_lo, s8
	s_waitcnt vmcnt(0)
	v_cmp_lt_i16_e64 s7, -1, v27
	v_and_b32_e32 v28, 0xffff, v27
	v_lshlrev_b32_e32 v27, 16, v27
	s_and_b32 s9, exec_lo, vcc_lo
	s_delay_alu instid0(SALU_CYCLE_1) | instskip(SKIP_1) | instid1(VALU_DEP_2)
	s_or_b32 s12, s9, s12
	v_cndmask_b32_e64 v41, 0xffff, v37, s7
	v_cmp_o_f32_e64 s7, v27, v27
	s_delay_alu instid0(VALU_DEP_2) | instskip(NEXT) | instid1(VALU_DEP_1)
	v_xor_b32_e32 v28, v41, v28
	v_cndmask_b32_e64 v27, 0xffff, v28, s7
	s_delay_alu instid0(VALU_DEP_1) | instskip(SKIP_1) | instid1(VALU_DEP_2)
	v_and_b32_e32 v28, v27, v38
	v_bfe_u32 v27, v27, s13, 2
	v_cmp_eq_u32_e64 s7, v28, v39
	s_delay_alu instid0(VALU_DEP_2) | instskip(SKIP_2) | instid1(VALU_DEP_3)
	v_cmp_eq_u32_e64 s8, 0, v27
	v_cmp_eq_u32_e32 vcc_lo, 1, v27
	v_cmp_eq_u32_e64 s9, 2, v27
	s_and_b32 s8, s7, s8
	s_delay_alu instid0(SALU_CYCLE_1) | instskip(SKIP_4) | instid1(SALU_CYCLE_1)
	v_cndmask_b32_e64 v28, 0, 1, s8
	s_and_b32 s8, s7, vcc_lo
	v_cmp_eq_u32_e32 vcc_lo, 3, v27
	v_cndmask_b32_e64 v41, 0, 1, s8
	s_and_b32 s8, s7, s9
	v_cndmask_b32_e64 v42, 0, 1, s8
	v_cmp_ne_u32_e64 s8, 0, v28
	s_delay_alu instid0(VALU_DEP_3) | instskip(SKIP_1) | instid1(SALU_CYCLE_1)
	v_cmp_ne_u32_e64 s9, 0, v41
	s_and_b32 s7, s7, vcc_lo
	v_cndmask_b32_e64 v27, 0, 1, s7
	s_delay_alu instid0(VALU_DEP_3)
	s_bcnt1_i32_b32 s7, s8
	v_cmp_ne_u32_e64 s10, 0, v42
	v_add_co_u32 v2, vcc_lo, v2, s7
	s_bcnt1_i32_b32 s8, s9
	v_add_co_ci_u32_e32 v3, vcc_lo, 0, v3, vcc_lo
	v_add_co_u32 v4, vcc_lo, v4, s8
	v_add_co_ci_u32_e32 v5, vcc_lo, 0, v5, vcc_lo
	s_bcnt1_i32_b32 s9, s10
	v_cmp_ne_u32_e32 vcc_lo, 0, v27
	v_mov_b32_e32 v27, v12
	v_add_co_u32 v6, s7, v6, s9
	s_delay_alu instid0(VALU_DEP_1) | instskip(SKIP_1) | instid1(SALU_CYCLE_1)
	v_add_co_ci_u32_e64 v7, s7, 0, v7, s7
	s_bcnt1_i32_b32 s7, vcc_lo
	v_add_co_u32 v8, vcc_lo, v8, s7
	v_add_co_ci_u32_e32 v9, vcc_lo, 0, v9, vcc_lo
	s_and_not1_b32 exec_lo, exec_lo, s12
	s_cbranch_execz .LBB216_52
.LBB216_49:                             ;   Parent Loop BB216_6 Depth=1
                                        ; =>  This Inner Loop Header: Depth=2
	v_add_co_u32 v25, vcc_lo, v25, s52
	v_add_co_ci_u32_e32 v26, vcc_lo, 0, v26, vcc_lo
	v_mov_b32_e32 v12, 0
	s_mov_b32 s8, exec_lo
	s_delay_alu instid0(VALU_DEP_2)
	v_cmp_le_u64_e32 vcc_lo, s[28:29], v[25:26]
	v_cmpx_gt_u64_e64 s[28:29], v[25:26]
	s_cbranch_execz .LBB216_48
; %bb.50:                               ;   in Loop: Header=BB216_49 Depth=2
	v_mul_lo_u32 v12, v26, s38
	v_mul_lo_u32 v28, v25, s39
	v_mad_u64_u32 v[41:42], null, v25, s38, 0
	s_delay_alu instid0(VALU_DEP_1) | instskip(NEXT) | instid1(VALU_DEP_1)
	v_add3_u32 v42, v42, v28, v12
	v_lshlrev_b64 v[41:42], 1, v[41:42]
	s_delay_alu instid0(VALU_DEP_1) | instskip(NEXT) | instid1(VALU_DEP_1)
	v_add_co_u32 v41, s7, s54, v41
	v_add_co_ci_u32_e64 v42, s7, s55, v42, s7
	global_load_u16 v12, v[41:42], off
	s_branch .LBB216_48
.LBB216_51:                             ;   in Loop: Header=BB216_6 Depth=1
                                        ; implicit-def: $vgpr8_vgpr9
                                        ; implicit-def: $vgpr4_vgpr5
	s_cbranch_execnz .LBB216_54
	s_branch .LBB216_63
.LBB216_52:                             ;   in Loop: Header=BB216_6 Depth=1
	s_or_b32 exec_lo, exec_lo, s12
.LBB216_53:                             ;   in Loop: Header=BB216_6 Depth=1
	s_delay_alu instid0(SALU_CYCLE_1)
	s_or_b32 exec_lo, exec_lo, s11
	s_branch .LBB216_63
.LBB216_54:                             ;   in Loop: Header=BB216_6 Depth=1
	global_load_u16 v8, v13, s[56:57]
	s_mov_b64 s[64:65], 0
	s_mov_b32 s72, exec_lo
	s_waitcnt vmcnt(0)
	v_readfirstlane_b32 s7, v8
	v_and_b32_e32 v27, 0xffff, v8
	s_delay_alu instid0(VALU_DEP_2) | instskip(NEXT) | instid1(SALU_CYCLE_1)
	s_and_b32 s7, 0xffff, s7
	s_lshl_b32 s63, s7, 2
	s_delay_alu instid0(SALU_CYCLE_1) | instskip(SKIP_1) | instid1(VALU_DEP_1)
	v_cvt_f32_u32_e32 v2, s63
	s_sub_i32 s8, 0, s63
	v_rcp_iflag_f32_e32 v2, v2
	s_waitcnt_depctr 0xfff
	v_mul_f32_e32 v2, 0x4f7ffffe, v2
	s_delay_alu instid0(VALU_DEP_1) | instskip(NEXT) | instid1(VALU_DEP_1)
	v_cvt_u32_f32_e32 v2, v2
	v_readfirstlane_b32 s7, v2
	v_mov_b32_e32 v2, 0
	v_mov_b32_e32 v3, 0
	s_delay_alu instid0(VALU_DEP_3) | instskip(NEXT) | instid1(VALU_DEP_1)
	s_mul_i32 s8, s8, s7
	v_dual_mov_b32 v5, v3 :: v_dual_mov_b32 v4, v2
	s_mul_hi_u32 s8, s7, s8
	v_dual_mov_b32 v7, v3 :: v_dual_mov_b32 v6, v2
	s_add_i32 s7, s7, s8
	v_dual_mov_b32 v9, v3 :: v_dual_mov_b32 v8, v2
	s_mul_hi_u32 s7, s62, s7
	s_delay_alu instid0(SALU_CYCLE_1) | instskip(NEXT) | instid1(SALU_CYCLE_1)
	s_mul_i32 s7, s7, s63
	s_sub_i32 s7, s62, s7
	s_delay_alu instid0(SALU_CYCLE_1) | instskip(SKIP_2) | instid1(SALU_CYCLE_1)
	s_sub_i32 s8, s7, s63
	s_cmp_ge_u32 s7, s63
	s_cselect_b32 s7, s8, s7
	s_sub_i32 s8, s7, s63
	s_cmp_ge_u32 s7, s63
	s_cselect_b32 s7, s8, s7
	s_delay_alu instid0(SALU_CYCLE_1) | instskip(NEXT) | instid1(SALU_CYCLE_1)
	s_sub_i32 s52, s62, s7
	v_cmpx_gt_u32_e64 s52, v14
	s_cbranch_execz .LBB216_58
; %bb.55:                               ;   in Loop: Header=BB216_6 Depth=1
	v_mov_b32_e32 v26, v15
	v_dual_mov_b32 v25, v14 :: v_dual_lshlrev_b32 v12, 3, v27
	v_mov_b32_e32 v28, v34
	s_and_b32 s73, s85, 0xfe
	s_mov_b32 s99, 0
	s_mov_b64 s[66:67], 0
	s_mov_b64 s[68:69], 0
	;; [unrolled: 1-line block ×3, first 2 shown]
.LBB216_56:                             ;   Parent Loop BB216_6 Depth=1
                                        ; =>  This Inner Loop Header: Depth=2
	ds_load_b64 v[2:3], v28
	v_add_co_u32 v25, vcc_lo, v25, s63
	v_add_co_ci_u32_e32 v26, vcc_lo, 0, v26, vcc_lo
	s_delay_alu instid0(VALU_DEP_1)
	v_cmp_le_u64_e32 vcc_lo, s[52:53], v[25:26]
	s_waitcnt lgkmcnt(0)
	v_cmp_lt_i16_e64 s7, -1, v2
	v_lshrrev_b32_e32 v4, 16, v2
	v_lshrrev_b32_e32 v5, 16, v3
	v_and_b32_e32 v6, 0xffff, v2
	v_lshlrev_b32_e32 v8, 16, v2
	v_cndmask_b32_e64 v7, 0xffff, v37, s7
	v_cmp_lt_i16_e64 s7, -1, v3
	v_and_b32_e32 v9, 0xffff, v3
	v_cmp_lt_i16_e64 s8, -1, v5
	v_lshlrev_b32_e32 v42, 16, v3
	v_and_b32_e32 v2, 0xffff0000, v2
	v_cndmask_b32_e64 v41, 0xffff, v37, s7
	v_cmp_lt_i16_e64 s7, -1, v4
	v_xor_b32_e32 v6, v7, v6
	v_and_b32_e32 v3, 0xffff0000, v3
	s_delay_alu instid0(VALU_DEP_4) | instskip(NEXT) | instid1(VALU_DEP_4)
	v_xor_b32_e32 v9, v41, v9
	v_cndmask_b32_e64 v7, 0xffff, v37, s7
	v_cndmask_b32_e64 v41, 0xffff, v37, s8
	v_cmp_o_f32_e64 s8, v8, v8
	v_cmp_o_f32_e64 s7, v42, v42
	s_delay_alu instid0(VALU_DEP_4) | instskip(NEXT) | instid1(VALU_DEP_4)
	v_xor_b32_e32 v4, v7, v4
	v_xor_b32_e32 v5, v41, v5
	s_delay_alu instid0(VALU_DEP_4) | instskip(SKIP_3) | instid1(VALU_DEP_4)
	v_cndmask_b32_e64 v6, 0xffff, v6, s8
	v_cmp_o_f32_e64 s8, v2, v2
	v_cndmask_b32_e64 v7, 0xffff, v9, s7
	v_cmp_o_f32_e64 s7, v3, v3
	v_and_b32_e32 v3, v6, v38
	s_delay_alu instid0(VALU_DEP_4) | instskip(SKIP_1) | instid1(VALU_DEP_4)
	v_cndmask_b32_e64 v2, 0xffff, v4, s8
	v_bfe_u32 v6, v6, s73, 2
	v_cndmask_b32_e64 v4, 0xffff, v5, s7
	v_and_b32_e32 v5, v7, v38
	v_bfe_u32 v7, v7, s73, 2
	v_cmp_eq_u32_e64 s7, v3, v39
	v_and_b32_e32 v3, v2, v38
	v_bfe_u32 v2, v2, s73, 2
	v_cmp_eq_u32_e64 s9, 0, v6
	v_cmp_eq_u32_e64 s8, v5, v39
	v_and_b32_e32 v5, v4, v38
	v_bfe_u32 v4, v4, s73, 2
	v_cmp_eq_u32_e64 s10, 0, v7
	v_cmp_eq_u32_e64 s17, v3, v39
	v_cmp_eq_u32_e64 s19, 0, v2
	s_and_b32 s9, s7, s9
	v_cmp_eq_u32_e64 s18, v5, v39
	v_cmp_eq_u32_e64 s20, 0, v4
	v_cndmask_b32_e64 v3, 0, 1, s9
	s_and_b32 s9, s8, s10
	s_and_b32 s19, s17, s19
	v_cndmask_b32_e64 v5, 0, 1, s9
	v_cmp_eq_u32_e64 s9, 1, v2
	v_cmp_eq_u32_e64 s21, 2, v2
	;; [unrolled: 1-line block ×3, first 2 shown]
	v_cndmask_b32_e64 v2, 0, 1, s19
	s_and_b32 s19, s18, s20
	v_cmp_eq_u32_e64 s10, 1, v4
	v_cmp_eq_u32_e64 s22, 2, v4
	;; [unrolled: 1-line block ×3, first 2 shown]
	v_cndmask_b32_e64 v4, 0, 1, s19
	v_cmp_ne_u32_e64 s19, 0, v3
	v_cmp_ne_u32_e64 s25, 0, v2
	;; [unrolled: 1-line block ×3, first 2 shown]
	v_cmp_eq_u32_e64 s11, 1, v6
	v_cmp_ne_u32_e64 s26, 0, v4
	s_bcnt1_i32_b32 s19, s19
	s_bcnt1_i32_b32 s25, s25
	;; [unrolled: 1-line block ×3, first 2 shown]
	s_add_i32 s19, s25, s19
	s_bcnt1_i32_b32 s26, s26
	s_add_i32 s19, s19, s20
	v_cmp_eq_u32_e64 s12, 1, v7
	s_add_i32 s19, s19, s26
	v_cmp_eq_u32_e64 s13, 2, v6
	s_add_u32 s70, s70, s19
	s_addc_u32 s71, s71, 0
	s_and_b32 s11, s7, s11
	s_and_b32 s9, s17, s9
	v_cndmask_b32_e64 v2, 0, 1, s11
	v_cndmask_b32_e64 v3, 0, 1, s9
	s_and_b32 s9, s8, s12
	v_cmp_eq_u32_e64 s14, 2, v7
	v_cndmask_b32_e64 v4, 0, 1, s9
	s_and_b32 s9, s18, s10
	v_cmp_ne_u32_e64 s10, 0, v3
	v_cndmask_b32_e64 v5, 0, 1, s9
	v_cmp_ne_u32_e64 s9, 0, v2
	v_cmp_ne_u32_e64 s11, 0, v4
	v_cmp_eq_u32_e64 s15, 3, v6
	s_bcnt1_i32_b32 s10, s10
	v_cmp_ne_u32_e64 s12, 0, v5
	s_bcnt1_i32_b32 s9, s9
	s_bcnt1_i32_b32 s11, s11
	s_add_i32 s9, s10, s9
	v_cmp_eq_u32_e64 s16, 3, v7
	s_bcnt1_i32_b32 s12, s12
	s_add_i32 s9, s9, s11
	v_add_nc_u32_e32 v28, v28, v12
	s_add_i32 s9, s9, s12
	s_delay_alu instid0(SALU_CYCLE_1) | instskip(SKIP_2) | instid1(SALU_CYCLE_1)
	s_add_u32 s68, s68, s9
	s_addc_u32 s69, s69, 0
	s_and_b32 s9, s7, s13
	v_cndmask_b32_e64 v2, 0, 1, s9
	s_and_b32 s9, s17, s21
	s_delay_alu instid0(SALU_CYCLE_1) | instskip(SKIP_1) | instid1(SALU_CYCLE_1)
	v_cndmask_b32_e64 v3, 0, 1, s9
	s_and_b32 s9, s8, s14
	v_cndmask_b32_e64 v4, 0, 1, s9
	s_and_b32 s9, s18, s22
	s_delay_alu instid0(VALU_DEP_2) | instskip(SKIP_3) | instid1(VALU_DEP_4)
	v_cmp_ne_u32_e64 s10, 0, v3
	v_cndmask_b32_e64 v5, 0, 1, s9
	v_cmp_ne_u32_e64 s9, 0, v2
	v_cmp_ne_u32_e64 s11, 0, v4
	s_bcnt1_i32_b32 s10, s10
	s_delay_alu instid0(VALU_DEP_3) | instskip(NEXT) | instid1(VALU_DEP_3)
	v_cmp_ne_u32_e64 s12, 0, v5
	s_bcnt1_i32_b32 s9, s9
	s_delay_alu instid0(VALU_DEP_2) | instskip(SKIP_1) | instid1(VALU_DEP_1)
	s_bcnt1_i32_b32 s11, s11
	s_add_i32 s9, s10, s9
	s_bcnt1_i32_b32 s12, s12
	s_add_i32 s9, s9, s11
	s_delay_alu instid0(SALU_CYCLE_1) | instskip(NEXT) | instid1(SALU_CYCLE_1)
	s_add_i32 s9, s9, s12
	s_add_u32 s66, s66, s9
	s_addc_u32 s67, s67, 0
	s_and_b32 s7, s7, s15
	v_mov_b32_e32 v6, s66
	v_cndmask_b32_e64 v2, 0, 1, s7
	s_and_b32 s7, s17, s23
	v_mov_b32_e32 v7, s67
	v_cndmask_b32_e64 v3, 0, 1, s7
	s_and_b32 s7, s8, s16
	s_delay_alu instid0(SALU_CYCLE_1) | instskip(SKIP_1) | instid1(VALU_DEP_2)
	v_cndmask_b32_e64 v4, 0, 1, s7
	s_and_b32 s7, s18, s24
	v_cmp_ne_u32_e64 s8, 0, v3
	v_cndmask_b32_e64 v5, 0, 1, s7
	v_cmp_ne_u32_e64 s7, 0, v2
	v_cmp_ne_u32_e64 s9, 0, v4
	v_dual_mov_b32 v2, s70 :: v_dual_mov_b32 v3, s71
	s_delay_alu instid0(VALU_DEP_4) | instskip(NEXT) | instid1(VALU_DEP_4)
	v_cmp_ne_u32_e64 s10, 0, v5
	s_bcnt1_i32_b32 s7, s7
	s_bcnt1_i32_b32 s8, s8
	;; [unrolled: 1-line block ×3, first 2 shown]
	s_add_i32 s7, s8, s7
	s_bcnt1_i32_b32 s8, s10
	s_add_i32 s7, s7, s9
	v_mov_b32_e32 v4, s68
	s_add_i32 s7, s7, s8
	v_mov_b32_e32 v5, s69
	s_add_u32 s64, s64, s7
	s_addc_u32 s65, s65, 0
	s_delay_alu instid0(SALU_CYCLE_1) | instskip(SKIP_1) | instid1(SALU_CYCLE_1)
	v_dual_mov_b32 v8, s64 :: v_dual_mov_b32 v9, s65
	s_or_b32 s99, vcc_lo, s99
	s_and_not1_b32 exec_lo, exec_lo, s99
	s_cbranch_execnz .LBB216_56
; %bb.57:                               ;   in Loop: Header=BB216_6 Depth=1
	s_or_b32 exec_lo, exec_lo, s99
.LBB216_58:                             ;   in Loop: Header=BB216_6 Depth=1
	s_delay_alu instid0(SALU_CYCLE_1) | instskip(SKIP_2) | instid1(VALU_DEP_1)
	s_or_b32 exec_lo, exec_lo, s72
	v_add_nc_u32_e32 v12, s52, v0
	s_mov_b32 s14, exec_lo
	v_cmpx_gt_u32_e64 s62, v12
	s_cbranch_execz .LBB216_62
; %bb.59:                               ;   in Loop: Header=BB216_6 Depth=1
	v_dual_mov_b32 v26, v13 :: v_dual_lshlrev_b32 v41, 1, v27
	v_dual_mov_b32 v25, v12 :: v_dual_lshlrev_b32 v28, 1, v12
	s_mov_b32 s13, 0
	s_and_b32 s12, s62, 0x7fffffff
	s_and_b32 s16, s85, 0xfe
	s_mov_b32 s15, s13
.LBB216_60:                             ;   Parent Loop BB216_6 Depth=1
                                        ; =>  This Inner Loop Header: Depth=2
	ds_load_u16 v12, v28
	v_add_co_u32 v25, vcc_lo, v25, v27
	v_add_co_ci_u32_e32 v26, vcc_lo, 0, v26, vcc_lo
	v_add_nc_u32_e32 v28, v28, v41
	s_delay_alu instid0(VALU_DEP_2) | instskip(SKIP_4) | instid1(VALU_DEP_3)
	v_cmp_le_u64_e32 vcc_lo, s[12:13], v[25:26]
	s_waitcnt lgkmcnt(0)
	v_cmp_lt_i16_e64 s7, -1, v12
	v_and_b32_e32 v42, 0xffff, v12
	v_lshlrev_b32_e32 v12, 16, v12
	v_cndmask_b32_e64 v43, 0xffff, v37, s7
	s_delay_alu instid0(VALU_DEP_2) | instskip(NEXT) | instid1(VALU_DEP_2)
	v_cmp_o_f32_e64 s7, v12, v12
	v_xor_b32_e32 v42, v43, v42
	s_delay_alu instid0(VALU_DEP_1) | instskip(NEXT) | instid1(VALU_DEP_1)
	v_cndmask_b32_e64 v12, 0xffff, v42, s7
	v_and_b32_e32 v42, v12, v38
	v_bfe_u32 v12, v12, s16, 2
	s_delay_alu instid0(VALU_DEP_2) | instskip(NEXT) | instid1(VALU_DEP_2)
	v_cmp_eq_u32_e64 s7, v42, v39
	v_cmp_eq_u32_e64 s8, 0, v12
	;; [unrolled: 1-line block ×5, first 2 shown]
	s_delay_alu instid0(VALU_DEP_4) | instskip(NEXT) | instid1(SALU_CYCLE_1)
	s_and_b32 s8, s7, s8
	v_cndmask_b32_e64 v12, 0, 1, s8
	s_and_b32 s8, s7, s9
	s_delay_alu instid0(SALU_CYCLE_1)
	v_cndmask_b32_e64 v42, 0, 1, s8
	s_and_b32 s8, s7, s10
	s_and_b32 s7, s7, s11
	v_cndmask_b32_e64 v43, 0, 1, s8
	v_cndmask_b32_e64 v44, 0, 1, s7
	v_cmp_ne_u32_e64 s7, 0, v12
	v_cmp_ne_u32_e64 s8, 0, v42
	s_delay_alu instid0(VALU_DEP_4) | instskip(NEXT) | instid1(VALU_DEP_4)
	v_cmp_ne_u32_e64 s9, 0, v43
	v_cmp_ne_u32_e64 s10, 0, v44
	s_delay_alu instid0(VALU_DEP_4) | instskip(NEXT) | instid1(VALU_DEP_3)
	s_bcnt1_i32_b32 s7, s7
	s_bcnt1_i32_b32 s8, s8
	v_add_co_u32 v2, s7, v2, s7
	s_delay_alu instid0(VALU_DEP_1)
	v_add_co_ci_u32_e64 v3, s7, 0, v3, s7
	v_add_co_u32 v4, s7, v4, s8
	s_bcnt1_i32_b32 s9, s9
	v_add_co_ci_u32_e64 v5, s7, 0, v5, s7
	v_add_co_u32 v6, s7, v6, s9
	s_bcnt1_i32_b32 s10, s10
	v_add_co_ci_u32_e64 v7, s7, 0, v7, s7
	v_add_co_u32 v8, s7, v8, s10
	s_delay_alu instid0(VALU_DEP_1) | instskip(SKIP_1) | instid1(SALU_CYCLE_1)
	v_add_co_ci_u32_e64 v9, s7, 0, v9, s7
	s_or_b32 s15, vcc_lo, s15
	s_and_not1_b32 exec_lo, exec_lo, s15
	s_cbranch_execnz .LBB216_60
; %bb.61:                               ;   in Loop: Header=BB216_6 Depth=1
	s_or_b32 exec_lo, exec_lo, s15
.LBB216_62:                             ;   in Loop: Header=BB216_6 Depth=1
	s_delay_alu instid0(SALU_CYCLE_1)
	s_or_b32 exec_lo, exec_lo, s14
.LBB216_63:                             ;   in Loop: Header=BB216_6 Depth=1
	s_lshl_b32 s7, s89, 7
	s_and_saveexec_b32 s8, s2
	s_cbranch_execz .LBB216_65
; %bb.64:                               ;   in Loop: Header=BB216_6 Depth=1
	v_or_b32_e32 v12, s7, v32
	s_delay_alu instid0(VALU_DEP_1)
	v_lshlrev_b32_e32 v12, 3, v12
	ds_store_b128 v12, v[2:5] offset:3072
	ds_store_b128 v12, v[6:9] offset:3088
.LBB216_65:                             ;   in Loop: Header=BB216_6 Depth=1
	s_or_b32 exec_lo, exec_lo, s8
	s_waitcnt vmcnt(0) lgkmcnt(0)
	s_barrier
	buffer_gl0_inv
	s_and_saveexec_b32 s8, s74
	s_cbranch_execz .LBB216_76
; %bb.66:                               ;   in Loop: Header=BB216_6 Depth=1
	v_mov_b32_e32 v2, 0
	v_mov_b32_e32 v3, 0
	s_and_not1_b32 vcc_lo, exec_lo, s82
	s_cbranch_vccnz .LBB216_75
; %bb.67:                               ;   in Loop: Header=BB216_6 Depth=1
	v_mov_b32_e32 v2, 0
	v_mov_b32_e32 v3, 0
	s_and_not1_b32 vcc_lo, exec_lo, s80
	s_cbranch_vccnz .LBB216_72
; %bb.68:                               ;   in Loop: Header=BB216_6 Depth=1
	v_lshl_add_u32 v4, s89, 10, v36
	s_mov_b32 s9, 0
	s_set_inst_prefetch_distance 0x1
	.p2align	6
.LBB216_69:                             ;   Parent Loop BB216_6 Depth=1
                                        ; =>  This Inner Loop Header: Depth=2
	ds_load_2addr_b64 v[5:8], v4 offset1:4
	ds_load_2addr_b64 v[25:28], v4 offset0:8 offset1:12
	ds_load_2addr_b64 v[41:44], v4 offset0:16 offset1:20
	s_add_i32 s9, s9, 8
	s_delay_alu instid0(SALU_CYCLE_1) | instskip(SKIP_3) | instid1(VALU_DEP_2)
	s_cmp_eq_u32 s81, s9
	s_waitcnt lgkmcnt(2)
	v_add_co_u32 v2, vcc_lo, v5, v2
	v_add_co_ci_u32_e32 v3, vcc_lo, v6, v3, vcc_lo
	v_add_co_u32 v2, vcc_lo, v7, v2
	s_delay_alu instid0(VALU_DEP_2)
	v_add_co_ci_u32_e32 v3, vcc_lo, v8, v3, vcc_lo
	ds_load_2addr_b64 v[5:8], v4 offset0:24 offset1:28
	s_waitcnt lgkmcnt(2)
	v_add_co_u32 v2, vcc_lo, v25, v2
	v_add_co_ci_u32_e32 v3, vcc_lo, v26, v3, vcc_lo
	v_add_nc_u32_e32 v4, 0x100, v4
	s_delay_alu instid0(VALU_DEP_3) | instskip(NEXT) | instid1(VALU_DEP_3)
	v_add_co_u32 v2, vcc_lo, v27, v2
	v_add_co_ci_u32_e32 v3, vcc_lo, v28, v3, vcc_lo
	s_waitcnt lgkmcnt(1)
	s_delay_alu instid0(VALU_DEP_2) | instskip(NEXT) | instid1(VALU_DEP_2)
	v_add_co_u32 v2, vcc_lo, v41, v2
	v_add_co_ci_u32_e32 v3, vcc_lo, v42, v3, vcc_lo
	s_delay_alu instid0(VALU_DEP_2) | instskip(NEXT) | instid1(VALU_DEP_2)
	v_add_co_u32 v2, vcc_lo, v43, v2
	v_add_co_ci_u32_e32 v3, vcc_lo, v44, v3, vcc_lo
	s_waitcnt lgkmcnt(0)
	s_delay_alu instid0(VALU_DEP_2) | instskip(NEXT) | instid1(VALU_DEP_2)
	v_add_co_u32 v2, vcc_lo, v5, v2
	v_add_co_ci_u32_e32 v3, vcc_lo, v6, v3, vcc_lo
	s_delay_alu instid0(VALU_DEP_2) | instskip(NEXT) | instid1(VALU_DEP_2)
	v_add_co_u32 v2, vcc_lo, v7, v2
	v_add_co_ci_u32_e32 v3, vcc_lo, v8, v3, vcc_lo
	s_cbranch_scc0 .LBB216_69
; %bb.70:                               ;   in Loop: Header=BB216_6 Depth=1
	s_set_inst_prefetch_distance 0x2
	s_mov_b32 s9, s81
	s_and_not1_b32 vcc_lo, exec_lo, s83
	s_cbranch_vccz .LBB216_73
	s_branch .LBB216_75
.LBB216_71:                             ;   in Loop: Header=BB216_6 Depth=1
                                        ; implicit-def: $vgpr2_vgpr3
	s_branch .LBB216_39
.LBB216_72:                             ;   in Loop: Header=BB216_6 Depth=1
	s_mov_b32 s9, 0
	s_and_not1_b32 vcc_lo, exec_lo, s83
	s_cbranch_vccnz .LBB216_75
.LBB216_73:                             ;   in Loop: Header=BB216_6 Depth=1
	s_lshl_b32 s10, s89, 10
	s_lshl_b32 s9, s9, 5
	s_delay_alu instid0(SALU_CYCLE_1)
	v_add3_u32 v4, s10, s9, v36
	s_mov_b32 s9, s79
.LBB216_74:                             ;   Parent Loop BB216_6 Depth=1
                                        ; =>  This Inner Loop Header: Depth=2
	ds_load_b64 v[5:6], v4
	v_add_nc_u32_e32 v4, 32, v4
	s_add_i32 s9, s9, -1
	s_delay_alu instid0(SALU_CYCLE_1)
	s_cmp_lg_u32 s9, 0
	s_waitcnt lgkmcnt(0)
	v_add_co_u32 v2, vcc_lo, v5, v2
	v_add_co_ci_u32_e32 v3, vcc_lo, v6, v3, vcc_lo
	s_cbranch_scc1 .LBB216_74
.LBB216_75:                             ;   in Loop: Header=BB216_6 Depth=1
	v_add_lshl_u32 v4, s7, v30, 3
	ds_store_b64 v4, v[2:3] offset:3072
.LBB216_76:                             ;   in Loop: Header=BB216_6 Depth=1
	s_or_b32 exec_lo, exec_lo, s8
	s_lshl_b32 s7, s7, 3
	s_waitcnt lgkmcnt(0)
	v_mov_b32_e32 v6, s7
	s_barrier
	buffer_gl0_inv
	s_and_b32 s22, s85, 0xfe
	v_cmp_eq_u64_e64 s7, 1, v[23:24]
	ds_load_b128 v[2:5], v6 offset:3072
	ds_load_b128 v[6:9], v6 offset:3088
	s_lshl_b32 s20, 3, s22
	s_and_not1_b32 vcc_lo, exec_lo, s75
	s_not_b32 s21, s20
	s_waitcnt lgkmcnt(1)
	v_readfirstlane_b32 s11, v3
	v_readfirstlane_b32 s10, v2
	v_readfirstlane_b32 s13, v5
	v_readfirstlane_b32 s12, v4
	s_waitcnt lgkmcnt(0)
	v_readfirstlane_b32 s15, v7
	v_readfirstlane_b32 s14, v6
	v_readfirstlane_b32 s17, v9
	v_readfirstlane_b32 s16, v8
	s_cbranch_vccnz .LBB216_92
; %bb.77:                               ;   in Loop: Header=BB216_6 Depth=1
	s_cmp_eq_u64 s[10:11], 1
	v_dual_mov_b32 v25, v39 :: v_dual_mov_b32 v26, v38
	v_mov_b32_e32 v6, v40
	s_cselect_b32 s8, -1, 0
                                        ; implicit-def: $sgpr23
                                        ; implicit-def: $sgpr62
                                        ; implicit-def: $sgpr52
	s_delay_alu instid0(SALU_CYCLE_1)
	s_and_b32 s65, s8, s7
	s_mov_b32 s8, -1
	s_and_saveexec_b32 s24, s65
	s_cbranch_execz .LBB216_111
; %bb.78:                               ;   in Loop: Header=BB216_6 Depth=1
	ds_load_b64 v[2:3], v13 offset:5120
	s_waitcnt lgkmcnt(0)
	s_barrier
	buffer_gl0_inv
	v_readfirstlane_b32 s18, v2
	v_readfirstlane_b32 s19, v3
	s_and_saveexec_b32 s8, s6
	s_cbranch_execz .LBB216_80
; %bb.79:                               ;   in Loop: Header=BB216_6 Depth=1
	ds_store_b16 v33, v13
.LBB216_80:                             ;   in Loop: Header=BB216_6 Depth=1
	s_or_b32 exec_lo, exec_lo, s8
	v_and_b32_e32 v25, s21, v39
	v_or_b32_e32 v26, s20, v38
	s_cmp_eq_u64 s[18:19], 0
	s_waitcnt lgkmcnt(0)
	s_barrier
	buffer_gl0_inv
	s_cbranch_scc1 .LBB216_94
; %bb.81:                               ;   in Loop: Header=BB216_6 Depth=1
	s_add_u32 s23, s76, s18
	s_addc_u32 s9, s77, s19
	s_mov_b32 s8, s53
	s_delay_alu instid0(SALU_CYCLE_1)
	s_cmp_lg_u64 s[8:9], 0
	s_cbranch_scc0 .LBB216_138
; %bb.82:                               ;   in Loop: Header=BB216_6 Depth=1
	v_cvt_f32_u32_e32 v2, s33
	s_sub_u32 s26, 0, s33
	s_subb_u32 s44, 0, 0
	s_delay_alu instid0(VALU_DEP_1) | instskip(NEXT) | instid1(VALU_DEP_1)
	v_fmac_f32_e64 v2, 0, 0x4f800000
	v_rcp_f32_e32 v2, v2
	s_waitcnt_depctr 0xfff
	v_mul_f32_e32 v2, 0x5f7ffffc, v2
	s_delay_alu instid0(VALU_DEP_1) | instskip(NEXT) | instid1(VALU_DEP_1)
	v_mul_f32_e32 v3, 0x2f800000, v2
	v_trunc_f32_e32 v3, v3
	s_delay_alu instid0(VALU_DEP_1) | instskip(SKIP_1) | instid1(VALU_DEP_2)
	v_fmac_f32_e32 v2, 0xcf800000, v3
	v_cvt_u32_f32_e32 v3, v3
	v_cvt_u32_f32_e32 v2, v2
	s_delay_alu instid0(VALU_DEP_2) | instskip(NEXT) | instid1(VALU_DEP_2)
	v_readfirstlane_b32 s8, v3
	v_readfirstlane_b32 s25, v2
	s_delay_alu instid0(VALU_DEP_2) | instskip(NEXT) | instid1(VALU_DEP_1)
	s_mul_i32 s45, s26, s8
	s_mul_hi_u32 s49, s26, s25
	s_mul_i32 s48, s44, s25
	s_add_i32 s45, s49, s45
	s_mul_i32 s52, s26, s25
	s_add_i32 s45, s45, s48
	s_mul_hi_u32 s49, s25, s52
	s_mul_hi_u32 s62, s8, s52
	s_mul_i32 s48, s8, s52
	s_mul_hi_u32 s52, s25, s45
	s_mul_i32 s25, s25, s45
	s_mul_hi_u32 s63, s8, s45
	s_add_u32 s25, s49, s25
	s_addc_u32 s49, 0, s52
	s_add_u32 s25, s25, s48
	s_mul_i32 s45, s8, s45
	s_addc_u32 s25, s49, s62
	s_addc_u32 s48, s63, 0
	s_add_u32 s25, s25, s45
	s_addc_u32 s45, 0, s48
	v_add_co_u32 v2, s25, v2, s25
	s_delay_alu instid0(VALU_DEP_1) | instskip(SKIP_1) | instid1(VALU_DEP_1)
	s_cmp_lg_u32 s25, 0
	s_addc_u32 s8, s8, s45
	v_readfirstlane_b32 s25, v2
	s_mul_i32 s45, s26, s8
	s_delay_alu instid0(VALU_DEP_1)
	s_mul_hi_u32 s48, s26, s25
	s_mul_i32 s44, s44, s25
	s_add_i32 s45, s48, s45
	s_mul_i32 s26, s26, s25
	s_add_i32 s45, s45, s44
	s_mul_hi_u32 s48, s8, s26
	s_mul_i32 s49, s8, s26
	s_mul_hi_u32 s26, s25, s26
	s_mul_hi_u32 s52, s25, s45
	s_mul_i32 s25, s25, s45
	s_mul_hi_u32 s44, s8, s45
	s_add_u32 s25, s26, s25
	s_addc_u32 s26, 0, s52
	s_add_u32 s25, s25, s49
	s_mul_i32 s45, s8, s45
	s_addc_u32 s25, s26, s48
	s_addc_u32 s26, s44, 0
	s_add_u32 s25, s25, s45
	s_addc_u32 s26, 0, s26
	v_add_co_u32 v2, s25, v2, s25
	s_delay_alu instid0(VALU_DEP_1) | instskip(SKIP_1) | instid1(VALU_DEP_1)
	s_cmp_lg_u32 s25, 0
	s_addc_u32 s8, s8, s26
	v_readfirstlane_b32 s25, v2
	s_mul_i32 s44, s23, s8
	s_mul_hi_u32 s26, s23, s8
	s_mul_hi_u32 s45, s9, s8
	s_mul_i32 s8, s9, s8
	s_mul_hi_u32 s48, s23, s25
	s_mul_hi_u32 s49, s9, s25
	s_mul_i32 s25, s9, s25
	s_add_u32 s44, s48, s44
	s_addc_u32 s26, 0, s26
	s_add_u32 s25, s44, s25
	s_addc_u32 s25, s26, s49
	s_addc_u32 s26, s45, 0
	s_add_u32 s8, s25, s8
	s_addc_u32 s25, 0, s26
	s_mul_hi_u32 s26, s33, s8
	s_mul_i32 s8, s33, s8
	s_mul_i32 s25, s33, s25
	v_sub_co_u32 v2, s8, s23, s8
	s_add_i32 s26, s26, s25
	s_cmp_lg_u32 s8, 0
	s_delay_alu instid0(VALU_DEP_1) | instskip(SKIP_2) | instid1(VALU_DEP_1)
	v_sub_co_u32 v3, s8, v2, s33
	s_subb_u32 s25, s9, s26
	s_cmp_lg_u32 s8, 0
	v_cmp_le_u32_e32 vcc_lo, s33, v3
	v_sub_co_u32 v4, s8, v3, s33
	s_subb_u32 s26, s25, 0
	s_cmp_lg_u32 s8, 0
	v_cndmask_b32_e64 v5, 0, -1, vcc_lo
	s_subb_u32 s8, s26, 0
	s_cmp_eq_u32 s26, 0
	v_mov_b32_e32 v7, s8
	s_cselect_b32 vcc_lo, -1, 0
	s_cmp_eq_u32 s25, 0
	v_cndmask_b32_e32 v5, -1, v5, vcc_lo
	v_cmp_le_u32_e32 vcc_lo, s33, v2
	s_cselect_b32 s8, -1, 0
	v_cndmask_b32_e64 v6, 0, -1, vcc_lo
	s_delay_alu instid0(VALU_DEP_3) | instskip(NEXT) | instid1(VALU_DEP_2)
	v_cmp_ne_u32_e32 vcc_lo, 0, v5
	v_cndmask_b32_e64 v5, -1, v6, s8
	v_cndmask_b32_e32 v6, s26, v7, vcc_lo
	v_cndmask_b32_e32 v4, v3, v4, vcc_lo
	s_delay_alu instid0(VALU_DEP_3) | instskip(NEXT) | instid1(VALU_DEP_3)
	v_cmp_ne_u32_e32 vcc_lo, 0, v5
	v_cndmask_b32_e32 v3, s25, v6, vcc_lo
	s_delay_alu instid0(VALU_DEP_3)
	v_cndmask_b32_e32 v2, v2, v4, vcc_lo
	s_cbranch_execnz .LBB216_84
.LBB216_83:                             ;   in Loop: Header=BB216_6 Depth=1
	v_cvt_f32_u32_e32 v2, s33
	s_sub_i32 s8, 0, s33
	s_delay_alu instid0(VALU_DEP_1) | instskip(SKIP_2) | instid1(VALU_DEP_1)
	v_rcp_iflag_f32_e32 v2, v2
	s_waitcnt_depctr 0xfff
	v_mul_f32_e32 v2, 0x4f7ffffe, v2
	v_cvt_u32_f32_e32 v2, v2
	s_delay_alu instid0(VALU_DEP_1) | instskip(NEXT) | instid1(VALU_DEP_1)
	v_mul_lo_u32 v3, s8, v2
	v_mul_hi_u32 v3, v2, v3
	s_delay_alu instid0(VALU_DEP_1) | instskip(NEXT) | instid1(VALU_DEP_1)
	v_add_nc_u32_e32 v2, v2, v3
	v_mul_hi_u32 v2, s23, v2
	s_delay_alu instid0(VALU_DEP_1) | instskip(NEXT) | instid1(VALU_DEP_1)
	v_mul_lo_u32 v2, v2, s33
	v_sub_nc_u32_e32 v2, s23, v2
	s_delay_alu instid0(VALU_DEP_1) | instskip(SKIP_1) | instid1(VALU_DEP_2)
	v_subrev_nc_u32_e32 v3, s33, v2
	v_cmp_le_u32_e32 vcc_lo, s33, v2
	v_cndmask_b32_e32 v2, v2, v3, vcc_lo
	s_delay_alu instid0(VALU_DEP_1) | instskip(SKIP_1) | instid1(VALU_DEP_2)
	v_subrev_nc_u32_e32 v3, s33, v2
	v_cmp_le_u32_e32 vcc_lo, s33, v2
	v_cndmask_b32_e32 v12, v2, v3, vcc_lo
	s_delay_alu instid0(VALU_DEP_1)
	v_dual_mov_b32 v2, v12 :: v_dual_mov_b32 v3, v13
.LBB216_84:                             ;   in Loop: Header=BB216_6 Depth=1
	s_delay_alu instid0(VALU_DEP_1) | instskip(NEXT) | instid1(VALU_DEP_2)
	v_sub_co_u32 v2, vcc_lo, s23, v2
	v_sub_co_ci_u32_e32 v3, vcc_lo, s9, v3, vcc_lo
	s_mov_b32 s8, 0
	s_mov_b32 s9, exec_lo
                                        ; implicit-def: $vgpr6
	s_delay_alu instid0(VALU_DEP_1)
	v_cmpx_gt_u64_e64 v[2:3], v[0:1]
	s_cbranch_execz .LBB216_96
; %bb.85:                               ;   in Loop: Header=BB216_6 Depth=1
	v_dual_mov_b32 v6, v31 :: v_dual_mov_b32 v5, v1
	v_mov_b32_e32 v4, v0
	s_mov_b32 s23, 0
                                        ; implicit-def: $sgpr25
	s_branch .LBB216_87
.LBB216_86:                             ;   in Loop: Header=BB216_87 Depth=2
	s_or_b32 exec_lo, exec_lo, s8
	s_waitcnt lgkmcnt(0)
	s_barrier
	buffer_gl0_inv
	ds_load_b32 v7, v13 offset:3072
	v_add_co_u32 v4, vcc_lo, v4, s33
	v_add_co_ci_u32_e32 v5, vcc_lo, 0, v5, vcc_lo
	v_add_nc_u32_e32 v6, s84, v6
	s_waitcnt lgkmcnt(0)
	s_barrier
	s_delay_alu instid0(VALU_DEP_2) | instskip(SKIP_2) | instid1(VALU_DEP_1)
	v_cmp_ge_u64_e32 vcc_lo, v[4:5], v[2:3]
	buffer_gl0_inv
	v_and_b32_e32 v8, 0x7fff, v7
	v_cmp_ne_u16_e64 s8, 0, v8
	s_delay_alu instid0(VALU_DEP_1) | instskip(NEXT) | instid1(SALU_CYCLE_1)
	s_or_b32 s26, vcc_lo, s8
	s_and_b32 s26, exec_lo, s26
	s_delay_alu instid0(SALU_CYCLE_1) | instskip(SKIP_2) | instid1(SALU_CYCLE_1)
	s_or_b32 s23, s26, s23
	s_and_not1_b32 s25, s25, exec_lo
	s_and_b32 s8, s8, exec_lo
	s_or_b32 s25, s25, s8
	s_and_not1_b32 exec_lo, exec_lo, s23
	s_cbranch_execz .LBB216_95
.LBB216_87:                             ;   Parent Loop BB216_6 Depth=1
                                        ; =>  This Inner Loop Header: Depth=2
	s_delay_alu instid0(VALU_DEP_1)
	v_cmp_gt_u64_e32 vcc_lo, s[18:19], v[4:5]
	v_mov_b32_e32 v7, 0
	s_and_saveexec_b32 s8, vcc_lo
	s_cbranch_execz .LBB216_89
; %bb.88:                               ;   in Loop: Header=BB216_87 Depth=2
	ds_load_u16 v7, v6
.LBB216_89:                             ;   in Loop: Header=BB216_87 Depth=2
	s_or_b32 exec_lo, exec_lo, s8
	s_and_saveexec_b32 s8, vcc_lo
	s_cbranch_execz .LBB216_86
; %bb.90:                               ;   in Loop: Header=BB216_87 Depth=2
	s_waitcnt lgkmcnt(0)
	v_cmp_lt_i16_e32 vcc_lo, -1, v7
	v_and_b32_e32 v8, 0xffff, v7
	v_dual_cndmask_b32 v9, 0xffff, v37 :: v_dual_lshlrev_b32 v12, 16, v7
	s_delay_alu instid0(VALU_DEP_1) | instskip(NEXT) | instid1(VALU_DEP_2)
	v_cmp_o_f32_e32 vcc_lo, v12, v12
	v_xor_b32_e32 v8, v9, v8
	s_delay_alu instid0(VALU_DEP_1) | instskip(NEXT) | instid1(VALU_DEP_1)
	v_cndmask_b32_e32 v8, 0xffff, v8, vcc_lo
	v_and_b32_e32 v8, v8, v26
	s_delay_alu instid0(VALU_DEP_1)
	v_cmp_eq_u32_e32 vcc_lo, v8, v25
	s_and_b32 exec_lo, exec_lo, vcc_lo
	s_cbranch_execz .LBB216_86
; %bb.91:                               ;   in Loop: Header=BB216_87 Depth=2
	v_perm_b32 v7, v7, s87, 0x5040100
	ds_store_b32 v13, v7 offset:3072
	s_branch .LBB216_86
.LBB216_92:                             ;   in Loop: Header=BB216_6 Depth=1
	s_mov_b32 s25, 0
	s_mov_b32 s24, 0
                                        ; implicit-def: $sgpr52
                                        ; implicit-def: $sgpr62
                                        ; implicit-def: $sgpr23
                                        ; implicit-def: $vgpr7
                                        ; implicit-def: $vgpr2_vgpr3
                                        ; implicit-def: $vgpr25
                                        ; implicit-def: $vgpr26
                                        ; implicit-def: $vgpr6
	s_cbranch_execnz .LBB216_275
.LBB216_93:                             ;   in Loop: Header=BB216_6 Depth=1
	s_mov_b32 s18, s23
	s_mov_b32 s19, s23
	s_and_saveexec_b32 s7, s25
	s_cbranch_execnz .LBB216_471
	s_branch .LBB216_472
.LBB216_94:                             ;   in Loop: Header=BB216_6 Depth=1
	s_mov_b32 s23, -1
	s_mov_b32 s8, 0
                                        ; implicit-def: $sgpr52
                                        ; implicit-def: $vgpr6
	s_mov_b32 s62, s23
	s_cbranch_execnz .LBB216_97
	s_branch .LBB216_110
.LBB216_95:                             ;   in Loop: Header=BB216_6 Depth=1
	s_or_b32 exec_lo, exec_lo, s23
	v_lshrrev_b32_e32 v6, 16, v7
	s_and_b32 s8, s25, exec_lo
.LBB216_96:                             ;   in Loop: Header=BB216_6 Depth=1
	s_or_b32 exec_lo, exec_lo, s9
	s_mov_b32 s52, -1
	s_mov_b32 s23, 0
	s_delay_alu instid0(SALU_CYCLE_1)
	s_mov_b32 s62, s23
	s_branch .LBB216_110
.LBB216_97:                             ;   in Loop: Header=BB216_6 Depth=1
	s_mov_b32 s26, s53
	s_delay_alu instid0(SALU_CYCLE_1)
	s_cmp_lg_u64 s[26:27], 0
	s_cbranch_scc0 .LBB216_139
; %bb.98:                               ;   in Loop: Header=BB216_6 Depth=1
	v_cvt_f32_u32_e32 v2, s33
	s_sub_u32 s18, 0, s33
	s_subb_u32 s19, 0, 0
	s_delay_alu instid0(VALU_DEP_1) | instskip(NEXT) | instid1(VALU_DEP_1)
	v_fmac_f32_e64 v2, 0, 0x4f800000
	v_rcp_f32_e32 v2, v2
	s_waitcnt_depctr 0xfff
	v_mul_f32_e32 v2, 0x5f7ffffc, v2
	s_delay_alu instid0(VALU_DEP_1) | instskip(NEXT) | instid1(VALU_DEP_1)
	v_mul_f32_e32 v3, 0x2f800000, v2
	v_trunc_f32_e32 v3, v3
	s_delay_alu instid0(VALU_DEP_1) | instskip(SKIP_1) | instid1(VALU_DEP_2)
	v_fmac_f32_e32 v2, 0xcf800000, v3
	v_cvt_u32_f32_e32 v3, v3
	v_cvt_u32_f32_e32 v2, v2
	s_delay_alu instid0(VALU_DEP_2) | instskip(NEXT) | instid1(VALU_DEP_2)
	v_readfirstlane_b32 s8, v3
	v_readfirstlane_b32 s9, v2
	s_delay_alu instid0(VALU_DEP_2) | instskip(NEXT) | instid1(VALU_DEP_1)
	s_mul_i32 s23, s18, s8
	s_mul_hi_u32 s26, s18, s9
	s_mul_i32 s25, s19, s9
	s_add_i32 s23, s26, s23
	s_mul_i32 s44, s18, s9
	s_add_i32 s23, s23, s25
	s_mul_hi_u32 s26, s9, s44
	s_mul_hi_u32 s45, s8, s44
	s_mul_i32 s25, s8, s44
	s_mul_hi_u32 s44, s9, s23
	s_mul_i32 s9, s9, s23
	s_mul_hi_u32 s48, s8, s23
	s_add_u32 s9, s26, s9
	s_addc_u32 s26, 0, s44
	s_add_u32 s9, s9, s25
	s_mul_i32 s23, s8, s23
	s_addc_u32 s9, s26, s45
	s_addc_u32 s25, s48, 0
	s_add_u32 s9, s9, s23
	s_addc_u32 s23, 0, s25
	v_add_co_u32 v2, s9, v2, s9
	s_delay_alu instid0(VALU_DEP_1) | instskip(SKIP_1) | instid1(VALU_DEP_1)
	s_cmp_lg_u32 s9, 0
	s_addc_u32 s8, s8, s23
	v_readfirstlane_b32 s9, v2
	s_mul_i32 s23, s18, s8
	s_delay_alu instid0(VALU_DEP_1)
	s_mul_hi_u32 s25, s18, s9
	s_mul_i32 s19, s19, s9
	s_add_i32 s23, s25, s23
	s_mul_i32 s18, s18, s9
	s_add_i32 s23, s23, s19
	s_mul_hi_u32 s25, s8, s18
	s_mul_i32 s26, s8, s18
	s_mul_hi_u32 s18, s9, s18
	s_mul_hi_u32 s44, s9, s23
	s_mul_i32 s9, s9, s23
	s_mul_hi_u32 s19, s8, s23
	s_add_u32 s9, s18, s9
	s_addc_u32 s18, 0, s44
	s_add_u32 s9, s9, s26
	s_mul_i32 s23, s8, s23
	s_addc_u32 s9, s18, s25
	s_addc_u32 s18, s19, 0
	s_add_u32 s9, s9, s23
	s_addc_u32 s18, 0, s18
	v_add_co_u32 v2, s9, v2, s9
	s_delay_alu instid0(VALU_DEP_1) | instskip(SKIP_1) | instid1(VALU_DEP_1)
	s_cmp_lg_u32 s9, 0
	s_addc_u32 s8, s8, s18
	v_readfirstlane_b32 s9, v2
	s_mul_i32 s19, s78, s8
	s_mul_hi_u32 s18, s78, s8
	s_mul_hi_u32 s23, s27, s8
	s_mul_i32 s8, s27, s8
	s_mul_hi_u32 s25, s78, s9
	s_mul_hi_u32 s26, s27, s9
	s_mul_i32 s9, s27, s9
	s_add_u32 s19, s25, s19
	s_addc_u32 s18, 0, s18
	s_add_u32 s9, s19, s9
	s_addc_u32 s9, s18, s26
	s_addc_u32 s18, s23, 0
	s_add_u32 s8, s9, s8
	s_addc_u32 s9, 0, s18
	s_mul_hi_u32 s18, s33, s8
	s_mul_i32 s8, s33, s8
	s_mul_i32 s9, s33, s9
	v_sub_co_u32 v2, s8, s78, s8
	s_add_i32 s18, s18, s9
	s_cmp_lg_u32 s8, 0
	s_delay_alu instid0(VALU_DEP_1) | instskip(SKIP_2) | instid1(VALU_DEP_1)
	v_sub_co_u32 v3, s8, v2, s33
	s_subb_u32 s9, s27, s18
	s_cmp_lg_u32 s8, 0
	v_cmp_le_u32_e32 vcc_lo, s33, v3
	v_sub_co_u32 v4, s8, v3, s33
	s_subb_u32 s18, s9, 0
	s_cmp_lg_u32 s8, 0
	v_cndmask_b32_e64 v5, 0, -1, vcc_lo
	s_subb_u32 s8, s18, 0
	s_cmp_eq_u32 s18, 0
	v_mov_b32_e32 v7, s8
	s_cselect_b32 vcc_lo, -1, 0
	s_cmp_eq_u32 s9, 0
	v_cndmask_b32_e32 v5, -1, v5, vcc_lo
	v_cmp_le_u32_e32 vcc_lo, s33, v2
	s_cselect_b32 s8, -1, 0
	v_cndmask_b32_e64 v6, 0, -1, vcc_lo
	s_delay_alu instid0(VALU_DEP_3) | instskip(NEXT) | instid1(VALU_DEP_2)
	v_cmp_ne_u32_e32 vcc_lo, 0, v5
	v_cndmask_b32_e64 v5, -1, v6, s8
	v_cndmask_b32_e32 v6, s18, v7, vcc_lo
	v_cndmask_b32_e32 v4, v3, v4, vcc_lo
	s_delay_alu instid0(VALU_DEP_3) | instskip(NEXT) | instid1(VALU_DEP_3)
	v_cmp_ne_u32_e32 vcc_lo, 0, v5
	v_cndmask_b32_e32 v3, s9, v6, vcc_lo
	s_delay_alu instid0(VALU_DEP_3)
	v_cndmask_b32_e32 v2, v2, v4, vcc_lo
	s_cbranch_execnz .LBB216_100
.LBB216_99:                             ;   in Loop: Header=BB216_6 Depth=1
	v_cvt_f32_u32_e32 v2, s33
	s_sub_i32 s8, 0, s33
	s_delay_alu instid0(VALU_DEP_1) | instskip(SKIP_2) | instid1(VALU_DEP_1)
	v_rcp_iflag_f32_e32 v2, v2
	s_waitcnt_depctr 0xfff
	v_mul_f32_e32 v2, 0x4f7ffffe, v2
	v_cvt_u32_f32_e32 v2, v2
	s_delay_alu instid0(VALU_DEP_1) | instskip(NEXT) | instid1(VALU_DEP_1)
	v_mul_lo_u32 v3, s8, v2
	v_mul_hi_u32 v3, v2, v3
	s_delay_alu instid0(VALU_DEP_1) | instskip(NEXT) | instid1(VALU_DEP_1)
	v_add_nc_u32_e32 v2, v2, v3
	v_mul_hi_u32 v2, s78, v2
	s_delay_alu instid0(VALU_DEP_1) | instskip(NEXT) | instid1(VALU_DEP_1)
	v_mul_lo_u32 v2, v2, s33
	v_sub_nc_u32_e32 v2, s78, v2
	s_delay_alu instid0(VALU_DEP_1) | instskip(SKIP_1) | instid1(VALU_DEP_2)
	v_subrev_nc_u32_e32 v3, s33, v2
	v_cmp_le_u32_e32 vcc_lo, s33, v2
	v_cndmask_b32_e32 v2, v2, v3, vcc_lo
	s_delay_alu instid0(VALU_DEP_1) | instskip(SKIP_1) | instid1(VALU_DEP_2)
	v_subrev_nc_u32_e32 v3, s33, v2
	v_cmp_le_u32_e32 vcc_lo, s33, v2
	v_cndmask_b32_e32 v12, v2, v3, vcc_lo
	s_delay_alu instid0(VALU_DEP_1)
	v_dual_mov_b32 v2, v12 :: v_dual_mov_b32 v3, v13
.LBB216_100:                            ;   in Loop: Header=BB216_6 Depth=1
	s_delay_alu instid0(VALU_DEP_1) | instskip(NEXT) | instid1(VALU_DEP_2)
	v_sub_co_u32 v2, vcc_lo, s78, v2
	v_sub_co_ci_u32_e32 v3, vcc_lo, s27, v3, vcc_lo
	s_mov_b32 s8, 0
	s_mov_b32 s9, exec_lo
                                        ; implicit-def: $vgpr6
	s_delay_alu instid0(VALU_DEP_1)
	v_cmpx_gt_u64_e64 v[2:3], v[0:1]
	s_cbranch_execz .LBB216_109
; %bb.101:                              ;   in Loop: Header=BB216_6 Depth=1
	v_dual_mov_b32 v4, v10 :: v_dual_mov_b32 v5, v11
	v_dual_mov_b32 v7, v1 :: v_dual_mov_b32 v6, v0
	s_mov_b32 s18, 0
                                        ; implicit-def: $sgpr19
	s_branch .LBB216_103
.LBB216_102:                            ;   in Loop: Header=BB216_103 Depth=2
	s_or_b32 exec_lo, exec_lo, s8
	s_waitcnt vmcnt(0) lgkmcnt(0)
	s_barrier
	buffer_gl0_inv
	ds_load_b32 v8, v13 offset:3072
	v_add_co_u32 v6, vcc_lo, v6, s33
	v_add_co_ci_u32_e32 v7, vcc_lo, 0, v7, vcc_lo
	s_waitcnt lgkmcnt(0)
	s_barrier
	buffer_gl0_inv
	v_cmp_ge_u64_e32 vcc_lo, v[6:7], v[2:3]
	v_and_b32_e32 v9, 0x7fff, v8
	s_delay_alu instid0(VALU_DEP_1) | instskip(NEXT) | instid1(VALU_DEP_1)
	v_cmp_ne_u16_e64 s8, 0, v9
	s_or_b32 s23, vcc_lo, s8
	v_add_co_u32 v4, vcc_lo, v4, s34
	s_and_b32 s23, exec_lo, s23
	v_add_co_ci_u32_e32 v5, vcc_lo, s35, v5, vcc_lo
	s_or_b32 s18, s23, s18
	s_and_not1_b32 s19, s19, exec_lo
	s_and_b32 s8, s8, exec_lo
	s_delay_alu instid0(SALU_CYCLE_1)
	s_or_b32 s19, s19, s8
	s_and_not1_b32 exec_lo, exec_lo, s18
	s_cbranch_execz .LBB216_108
.LBB216_103:                            ;   Parent Loop BB216_6 Depth=1
                                        ; =>  This Inner Loop Header: Depth=2
	s_delay_alu instid0(VALU_DEP_1)
	v_cmp_gt_u64_e32 vcc_lo, s[28:29], v[6:7]
	v_mov_b32_e32 v8, 0
	s_and_saveexec_b32 s8, vcc_lo
	s_cbranch_execz .LBB216_105
; %bb.104:                              ;   in Loop: Header=BB216_103 Depth=2
	global_load_u16 v8, v[4:5], off
.LBB216_105:                            ;   in Loop: Header=BB216_103 Depth=2
	s_or_b32 exec_lo, exec_lo, s8
	s_and_saveexec_b32 s8, vcc_lo
	s_cbranch_execz .LBB216_102
; %bb.106:                              ;   in Loop: Header=BB216_103 Depth=2
	s_waitcnt vmcnt(0)
	v_cmp_lt_i16_e32 vcc_lo, -1, v8
	v_and_b32_e32 v9, 0xffff, v8
	v_dual_cndmask_b32 v12, 0xffff, v37 :: v_dual_lshlrev_b32 v27, 16, v8
	s_delay_alu instid0(VALU_DEP_1) | instskip(NEXT) | instid1(VALU_DEP_2)
	v_cmp_o_f32_e32 vcc_lo, v27, v27
	v_xor_b32_e32 v9, v12, v9
	s_delay_alu instid0(VALU_DEP_1) | instskip(NEXT) | instid1(VALU_DEP_1)
	v_cndmask_b32_e32 v9, 0xffff, v9, vcc_lo
	v_and_b32_e32 v9, v9, v26
	s_delay_alu instid0(VALU_DEP_1)
	v_cmp_eq_u32_e32 vcc_lo, v9, v25
	s_and_b32 exec_lo, exec_lo, vcc_lo
	s_cbranch_execz .LBB216_102
; %bb.107:                              ;   in Loop: Header=BB216_103 Depth=2
	v_perm_b32 v8, v8, s87, 0x5040100
	ds_store_b32 v13, v8 offset:3072
	s_branch .LBB216_102
.LBB216_108:                            ;   in Loop: Header=BB216_6 Depth=1
	s_or_b32 exec_lo, exec_lo, s18
	v_lshrrev_b32_e32 v6, 16, v8
	s_and_b32 s8, s19, exec_lo
.LBB216_109:                            ;   in Loop: Header=BB216_6 Depth=1
	s_or_b32 exec_lo, exec_lo, s9
	s_mov_b32 s62, -1
	s_mov_b32 s23, 0
	s_mov_b32 s52, 0
.LBB216_110:                            ;   in Loop: Header=BB216_6 Depth=1
	s_or_not1_b32 s8, s8, exec_lo
.LBB216_111:                            ;   in Loop: Header=BB216_6 Depth=1
	s_or_b32 exec_lo, exec_lo, s24
	s_mov_b32 s63, 0
	s_mov_b32 s25, 0
	;; [unrolled: 1-line block ×3, first 2 shown]
                                        ; implicit-def: $vgpr7
                                        ; implicit-def: $vgpr2_vgpr3
	s_and_saveexec_b32 s64, s8
	s_cbranch_execz .LBB216_274
; %bb.112:                              ;   in Loop: Header=BB216_6 Depth=1
	v_dual_mov_b32 v2, 1 :: v_dual_mov_b32 v7, 1
	v_mov_b32_e32 v3, 0
	s_xor_b32 s9, s65, -1
	s_delay_alu instid0(SALU_CYCLE_1)
	s_and_saveexec_b32 s8, s9
	s_cbranch_execz .LBB216_122
; %bb.113:                              ;   in Loop: Header=BB216_6 Depth=1
	s_mov_b32 s18, exec_lo
                                        ; implicit-def: $sgpr19
                                        ; implicit-def: $sgpr9
	v_cmpx_ge_u64_e64 s[10:11], v[23:24]
	s_xor_b32 s18, exec_lo, s18
	s_cbranch_execz .LBB216_119
; %bb.114:                              ;   in Loop: Header=BB216_6 Depth=1
	ds_load_b64 v[2:3], v13 offset:5120
	s_waitcnt lgkmcnt(0)
	v_cmp_ne_u64_e32 vcc_lo, 0, v[2:3]
	s_cbranch_vccnz .LBB216_118
; %bb.115:                              ;   in Loop: Header=BB216_6 Depth=1
	s_and_saveexec_b32 s9, s5
	s_cbranch_execz .LBB216_117
; %bb.116:                              ;   in Loop: Header=BB216_6 Depth=1
	v_dual_mov_b32 v2, s10 :: v_dual_mov_b32 v3, s11
	ds_store_b64 v13, v[2:3] offset:5128
.LBB216_117:                            ;   in Loop: Header=BB216_6 Depth=1
	s_or_b32 exec_lo, exec_lo, s9
	s_waitcnt lgkmcnt(0)
	s_barrier
	buffer_gl0_inv
.LBB216_118:                            ;   in Loop: Header=BB216_6 Depth=1
	v_and_b32_e32 v25, s21, v25
	v_or_b32_e32 v26, s20, v26
	s_mov_b32 s9, 0
	s_mov_b32 s19, 8
.LBB216_119:                            ;   in Loop: Header=BB216_6 Depth=1
	s_or_saveexec_b32 s18, s18
	v_dual_mov_b32 v7, s19 :: v_dual_mov_b32 v2, v23
	v_mov_b32_e32 v3, v24
	s_xor_b32 exec_lo, exec_lo, s18
; %bb.120:                              ;   in Loop: Header=BB216_6 Depth=1
	v_sub_co_u32 v2, vcc_lo, v23, s10
	v_subrev_co_ci_u32_e32 v3, vcc_lo, s11, v24, vcc_lo
	v_mov_b32_e32 v7, 0
	s_or_b32 s9, s9, exec_lo
; %bb.121:                              ;   in Loop: Header=BB216_6 Depth=1
	s_or_b32 exec_lo, exec_lo, s18
	s_delay_alu instid0(SALU_CYCLE_1)
	s_and_b32 s24, s9, exec_lo
.LBB216_122:                            ;   in Loop: Header=BB216_6 Depth=1
	s_or_b32 exec_lo, exec_lo, s8
	s_mov_b32 s25, -1
                                        ; implicit-def: $sgpr9
                                        ; implicit-def: $sgpr18
                                        ; implicit-def: $sgpr19
	s_and_saveexec_b32 s8, s24
	s_delay_alu instid0(SALU_CYCLE_1)
	s_xor_b32 s24, exec_lo, s8
	s_cbranch_execz .LBB216_271
; %bb.123:                              ;   in Loop: Header=BB216_6 Depth=1
	v_cmp_eq_u64_e32 vcc_lo, 1, v[2:3]
	s_cmp_eq_u64 s[12:13], 1
                                        ; implicit-def: $sgpr25
                                        ; implicit-def: $sgpr66
                                        ; implicit-def: $sgpr65
	s_cselect_b32 s8, -1, 0
	s_delay_alu instid0(SALU_CYCLE_1)
	s_and_b32 s68, s8, vcc_lo
	s_mov_b32 s8, -1
	s_and_saveexec_b32 s67, s68
	s_cbranch_execz .LBB216_157
; %bb.124:                              ;   in Loop: Header=BB216_6 Depth=1
	ds_load_b64 v[4:5], v13 offset:5120
	s_waitcnt lgkmcnt(0)
	s_barrier
	buffer_gl0_inv
	v_readfirstlane_b32 s18, v4
	v_readfirstlane_b32 s19, v5
	s_and_saveexec_b32 s8, s6
	s_cbranch_execz .LBB216_126
; %bb.125:                              ;   in Loop: Header=BB216_6 Depth=1
	ds_store_b16 v33, v13
.LBB216_126:                            ;   in Loop: Header=BB216_6 Depth=1
	s_or_b32 exec_lo, exec_lo, s8
	s_lshl_b32 s8, 1, s22
	v_or_b32_e32 v26, s20, v26
	v_and_or_b32 v25, v25, s21, s8
	s_cmp_eq_u64 s[18:19], 0
	s_waitcnt lgkmcnt(0)
	s_barrier
	buffer_gl0_inv
	s_cbranch_scc1 .LBB216_140
; %bb.127:                              ;   in Loop: Header=BB216_6 Depth=1
	s_add_u32 s25, s76, s18
	s_addc_u32 s9, s77, s19
	s_mov_b32 s8, s53
	s_delay_alu instid0(SALU_CYCLE_1)
	s_cmp_lg_u64 s[8:9], 0
	s_cbranch_scc0 .LBB216_184
; %bb.128:                              ;   in Loop: Header=BB216_6 Depth=1
	v_cvt_f32_u32_e32 v4, s33
	s_sub_u32 s65, 0, s33
	s_subb_u32 s66, 0, 0
	s_delay_alu instid0(VALU_DEP_1) | instskip(NEXT) | instid1(VALU_DEP_1)
	v_fmac_f32_e64 v4, 0, 0x4f800000
	v_rcp_f32_e32 v4, v4
	s_waitcnt_depctr 0xfff
	v_mul_f32_e32 v4, 0x5f7ffffc, v4
	s_delay_alu instid0(VALU_DEP_1) | instskip(NEXT) | instid1(VALU_DEP_1)
	v_mul_f32_e32 v5, 0x2f800000, v4
	v_trunc_f32_e32 v5, v5
	s_delay_alu instid0(VALU_DEP_1) | instskip(SKIP_1) | instid1(VALU_DEP_2)
	v_fmac_f32_e32 v4, 0xcf800000, v5
	v_cvt_u32_f32_e32 v5, v5
	v_cvt_u32_f32_e32 v4, v4
	s_delay_alu instid0(VALU_DEP_2) | instskip(NEXT) | instid1(VALU_DEP_2)
	v_readfirstlane_b32 s8, v5
	v_readfirstlane_b32 s26, v4
	s_delay_alu instid0(VALU_DEP_2) | instskip(NEXT) | instid1(VALU_DEP_1)
	s_mul_i32 s69, s65, s8
	s_mul_hi_u32 s71, s65, s26
	s_mul_i32 s70, s66, s26
	s_add_i32 s69, s71, s69
	s_mul_i32 s72, s65, s26
	s_add_i32 s69, s69, s70
	s_mul_hi_u32 s71, s26, s72
	s_mul_hi_u32 s73, s8, s72
	s_mul_i32 s70, s8, s72
	s_mul_hi_u32 s72, s26, s69
	s_mul_i32 s26, s26, s69
	s_mul_hi_u32 s99, s8, s69
	s_add_u32 s26, s71, s26
	s_addc_u32 s71, 0, s72
	s_add_u32 s26, s26, s70
	s_mul_i32 s69, s8, s69
	s_addc_u32 s26, s71, s73
	s_addc_u32 s70, s99, 0
	s_add_u32 s26, s26, s69
	s_addc_u32 s69, 0, s70
	v_add_co_u32 v4, s26, v4, s26
	s_delay_alu instid0(VALU_DEP_1) | instskip(SKIP_1) | instid1(VALU_DEP_1)
	s_cmp_lg_u32 s26, 0
	s_addc_u32 s8, s8, s69
	v_readfirstlane_b32 s26, v4
	s_mul_i32 s69, s65, s8
	s_delay_alu instid0(VALU_DEP_1)
	s_mul_hi_u32 s70, s65, s26
	s_mul_i32 s66, s66, s26
	s_add_i32 s69, s70, s69
	s_mul_i32 s65, s65, s26
	s_add_i32 s69, s69, s66
	s_mul_hi_u32 s70, s8, s65
	s_mul_i32 s71, s8, s65
	s_mul_hi_u32 s65, s26, s65
	s_mul_hi_u32 s72, s26, s69
	s_mul_i32 s26, s26, s69
	s_mul_hi_u32 s66, s8, s69
	s_add_u32 s26, s65, s26
	s_addc_u32 s65, 0, s72
	s_add_u32 s26, s26, s71
	s_mul_i32 s69, s8, s69
	s_addc_u32 s26, s65, s70
	s_addc_u32 s65, s66, 0
	s_add_u32 s26, s26, s69
	s_addc_u32 s65, 0, s65
	v_add_co_u32 v4, s26, v4, s26
	s_delay_alu instid0(VALU_DEP_1) | instskip(SKIP_1) | instid1(VALU_DEP_1)
	s_cmp_lg_u32 s26, 0
	s_addc_u32 s8, s8, s65
	v_readfirstlane_b32 s26, v4
	s_mul_i32 s66, s25, s8
	s_mul_hi_u32 s65, s25, s8
	s_mul_hi_u32 s69, s9, s8
	s_mul_i32 s8, s9, s8
	s_mul_hi_u32 s70, s25, s26
	s_mul_hi_u32 s71, s9, s26
	s_mul_i32 s26, s9, s26
	s_add_u32 s66, s70, s66
	s_addc_u32 s65, 0, s65
	s_add_u32 s26, s66, s26
	s_addc_u32 s26, s65, s71
	s_addc_u32 s65, s69, 0
	s_add_u32 s8, s26, s8
	s_addc_u32 s26, 0, s65
	s_mul_hi_u32 s65, s33, s8
	s_mul_i32 s8, s33, s8
	s_mul_i32 s26, s33, s26
	v_sub_co_u32 v4, s8, s25, s8
	s_add_i32 s65, s65, s26
	s_cmp_lg_u32 s8, 0
	s_delay_alu instid0(VALU_DEP_1) | instskip(SKIP_2) | instid1(VALU_DEP_1)
	v_sub_co_u32 v5, s8, v4, s33
	s_subb_u32 s26, s9, s65
	s_cmp_lg_u32 s8, 0
	v_cmp_le_u32_e32 vcc_lo, s33, v5
	v_sub_co_u32 v6, s8, v5, s33
	s_subb_u32 s65, s26, 0
	s_cmp_lg_u32 s8, 0
	v_cndmask_b32_e64 v7, 0, -1, vcc_lo
	s_subb_u32 s8, s65, 0
	s_cmp_eq_u32 s65, 0
	v_mov_b32_e32 v9, s8
	s_cselect_b32 vcc_lo, -1, 0
	s_cmp_eq_u32 s26, 0
	v_cndmask_b32_e32 v7, -1, v7, vcc_lo
	v_cmp_le_u32_e32 vcc_lo, s33, v4
	s_cselect_b32 s8, -1, 0
	v_cndmask_b32_e64 v8, 0, -1, vcc_lo
	s_delay_alu instid0(VALU_DEP_3) | instskip(NEXT) | instid1(VALU_DEP_2)
	v_cmp_ne_u32_e32 vcc_lo, 0, v7
	v_cndmask_b32_e64 v7, -1, v8, s8
	v_cndmask_b32_e32 v8, s65, v9, vcc_lo
	v_cndmask_b32_e32 v6, v5, v6, vcc_lo
	s_delay_alu instid0(VALU_DEP_3) | instskip(NEXT) | instid1(VALU_DEP_3)
	v_cmp_ne_u32_e32 vcc_lo, 0, v7
	v_cndmask_b32_e32 v5, s26, v8, vcc_lo
	s_delay_alu instid0(VALU_DEP_3)
	v_cndmask_b32_e32 v4, v4, v6, vcc_lo
	s_cbranch_execnz .LBB216_130
.LBB216_129:                            ;   in Loop: Header=BB216_6 Depth=1
	v_cvt_f32_u32_e32 v4, s33
	s_sub_i32 s8, 0, s33
	s_delay_alu instid0(VALU_DEP_1) | instskip(SKIP_2) | instid1(VALU_DEP_1)
	v_rcp_iflag_f32_e32 v4, v4
	s_waitcnt_depctr 0xfff
	v_mul_f32_e32 v4, 0x4f7ffffe, v4
	v_cvt_u32_f32_e32 v4, v4
	s_delay_alu instid0(VALU_DEP_1) | instskip(NEXT) | instid1(VALU_DEP_1)
	v_mul_lo_u32 v5, s8, v4
	v_mul_hi_u32 v5, v4, v5
	s_delay_alu instid0(VALU_DEP_1) | instskip(NEXT) | instid1(VALU_DEP_1)
	v_add_nc_u32_e32 v4, v4, v5
	v_mul_hi_u32 v4, s25, v4
	s_delay_alu instid0(VALU_DEP_1) | instskip(NEXT) | instid1(VALU_DEP_1)
	v_mul_lo_u32 v4, v4, s33
	v_sub_nc_u32_e32 v4, s25, v4
	s_delay_alu instid0(VALU_DEP_1) | instskip(SKIP_1) | instid1(VALU_DEP_2)
	v_subrev_nc_u32_e32 v5, s33, v4
	v_cmp_le_u32_e32 vcc_lo, s33, v4
	v_cndmask_b32_e32 v4, v4, v5, vcc_lo
	s_delay_alu instid0(VALU_DEP_1) | instskip(SKIP_1) | instid1(VALU_DEP_2)
	v_subrev_nc_u32_e32 v5, s33, v4
	v_cmp_le_u32_e32 vcc_lo, s33, v4
	v_cndmask_b32_e32 v12, v4, v5, vcc_lo
	s_delay_alu instid0(VALU_DEP_1)
	v_dual_mov_b32 v4, v12 :: v_dual_mov_b32 v5, v13
.LBB216_130:                            ;   in Loop: Header=BB216_6 Depth=1
	s_delay_alu instid0(VALU_DEP_1) | instskip(NEXT) | instid1(VALU_DEP_2)
	v_sub_co_u32 v4, vcc_lo, s25, v4
	v_sub_co_ci_u32_e32 v5, vcc_lo, s9, v5, vcc_lo
	s_mov_b32 s8, 0
	s_mov_b32 s9, exec_lo
                                        ; implicit-def: $vgpr6
	s_delay_alu instid0(VALU_DEP_1)
	v_cmpx_gt_u64_e64 v[4:5], v[0:1]
	s_cbranch_execz .LBB216_142
; %bb.131:                              ;   in Loop: Header=BB216_6 Depth=1
	v_dual_mov_b32 v8, v31 :: v_dual_mov_b32 v7, v1
	v_mov_b32_e32 v6, v0
	s_mov_b32 s25, 0
                                        ; implicit-def: $sgpr26
	s_branch .LBB216_133
.LBB216_132:                            ;   in Loop: Header=BB216_133 Depth=2
	s_or_b32 exec_lo, exec_lo, s8
	s_waitcnt lgkmcnt(0)
	s_barrier
	buffer_gl0_inv
	ds_load_b32 v9, v13 offset:3072
	v_add_co_u32 v6, vcc_lo, v6, s33
	v_add_co_ci_u32_e32 v7, vcc_lo, 0, v7, vcc_lo
	v_add_nc_u32_e32 v8, s84, v8
	s_waitcnt lgkmcnt(0)
	s_barrier
	s_delay_alu instid0(VALU_DEP_2) | instskip(SKIP_2) | instid1(VALU_DEP_1)
	v_cmp_ge_u64_e32 vcc_lo, v[6:7], v[4:5]
	buffer_gl0_inv
	v_and_b32_e32 v12, 0x7fff, v9
	v_cmp_ne_u16_e64 s8, 0, v12
	s_delay_alu instid0(VALU_DEP_1) | instskip(NEXT) | instid1(SALU_CYCLE_1)
	s_or_b32 s65, vcc_lo, s8
	s_and_b32 s65, exec_lo, s65
	s_delay_alu instid0(SALU_CYCLE_1) | instskip(SKIP_2) | instid1(SALU_CYCLE_1)
	s_or_b32 s25, s65, s25
	s_and_not1_b32 s26, s26, exec_lo
	s_and_b32 s8, s8, exec_lo
	s_or_b32 s26, s26, s8
	s_and_not1_b32 exec_lo, exec_lo, s25
	s_cbranch_execz .LBB216_141
.LBB216_133:                            ;   Parent Loop BB216_6 Depth=1
                                        ; =>  This Inner Loop Header: Depth=2
	s_delay_alu instid0(VALU_DEP_1)
	v_cmp_gt_u64_e32 vcc_lo, s[18:19], v[6:7]
	v_mov_b32_e32 v9, 0
	s_and_saveexec_b32 s8, vcc_lo
	s_cbranch_execz .LBB216_135
; %bb.134:                              ;   in Loop: Header=BB216_133 Depth=2
	ds_load_u16 v9, v8
.LBB216_135:                            ;   in Loop: Header=BB216_133 Depth=2
	s_or_b32 exec_lo, exec_lo, s8
	s_and_saveexec_b32 s8, vcc_lo
	s_cbranch_execz .LBB216_132
; %bb.136:                              ;   in Loop: Header=BB216_133 Depth=2
	s_waitcnt lgkmcnt(0)
	v_cmp_lt_i16_e32 vcc_lo, -1, v9
	v_and_b32_e32 v12, 0xffff, v9
	v_lshlrev_b32_e32 v28, 16, v9
	v_cndmask_b32_e32 v27, 0xffff, v37, vcc_lo
	s_delay_alu instid0(VALU_DEP_2) | instskip(NEXT) | instid1(VALU_DEP_2)
	v_cmp_o_f32_e32 vcc_lo, v28, v28
	v_xor_b32_e32 v12, v27, v12
	s_delay_alu instid0(VALU_DEP_1) | instskip(NEXT) | instid1(VALU_DEP_1)
	v_cndmask_b32_e32 v12, 0xffff, v12, vcc_lo
	v_and_b32_e32 v12, v12, v26
	s_delay_alu instid0(VALU_DEP_1)
	v_cmp_eq_u32_e32 vcc_lo, v12, v25
	s_and_b32 exec_lo, exec_lo, vcc_lo
	s_cbranch_execz .LBB216_132
; %bb.137:                              ;   in Loop: Header=BB216_133 Depth=2
	v_perm_b32 v9, v9, s87, 0x5040100
	ds_store_b32 v13, v9 offset:3072
	s_branch .LBB216_132
.LBB216_138:                            ;   in Loop: Header=BB216_6 Depth=1
                                        ; implicit-def: $vgpr2_vgpr3
	s_branch .LBB216_83
.LBB216_139:                            ;   in Loop: Header=BB216_6 Depth=1
                                        ; implicit-def: $vgpr2_vgpr3
	s_branch .LBB216_99
.LBB216_140:                            ;   in Loop: Header=BB216_6 Depth=1
	s_mov_b32 s25, -1
	s_mov_b32 s8, 0
                                        ; implicit-def: $sgpr65
                                        ; implicit-def: $vgpr6
	s_mov_b32 s66, s25
	s_cbranch_execnz .LBB216_143
	s_branch .LBB216_156
.LBB216_141:                            ;   in Loop: Header=BB216_6 Depth=1
	s_or_b32 exec_lo, exec_lo, s25
	v_lshrrev_b32_e32 v6, 16, v9
	s_and_b32 s8, s26, exec_lo
.LBB216_142:                            ;   in Loop: Header=BB216_6 Depth=1
	s_or_b32 exec_lo, exec_lo, s9
	s_mov_b32 s65, -1
	s_mov_b32 s25, 0
	s_delay_alu instid0(SALU_CYCLE_1)
	s_mov_b32 s66, s25
	s_branch .LBB216_156
.LBB216_143:                            ;   in Loop: Header=BB216_6 Depth=1
	s_mov_b32 s26, s53
	s_delay_alu instid0(SALU_CYCLE_1)
	s_cmp_lg_u64 s[26:27], 0
	s_cbranch_scc0 .LBB216_185
; %bb.144:                              ;   in Loop: Header=BB216_6 Depth=1
	v_cvt_f32_u32_e32 v4, s33
	s_sub_u32 s18, 0, s33
	s_subb_u32 s19, 0, 0
	s_delay_alu instid0(VALU_DEP_1) | instskip(NEXT) | instid1(VALU_DEP_1)
	v_fmac_f32_e64 v4, 0, 0x4f800000
	v_rcp_f32_e32 v4, v4
	s_waitcnt_depctr 0xfff
	v_mul_f32_e32 v4, 0x5f7ffffc, v4
	s_delay_alu instid0(VALU_DEP_1) | instskip(NEXT) | instid1(VALU_DEP_1)
	v_mul_f32_e32 v5, 0x2f800000, v4
	v_trunc_f32_e32 v5, v5
	s_delay_alu instid0(VALU_DEP_1) | instskip(SKIP_1) | instid1(VALU_DEP_2)
	v_fmac_f32_e32 v4, 0xcf800000, v5
	v_cvt_u32_f32_e32 v5, v5
	v_cvt_u32_f32_e32 v4, v4
	s_delay_alu instid0(VALU_DEP_2) | instskip(NEXT) | instid1(VALU_DEP_2)
	v_readfirstlane_b32 s8, v5
	v_readfirstlane_b32 s9, v4
	s_delay_alu instid0(VALU_DEP_2) | instskip(NEXT) | instid1(VALU_DEP_1)
	s_mul_i32 s25, s18, s8
	s_mul_hi_u32 s65, s18, s9
	s_mul_i32 s26, s19, s9
	s_add_i32 s25, s65, s25
	s_mul_i32 s66, s18, s9
	s_add_i32 s25, s25, s26
	s_mul_hi_u32 s65, s9, s66
	s_mul_hi_u32 s69, s8, s66
	s_mul_i32 s26, s8, s66
	s_mul_hi_u32 s66, s9, s25
	s_mul_i32 s9, s9, s25
	s_mul_hi_u32 s70, s8, s25
	s_add_u32 s9, s65, s9
	s_addc_u32 s65, 0, s66
	s_add_u32 s9, s9, s26
	s_mul_i32 s25, s8, s25
	s_addc_u32 s9, s65, s69
	s_addc_u32 s26, s70, 0
	s_add_u32 s9, s9, s25
	s_addc_u32 s25, 0, s26
	v_add_co_u32 v4, s9, v4, s9
	s_delay_alu instid0(VALU_DEP_1) | instskip(SKIP_1) | instid1(VALU_DEP_1)
	s_cmp_lg_u32 s9, 0
	s_addc_u32 s8, s8, s25
	v_readfirstlane_b32 s9, v4
	s_mul_i32 s25, s18, s8
	s_delay_alu instid0(VALU_DEP_1)
	s_mul_hi_u32 s26, s18, s9
	s_mul_i32 s19, s19, s9
	s_add_i32 s25, s26, s25
	s_mul_i32 s18, s18, s9
	s_add_i32 s25, s25, s19
	s_mul_hi_u32 s26, s8, s18
	s_mul_i32 s65, s8, s18
	s_mul_hi_u32 s18, s9, s18
	s_mul_hi_u32 s66, s9, s25
	s_mul_i32 s9, s9, s25
	s_mul_hi_u32 s19, s8, s25
	s_add_u32 s9, s18, s9
	s_addc_u32 s18, 0, s66
	s_add_u32 s9, s9, s65
	s_mul_i32 s25, s8, s25
	s_addc_u32 s9, s18, s26
	s_addc_u32 s18, s19, 0
	s_add_u32 s9, s9, s25
	s_addc_u32 s18, 0, s18
	v_add_co_u32 v4, s9, v4, s9
	s_delay_alu instid0(VALU_DEP_1) | instskip(SKIP_1) | instid1(VALU_DEP_1)
	s_cmp_lg_u32 s9, 0
	s_addc_u32 s8, s8, s18
	v_readfirstlane_b32 s9, v4
	s_mul_i32 s19, s78, s8
	s_mul_hi_u32 s18, s78, s8
	s_mul_hi_u32 s25, s27, s8
	s_mul_i32 s8, s27, s8
	s_mul_hi_u32 s26, s78, s9
	s_mul_hi_u32 s65, s27, s9
	s_mul_i32 s9, s27, s9
	s_add_u32 s19, s26, s19
	s_addc_u32 s18, 0, s18
	s_add_u32 s9, s19, s9
	s_addc_u32 s9, s18, s65
	s_addc_u32 s18, s25, 0
	s_add_u32 s8, s9, s8
	s_addc_u32 s9, 0, s18
	s_mul_hi_u32 s18, s33, s8
	s_mul_i32 s8, s33, s8
	s_mul_i32 s9, s33, s9
	v_sub_co_u32 v4, s8, s78, s8
	s_add_i32 s18, s18, s9
	s_cmp_lg_u32 s8, 0
	s_delay_alu instid0(VALU_DEP_1) | instskip(SKIP_2) | instid1(VALU_DEP_1)
	v_sub_co_u32 v5, s8, v4, s33
	s_subb_u32 s9, s27, s18
	s_cmp_lg_u32 s8, 0
	v_cmp_le_u32_e32 vcc_lo, s33, v5
	v_sub_co_u32 v6, s8, v5, s33
	s_subb_u32 s18, s9, 0
	s_cmp_lg_u32 s8, 0
	v_cndmask_b32_e64 v7, 0, -1, vcc_lo
	s_subb_u32 s8, s18, 0
	s_cmp_eq_u32 s18, 0
	v_mov_b32_e32 v9, s8
	s_cselect_b32 vcc_lo, -1, 0
	s_cmp_eq_u32 s9, 0
	v_cndmask_b32_e32 v7, -1, v7, vcc_lo
	v_cmp_le_u32_e32 vcc_lo, s33, v4
	s_cselect_b32 s8, -1, 0
	v_cndmask_b32_e64 v8, 0, -1, vcc_lo
	s_delay_alu instid0(VALU_DEP_3) | instskip(NEXT) | instid1(VALU_DEP_2)
	v_cmp_ne_u32_e32 vcc_lo, 0, v7
	v_cndmask_b32_e64 v7, -1, v8, s8
	v_cndmask_b32_e32 v8, s18, v9, vcc_lo
	v_cndmask_b32_e32 v6, v5, v6, vcc_lo
	s_delay_alu instid0(VALU_DEP_3) | instskip(NEXT) | instid1(VALU_DEP_3)
	v_cmp_ne_u32_e32 vcc_lo, 0, v7
	v_cndmask_b32_e32 v5, s9, v8, vcc_lo
	s_delay_alu instid0(VALU_DEP_3)
	v_cndmask_b32_e32 v4, v4, v6, vcc_lo
	s_cbranch_execnz .LBB216_146
.LBB216_145:                            ;   in Loop: Header=BB216_6 Depth=1
	v_cvt_f32_u32_e32 v4, s33
	s_sub_i32 s8, 0, s33
	s_delay_alu instid0(VALU_DEP_1) | instskip(SKIP_2) | instid1(VALU_DEP_1)
	v_rcp_iflag_f32_e32 v4, v4
	s_waitcnt_depctr 0xfff
	v_mul_f32_e32 v4, 0x4f7ffffe, v4
	v_cvt_u32_f32_e32 v4, v4
	s_delay_alu instid0(VALU_DEP_1) | instskip(NEXT) | instid1(VALU_DEP_1)
	v_mul_lo_u32 v5, s8, v4
	v_mul_hi_u32 v5, v4, v5
	s_delay_alu instid0(VALU_DEP_1) | instskip(NEXT) | instid1(VALU_DEP_1)
	v_add_nc_u32_e32 v4, v4, v5
	v_mul_hi_u32 v4, s78, v4
	s_delay_alu instid0(VALU_DEP_1) | instskip(NEXT) | instid1(VALU_DEP_1)
	v_mul_lo_u32 v4, v4, s33
	v_sub_nc_u32_e32 v4, s78, v4
	s_delay_alu instid0(VALU_DEP_1) | instskip(SKIP_1) | instid1(VALU_DEP_2)
	v_subrev_nc_u32_e32 v5, s33, v4
	v_cmp_le_u32_e32 vcc_lo, s33, v4
	v_cndmask_b32_e32 v4, v4, v5, vcc_lo
	s_delay_alu instid0(VALU_DEP_1) | instskip(SKIP_1) | instid1(VALU_DEP_2)
	v_subrev_nc_u32_e32 v5, s33, v4
	v_cmp_le_u32_e32 vcc_lo, s33, v4
	v_cndmask_b32_e32 v12, v4, v5, vcc_lo
	s_delay_alu instid0(VALU_DEP_1)
	v_dual_mov_b32 v4, v12 :: v_dual_mov_b32 v5, v13
.LBB216_146:                            ;   in Loop: Header=BB216_6 Depth=1
	s_delay_alu instid0(VALU_DEP_1) | instskip(NEXT) | instid1(VALU_DEP_2)
	v_sub_co_u32 v4, vcc_lo, s78, v4
	v_sub_co_ci_u32_e32 v5, vcc_lo, s27, v5, vcc_lo
	s_mov_b32 s8, 0
	s_mov_b32 s9, exec_lo
                                        ; implicit-def: $vgpr6
	s_delay_alu instid0(VALU_DEP_1)
	v_cmpx_gt_u64_e64 v[4:5], v[0:1]
	s_cbranch_execz .LBB216_155
; %bb.147:                              ;   in Loop: Header=BB216_6 Depth=1
	v_dual_mov_b32 v6, v10 :: v_dual_mov_b32 v7, v11
	v_dual_mov_b32 v9, v1 :: v_dual_mov_b32 v8, v0
	s_mov_b32 s18, 0
                                        ; implicit-def: $sgpr19
	s_branch .LBB216_149
.LBB216_148:                            ;   in Loop: Header=BB216_149 Depth=2
	s_or_b32 exec_lo, exec_lo, s8
	s_waitcnt vmcnt(0) lgkmcnt(0)
	s_barrier
	buffer_gl0_inv
	ds_load_b32 v12, v13 offset:3072
	v_add_co_u32 v8, vcc_lo, v8, s33
	v_add_co_ci_u32_e32 v9, vcc_lo, 0, v9, vcc_lo
	s_waitcnt lgkmcnt(0)
	s_barrier
	buffer_gl0_inv
	v_cmp_ge_u64_e32 vcc_lo, v[8:9], v[4:5]
	v_and_b32_e32 v27, 0x7fff, v12
	s_delay_alu instid0(VALU_DEP_1) | instskip(NEXT) | instid1(VALU_DEP_1)
	v_cmp_ne_u16_e64 s8, 0, v27
	s_or_b32 s25, vcc_lo, s8
	v_add_co_u32 v6, vcc_lo, v6, s34
	s_and_b32 s25, exec_lo, s25
	v_add_co_ci_u32_e32 v7, vcc_lo, s35, v7, vcc_lo
	s_or_b32 s18, s25, s18
	s_and_not1_b32 s19, s19, exec_lo
	s_and_b32 s8, s8, exec_lo
	s_delay_alu instid0(SALU_CYCLE_1)
	s_or_b32 s19, s19, s8
	s_and_not1_b32 exec_lo, exec_lo, s18
	s_cbranch_execz .LBB216_154
.LBB216_149:                            ;   Parent Loop BB216_6 Depth=1
                                        ; =>  This Inner Loop Header: Depth=2
	s_delay_alu instid0(VALU_DEP_1)
	v_cmp_gt_u64_e32 vcc_lo, s[28:29], v[8:9]
	v_mov_b32_e32 v12, 0
	s_and_saveexec_b32 s8, vcc_lo
	s_cbranch_execz .LBB216_151
; %bb.150:                              ;   in Loop: Header=BB216_149 Depth=2
	global_load_u16 v12, v[6:7], off
.LBB216_151:                            ;   in Loop: Header=BB216_149 Depth=2
	s_or_b32 exec_lo, exec_lo, s8
	s_and_saveexec_b32 s8, vcc_lo
	s_cbranch_execz .LBB216_148
; %bb.152:                              ;   in Loop: Header=BB216_149 Depth=2
	s_waitcnt vmcnt(0)
	v_cmp_lt_i16_e32 vcc_lo, -1, v12
	v_and_b32_e32 v27, 0xffff, v12
	v_dual_cndmask_b32 v28, 0xffff, v37 :: v_dual_lshlrev_b32 v41, 16, v12
	s_delay_alu instid0(VALU_DEP_1) | instskip(NEXT) | instid1(VALU_DEP_2)
	v_cmp_o_f32_e32 vcc_lo, v41, v41
	v_xor_b32_e32 v27, v28, v27
	s_delay_alu instid0(VALU_DEP_1) | instskip(NEXT) | instid1(VALU_DEP_1)
	v_cndmask_b32_e32 v27, 0xffff, v27, vcc_lo
	v_and_b32_e32 v27, v27, v26
	s_delay_alu instid0(VALU_DEP_1)
	v_cmp_eq_u32_e32 vcc_lo, v27, v25
	s_and_b32 exec_lo, exec_lo, vcc_lo
	s_cbranch_execz .LBB216_148
; %bb.153:                              ;   in Loop: Header=BB216_149 Depth=2
	v_perm_b32 v12, v12, s87, 0x5040100
	ds_store_b32 v13, v12 offset:3072
	s_branch .LBB216_148
.LBB216_154:                            ;   in Loop: Header=BB216_6 Depth=1
	s_or_b32 exec_lo, exec_lo, s18
	v_lshrrev_b32_e32 v6, 16, v12
	s_and_b32 s8, s19, exec_lo
.LBB216_155:                            ;   in Loop: Header=BB216_6 Depth=1
	s_or_b32 exec_lo, exec_lo, s9
	s_mov_b32 s66, -1
	s_mov_b32 s25, 0
	s_mov_b32 s65, 0
.LBB216_156:                            ;   in Loop: Header=BB216_6 Depth=1
	s_or_not1_b32 s8, s8, exec_lo
.LBB216_157:                            ;   in Loop: Header=BB216_6 Depth=1
	s_or_b32 exec_lo, exec_lo, s67
	s_mov_b32 s26, 0
                                        ; implicit-def: $vgpr7
	s_and_saveexec_b32 s67, s8
	s_cbranch_execz .LBB216_270
; %bb.158:                              ;   in Loop: Header=BB216_6 Depth=1
	v_dual_mov_b32 v4, 1 :: v_dual_mov_b32 v7, 1
	v_mov_b32_e32 v5, 0
	s_xor_b32 s9, s68, -1
	s_delay_alu instid0(SALU_CYCLE_1)
	s_and_saveexec_b32 s8, s9
	s_cbranch_execz .LBB216_168
; %bb.159:                              ;   in Loop: Header=BB216_6 Depth=1
	s_mov_b32 s18, exec_lo
                                        ; implicit-def: $sgpr19
                                        ; implicit-def: $sgpr9
	v_cmpx_ge_u64_e64 s[12:13], v[2:3]
	s_xor_b32 s18, exec_lo, s18
	s_cbranch_execz .LBB216_165
; %bb.160:                              ;   in Loop: Header=BB216_6 Depth=1
	ds_load_b64 v[4:5], v13 offset:5120
	s_waitcnt lgkmcnt(0)
	v_cmp_ne_u64_e32 vcc_lo, 0, v[4:5]
	s_cbranch_vccnz .LBB216_164
; %bb.161:                              ;   in Loop: Header=BB216_6 Depth=1
	s_and_saveexec_b32 s9, s5
	s_cbranch_execz .LBB216_163
; %bb.162:                              ;   in Loop: Header=BB216_6 Depth=1
	v_dual_mov_b32 v4, s12 :: v_dual_mov_b32 v5, s13
	ds_store_b64 v13, v[4:5] offset:5128
.LBB216_163:                            ;   in Loop: Header=BB216_6 Depth=1
	s_or_b32 exec_lo, exec_lo, s9
	s_waitcnt lgkmcnt(0)
	s_barrier
	buffer_gl0_inv
.LBB216_164:                            ;   in Loop: Header=BB216_6 Depth=1
	s_lshl_b32 s9, 1, s22
	v_or_b32_e32 v26, s20, v26
	v_and_or_b32 v25, v25, s21, s9
	s_mov_b32 s9, 0
	s_mov_b32 s19, 8
.LBB216_165:                            ;   in Loop: Header=BB216_6 Depth=1
	s_or_saveexec_b32 s18, s18
	v_mov_b32_e32 v7, s19
	s_xor_b32 exec_lo, exec_lo, s18
; %bb.166:                              ;   in Loop: Header=BB216_6 Depth=1
	v_sub_co_u32 v2, vcc_lo, v2, s12
	v_subrev_co_ci_u32_e32 v3, vcc_lo, s13, v3, vcc_lo
	v_mov_b32_e32 v7, 0
	s_or_b32 s9, s9, exec_lo
; %bb.167:                              ;   in Loop: Header=BB216_6 Depth=1
	s_or_b32 exec_lo, exec_lo, s18
	s_delay_alu instid0(VALU_DEP_2)
	v_dual_mov_b32 v5, v3 :: v_dual_mov_b32 v4, v2
	s_and_b32 s26, s9, exec_lo
.LBB216_168:                            ;   in Loop: Header=BB216_6 Depth=1
	s_or_b32 exec_lo, exec_lo, s8
	s_mov_b32 s8, -1
                                        ; implicit-def: $sgpr9
                                        ; implicit-def: $sgpr18
                                        ; implicit-def: $sgpr19
	s_and_saveexec_b32 s68, s26
	s_cbranch_execz .LBB216_269
; %bb.169:                              ;   in Loop: Header=BB216_6 Depth=1
	v_cmp_eq_u64_e32 vcc_lo, 1, v[4:5]
	s_cmp_eq_u64 s[14:15], 1
                                        ; implicit-def: $sgpr69
                                        ; implicit-def: $sgpr71
                                        ; implicit-def: $sgpr70
	s_cselect_b32 s8, -1, 0
	s_delay_alu instid0(SALU_CYCLE_1)
	s_and_b32 s73, s8, vcc_lo
	s_mov_b32 s8, -1
	s_and_saveexec_b32 s72, s73
	s_cbranch_execz .LBB216_203
; %bb.170:                              ;   in Loop: Header=BB216_6 Depth=1
	ds_load_b64 v[2:3], v13 offset:5120
	s_waitcnt lgkmcnt(0)
	s_barrier
	buffer_gl0_inv
	v_readfirstlane_b32 s18, v2
	v_readfirstlane_b32 s19, v3
	s_and_saveexec_b32 s8, s6
	s_cbranch_execz .LBB216_172
; %bb.171:                              ;   in Loop: Header=BB216_6 Depth=1
	ds_store_b16 v33, v13
.LBB216_172:                            ;   in Loop: Header=BB216_6 Depth=1
	s_or_b32 exec_lo, exec_lo, s8
	s_lshl_b32 s8, 2, s22
	v_or_b32_e32 v26, s20, v26
	v_and_or_b32 v25, v25, s21, s8
	s_cmp_eq_u64 s[18:19], 0
	s_waitcnt lgkmcnt(0)
	s_barrier
	buffer_gl0_inv
	s_cbranch_scc1 .LBB216_186
; %bb.173:                              ;   in Loop: Header=BB216_6 Depth=1
	s_add_u32 s26, s76, s18
	s_addc_u32 s9, s77, s19
	s_mov_b32 s8, s53
	s_delay_alu instid0(SALU_CYCLE_1)
	s_cmp_lg_u64 s[8:9], 0
	s_cbranch_scc0 .LBB216_221
; %bb.174:                              ;   in Loop: Header=BB216_6 Depth=1
	v_cvt_f32_u32_e32 v2, s33
	s_sub_u32 s70, 0, s33
	s_subb_u32 s71, 0, 0
	s_delay_alu instid0(VALU_DEP_1) | instskip(NEXT) | instid1(VALU_DEP_1)
	v_fmac_f32_e64 v2, 0, 0x4f800000
	v_rcp_f32_e32 v2, v2
	s_waitcnt_depctr 0xfff
	v_mul_f32_e32 v2, 0x5f7ffffc, v2
	s_delay_alu instid0(VALU_DEP_1) | instskip(NEXT) | instid1(VALU_DEP_1)
	v_mul_f32_e32 v3, 0x2f800000, v2
	v_trunc_f32_e32 v3, v3
	s_delay_alu instid0(VALU_DEP_1) | instskip(SKIP_1) | instid1(VALU_DEP_2)
	v_fmac_f32_e32 v2, 0xcf800000, v3
	v_cvt_u32_f32_e32 v3, v3
	v_cvt_u32_f32_e32 v2, v2
	s_delay_alu instid0(VALU_DEP_2) | instskip(NEXT) | instid1(VALU_DEP_2)
	v_readfirstlane_b32 s8, v3
	v_readfirstlane_b32 s69, v2
	s_delay_alu instid0(VALU_DEP_2) | instskip(NEXT) | instid1(VALU_DEP_1)
	s_mul_i32 s99, s70, s8
	s_mul_hi_u32 s101, s70, s69
	s_mul_i32 s100, s71, s69
	s_add_i32 s99, s101, s99
	s_mul_i32 s102, s70, s69
	s_add_i32 s99, s99, s100
	s_mul_hi_u32 s101, s69, s102
	s_mul_hi_u32 s103, s8, s102
	s_mul_i32 s100, s8, s102
	s_mul_hi_u32 s102, s69, s99
	s_mul_i32 s69, s69, s99
	s_mul_hi_u32 s104, s8, s99
	s_add_u32 s69, s101, s69
	s_addc_u32 s101, 0, s102
	s_add_u32 s69, s69, s100
	s_mul_i32 s99, s8, s99
	s_addc_u32 s69, s101, s103
	s_addc_u32 s100, s104, 0
	s_add_u32 s69, s69, s99
	s_addc_u32 s99, 0, s100
	v_add_co_u32 v2, s69, v2, s69
	s_delay_alu instid0(VALU_DEP_1) | instskip(SKIP_1) | instid1(VALU_DEP_1)
	s_cmp_lg_u32 s69, 0
	s_addc_u32 s8, s8, s99
	v_readfirstlane_b32 s69, v2
	s_mul_i32 s99, s70, s8
	s_delay_alu instid0(VALU_DEP_1)
	s_mul_hi_u32 s100, s70, s69
	s_mul_i32 s71, s71, s69
	s_add_i32 s99, s100, s99
	s_mul_i32 s70, s70, s69
	s_add_i32 s99, s99, s71
	s_mul_hi_u32 s100, s8, s70
	s_mul_i32 s101, s8, s70
	s_mul_hi_u32 s70, s69, s70
	s_mul_hi_u32 s102, s69, s99
	s_mul_i32 s69, s69, s99
	s_mul_hi_u32 s71, s8, s99
	s_add_u32 s69, s70, s69
	s_addc_u32 s70, 0, s102
	s_add_u32 s69, s69, s101
	s_mul_i32 s99, s8, s99
	s_addc_u32 s69, s70, s100
	s_addc_u32 s70, s71, 0
	s_add_u32 s69, s69, s99
	s_addc_u32 s70, 0, s70
	v_add_co_u32 v2, s69, v2, s69
	s_delay_alu instid0(VALU_DEP_1) | instskip(SKIP_1) | instid1(VALU_DEP_1)
	s_cmp_lg_u32 s69, 0
	s_addc_u32 s8, s8, s70
	v_readfirstlane_b32 s69, v2
	s_mul_i32 s71, s26, s8
	s_mul_hi_u32 s70, s26, s8
	s_mul_hi_u32 s99, s9, s8
	s_mul_i32 s8, s9, s8
	s_mul_hi_u32 s100, s26, s69
	s_mul_hi_u32 s101, s9, s69
	s_mul_i32 s69, s9, s69
	s_add_u32 s71, s100, s71
	s_addc_u32 s70, 0, s70
	s_add_u32 s69, s71, s69
	s_addc_u32 s69, s70, s101
	s_addc_u32 s70, s99, 0
	s_add_u32 s8, s69, s8
	s_addc_u32 s69, 0, s70
	s_mul_hi_u32 s70, s33, s8
	s_mul_i32 s8, s33, s8
	s_mul_i32 s69, s33, s69
	v_sub_co_u32 v2, s8, s26, s8
	s_add_i32 s70, s70, s69
	s_cmp_lg_u32 s8, 0
	s_delay_alu instid0(VALU_DEP_1) | instskip(SKIP_2) | instid1(VALU_DEP_1)
	v_sub_co_u32 v3, s8, v2, s33
	s_subb_u32 s69, s9, s70
	s_cmp_lg_u32 s8, 0
	v_cmp_le_u32_e32 vcc_lo, s33, v3
	v_sub_co_u32 v6, s8, v3, s33
	s_subb_u32 s70, s69, 0
	s_cmp_lg_u32 s8, 0
	v_cndmask_b32_e64 v7, 0, -1, vcc_lo
	s_subb_u32 s8, s70, 0
	s_cmp_eq_u32 s70, 0
	v_mov_b32_e32 v9, s8
	s_cselect_b32 vcc_lo, -1, 0
	s_cmp_eq_u32 s69, 0
	v_cndmask_b32_e32 v7, -1, v7, vcc_lo
	v_cmp_le_u32_e32 vcc_lo, s33, v2
	s_cselect_b32 s8, -1, 0
	v_cndmask_b32_e64 v8, 0, -1, vcc_lo
	s_delay_alu instid0(VALU_DEP_3) | instskip(NEXT) | instid1(VALU_DEP_2)
	v_cmp_ne_u32_e32 vcc_lo, 0, v7
	v_cndmask_b32_e64 v7, -1, v8, s8
	v_cndmask_b32_e32 v8, s70, v9, vcc_lo
	v_cndmask_b32_e32 v6, v3, v6, vcc_lo
	s_delay_alu instid0(VALU_DEP_3) | instskip(NEXT) | instid1(VALU_DEP_3)
	v_cmp_ne_u32_e32 vcc_lo, 0, v7
	v_cndmask_b32_e32 v3, s69, v8, vcc_lo
	s_delay_alu instid0(VALU_DEP_3)
	v_cndmask_b32_e32 v2, v2, v6, vcc_lo
	s_cbranch_execnz .LBB216_176
.LBB216_175:                            ;   in Loop: Header=BB216_6 Depth=1
	v_cvt_f32_u32_e32 v2, s33
	s_sub_i32 s8, 0, s33
	s_delay_alu instid0(VALU_DEP_1) | instskip(SKIP_2) | instid1(VALU_DEP_1)
	v_rcp_iflag_f32_e32 v2, v2
	s_waitcnt_depctr 0xfff
	v_mul_f32_e32 v2, 0x4f7ffffe, v2
	v_cvt_u32_f32_e32 v2, v2
	s_delay_alu instid0(VALU_DEP_1) | instskip(NEXT) | instid1(VALU_DEP_1)
	v_mul_lo_u32 v3, s8, v2
	v_mul_hi_u32 v3, v2, v3
	s_delay_alu instid0(VALU_DEP_1) | instskip(NEXT) | instid1(VALU_DEP_1)
	v_add_nc_u32_e32 v2, v2, v3
	v_mul_hi_u32 v2, s26, v2
	s_delay_alu instid0(VALU_DEP_1) | instskip(NEXT) | instid1(VALU_DEP_1)
	v_mul_lo_u32 v2, v2, s33
	v_sub_nc_u32_e32 v2, s26, v2
	s_delay_alu instid0(VALU_DEP_1) | instskip(SKIP_1) | instid1(VALU_DEP_2)
	v_subrev_nc_u32_e32 v3, s33, v2
	v_cmp_le_u32_e32 vcc_lo, s33, v2
	v_cndmask_b32_e32 v2, v2, v3, vcc_lo
	s_delay_alu instid0(VALU_DEP_1) | instskip(SKIP_1) | instid1(VALU_DEP_2)
	v_subrev_nc_u32_e32 v3, s33, v2
	v_cmp_le_u32_e32 vcc_lo, s33, v2
	v_cndmask_b32_e32 v12, v2, v3, vcc_lo
	s_delay_alu instid0(VALU_DEP_1)
	v_dual_mov_b32 v2, v12 :: v_dual_mov_b32 v3, v13
.LBB216_176:                            ;   in Loop: Header=BB216_6 Depth=1
	s_delay_alu instid0(VALU_DEP_1) | instskip(NEXT) | instid1(VALU_DEP_2)
	v_sub_co_u32 v2, vcc_lo, s26, v2
	v_sub_co_ci_u32_e32 v3, vcc_lo, s9, v3, vcc_lo
	s_mov_b32 s8, 0
	s_mov_b32 s9, exec_lo
                                        ; implicit-def: $vgpr6
	s_delay_alu instid0(VALU_DEP_1)
	v_cmpx_gt_u64_e64 v[2:3], v[0:1]
	s_cbranch_execz .LBB216_188
; %bb.177:                              ;   in Loop: Header=BB216_6 Depth=1
	v_dual_mov_b32 v8, v31 :: v_dual_mov_b32 v7, v1
	v_mov_b32_e32 v6, v0
	s_mov_b32 s26, 0
                                        ; implicit-def: $sgpr69
	s_branch .LBB216_179
.LBB216_178:                            ;   in Loop: Header=BB216_179 Depth=2
	s_or_b32 exec_lo, exec_lo, s8
	s_waitcnt lgkmcnt(0)
	s_barrier
	buffer_gl0_inv
	ds_load_b32 v9, v13 offset:3072
	v_add_co_u32 v6, vcc_lo, v6, s33
	v_add_co_ci_u32_e32 v7, vcc_lo, 0, v7, vcc_lo
	v_add_nc_u32_e32 v8, s84, v8
	s_waitcnt lgkmcnt(0)
	s_barrier
	s_delay_alu instid0(VALU_DEP_2) | instskip(SKIP_2) | instid1(VALU_DEP_1)
	v_cmp_ge_u64_e32 vcc_lo, v[6:7], v[2:3]
	buffer_gl0_inv
	v_and_b32_e32 v12, 0x7fff, v9
	v_cmp_ne_u16_e64 s8, 0, v12
	s_delay_alu instid0(VALU_DEP_1) | instskip(NEXT) | instid1(SALU_CYCLE_1)
	s_or_b32 s70, vcc_lo, s8
	s_and_b32 s70, exec_lo, s70
	s_delay_alu instid0(SALU_CYCLE_1) | instskip(SKIP_2) | instid1(SALU_CYCLE_1)
	s_or_b32 s26, s70, s26
	s_and_not1_b32 s69, s69, exec_lo
	s_and_b32 s8, s8, exec_lo
	s_or_b32 s69, s69, s8
	s_and_not1_b32 exec_lo, exec_lo, s26
	s_cbranch_execz .LBB216_187
.LBB216_179:                            ;   Parent Loop BB216_6 Depth=1
                                        ; =>  This Inner Loop Header: Depth=2
	s_delay_alu instid0(VALU_DEP_1)
	v_cmp_gt_u64_e32 vcc_lo, s[18:19], v[6:7]
	v_mov_b32_e32 v9, 0
	s_and_saveexec_b32 s8, vcc_lo
	s_cbranch_execz .LBB216_181
; %bb.180:                              ;   in Loop: Header=BB216_179 Depth=2
	ds_load_u16 v9, v8
.LBB216_181:                            ;   in Loop: Header=BB216_179 Depth=2
	s_or_b32 exec_lo, exec_lo, s8
	s_and_saveexec_b32 s8, vcc_lo
	s_cbranch_execz .LBB216_178
; %bb.182:                              ;   in Loop: Header=BB216_179 Depth=2
	s_waitcnt lgkmcnt(0)
	v_cmp_lt_i16_e32 vcc_lo, -1, v9
	v_and_b32_e32 v12, 0xffff, v9
	v_lshlrev_b32_e32 v28, 16, v9
	v_cndmask_b32_e32 v27, 0xffff, v37, vcc_lo
	s_delay_alu instid0(VALU_DEP_2) | instskip(NEXT) | instid1(VALU_DEP_2)
	v_cmp_o_f32_e32 vcc_lo, v28, v28
	v_xor_b32_e32 v12, v27, v12
	s_delay_alu instid0(VALU_DEP_1) | instskip(NEXT) | instid1(VALU_DEP_1)
	v_cndmask_b32_e32 v12, 0xffff, v12, vcc_lo
	v_and_b32_e32 v12, v12, v26
	s_delay_alu instid0(VALU_DEP_1)
	v_cmp_eq_u32_e32 vcc_lo, v12, v25
	s_and_b32 exec_lo, exec_lo, vcc_lo
	s_cbranch_execz .LBB216_178
; %bb.183:                              ;   in Loop: Header=BB216_179 Depth=2
	v_perm_b32 v9, v9, s87, 0x5040100
	ds_store_b32 v13, v9 offset:3072
	s_branch .LBB216_178
.LBB216_184:                            ;   in Loop: Header=BB216_6 Depth=1
                                        ; implicit-def: $vgpr4_vgpr5
	s_branch .LBB216_129
.LBB216_185:                            ;   in Loop: Header=BB216_6 Depth=1
                                        ; implicit-def: $vgpr4_vgpr5
	s_branch .LBB216_145
.LBB216_186:                            ;   in Loop: Header=BB216_6 Depth=1
	s_mov_b32 s69, -1
	s_mov_b32 s8, 0
                                        ; implicit-def: $sgpr70
                                        ; implicit-def: $vgpr6
	s_mov_b32 s71, s69
	s_cbranch_execnz .LBB216_189
	s_branch .LBB216_202
.LBB216_187:                            ;   in Loop: Header=BB216_6 Depth=1
	s_or_b32 exec_lo, exec_lo, s26
	v_lshrrev_b32_e32 v6, 16, v9
	s_and_b32 s8, s69, exec_lo
.LBB216_188:                            ;   in Loop: Header=BB216_6 Depth=1
	s_or_b32 exec_lo, exec_lo, s9
	s_mov_b32 s70, -1
	s_mov_b32 s69, 0
	s_delay_alu instid0(SALU_CYCLE_1)
	s_mov_b32 s71, s69
	s_branch .LBB216_202
.LBB216_189:                            ;   in Loop: Header=BB216_6 Depth=1
	s_mov_b32 s26, s53
	s_delay_alu instid0(SALU_CYCLE_1)
	s_cmp_lg_u64 s[26:27], 0
	s_cbranch_scc0 .LBB216_222
; %bb.190:                              ;   in Loop: Header=BB216_6 Depth=1
	v_cvt_f32_u32_e32 v2, s33
	s_sub_u32 s18, 0, s33
	s_subb_u32 s19, 0, 0
	s_delay_alu instid0(VALU_DEP_1) | instskip(NEXT) | instid1(VALU_DEP_1)
	v_fmac_f32_e64 v2, 0, 0x4f800000
	v_rcp_f32_e32 v2, v2
	s_waitcnt_depctr 0xfff
	v_mul_f32_e32 v2, 0x5f7ffffc, v2
	s_delay_alu instid0(VALU_DEP_1) | instskip(NEXT) | instid1(VALU_DEP_1)
	v_mul_f32_e32 v3, 0x2f800000, v2
	v_trunc_f32_e32 v3, v3
	s_delay_alu instid0(VALU_DEP_1) | instskip(SKIP_1) | instid1(VALU_DEP_2)
	v_fmac_f32_e32 v2, 0xcf800000, v3
	v_cvt_u32_f32_e32 v3, v3
	v_cvt_u32_f32_e32 v2, v2
	s_delay_alu instid0(VALU_DEP_2) | instskip(NEXT) | instid1(VALU_DEP_2)
	v_readfirstlane_b32 s8, v3
	v_readfirstlane_b32 s9, v2
	s_delay_alu instid0(VALU_DEP_2) | instskip(NEXT) | instid1(VALU_DEP_1)
	s_mul_i32 s26, s18, s8
	s_mul_hi_u32 s70, s18, s9
	s_mul_i32 s69, s19, s9
	s_add_i32 s26, s70, s26
	s_mul_i32 s71, s18, s9
	s_add_i32 s26, s26, s69
	s_mul_hi_u32 s70, s9, s71
	s_mul_hi_u32 s99, s8, s71
	s_mul_i32 s69, s8, s71
	s_mul_hi_u32 s71, s9, s26
	s_mul_i32 s9, s9, s26
	s_mul_hi_u32 s100, s8, s26
	s_add_u32 s9, s70, s9
	s_addc_u32 s70, 0, s71
	s_add_u32 s9, s9, s69
	s_mul_i32 s26, s8, s26
	s_addc_u32 s9, s70, s99
	s_addc_u32 s69, s100, 0
	s_add_u32 s9, s9, s26
	s_addc_u32 s26, 0, s69
	v_add_co_u32 v2, s9, v2, s9
	s_delay_alu instid0(VALU_DEP_1) | instskip(SKIP_1) | instid1(VALU_DEP_1)
	s_cmp_lg_u32 s9, 0
	s_addc_u32 s8, s8, s26
	v_readfirstlane_b32 s9, v2
	s_mul_i32 s26, s18, s8
	s_delay_alu instid0(VALU_DEP_1)
	s_mul_hi_u32 s69, s18, s9
	s_mul_i32 s19, s19, s9
	s_add_i32 s26, s69, s26
	s_mul_i32 s18, s18, s9
	s_add_i32 s26, s26, s19
	s_mul_hi_u32 s69, s8, s18
	s_mul_i32 s70, s8, s18
	s_mul_hi_u32 s18, s9, s18
	s_mul_hi_u32 s71, s9, s26
	s_mul_i32 s9, s9, s26
	s_mul_hi_u32 s19, s8, s26
	s_add_u32 s9, s18, s9
	s_addc_u32 s18, 0, s71
	s_add_u32 s9, s9, s70
	s_mul_i32 s26, s8, s26
	s_addc_u32 s9, s18, s69
	s_addc_u32 s18, s19, 0
	s_add_u32 s9, s9, s26
	s_addc_u32 s18, 0, s18
	v_add_co_u32 v2, s9, v2, s9
	s_delay_alu instid0(VALU_DEP_1) | instskip(SKIP_1) | instid1(VALU_DEP_1)
	s_cmp_lg_u32 s9, 0
	s_addc_u32 s8, s8, s18
	v_readfirstlane_b32 s9, v2
	s_mul_i32 s19, s78, s8
	s_mul_hi_u32 s18, s78, s8
	s_mul_hi_u32 s26, s27, s8
	s_mul_i32 s8, s27, s8
	s_mul_hi_u32 s69, s78, s9
	s_mul_hi_u32 s70, s27, s9
	s_mul_i32 s9, s27, s9
	s_add_u32 s19, s69, s19
	s_addc_u32 s18, 0, s18
	s_add_u32 s9, s19, s9
	s_addc_u32 s9, s18, s70
	s_addc_u32 s18, s26, 0
	s_add_u32 s8, s9, s8
	s_addc_u32 s9, 0, s18
	s_mul_hi_u32 s18, s33, s8
	s_mul_i32 s8, s33, s8
	s_mul_i32 s9, s33, s9
	v_sub_co_u32 v2, s8, s78, s8
	s_add_i32 s18, s18, s9
	s_cmp_lg_u32 s8, 0
	s_delay_alu instid0(VALU_DEP_1) | instskip(SKIP_2) | instid1(VALU_DEP_1)
	v_sub_co_u32 v3, s8, v2, s33
	s_subb_u32 s9, s27, s18
	s_cmp_lg_u32 s8, 0
	v_cmp_le_u32_e32 vcc_lo, s33, v3
	v_sub_co_u32 v6, s8, v3, s33
	s_subb_u32 s18, s9, 0
	s_cmp_lg_u32 s8, 0
	v_cndmask_b32_e64 v7, 0, -1, vcc_lo
	s_subb_u32 s8, s18, 0
	s_cmp_eq_u32 s18, 0
	v_mov_b32_e32 v9, s8
	s_cselect_b32 vcc_lo, -1, 0
	s_cmp_eq_u32 s9, 0
	v_cndmask_b32_e32 v7, -1, v7, vcc_lo
	v_cmp_le_u32_e32 vcc_lo, s33, v2
	s_cselect_b32 s8, -1, 0
	v_cndmask_b32_e64 v8, 0, -1, vcc_lo
	s_delay_alu instid0(VALU_DEP_3) | instskip(NEXT) | instid1(VALU_DEP_2)
	v_cmp_ne_u32_e32 vcc_lo, 0, v7
	v_cndmask_b32_e64 v7, -1, v8, s8
	v_cndmask_b32_e32 v8, s18, v9, vcc_lo
	v_cndmask_b32_e32 v6, v3, v6, vcc_lo
	s_delay_alu instid0(VALU_DEP_3) | instskip(NEXT) | instid1(VALU_DEP_3)
	v_cmp_ne_u32_e32 vcc_lo, 0, v7
	v_cndmask_b32_e32 v3, s9, v8, vcc_lo
	s_delay_alu instid0(VALU_DEP_3)
	v_cndmask_b32_e32 v2, v2, v6, vcc_lo
	s_cbranch_execnz .LBB216_192
.LBB216_191:                            ;   in Loop: Header=BB216_6 Depth=1
	v_cvt_f32_u32_e32 v2, s33
	s_sub_i32 s8, 0, s33
	s_delay_alu instid0(VALU_DEP_1) | instskip(SKIP_2) | instid1(VALU_DEP_1)
	v_rcp_iflag_f32_e32 v2, v2
	s_waitcnt_depctr 0xfff
	v_mul_f32_e32 v2, 0x4f7ffffe, v2
	v_cvt_u32_f32_e32 v2, v2
	s_delay_alu instid0(VALU_DEP_1) | instskip(NEXT) | instid1(VALU_DEP_1)
	v_mul_lo_u32 v3, s8, v2
	v_mul_hi_u32 v3, v2, v3
	s_delay_alu instid0(VALU_DEP_1) | instskip(NEXT) | instid1(VALU_DEP_1)
	v_add_nc_u32_e32 v2, v2, v3
	v_mul_hi_u32 v2, s78, v2
	s_delay_alu instid0(VALU_DEP_1) | instskip(NEXT) | instid1(VALU_DEP_1)
	v_mul_lo_u32 v2, v2, s33
	v_sub_nc_u32_e32 v2, s78, v2
	s_delay_alu instid0(VALU_DEP_1) | instskip(SKIP_1) | instid1(VALU_DEP_2)
	v_subrev_nc_u32_e32 v3, s33, v2
	v_cmp_le_u32_e32 vcc_lo, s33, v2
	v_cndmask_b32_e32 v2, v2, v3, vcc_lo
	s_delay_alu instid0(VALU_DEP_1) | instskip(SKIP_1) | instid1(VALU_DEP_2)
	v_subrev_nc_u32_e32 v3, s33, v2
	v_cmp_le_u32_e32 vcc_lo, s33, v2
	v_cndmask_b32_e32 v12, v2, v3, vcc_lo
	s_delay_alu instid0(VALU_DEP_1)
	v_dual_mov_b32 v2, v12 :: v_dual_mov_b32 v3, v13
.LBB216_192:                            ;   in Loop: Header=BB216_6 Depth=1
	s_delay_alu instid0(VALU_DEP_1) | instskip(NEXT) | instid1(VALU_DEP_2)
	v_sub_co_u32 v2, vcc_lo, s78, v2
	v_sub_co_ci_u32_e32 v3, vcc_lo, s27, v3, vcc_lo
	s_mov_b32 s8, 0
	s_mov_b32 s9, exec_lo
                                        ; implicit-def: $vgpr6
	s_delay_alu instid0(VALU_DEP_1)
	v_cmpx_gt_u64_e64 v[2:3], v[0:1]
	s_cbranch_execz .LBB216_201
; %bb.193:                              ;   in Loop: Header=BB216_6 Depth=1
	v_dual_mov_b32 v6, v10 :: v_dual_mov_b32 v7, v11
	v_dual_mov_b32 v9, v1 :: v_dual_mov_b32 v8, v0
	s_mov_b32 s18, 0
                                        ; implicit-def: $sgpr19
	s_branch .LBB216_195
.LBB216_194:                            ;   in Loop: Header=BB216_195 Depth=2
	s_or_b32 exec_lo, exec_lo, s8
	s_waitcnt vmcnt(0) lgkmcnt(0)
	s_barrier
	buffer_gl0_inv
	ds_load_b32 v12, v13 offset:3072
	v_add_co_u32 v8, vcc_lo, v8, s33
	v_add_co_ci_u32_e32 v9, vcc_lo, 0, v9, vcc_lo
	s_waitcnt lgkmcnt(0)
	s_barrier
	buffer_gl0_inv
	v_cmp_ge_u64_e32 vcc_lo, v[8:9], v[2:3]
	v_and_b32_e32 v27, 0x7fff, v12
	s_delay_alu instid0(VALU_DEP_1) | instskip(NEXT) | instid1(VALU_DEP_1)
	v_cmp_ne_u16_e64 s8, 0, v27
	s_or_b32 s26, vcc_lo, s8
	v_add_co_u32 v6, vcc_lo, v6, s34
	s_and_b32 s26, exec_lo, s26
	v_add_co_ci_u32_e32 v7, vcc_lo, s35, v7, vcc_lo
	s_or_b32 s18, s26, s18
	s_and_not1_b32 s19, s19, exec_lo
	s_and_b32 s8, s8, exec_lo
	s_delay_alu instid0(SALU_CYCLE_1)
	s_or_b32 s19, s19, s8
	s_and_not1_b32 exec_lo, exec_lo, s18
	s_cbranch_execz .LBB216_200
.LBB216_195:                            ;   Parent Loop BB216_6 Depth=1
                                        ; =>  This Inner Loop Header: Depth=2
	s_delay_alu instid0(VALU_DEP_1)
	v_cmp_gt_u64_e32 vcc_lo, s[28:29], v[8:9]
	v_mov_b32_e32 v12, 0
	s_and_saveexec_b32 s8, vcc_lo
	s_cbranch_execz .LBB216_197
; %bb.196:                              ;   in Loop: Header=BB216_195 Depth=2
	global_load_u16 v12, v[6:7], off
.LBB216_197:                            ;   in Loop: Header=BB216_195 Depth=2
	s_or_b32 exec_lo, exec_lo, s8
	s_and_saveexec_b32 s8, vcc_lo
	s_cbranch_execz .LBB216_194
; %bb.198:                              ;   in Loop: Header=BB216_195 Depth=2
	s_waitcnt vmcnt(0)
	v_cmp_lt_i16_e32 vcc_lo, -1, v12
	v_and_b32_e32 v27, 0xffff, v12
	v_dual_cndmask_b32 v28, 0xffff, v37 :: v_dual_lshlrev_b32 v41, 16, v12
	s_delay_alu instid0(VALU_DEP_1) | instskip(NEXT) | instid1(VALU_DEP_2)
	v_cmp_o_f32_e32 vcc_lo, v41, v41
	v_xor_b32_e32 v27, v28, v27
	s_delay_alu instid0(VALU_DEP_1) | instskip(NEXT) | instid1(VALU_DEP_1)
	v_cndmask_b32_e32 v27, 0xffff, v27, vcc_lo
	v_and_b32_e32 v27, v27, v26
	s_delay_alu instid0(VALU_DEP_1)
	v_cmp_eq_u32_e32 vcc_lo, v27, v25
	s_and_b32 exec_lo, exec_lo, vcc_lo
	s_cbranch_execz .LBB216_194
; %bb.199:                              ;   in Loop: Header=BB216_195 Depth=2
	v_perm_b32 v12, v12, s87, 0x5040100
	ds_store_b32 v13, v12 offset:3072
	s_branch .LBB216_194
.LBB216_200:                            ;   in Loop: Header=BB216_6 Depth=1
	s_or_b32 exec_lo, exec_lo, s18
	v_lshrrev_b32_e32 v6, 16, v12
	s_and_b32 s8, s19, exec_lo
.LBB216_201:                            ;   in Loop: Header=BB216_6 Depth=1
	s_or_b32 exec_lo, exec_lo, s9
	s_mov_b32 s71, -1
	s_mov_b32 s69, 0
	s_mov_b32 s70, 0
.LBB216_202:                            ;   in Loop: Header=BB216_6 Depth=1
	s_or_not1_b32 s8, s8, exec_lo
.LBB216_203:                            ;   in Loop: Header=BB216_6 Depth=1
	s_or_b32 exec_lo, exec_lo, s72
	s_mov_b32 s26, 0
                                        ; implicit-def: $vgpr7
	s_and_saveexec_b32 s72, s8
	s_cbranch_execz .LBB216_268
; %bb.204:                              ;   in Loop: Header=BB216_6 Depth=1
	v_dual_mov_b32 v2, 1 :: v_dual_mov_b32 v7, 1
	v_mov_b32_e32 v3, 0
	s_xor_b32 s9, s73, -1
	s_delay_alu instid0(SALU_CYCLE_1)
	s_and_saveexec_b32 s8, s9
	s_cbranch_execz .LBB216_214
; %bb.205:                              ;   in Loop: Header=BB216_6 Depth=1
	s_mov_b32 s18, exec_lo
                                        ; implicit-def: $sgpr19
                                        ; implicit-def: $sgpr9
	v_cmpx_ge_u64_e64 s[14:15], v[4:5]
	s_xor_b32 s18, exec_lo, s18
	s_cbranch_execz .LBB216_211
; %bb.206:                              ;   in Loop: Header=BB216_6 Depth=1
	ds_load_b64 v[2:3], v13 offset:5120
	s_waitcnt lgkmcnt(0)
	v_cmp_ne_u64_e32 vcc_lo, 0, v[2:3]
	s_cbranch_vccnz .LBB216_210
; %bb.207:                              ;   in Loop: Header=BB216_6 Depth=1
	s_and_saveexec_b32 s9, s5
	s_cbranch_execz .LBB216_209
; %bb.208:                              ;   in Loop: Header=BB216_6 Depth=1
	v_dual_mov_b32 v2, s14 :: v_dual_mov_b32 v3, s15
	ds_store_b64 v13, v[2:3] offset:5128
.LBB216_209:                            ;   in Loop: Header=BB216_6 Depth=1
	s_or_b32 exec_lo, exec_lo, s9
	s_waitcnt lgkmcnt(0)
	s_barrier
	buffer_gl0_inv
.LBB216_210:                            ;   in Loop: Header=BB216_6 Depth=1
	s_lshl_b32 s9, 2, s22
	v_or_b32_e32 v26, s20, v26
	v_and_or_b32 v25, v25, s21, s9
	s_mov_b32 s9, 0
	s_mov_b32 s19, 8
.LBB216_211:                            ;   in Loop: Header=BB216_6 Depth=1
	s_or_saveexec_b32 s18, s18
	v_mov_b32_e32 v7, s19
	s_xor_b32 exec_lo, exec_lo, s18
; %bb.212:                              ;   in Loop: Header=BB216_6 Depth=1
	v_sub_co_u32 v4, vcc_lo, v4, s14
	v_subrev_co_ci_u32_e32 v5, vcc_lo, s15, v5, vcc_lo
	v_mov_b32_e32 v7, 0
	s_or_b32 s9, s9, exec_lo
; %bb.213:                              ;   in Loop: Header=BB216_6 Depth=1
	s_or_b32 exec_lo, exec_lo, s18
	s_delay_alu instid0(VALU_DEP_2)
	v_dual_mov_b32 v2, v4 :: v_dual_mov_b32 v3, v5
	s_and_b32 s26, s9, exec_lo
.LBB216_214:                            ;   in Loop: Header=BB216_6 Depth=1
	s_or_b32 exec_lo, exec_lo, s8
	s_mov_b32 s19, -1
                                        ; implicit-def: $sgpr8
                                        ; implicit-def: $sgpr18
                                        ; implicit-def: $sgpr9
	s_and_saveexec_b32 s73, s26
	s_cbranch_execz .LBB216_267
; %bb.215:                              ;   in Loop: Header=BB216_6 Depth=1
	v_cmp_eq_u64_e32 vcc_lo, 1, v[2:3]
	s_cmp_eq_u64 s[16:17], 1
	s_mov_b32 s26, -1
	s_cselect_b32 s8, -1, 0
                                        ; implicit-def: $sgpr18
                                        ; implicit-def: $sgpr9
	s_delay_alu instid0(SALU_CYCLE_1) | instskip(NEXT) | instid1(SALU_CYCLE_1)
	s_and_b32 s99, s8, vcc_lo
                                        ; implicit-def: $sgpr8
	s_and_saveexec_b32 s100, s99
	s_cbranch_execz .LBB216_254
; %bb.216:                              ;   in Loop: Header=BB216_6 Depth=1
	ds_load_b64 v[4:5], v13 offset:5120
	s_waitcnt lgkmcnt(0)
	s_barrier
	buffer_gl0_inv
	v_readfirstlane_b32 s18, v4
	v_readfirstlane_b32 s19, v5
	s_and_saveexec_b32 s8, s6
	s_cbranch_execz .LBB216_218
; %bb.217:                              ;   in Loop: Header=BB216_6 Depth=1
	ds_store_b16 v33, v13
.LBB216_218:                            ;   in Loop: Header=BB216_6 Depth=1
	s_or_b32 exec_lo, exec_lo, s8
	v_or_b32_e32 v25, s20, v25
	v_or_b32_e32 v26, s20, v26
	s_cmp_eq_u64 s[18:19], 0
	s_waitcnt lgkmcnt(0)
	s_barrier
	buffer_gl0_inv
	s_cbranch_scc1 .LBB216_223
; %bb.219:                              ;   in Loop: Header=BB216_6 Depth=1
	s_add_u32 s26, s76, s18
	s_addc_u32 s9, s77, s19
	s_mov_b32 s8, s53
	s_delay_alu instid0(SALU_CYCLE_1)
	s_cmp_lg_u64 s[8:9], 0
	s_cbranch_scc0 .LBB216_224
; %bb.220:                              ;   in Loop: Header=BB216_6 Depth=1
	v_cvt_f32_u32_e32 v4, s33
	s_sub_u32 s102, 0, s33
	s_subb_u32 s103, 0, 0
	s_delay_alu instid0(VALU_DEP_1) | instskip(NEXT) | instid1(VALU_DEP_1)
	v_fmac_f32_e64 v4, 0, 0x4f800000
	v_rcp_f32_e32 v4, v4
	s_waitcnt_depctr 0xfff
	v_mul_f32_e32 v4, 0x5f7ffffc, v4
	s_delay_alu instid0(VALU_DEP_1) | instskip(NEXT) | instid1(VALU_DEP_1)
	v_mul_f32_e32 v5, 0x2f800000, v4
	v_trunc_f32_e32 v5, v5
	s_delay_alu instid0(VALU_DEP_1) | instskip(SKIP_1) | instid1(VALU_DEP_2)
	v_fmac_f32_e32 v4, 0xcf800000, v5
	v_cvt_u32_f32_e32 v5, v5
	v_cvt_u32_f32_e32 v4, v4
	s_delay_alu instid0(VALU_DEP_2) | instskip(NEXT) | instid1(VALU_DEP_2)
	v_readfirstlane_b32 s8, v5
	v_readfirstlane_b32 s101, v4
	s_delay_alu instid0(VALU_DEP_2) | instskip(NEXT) | instid1(VALU_DEP_1)
	s_mul_i32 s104, s102, s8
	s_mul_hi_u32 vcc_hi, s102, s101
	s_mul_i32 vcc_lo, s103, s101
	s_add_i32 s45, vcc_hi, s104
	s_mul_i32 s44, s102, s101
	s_add_i32 s45, s45, vcc_lo
	s_mul_hi_u32 s104, s101, s44
	s_mul_hi_u32 vcc_lo, s101, s45
	s_mul_i32 s101, s101, s45
	s_mul_hi_u32 vcc_hi, s8, s44
	s_mul_i32 s44, s8, s44
	s_add_u32 s49, s104, s101
	s_addc_u32 s101, 0, vcc_lo
	s_mul_hi_u32 s48, s8, s45
	s_add_u32 s44, s49, s44
	s_mul_i32 s45, s8, s45
	s_addc_u32 s44, s101, vcc_hi
	s_addc_u32 s48, s48, 0
	s_add_u32 s44, s44, s45
	s_addc_u32 s45, 0, s48
	v_add_co_u32 v4, s44, v4, s44
	s_delay_alu instid0(VALU_DEP_1) | instskip(SKIP_1) | instid1(VALU_DEP_1)
	s_cmp_lg_u32 s44, 0
	s_addc_u32 s8, s8, s45
	v_readfirstlane_b32 s44, v4
	s_mul_i32 s45, s102, s8
	s_delay_alu instid0(VALU_DEP_1)
	s_mul_hi_u32 s48, s102, s44
	s_mul_i32 s103, s103, s44
	s_add_i32 s45, s48, s45
	s_mul_i32 s102, s102, s44
	s_add_i32 s45, s45, s103
	s_mul_hi_u32 s101, s44, s102
	s_mul_hi_u32 s103, s44, s45
	s_mul_i32 s44, s44, s45
	s_mul_i32 s49, s8, s102
	s_add_u32 s44, s101, s44
	s_mul_hi_u32 s48, s8, s102
	s_addc_u32 s101, 0, s103
	s_mul_hi_u32 s102, s8, s45
	s_add_u32 s44, s44, s49
	s_mul_i32 s45, s8, s45
	s_addc_u32 s44, s101, s48
	s_addc_u32 s48, s102, 0
	s_add_u32 s44, s44, s45
	s_addc_u32 s45, 0, s48
	v_add_co_u32 v4, s44, v4, s44
	s_delay_alu instid0(VALU_DEP_1) | instskip(SKIP_1) | instid1(VALU_DEP_1)
	s_cmp_lg_u32 s44, 0
	s_addc_u32 s8, s8, s45
	v_readfirstlane_b32 s44, v4
	s_mul_i32 s48, s26, s8
	s_mul_hi_u32 s45, s26, s8
	s_mul_hi_u32 s49, s9, s8
	s_mul_i32 s8, s9, s8
	s_mul_hi_u32 s101, s26, s44
	s_mul_hi_u32 s102, s9, s44
	s_mul_i32 s44, s9, s44
	s_add_u32 s48, s101, s48
	s_addc_u32 s45, 0, s45
	s_add_u32 s44, s48, s44
	s_addc_u32 s44, s45, s102
	s_addc_u32 s45, s49, 0
	s_add_u32 s8, s44, s8
	s_addc_u32 s44, 0, s45
	s_mul_hi_u32 s45, s33, s8
	s_mul_i32 s8, s33, s8
	s_mul_i32 s44, s33, s44
	v_sub_co_u32 v4, s8, s26, s8
	s_add_i32 s45, s45, s44
	s_cmp_lg_u32 s8, 0
	s_delay_alu instid0(VALU_DEP_1) | instskip(SKIP_3) | instid1(VALU_DEP_2)
	v_sub_co_u32 v5, s8, v4, s33
	s_subb_u32 s44, s9, s45
	s_cmp_lg_u32 s8, 0
	v_cmp_le_u32_e32 vcc_lo, s33, v4
	v_cmp_le_u32_e64 s8, s33, v5
	v_sub_co_u32 v6, s45, v5, s33
	s_subb_u32 s48, s44, 0
	s_cmp_lg_u32 s45, 0
	s_delay_alu instid0(VALU_DEP_2)
	v_cndmask_b32_e64 v7, 0, -1, s8
	s_subb_u32 s45, s48, 0
	s_cmp_eq_u32 s48, 0
	v_mov_b32_e32 v9, s45
	v_cndmask_b32_e64 v8, 0, -1, vcc_lo
	s_cselect_b32 vcc_lo, -1, 0
	s_cmp_eq_u32 s44, 0
	v_cndmask_b32_e32 v7, -1, v7, vcc_lo
	s_cselect_b32 vcc_lo, -1, 0
	v_cndmask_b32_e32 v8, -1, v8, vcc_lo
	s_delay_alu instid0(VALU_DEP_2) | instskip(NEXT) | instid1(VALU_DEP_2)
	v_cmp_ne_u32_e32 vcc_lo, 0, v7
	v_cmp_ne_u32_e64 s8, 0, v8
	v_cndmask_b32_e32 v7, s48, v9, vcc_lo
	v_cndmask_b32_e32 v6, v5, v6, vcc_lo
	s_delay_alu instid0(VALU_DEP_2) | instskip(NEXT) | instid1(VALU_DEP_2)
	v_cndmask_b32_e64 v5, s44, v7, s8
	v_cndmask_b32_e64 v4, v4, v6, s8
	s_mov_b32 s8, 0
	s_branch .LBB216_225
.LBB216_221:                            ;   in Loop: Header=BB216_6 Depth=1
                                        ; implicit-def: $vgpr2_vgpr3
	s_branch .LBB216_175
.LBB216_222:                            ;   in Loop: Header=BB216_6 Depth=1
                                        ; implicit-def: $vgpr2_vgpr3
	s_branch .LBB216_191
.LBB216_223:                            ;   in Loop: Header=BB216_6 Depth=1
	s_mov_b32 s8, -1
	s_mov_b32 s26, 0
                                        ; implicit-def: $sgpr9
                                        ; implicit-def: $vgpr6
	s_branch .LBB216_237
.LBB216_224:                            ;   in Loop: Header=BB216_6 Depth=1
	s_mov_b32 s8, -1
                                        ; implicit-def: $vgpr4_vgpr5
.LBB216_225:                            ;   in Loop: Header=BB216_6 Depth=1
	s_delay_alu instid0(SALU_CYCLE_1)
	s_and_not1_b32 vcc_lo, exec_lo, s8
	s_cbranch_vccnz .LBB216_227
; %bb.226:                              ;   in Loop: Header=BB216_6 Depth=1
	v_cvt_f32_u32_e32 v4, s33
	s_sub_i32 s8, 0, s33
	s_delay_alu instid0(VALU_DEP_1) | instskip(SKIP_2) | instid1(VALU_DEP_1)
	v_rcp_iflag_f32_e32 v4, v4
	s_waitcnt_depctr 0xfff
	v_mul_f32_e32 v4, 0x4f7ffffe, v4
	v_cvt_u32_f32_e32 v4, v4
	s_delay_alu instid0(VALU_DEP_1) | instskip(NEXT) | instid1(VALU_DEP_1)
	v_mul_lo_u32 v5, s8, v4
	v_mul_hi_u32 v5, v4, v5
	s_delay_alu instid0(VALU_DEP_1) | instskip(NEXT) | instid1(VALU_DEP_1)
	v_add_nc_u32_e32 v4, v4, v5
	v_mul_hi_u32 v4, s26, v4
	s_delay_alu instid0(VALU_DEP_1) | instskip(NEXT) | instid1(VALU_DEP_1)
	v_mul_lo_u32 v4, v4, s33
	v_sub_nc_u32_e32 v4, s26, v4
	s_delay_alu instid0(VALU_DEP_1) | instskip(SKIP_1) | instid1(VALU_DEP_2)
	v_subrev_nc_u32_e32 v5, s33, v4
	v_cmp_le_u32_e32 vcc_lo, s33, v4
	v_cndmask_b32_e32 v4, v4, v5, vcc_lo
	s_delay_alu instid0(VALU_DEP_1) | instskip(SKIP_1) | instid1(VALU_DEP_2)
	v_subrev_nc_u32_e32 v5, s33, v4
	v_cmp_le_u32_e32 vcc_lo, s33, v4
	v_cndmask_b32_e32 v12, v4, v5, vcc_lo
	s_delay_alu instid0(VALU_DEP_1)
	v_dual_mov_b32 v4, v12 :: v_dual_mov_b32 v5, v13
.LBB216_227:                            ;   in Loop: Header=BB216_6 Depth=1
	s_delay_alu instid0(VALU_DEP_1) | instskip(NEXT) | instid1(VALU_DEP_2)
	v_sub_co_u32 v4, vcc_lo, s26, v4
	v_sub_co_ci_u32_e32 v5, vcc_lo, s9, v5, vcc_lo
	s_mov_b32 s26, 0
	s_mov_b32 s9, exec_lo
                                        ; implicit-def: $vgpr6
	s_delay_alu instid0(VALU_DEP_1)
	v_cmpx_gt_u64_e64 v[4:5], v[0:1]
	s_cbranch_execz .LBB216_236
; %bb.228:                              ;   in Loop: Header=BB216_6 Depth=1
	v_dual_mov_b32 v8, v31 :: v_dual_mov_b32 v7, v1
	v_mov_b32_e32 v6, v0
                                        ; implicit-def: $sgpr101
	s_branch .LBB216_230
.LBB216_229:                            ;   in Loop: Header=BB216_230 Depth=2
	s_or_b32 exec_lo, exec_lo, s8
	s_waitcnt lgkmcnt(0)
	s_barrier
	buffer_gl0_inv
	ds_load_b32 v9, v13 offset:3072
	v_add_co_u32 v6, vcc_lo, v6, s33
	v_add_co_ci_u32_e32 v7, vcc_lo, 0, v7, vcc_lo
	v_add_nc_u32_e32 v8, s84, v8
	s_waitcnt lgkmcnt(0)
	s_barrier
	s_delay_alu instid0(VALU_DEP_2) | instskip(SKIP_2) | instid1(VALU_DEP_1)
	v_cmp_ge_u64_e32 vcc_lo, v[6:7], v[4:5]
	buffer_gl0_inv
	v_and_b32_e32 v12, 0x7fff, v9
	v_cmp_ne_u16_e64 s8, 0, v12
	s_delay_alu instid0(VALU_DEP_1) | instskip(NEXT) | instid1(SALU_CYCLE_1)
	s_or_b32 s44, vcc_lo, s8
	s_and_b32 s44, exec_lo, s44
	s_delay_alu instid0(SALU_CYCLE_1) | instskip(SKIP_2) | instid1(SALU_CYCLE_1)
	s_or_b32 s26, s44, s26
	s_and_not1_b32 s44, s101, exec_lo
	s_and_b32 s8, s8, exec_lo
	s_or_b32 s101, s44, s8
	s_and_not1_b32 exec_lo, exec_lo, s26
	s_cbranch_execz .LBB216_235
.LBB216_230:                            ;   Parent Loop BB216_6 Depth=1
                                        ; =>  This Inner Loop Header: Depth=2
	s_delay_alu instid0(VALU_DEP_1)
	v_cmp_gt_u64_e32 vcc_lo, s[18:19], v[6:7]
	v_mov_b32_e32 v9, 0
	s_and_saveexec_b32 s8, vcc_lo
	s_cbranch_execz .LBB216_232
; %bb.231:                              ;   in Loop: Header=BB216_230 Depth=2
	ds_load_u16 v9, v8
.LBB216_232:                            ;   in Loop: Header=BB216_230 Depth=2
	s_or_b32 exec_lo, exec_lo, s8
	s_and_saveexec_b32 s8, vcc_lo
	s_cbranch_execz .LBB216_229
; %bb.233:                              ;   in Loop: Header=BB216_230 Depth=2
	s_waitcnt lgkmcnt(0)
	v_cmp_lt_i16_e32 vcc_lo, -1, v9
	v_and_b32_e32 v12, 0xffff, v9
	v_lshlrev_b32_e32 v28, 16, v9
	v_cndmask_b32_e32 v27, 0xffff, v37, vcc_lo
	s_delay_alu instid0(VALU_DEP_2) | instskip(NEXT) | instid1(VALU_DEP_2)
	v_cmp_o_f32_e32 vcc_lo, v28, v28
	v_xor_b32_e32 v12, v27, v12
	s_delay_alu instid0(VALU_DEP_1) | instskip(NEXT) | instid1(VALU_DEP_1)
	v_cndmask_b32_e32 v12, 0xffff, v12, vcc_lo
	v_and_b32_e32 v12, v12, v26
	s_delay_alu instid0(VALU_DEP_1)
	v_cmp_eq_u32_e32 vcc_lo, v12, v25
	s_and_b32 exec_lo, exec_lo, vcc_lo
	s_cbranch_execz .LBB216_229
; %bb.234:                              ;   in Loop: Header=BB216_230 Depth=2
	v_perm_b32 v9, v9, s87, 0x5040100
	ds_store_b32 v13, v9 offset:3072
	s_branch .LBB216_229
.LBB216_235:                            ;   in Loop: Header=BB216_6 Depth=1
	s_or_b32 exec_lo, exec_lo, s26
	v_lshrrev_b32_e32 v6, 16, v9
	s_and_b32 s26, s101, exec_lo
.LBB216_236:                            ;   in Loop: Header=BB216_6 Depth=1
	s_or_b32 exec_lo, exec_lo, s9
	s_mov_b32 s9, -1
	s_mov_b32 s8, 0
.LBB216_237:                            ;   in Loop: Header=BB216_6 Depth=1
	s_delay_alu instid0(SALU_CYCLE_1)
	s_and_b32 vcc_lo, exec_lo, s8
	s_mov_b32 s18, s8
	s_cbranch_vccz .LBB216_253
; %bb.238:                              ;   in Loop: Header=BB216_6 Depth=1
	s_mov_b32 s26, s53
	s_delay_alu instid0(SALU_CYCLE_1)
	s_cmp_lg_u64 s[26:27], 0
	s_cbranch_scc0 .LBB216_240
; %bb.239:                              ;   in Loop: Header=BB216_6 Depth=1
	v_cvt_f32_u32_e32 v4, s33
	s_sub_u32 s18, 0, s33
	s_subb_u32 s19, 0, 0
	s_delay_alu instid0(VALU_DEP_1) | instskip(NEXT) | instid1(VALU_DEP_1)
	v_fmac_f32_e64 v4, 0, 0x4f800000
	v_rcp_f32_e32 v4, v4
	s_waitcnt_depctr 0xfff
	v_mul_f32_e32 v4, 0x5f7ffffc, v4
	s_delay_alu instid0(VALU_DEP_1) | instskip(NEXT) | instid1(VALU_DEP_1)
	v_mul_f32_e32 v5, 0x2f800000, v4
	v_trunc_f32_e32 v5, v5
	s_delay_alu instid0(VALU_DEP_1) | instskip(SKIP_1) | instid1(VALU_DEP_2)
	v_fmac_f32_e32 v4, 0xcf800000, v5
	v_cvt_u32_f32_e32 v5, v5
	v_cvt_u32_f32_e32 v4, v4
	s_delay_alu instid0(VALU_DEP_2) | instskip(NEXT) | instid1(VALU_DEP_2)
	v_readfirstlane_b32 s8, v5
	v_readfirstlane_b32 s9, v4
	s_delay_alu instid0(VALU_DEP_2) | instskip(NEXT) | instid1(VALU_DEP_1)
	s_mul_i32 s26, s18, s8
	s_mul_hi_u32 s45, s18, s9
	s_mul_i32 s44, s19, s9
	s_add_i32 s26, s45, s26
	s_mul_i32 s48, s18, s9
	s_add_i32 s26, s26, s44
	s_mul_hi_u32 s45, s9, s48
	s_mul_hi_u32 s49, s8, s48
	s_mul_i32 s44, s8, s48
	s_mul_hi_u32 s48, s9, s26
	s_mul_i32 s9, s9, s26
	s_mul_hi_u32 s101, s8, s26
	s_add_u32 s9, s45, s9
	s_addc_u32 s45, 0, s48
	s_add_u32 s9, s9, s44
	s_mul_i32 s26, s8, s26
	s_addc_u32 s9, s45, s49
	s_addc_u32 s44, s101, 0
	s_add_u32 s9, s9, s26
	s_addc_u32 s26, 0, s44
	v_add_co_u32 v4, s9, v4, s9
	s_delay_alu instid0(VALU_DEP_1) | instskip(SKIP_1) | instid1(VALU_DEP_1)
	s_cmp_lg_u32 s9, 0
	s_addc_u32 s8, s8, s26
	v_readfirstlane_b32 s9, v4
	s_mul_i32 s26, s18, s8
	s_delay_alu instid0(VALU_DEP_1)
	s_mul_hi_u32 s44, s18, s9
	s_mul_i32 s19, s19, s9
	s_add_i32 s26, s44, s26
	s_mul_i32 s18, s18, s9
	s_add_i32 s26, s26, s19
	s_mul_hi_u32 s44, s8, s18
	s_mul_i32 s45, s8, s18
	s_mul_hi_u32 s18, s9, s18
	s_mul_hi_u32 s48, s9, s26
	s_mul_i32 s9, s9, s26
	s_mul_hi_u32 s19, s8, s26
	s_add_u32 s9, s18, s9
	s_addc_u32 s18, 0, s48
	s_add_u32 s9, s9, s45
	s_mul_i32 s26, s8, s26
	s_addc_u32 s9, s18, s44
	s_addc_u32 s18, s19, 0
	s_add_u32 s9, s9, s26
	s_addc_u32 s18, 0, s18
	v_add_co_u32 v4, s9, v4, s9
	s_delay_alu instid0(VALU_DEP_1) | instskip(SKIP_1) | instid1(VALU_DEP_1)
	s_cmp_lg_u32 s9, 0
	s_addc_u32 s8, s8, s18
	v_readfirstlane_b32 s9, v4
	s_mul_i32 s19, s78, s8
	s_mul_hi_u32 s18, s78, s8
	s_mul_hi_u32 s26, s27, s8
	s_mul_i32 s8, s27, s8
	s_mul_hi_u32 s44, s78, s9
	s_mul_hi_u32 s45, s27, s9
	s_mul_i32 s9, s27, s9
	s_add_u32 s19, s44, s19
	s_addc_u32 s18, 0, s18
	s_add_u32 s9, s19, s9
	s_addc_u32 s9, s18, s45
	s_addc_u32 s18, s26, 0
	s_add_u32 s8, s9, s8
	s_addc_u32 s9, 0, s18
	s_mul_hi_u32 s18, s33, s8
	s_mul_i32 s8, s33, s8
	s_mul_i32 s9, s33, s9
	v_sub_co_u32 v4, s8, s78, s8
	s_add_i32 s18, s18, s9
	s_cmp_lg_u32 s8, 0
	s_delay_alu instid0(VALU_DEP_1) | instskip(SKIP_2) | instid1(VALU_DEP_1)
	v_sub_co_u32 v5, s8, v4, s33
	s_subb_u32 s9, s27, s18
	s_cmp_lg_u32 s8, 0
	v_cmp_le_u32_e32 vcc_lo, s33, v5
	v_sub_co_u32 v6, s8, v5, s33
	s_subb_u32 s18, s9, 0
	s_cmp_lg_u32 s8, 0
	v_cndmask_b32_e64 v7, 0, -1, vcc_lo
	s_subb_u32 s8, s18, 0
	s_cmp_eq_u32 s18, 0
	v_mov_b32_e32 v9, s8
	s_cselect_b32 vcc_lo, -1, 0
	s_cmp_eq_u32 s9, 0
	v_cndmask_b32_e32 v7, -1, v7, vcc_lo
	v_cmp_le_u32_e32 vcc_lo, s33, v4
	s_cselect_b32 s8, -1, 0
	v_cndmask_b32_e64 v8, 0, -1, vcc_lo
	s_delay_alu instid0(VALU_DEP_3) | instskip(NEXT) | instid1(VALU_DEP_2)
	v_cmp_ne_u32_e32 vcc_lo, 0, v7
	v_cndmask_b32_e64 v7, -1, v8, s8
	v_cndmask_b32_e32 v8, s18, v9, vcc_lo
	v_cndmask_b32_e32 v6, v5, v6, vcc_lo
	s_mov_b32 s8, 0
	s_delay_alu instid0(VALU_DEP_3) | instskip(NEXT) | instid1(VALU_DEP_3)
	v_cmp_ne_u32_e32 vcc_lo, 0, v7
	v_cndmask_b32_e32 v5, s9, v8, vcc_lo
	s_delay_alu instid0(VALU_DEP_3)
	v_cndmask_b32_e32 v4, v4, v6, vcc_lo
	s_branch .LBB216_241
.LBB216_240:                            ;   in Loop: Header=BB216_6 Depth=1
	s_mov_b32 s8, -1
                                        ; implicit-def: $vgpr4_vgpr5
.LBB216_241:                            ;   in Loop: Header=BB216_6 Depth=1
	s_delay_alu instid0(SALU_CYCLE_1)
	s_and_not1_b32 vcc_lo, exec_lo, s8
	s_cbranch_vccnz .LBB216_243
; %bb.242:                              ;   in Loop: Header=BB216_6 Depth=1
	v_cvt_f32_u32_e32 v4, s33
	s_sub_i32 s8, 0, s33
	s_delay_alu instid0(VALU_DEP_1) | instskip(SKIP_2) | instid1(VALU_DEP_1)
	v_rcp_iflag_f32_e32 v4, v4
	s_waitcnt_depctr 0xfff
	v_mul_f32_e32 v4, 0x4f7ffffe, v4
	v_cvt_u32_f32_e32 v4, v4
	s_delay_alu instid0(VALU_DEP_1) | instskip(NEXT) | instid1(VALU_DEP_1)
	v_mul_lo_u32 v5, s8, v4
	v_mul_hi_u32 v5, v4, v5
	s_delay_alu instid0(VALU_DEP_1) | instskip(NEXT) | instid1(VALU_DEP_1)
	v_add_nc_u32_e32 v4, v4, v5
	v_mul_hi_u32 v4, s78, v4
	s_delay_alu instid0(VALU_DEP_1) | instskip(NEXT) | instid1(VALU_DEP_1)
	v_mul_lo_u32 v4, v4, s33
	v_sub_nc_u32_e32 v4, s78, v4
	s_delay_alu instid0(VALU_DEP_1) | instskip(SKIP_1) | instid1(VALU_DEP_2)
	v_subrev_nc_u32_e32 v5, s33, v4
	v_cmp_le_u32_e32 vcc_lo, s33, v4
	v_cndmask_b32_e32 v4, v4, v5, vcc_lo
	s_delay_alu instid0(VALU_DEP_1) | instskip(SKIP_1) | instid1(VALU_DEP_2)
	v_subrev_nc_u32_e32 v5, s33, v4
	v_cmp_le_u32_e32 vcc_lo, s33, v4
	v_cndmask_b32_e32 v12, v4, v5, vcc_lo
	s_delay_alu instid0(VALU_DEP_1)
	v_dual_mov_b32 v4, v12 :: v_dual_mov_b32 v5, v13
.LBB216_243:                            ;   in Loop: Header=BB216_6 Depth=1
	s_delay_alu instid0(VALU_DEP_1) | instskip(NEXT) | instid1(VALU_DEP_2)
	v_sub_co_u32 v4, vcc_lo, s78, v4
	v_sub_co_ci_u32_e32 v5, vcc_lo, s27, v5, vcc_lo
	s_mov_b32 s26, 0
	s_mov_b32 s9, exec_lo
                                        ; implicit-def: $vgpr6
	s_delay_alu instid0(VALU_DEP_1)
	v_cmpx_gt_u64_e64 v[4:5], v[0:1]
	s_cbranch_execz .LBB216_252
; %bb.244:                              ;   in Loop: Header=BB216_6 Depth=1
	v_dual_mov_b32 v6, v10 :: v_dual_mov_b32 v7, v11
	v_dual_mov_b32 v9, v1 :: v_dual_mov_b32 v8, v0
	s_mov_b32 s18, 0
                                        ; implicit-def: $sgpr19
	s_branch .LBB216_246
.LBB216_245:                            ;   in Loop: Header=BB216_246 Depth=2
	s_or_b32 exec_lo, exec_lo, s8
	s_waitcnt vmcnt(0) lgkmcnt(0)
	s_barrier
	buffer_gl0_inv
	ds_load_b32 v12, v13 offset:3072
	v_add_co_u32 v8, vcc_lo, v8, s33
	v_add_co_ci_u32_e32 v9, vcc_lo, 0, v9, vcc_lo
	s_waitcnt lgkmcnt(0)
	s_barrier
	buffer_gl0_inv
	v_cmp_ge_u64_e32 vcc_lo, v[8:9], v[4:5]
	v_and_b32_e32 v27, 0x7fff, v12
	s_delay_alu instid0(VALU_DEP_1) | instskip(NEXT) | instid1(VALU_DEP_1)
	v_cmp_ne_u16_e64 s8, 0, v27
	s_or_b32 s26, vcc_lo, s8
	v_add_co_u32 v6, vcc_lo, v6, s34
	s_and_b32 s26, exec_lo, s26
	v_add_co_ci_u32_e32 v7, vcc_lo, s35, v7, vcc_lo
	s_or_b32 s18, s26, s18
	s_and_not1_b32 s19, s19, exec_lo
	s_and_b32 s8, s8, exec_lo
	s_delay_alu instid0(SALU_CYCLE_1)
	s_or_b32 s19, s19, s8
	s_and_not1_b32 exec_lo, exec_lo, s18
	s_cbranch_execz .LBB216_251
.LBB216_246:                            ;   Parent Loop BB216_6 Depth=1
                                        ; =>  This Inner Loop Header: Depth=2
	s_delay_alu instid0(VALU_DEP_1)
	v_cmp_gt_u64_e32 vcc_lo, s[28:29], v[8:9]
	v_mov_b32_e32 v12, 0
	s_and_saveexec_b32 s8, vcc_lo
	s_cbranch_execz .LBB216_248
; %bb.247:                              ;   in Loop: Header=BB216_246 Depth=2
	global_load_u16 v12, v[6:7], off
.LBB216_248:                            ;   in Loop: Header=BB216_246 Depth=2
	s_or_b32 exec_lo, exec_lo, s8
	s_and_saveexec_b32 s8, vcc_lo
	s_cbranch_execz .LBB216_245
; %bb.249:                              ;   in Loop: Header=BB216_246 Depth=2
	s_waitcnt vmcnt(0)
	v_cmp_lt_i16_e32 vcc_lo, -1, v12
	v_and_b32_e32 v27, 0xffff, v12
	v_dual_cndmask_b32 v28, 0xffff, v37 :: v_dual_lshlrev_b32 v41, 16, v12
	s_delay_alu instid0(VALU_DEP_1) | instskip(NEXT) | instid1(VALU_DEP_2)
	v_cmp_o_f32_e32 vcc_lo, v41, v41
	v_xor_b32_e32 v27, v28, v27
	s_delay_alu instid0(VALU_DEP_1) | instskip(NEXT) | instid1(VALU_DEP_1)
	v_cndmask_b32_e32 v27, 0xffff, v27, vcc_lo
	v_and_b32_e32 v27, v27, v26
	s_delay_alu instid0(VALU_DEP_1)
	v_cmp_eq_u32_e32 vcc_lo, v27, v25
	s_and_b32 exec_lo, exec_lo, vcc_lo
	s_cbranch_execz .LBB216_245
; %bb.250:                              ;   in Loop: Header=BB216_246 Depth=2
	v_perm_b32 v12, v12, s87, 0x5040100
	ds_store_b32 v13, v12 offset:3072
	s_branch .LBB216_245
.LBB216_251:                            ;   in Loop: Header=BB216_6 Depth=1
	s_or_b32 exec_lo, exec_lo, s18
	v_lshrrev_b32_e32 v6, 16, v12
	s_and_b32 s26, s19, exec_lo
.LBB216_252:                            ;   in Loop: Header=BB216_6 Depth=1
	s_or_b32 exec_lo, exec_lo, s9
	s_mov_b32 s18, -1
	s_mov_b32 s8, 0
	s_mov_b32 s9, 0
.LBB216_253:                            ;   in Loop: Header=BB216_6 Depth=1
	s_or_not1_b32 s26, s26, exec_lo
.LBB216_254:                            ;   in Loop: Header=BB216_6 Depth=1
	s_or_b32 exec_lo, exec_lo, s100
	s_mov_b32 s100, 0
                                        ; implicit-def: $vgpr7
                                        ; implicit-def: $vgpr4_vgpr5
	s_and_saveexec_b32 s19, s26
	s_cbranch_execz .LBB216_266
; %bb.255:                              ;   in Loop: Header=BB216_6 Depth=1
	v_dual_mov_b32 v4, 1 :: v_dual_mov_b32 v7, 1
	v_mov_b32_e32 v5, 0
	s_xor_b32 s44, s99, -1
	s_delay_alu instid0(SALU_CYCLE_1)
	s_and_saveexec_b32 s26, s44
	s_cbranch_execz .LBB216_265
; %bb.256:                              ;   in Loop: Header=BB216_6 Depth=1
                                        ; implicit-def: $sgpr100
	s_mov_b32 s44, exec_lo
	v_cmpx_ge_u64_e64 s[16:17], v[2:3]
	s_xor_b32 s99, exec_lo, s44
	s_cbranch_execz .LBB216_262
; %bb.257:                              ;   in Loop: Header=BB216_6 Depth=1
	ds_load_b64 v[4:5], v13 offset:5120
	s_waitcnt lgkmcnt(0)
	v_cmp_ne_u64_e32 vcc_lo, 0, v[4:5]
	s_cbranch_vccnz .LBB216_261
; %bb.258:                              ;   in Loop: Header=BB216_6 Depth=1
	s_and_saveexec_b32 s100, s5
	s_cbranch_execz .LBB216_260
; %bb.259:                              ;   in Loop: Header=BB216_6 Depth=1
	v_dual_mov_b32 v4, s16 :: v_dual_mov_b32 v5, s17
	ds_store_b64 v13, v[4:5] offset:5128
.LBB216_260:                            ;   in Loop: Header=BB216_6 Depth=1
	s_or_b32 exec_lo, exec_lo, s100
	s_waitcnt lgkmcnt(0)
	s_barrier
	buffer_gl0_inv
.LBB216_261:                            ;   in Loop: Header=BB216_6 Depth=1
	v_or_b32_e32 v25, s20, v25
	v_or_b32_e32 v26, s20, v26
	s_mov_b32 s100, 8
.LBB216_262:                            ;   in Loop: Header=BB216_6 Depth=1
	s_or_saveexec_b32 s99, s99
	v_mov_b32_e32 v7, s100
	s_xor_b32 exec_lo, exec_lo, s99
; %bb.263:                              ;   in Loop: Header=BB216_6 Depth=1
	v_sub_co_u32 v2, vcc_lo, v2, s16
	v_subrev_co_ci_u32_e32 v3, vcc_lo, s17, v3, vcc_lo
	v_mov_b32_e32 v7, 8
; %bb.264:                              ;   in Loop: Header=BB216_6 Depth=1
	s_or_b32 exec_lo, exec_lo, s99
	s_delay_alu instid0(VALU_DEP_2)
	v_dual_mov_b32 v5, v3 :: v_dual_mov_b32 v4, v2
.LBB216_265:                            ;   in Loop: Header=BB216_6 Depth=1
	s_or_b32 exec_lo, exec_lo, s26
	s_delay_alu instid0(SALU_CYCLE_1)
	s_mov_b32 s100, exec_lo
.LBB216_266:                            ;   in Loop: Header=BB216_6 Depth=1
	s_or_b32 exec_lo, exec_lo, s19
	s_delay_alu instid0(VALU_DEP_1)
	v_dual_mov_b32 v2, v4 :: v_dual_mov_b32 v3, v5
	s_or_not1_b32 s19, s100, exec_lo
.LBB216_267:                            ;   in Loop: Header=BB216_6 Depth=1
	s_or_b32 exec_lo, exec_lo, s73
	s_delay_alu instid0(SALU_CYCLE_1)
	s_and_not1_b32 s26, s69, exec_lo
	s_and_b32 s8, s8, exec_lo
	v_dual_mov_b32 v5, v3 :: v_dual_mov_b32 v4, v2
	s_or_b32 s69, s26, s8
	s_and_not1_b32 s8, s71, exec_lo
	s_and_b32 s18, s18, exec_lo
	s_and_not1_b32 s26, s70, exec_lo
	s_and_b32 s9, s9, exec_lo
	s_or_b32 s71, s8, s18
	s_or_b32 s70, s26, s9
	s_and_b32 s26, s19, exec_lo
.LBB216_268:                            ;   in Loop: Header=BB216_6 Depth=1
	s_or_b32 exec_lo, exec_lo, s72
	s_delay_alu instid0(SALU_CYCLE_1)
	s_and_b32 s19, s69, exec_lo
	s_and_b32 s18, s71, exec_lo
	;; [unrolled: 1-line block ×3, first 2 shown]
	s_or_not1_b32 s8, s26, exec_lo
.LBB216_269:                            ;   in Loop: Header=BB216_6 Depth=1
	s_or_b32 exec_lo, exec_lo, s68
	s_delay_alu instid0(SALU_CYCLE_1)
	s_and_not1_b32 s25, s25, exec_lo
	s_and_b32 s19, s19, exec_lo
	v_dual_mov_b32 v2, v4 :: v_dual_mov_b32 v3, v5
	s_or_b32 s25, s25, s19
	s_and_not1_b32 s19, s66, exec_lo
	s_and_b32 s18, s18, exec_lo
	s_and_not1_b32 s26, s65, exec_lo
	s_and_b32 s9, s9, exec_lo
	s_or_b32 s66, s19, s18
	s_or_b32 s65, s26, s9
	s_and_b32 s26, s8, exec_lo
.LBB216_270:                            ;   in Loop: Header=BB216_6 Depth=1
	s_or_b32 exec_lo, exec_lo, s67
	s_delay_alu instid0(SALU_CYCLE_1)
	s_and_b32 s19, s25, exec_lo
	s_and_b32 s18, s66, exec_lo
	;; [unrolled: 1-line block ×3, first 2 shown]
	s_or_not1_b32 s25, s26, exec_lo
.LBB216_271:                            ;   in Loop: Header=BB216_6 Depth=1
	s_or_b32 exec_lo, exec_lo, s24
	s_mov_b32 s8, 0
	s_mov_b32 s24, 0
	s_and_saveexec_b32 s26, s25
	s_delay_alu instid0(SALU_CYCLE_1)
	s_xor_b32 s25, exec_lo, s26
; %bb.272:                              ;   in Loop: Header=BB216_6 Depth=1
	v_cmp_ne_u32_e32 vcc_lo, 8, v7
	v_cmp_eq_u32_e64 s8, 8, v7
	s_and_not1_b32 s19, s19, exec_lo
	s_and_not1_b32 s18, s18, exec_lo
	;; [unrolled: 1-line block ×3, first 2 shown]
	s_and_b32 s24, vcc_lo, exec_lo
	s_and_b32 s8, s8, exec_lo
; %bb.273:                              ;   in Loop: Header=BB216_6 Depth=1
	s_or_b32 exec_lo, exec_lo, s25
	s_delay_alu instid0(SALU_CYCLE_1)
	s_and_not1_b32 s23, s23, exec_lo
	s_and_b32 s19, s19, exec_lo
	s_and_b32 s18, s18, exec_lo
	s_or_b32 s23, s23, s19
	s_and_not1_b32 s19, s62, exec_lo
	s_and_not1_b32 s25, s52, exec_lo
	s_and_b32 s9, s9, exec_lo
	s_or_b32 s62, s19, s18
	s_or_b32 s52, s25, s9
	s_and_b32 s24, s24, exec_lo
	s_and_b32 s25, s8, exec_lo
.LBB216_274:                            ;   in Loop: Header=BB216_6 Depth=1
	s_or_b32 exec_lo, exec_lo, s64
	s_delay_alu instid0(SALU_CYCLE_1)
	s_and_b32 vcc_lo, exec_lo, s63
	s_cbranch_vccz .LBB216_93
.LBB216_275:                            ;   in Loop: Header=BB216_6 Depth=1
	s_cmp_eq_u64 s[16:17], 1
                                        ; implicit-def: $sgpr18
                                        ; implicit-def: $sgpr19
                                        ; implicit-def: $sgpr23
	s_cselect_b32 s8, -1, 0
	s_delay_alu instid0(SALU_CYCLE_1)
	s_and_b32 s62, s8, s7
	s_mov_b32 s7, -1
	s_and_saveexec_b32 s52, s62
	s_cbranch_execz .LBB216_307
; %bb.276:                              ;   in Loop: Header=BB216_6 Depth=1
	ds_load_b64 v[2:3], v13 offset:5120
	s_waitcnt lgkmcnt(0)
	s_barrier
	buffer_gl0_inv
	v_readfirstlane_b32 s8, v2
	v_readfirstlane_b32 s9, v3
	s_and_saveexec_b32 s7, s6
	s_cbranch_execz .LBB216_278
; %bb.277:                              ;   in Loop: Header=BB216_6 Depth=1
	ds_store_b16 v33, v13
.LBB216_278:                            ;   in Loop: Header=BB216_6 Depth=1
	s_or_b32 exec_lo, exec_lo, s7
	v_or_b32_e32 v39, s20, v39
	v_or_b32_e32 v38, s20, v38
	s_cmp_eq_u64 s[8:9], 0
	s_waitcnt lgkmcnt(0)
	s_barrier
	buffer_gl0_inv
	s_cbranch_scc1 .LBB216_290
; %bb.279:                              ;   in Loop: Header=BB216_6 Depth=1
	s_add_u32 s23, s76, s8
	s_addc_u32 s19, s77, s9
	s_mov_b32 s18, s53
	s_delay_alu instid0(SALU_CYCLE_1)
	s_cmp_lg_u64 s[18:19], 0
	s_cbranch_scc0 .LBB216_334
; %bb.280:                              ;   in Loop: Header=BB216_6 Depth=1
	v_cvt_f32_u32_e32 v2, s33
	s_sub_u32 s26, 0, s33
	s_subb_u32 s63, 0, 0
	s_delay_alu instid0(VALU_DEP_1) | instskip(NEXT) | instid1(VALU_DEP_1)
	v_fmac_f32_e64 v2, 0, 0x4f800000
	v_rcp_f32_e32 v2, v2
	s_waitcnt_depctr 0xfff
	v_mul_f32_e32 v2, 0x5f7ffffc, v2
	s_delay_alu instid0(VALU_DEP_1) | instskip(NEXT) | instid1(VALU_DEP_1)
	v_mul_f32_e32 v3, 0x2f800000, v2
	v_trunc_f32_e32 v3, v3
	s_delay_alu instid0(VALU_DEP_1) | instskip(SKIP_1) | instid1(VALU_DEP_2)
	v_fmac_f32_e32 v2, 0xcf800000, v3
	v_cvt_u32_f32_e32 v3, v3
	v_cvt_u32_f32_e32 v2, v2
	s_delay_alu instid0(VALU_DEP_2) | instskip(NEXT) | instid1(VALU_DEP_2)
	v_readfirstlane_b32 s7, v3
	v_readfirstlane_b32 s18, v2
	s_delay_alu instid0(VALU_DEP_2) | instskip(NEXT) | instid1(VALU_DEP_1)
	s_mul_i32 s64, s26, s7
	s_mul_hi_u32 s66, s26, s18
	s_mul_i32 s65, s63, s18
	s_add_i32 s64, s66, s64
	s_mul_i32 s67, s26, s18
	s_add_i32 s64, s64, s65
	s_mul_hi_u32 s66, s18, s67
	s_mul_hi_u32 s68, s7, s67
	s_mul_i32 s65, s7, s67
	s_mul_hi_u32 s67, s18, s64
	s_mul_i32 s18, s18, s64
	s_mul_hi_u32 s69, s7, s64
	s_add_u32 s18, s66, s18
	s_addc_u32 s66, 0, s67
	s_add_u32 s18, s18, s65
	s_mul_i32 s64, s7, s64
	s_addc_u32 s18, s66, s68
	s_addc_u32 s65, s69, 0
	s_add_u32 s18, s18, s64
	s_addc_u32 s64, 0, s65
	v_add_co_u32 v2, s18, v2, s18
	s_delay_alu instid0(VALU_DEP_1) | instskip(SKIP_1) | instid1(VALU_DEP_1)
	s_cmp_lg_u32 s18, 0
	s_addc_u32 s7, s7, s64
	v_readfirstlane_b32 s18, v2
	s_mul_i32 s64, s26, s7
	s_delay_alu instid0(VALU_DEP_1)
	s_mul_hi_u32 s65, s26, s18
	s_mul_i32 s63, s63, s18
	s_add_i32 s64, s65, s64
	s_mul_i32 s26, s26, s18
	s_add_i32 s64, s64, s63
	s_mul_hi_u32 s65, s7, s26
	s_mul_i32 s66, s7, s26
	s_mul_hi_u32 s26, s18, s26
	s_mul_hi_u32 s67, s18, s64
	s_mul_i32 s18, s18, s64
	s_mul_hi_u32 s63, s7, s64
	s_add_u32 s18, s26, s18
	s_addc_u32 s26, 0, s67
	s_add_u32 s18, s18, s66
	s_mul_i32 s64, s7, s64
	s_addc_u32 s18, s26, s65
	s_addc_u32 s26, s63, 0
	s_add_u32 s18, s18, s64
	s_addc_u32 s26, 0, s26
	v_add_co_u32 v2, s18, v2, s18
	s_delay_alu instid0(VALU_DEP_1) | instskip(SKIP_1) | instid1(VALU_DEP_1)
	s_cmp_lg_u32 s18, 0
	s_addc_u32 s7, s7, s26
	v_readfirstlane_b32 s18, v2
	s_mul_i32 s63, s23, s7
	s_mul_hi_u32 s26, s23, s7
	s_mul_hi_u32 s64, s19, s7
	s_mul_i32 s7, s19, s7
	s_mul_hi_u32 s65, s23, s18
	s_mul_hi_u32 s66, s19, s18
	s_mul_i32 s18, s19, s18
	s_add_u32 s63, s65, s63
	s_addc_u32 s26, 0, s26
	s_add_u32 s18, s63, s18
	s_addc_u32 s18, s26, s66
	s_addc_u32 s26, s64, 0
	s_add_u32 s7, s18, s7
	s_addc_u32 s18, 0, s26
	s_mul_hi_u32 s26, s33, s7
	s_mul_i32 s7, s33, s7
	s_mul_i32 s18, s33, s18
	v_sub_co_u32 v2, s7, s23, s7
	s_add_i32 s26, s26, s18
	s_cmp_lg_u32 s7, 0
	s_delay_alu instid0(VALU_DEP_1) | instskip(SKIP_2) | instid1(VALU_DEP_1)
	v_sub_co_u32 v3, s7, v2, s33
	s_subb_u32 s18, s19, s26
	s_cmp_lg_u32 s7, 0
	v_cmp_le_u32_e32 vcc_lo, s33, v3
	v_sub_co_u32 v4, s7, v3, s33
	s_subb_u32 s26, s18, 0
	s_cmp_lg_u32 s7, 0
	v_cndmask_b32_e64 v5, 0, -1, vcc_lo
	s_subb_u32 s7, s26, 0
	s_cmp_eq_u32 s26, 0
	v_mov_b32_e32 v7, s7
	s_cselect_b32 vcc_lo, -1, 0
	s_cmp_eq_u32 s18, 0
	v_cndmask_b32_e32 v5, -1, v5, vcc_lo
	v_cmp_le_u32_e32 vcc_lo, s33, v2
	s_cselect_b32 s7, -1, 0
	v_cndmask_b32_e64 v6, 0, -1, vcc_lo
	s_delay_alu instid0(VALU_DEP_3) | instskip(NEXT) | instid1(VALU_DEP_2)
	v_cmp_ne_u32_e32 vcc_lo, 0, v5
	v_cndmask_b32_e64 v5, -1, v6, s7
	v_cndmask_b32_e32 v6, s26, v7, vcc_lo
	v_cndmask_b32_e32 v4, v3, v4, vcc_lo
	s_delay_alu instid0(VALU_DEP_3) | instskip(NEXT) | instid1(VALU_DEP_3)
	v_cmp_ne_u32_e32 vcc_lo, 0, v5
	v_cndmask_b32_e32 v3, s18, v6, vcc_lo
	s_delay_alu instid0(VALU_DEP_3)
	v_cndmask_b32_e32 v2, v2, v4, vcc_lo
	s_cbranch_execnz .LBB216_282
.LBB216_281:                            ;   in Loop: Header=BB216_6 Depth=1
	v_cvt_f32_u32_e32 v2, s33
	s_sub_i32 s7, 0, s33
	s_delay_alu instid0(VALU_DEP_1) | instskip(SKIP_2) | instid1(VALU_DEP_1)
	v_rcp_iflag_f32_e32 v2, v2
	s_waitcnt_depctr 0xfff
	v_mul_f32_e32 v2, 0x4f7ffffe, v2
	v_cvt_u32_f32_e32 v2, v2
	s_delay_alu instid0(VALU_DEP_1) | instskip(NEXT) | instid1(VALU_DEP_1)
	v_mul_lo_u32 v3, s7, v2
	v_mul_hi_u32 v3, v2, v3
	s_delay_alu instid0(VALU_DEP_1) | instskip(NEXT) | instid1(VALU_DEP_1)
	v_add_nc_u32_e32 v2, v2, v3
	v_mul_hi_u32 v2, s23, v2
	s_delay_alu instid0(VALU_DEP_1) | instskip(NEXT) | instid1(VALU_DEP_1)
	v_mul_lo_u32 v2, v2, s33
	v_sub_nc_u32_e32 v2, s23, v2
	s_delay_alu instid0(VALU_DEP_1) | instskip(SKIP_1) | instid1(VALU_DEP_2)
	v_subrev_nc_u32_e32 v3, s33, v2
	v_cmp_le_u32_e32 vcc_lo, s33, v2
	v_cndmask_b32_e32 v2, v2, v3, vcc_lo
	s_delay_alu instid0(VALU_DEP_1) | instskip(SKIP_1) | instid1(VALU_DEP_2)
	v_subrev_nc_u32_e32 v3, s33, v2
	v_cmp_le_u32_e32 vcc_lo, s33, v2
	v_cndmask_b32_e32 v12, v2, v3, vcc_lo
	s_delay_alu instid0(VALU_DEP_1)
	v_dual_mov_b32 v2, v12 :: v_dual_mov_b32 v3, v13
.LBB216_282:                            ;   in Loop: Header=BB216_6 Depth=1
	s_delay_alu instid0(VALU_DEP_1) | instskip(NEXT) | instid1(VALU_DEP_2)
	v_sub_co_u32 v2, vcc_lo, s23, v2
	v_sub_co_ci_u32_e32 v3, vcc_lo, s19, v3, vcc_lo
	s_mov_b32 s7, 0
	s_mov_b32 s18, exec_lo
                                        ; implicit-def: $vgpr40
	s_delay_alu instid0(VALU_DEP_1)
	v_cmpx_gt_u64_e64 v[2:3], v[0:1]
	s_cbranch_execz .LBB216_292
; %bb.283:                              ;   in Loop: Header=BB216_6 Depth=1
	v_dual_mov_b32 v6, v31 :: v_dual_mov_b32 v5, v1
	v_mov_b32_e32 v4, v0
	s_mov_b32 s19, 0
                                        ; implicit-def: $sgpr23
	s_branch .LBB216_285
.LBB216_284:                            ;   in Loop: Header=BB216_285 Depth=2
	s_or_b32 exec_lo, exec_lo, s7
	s_waitcnt lgkmcnt(0)
	s_barrier
	buffer_gl0_inv
	ds_load_b32 v7, v13 offset:3072
	v_add_co_u32 v4, vcc_lo, v4, s33
	v_add_co_ci_u32_e32 v5, vcc_lo, 0, v5, vcc_lo
	v_add_nc_u32_e32 v6, s84, v6
	s_waitcnt lgkmcnt(0)
	s_barrier
	s_delay_alu instid0(VALU_DEP_2) | instskip(SKIP_2) | instid1(VALU_DEP_1)
	v_cmp_ge_u64_e32 vcc_lo, v[4:5], v[2:3]
	buffer_gl0_inv
	v_and_b32_e32 v8, 0x7fff, v7
	v_cmp_ne_u16_e64 s7, 0, v8
	s_delay_alu instid0(VALU_DEP_1) | instskip(NEXT) | instid1(SALU_CYCLE_1)
	s_or_b32 s26, vcc_lo, s7
	s_and_b32 s26, exec_lo, s26
	s_delay_alu instid0(SALU_CYCLE_1) | instskip(SKIP_2) | instid1(SALU_CYCLE_1)
	s_or_b32 s19, s26, s19
	s_and_not1_b32 s23, s23, exec_lo
	s_and_b32 s7, s7, exec_lo
	s_or_b32 s23, s23, s7
	s_and_not1_b32 exec_lo, exec_lo, s19
	s_cbranch_execz .LBB216_291
.LBB216_285:                            ;   Parent Loop BB216_6 Depth=1
                                        ; =>  This Inner Loop Header: Depth=2
	s_delay_alu instid0(VALU_DEP_1)
	v_cmp_gt_u64_e32 vcc_lo, s[8:9], v[4:5]
	v_mov_b32_e32 v7, 0
	s_and_saveexec_b32 s7, vcc_lo
	s_cbranch_execz .LBB216_287
; %bb.286:                              ;   in Loop: Header=BB216_285 Depth=2
	ds_load_u16 v7, v6
.LBB216_287:                            ;   in Loop: Header=BB216_285 Depth=2
	s_or_b32 exec_lo, exec_lo, s7
	s_and_saveexec_b32 s7, vcc_lo
	s_cbranch_execz .LBB216_284
; %bb.288:                              ;   in Loop: Header=BB216_285 Depth=2
	s_waitcnt lgkmcnt(0)
	v_cmp_lt_i16_e32 vcc_lo, -1, v7
	v_and_b32_e32 v8, 0xffff, v7
	v_dual_cndmask_b32 v9, 0xffff, v37 :: v_dual_lshlrev_b32 v12, 16, v7
	s_delay_alu instid0(VALU_DEP_1) | instskip(NEXT) | instid1(VALU_DEP_2)
	v_cmp_o_f32_e32 vcc_lo, v12, v12
	v_xor_b32_e32 v8, v9, v8
	s_delay_alu instid0(VALU_DEP_1) | instskip(NEXT) | instid1(VALU_DEP_1)
	v_cndmask_b32_e32 v8, 0xffff, v8, vcc_lo
	v_and_b32_e32 v8, v8, v38
	s_delay_alu instid0(VALU_DEP_1)
	v_cmp_eq_u32_e32 vcc_lo, v8, v39
	s_and_b32 exec_lo, exec_lo, vcc_lo
	s_cbranch_execz .LBB216_284
; %bb.289:                              ;   in Loop: Header=BB216_285 Depth=2
	v_perm_b32 v7, v7, s87, 0x5040100
	ds_store_b32 v13, v7 offset:3072
	s_branch .LBB216_284
.LBB216_290:                            ;   in Loop: Header=BB216_6 Depth=1
	s_mov_b32 s18, -1
	s_mov_b32 s7, 0
                                        ; implicit-def: $sgpr19
                                        ; implicit-def: $vgpr40
	s_mov_b32 s23, s18
	s_cbranch_execnz .LBB216_293
	s_branch .LBB216_306
.LBB216_291:                            ;   in Loop: Header=BB216_6 Depth=1
	s_or_b32 exec_lo, exec_lo, s19
	v_lshrrev_b32_e32 v40, 16, v7
	s_and_b32 s7, s23, exec_lo
.LBB216_292:                            ;   in Loop: Header=BB216_6 Depth=1
	s_or_b32 exec_lo, exec_lo, s18
	s_mov_b32 s18, 0
	s_mov_b32 s19, -1
	s_mov_b32 s23, s18
	s_branch .LBB216_306
.LBB216_293:                            ;   in Loop: Header=BB216_6 Depth=1
	s_mov_b32 s26, s53
	s_delay_alu instid0(SALU_CYCLE_1)
	s_cmp_lg_u64 s[26:27], 0
	s_cbranch_scc0 .LBB216_335
; %bb.294:                              ;   in Loop: Header=BB216_6 Depth=1
	v_cvt_f32_u32_e32 v2, s33
	s_sub_u32 s9, 0, s33
	s_subb_u32 s18, 0, 0
	s_delay_alu instid0(VALU_DEP_1) | instskip(NEXT) | instid1(VALU_DEP_1)
	v_fmac_f32_e64 v2, 0, 0x4f800000
	v_rcp_f32_e32 v2, v2
	s_waitcnt_depctr 0xfff
	v_mul_f32_e32 v2, 0x5f7ffffc, v2
	s_delay_alu instid0(VALU_DEP_1) | instskip(NEXT) | instid1(VALU_DEP_1)
	v_mul_f32_e32 v3, 0x2f800000, v2
	v_trunc_f32_e32 v3, v3
	s_delay_alu instid0(VALU_DEP_1) | instskip(SKIP_1) | instid1(VALU_DEP_2)
	v_fmac_f32_e32 v2, 0xcf800000, v3
	v_cvt_u32_f32_e32 v3, v3
	v_cvt_u32_f32_e32 v2, v2
	s_delay_alu instid0(VALU_DEP_2) | instskip(NEXT) | instid1(VALU_DEP_2)
	v_readfirstlane_b32 s7, v3
	v_readfirstlane_b32 s8, v2
	s_delay_alu instid0(VALU_DEP_2) | instskip(NEXT) | instid1(VALU_DEP_1)
	s_mul_i32 s19, s9, s7
	s_mul_hi_u32 s26, s9, s8
	s_mul_i32 s23, s18, s8
	s_add_i32 s19, s26, s19
	s_mul_i32 s63, s9, s8
	s_add_i32 s19, s19, s23
	s_mul_hi_u32 s26, s8, s63
	s_mul_hi_u32 s64, s7, s63
	s_mul_i32 s23, s7, s63
	s_mul_hi_u32 s63, s8, s19
	s_mul_i32 s8, s8, s19
	s_mul_hi_u32 s65, s7, s19
	s_add_u32 s8, s26, s8
	s_addc_u32 s26, 0, s63
	s_add_u32 s8, s8, s23
	s_mul_i32 s19, s7, s19
	s_addc_u32 s8, s26, s64
	s_addc_u32 s23, s65, 0
	s_add_u32 s8, s8, s19
	s_addc_u32 s19, 0, s23
	v_add_co_u32 v2, s8, v2, s8
	s_delay_alu instid0(VALU_DEP_1) | instskip(SKIP_1) | instid1(VALU_DEP_1)
	s_cmp_lg_u32 s8, 0
	s_addc_u32 s7, s7, s19
	v_readfirstlane_b32 s8, v2
	s_mul_i32 s19, s9, s7
	s_delay_alu instid0(VALU_DEP_1)
	s_mul_hi_u32 s23, s9, s8
	s_mul_i32 s18, s18, s8
	s_add_i32 s19, s23, s19
	s_mul_i32 s9, s9, s8
	s_add_i32 s19, s19, s18
	s_mul_hi_u32 s23, s7, s9
	s_mul_i32 s26, s7, s9
	s_mul_hi_u32 s9, s8, s9
	s_mul_hi_u32 s63, s8, s19
	s_mul_i32 s8, s8, s19
	s_mul_hi_u32 s18, s7, s19
	s_add_u32 s8, s9, s8
	s_addc_u32 s9, 0, s63
	s_add_u32 s8, s8, s26
	s_mul_i32 s19, s7, s19
	s_addc_u32 s8, s9, s23
	s_addc_u32 s9, s18, 0
	s_add_u32 s8, s8, s19
	s_addc_u32 s9, 0, s9
	v_add_co_u32 v2, s8, v2, s8
	s_delay_alu instid0(VALU_DEP_1) | instskip(SKIP_1) | instid1(VALU_DEP_1)
	s_cmp_lg_u32 s8, 0
	s_addc_u32 s7, s7, s9
	v_readfirstlane_b32 s8, v2
	s_mul_i32 s18, s78, s7
	s_mul_hi_u32 s9, s78, s7
	s_mul_hi_u32 s19, s27, s7
	s_mul_i32 s7, s27, s7
	s_mul_hi_u32 s23, s78, s8
	s_mul_hi_u32 s26, s27, s8
	s_mul_i32 s8, s27, s8
	s_add_u32 s18, s23, s18
	s_addc_u32 s9, 0, s9
	s_add_u32 s8, s18, s8
	s_addc_u32 s8, s9, s26
	s_addc_u32 s9, s19, 0
	s_add_u32 s7, s8, s7
	s_addc_u32 s8, 0, s9
	s_mul_hi_u32 s9, s33, s7
	s_mul_i32 s7, s33, s7
	s_mul_i32 s8, s33, s8
	v_sub_co_u32 v2, s7, s78, s7
	s_add_i32 s9, s9, s8
	s_cmp_lg_u32 s7, 0
	s_delay_alu instid0(VALU_DEP_1) | instskip(SKIP_2) | instid1(VALU_DEP_1)
	v_sub_co_u32 v3, s7, v2, s33
	s_subb_u32 s8, s27, s9
	s_cmp_lg_u32 s7, 0
	v_cmp_le_u32_e32 vcc_lo, s33, v3
	v_sub_co_u32 v4, s7, v3, s33
	s_subb_u32 s9, s8, 0
	s_cmp_lg_u32 s7, 0
	v_cndmask_b32_e64 v5, 0, -1, vcc_lo
	s_subb_u32 s7, s9, 0
	s_cmp_eq_u32 s9, 0
	v_mov_b32_e32 v7, s7
	s_cselect_b32 vcc_lo, -1, 0
	s_cmp_eq_u32 s8, 0
	v_cndmask_b32_e32 v5, -1, v5, vcc_lo
	v_cmp_le_u32_e32 vcc_lo, s33, v2
	s_cselect_b32 s7, -1, 0
	v_cndmask_b32_e64 v6, 0, -1, vcc_lo
	s_delay_alu instid0(VALU_DEP_3) | instskip(NEXT) | instid1(VALU_DEP_2)
	v_cmp_ne_u32_e32 vcc_lo, 0, v5
	v_cndmask_b32_e64 v5, -1, v6, s7
	v_cndmask_b32_e32 v6, s9, v7, vcc_lo
	v_cndmask_b32_e32 v4, v3, v4, vcc_lo
	s_delay_alu instid0(VALU_DEP_3) | instskip(NEXT) | instid1(VALU_DEP_3)
	v_cmp_ne_u32_e32 vcc_lo, 0, v5
	v_cndmask_b32_e32 v3, s8, v6, vcc_lo
	s_delay_alu instid0(VALU_DEP_3)
	v_cndmask_b32_e32 v2, v2, v4, vcc_lo
	s_cbranch_execnz .LBB216_296
.LBB216_295:                            ;   in Loop: Header=BB216_6 Depth=1
	v_cvt_f32_u32_e32 v2, s33
	s_sub_i32 s7, 0, s33
	s_delay_alu instid0(VALU_DEP_1) | instskip(SKIP_2) | instid1(VALU_DEP_1)
	v_rcp_iflag_f32_e32 v2, v2
	s_waitcnt_depctr 0xfff
	v_mul_f32_e32 v2, 0x4f7ffffe, v2
	v_cvt_u32_f32_e32 v2, v2
	s_delay_alu instid0(VALU_DEP_1) | instskip(NEXT) | instid1(VALU_DEP_1)
	v_mul_lo_u32 v3, s7, v2
	v_mul_hi_u32 v3, v2, v3
	s_delay_alu instid0(VALU_DEP_1) | instskip(NEXT) | instid1(VALU_DEP_1)
	v_add_nc_u32_e32 v2, v2, v3
	v_mul_hi_u32 v2, s78, v2
	s_delay_alu instid0(VALU_DEP_1) | instskip(NEXT) | instid1(VALU_DEP_1)
	v_mul_lo_u32 v2, v2, s33
	v_sub_nc_u32_e32 v2, s78, v2
	s_delay_alu instid0(VALU_DEP_1) | instskip(SKIP_1) | instid1(VALU_DEP_2)
	v_subrev_nc_u32_e32 v3, s33, v2
	v_cmp_le_u32_e32 vcc_lo, s33, v2
	v_cndmask_b32_e32 v2, v2, v3, vcc_lo
	s_delay_alu instid0(VALU_DEP_1) | instskip(SKIP_1) | instid1(VALU_DEP_2)
	v_subrev_nc_u32_e32 v3, s33, v2
	v_cmp_le_u32_e32 vcc_lo, s33, v2
	v_cndmask_b32_e32 v12, v2, v3, vcc_lo
	s_delay_alu instid0(VALU_DEP_1)
	v_dual_mov_b32 v2, v12 :: v_dual_mov_b32 v3, v13
.LBB216_296:                            ;   in Loop: Header=BB216_6 Depth=1
	s_delay_alu instid0(VALU_DEP_1) | instskip(NEXT) | instid1(VALU_DEP_2)
	v_sub_co_u32 v2, vcc_lo, s78, v2
	v_sub_co_ci_u32_e32 v3, vcc_lo, s27, v3, vcc_lo
	s_mov_b32 s7, 0
	s_mov_b32 s8, exec_lo
                                        ; implicit-def: $vgpr40
	s_delay_alu instid0(VALU_DEP_1)
	v_cmpx_gt_u64_e64 v[2:3], v[0:1]
	s_cbranch_execz .LBB216_305
; %bb.297:                              ;   in Loop: Header=BB216_6 Depth=1
	v_dual_mov_b32 v4, v10 :: v_dual_mov_b32 v5, v11
	v_dual_mov_b32 v7, v1 :: v_dual_mov_b32 v6, v0
	s_mov_b32 s9, 0
                                        ; implicit-def: $sgpr18
	s_branch .LBB216_299
.LBB216_298:                            ;   in Loop: Header=BB216_299 Depth=2
	s_or_b32 exec_lo, exec_lo, s7
	s_waitcnt vmcnt(0) lgkmcnt(0)
	s_barrier
	buffer_gl0_inv
	ds_load_b32 v8, v13 offset:3072
	v_add_co_u32 v6, vcc_lo, v6, s33
	v_add_co_ci_u32_e32 v7, vcc_lo, 0, v7, vcc_lo
	s_waitcnt lgkmcnt(0)
	s_barrier
	buffer_gl0_inv
	v_cmp_ge_u64_e32 vcc_lo, v[6:7], v[2:3]
	v_and_b32_e32 v9, 0x7fff, v8
	s_delay_alu instid0(VALU_DEP_1) | instskip(NEXT) | instid1(VALU_DEP_1)
	v_cmp_ne_u16_e64 s7, 0, v9
	s_or_b32 s19, vcc_lo, s7
	v_add_co_u32 v4, vcc_lo, v4, s34
	s_and_b32 s19, exec_lo, s19
	v_add_co_ci_u32_e32 v5, vcc_lo, s35, v5, vcc_lo
	s_or_b32 s9, s19, s9
	s_and_not1_b32 s18, s18, exec_lo
	s_and_b32 s7, s7, exec_lo
	s_delay_alu instid0(SALU_CYCLE_1)
	s_or_b32 s18, s18, s7
	s_and_not1_b32 exec_lo, exec_lo, s9
	s_cbranch_execz .LBB216_304
.LBB216_299:                            ;   Parent Loop BB216_6 Depth=1
                                        ; =>  This Inner Loop Header: Depth=2
	s_delay_alu instid0(VALU_DEP_1)
	v_cmp_gt_u64_e32 vcc_lo, s[28:29], v[6:7]
	v_mov_b32_e32 v8, 0
	s_and_saveexec_b32 s7, vcc_lo
	s_cbranch_execz .LBB216_301
; %bb.300:                              ;   in Loop: Header=BB216_299 Depth=2
	global_load_u16 v8, v[4:5], off
.LBB216_301:                            ;   in Loop: Header=BB216_299 Depth=2
	s_or_b32 exec_lo, exec_lo, s7
	s_and_saveexec_b32 s7, vcc_lo
	s_cbranch_execz .LBB216_298
; %bb.302:                              ;   in Loop: Header=BB216_299 Depth=2
	s_waitcnt vmcnt(0)
	v_cmp_lt_i16_e32 vcc_lo, -1, v8
	v_and_b32_e32 v9, 0xffff, v8
	v_dual_cndmask_b32 v12, 0xffff, v37 :: v_dual_lshlrev_b32 v25, 16, v8
	s_delay_alu instid0(VALU_DEP_1) | instskip(NEXT) | instid1(VALU_DEP_2)
	v_cmp_o_f32_e32 vcc_lo, v25, v25
	v_xor_b32_e32 v9, v12, v9
	s_delay_alu instid0(VALU_DEP_1) | instskip(NEXT) | instid1(VALU_DEP_1)
	v_cndmask_b32_e32 v9, 0xffff, v9, vcc_lo
	v_and_b32_e32 v9, v9, v38
	s_delay_alu instid0(VALU_DEP_1)
	v_cmp_eq_u32_e32 vcc_lo, v9, v39
	s_and_b32 exec_lo, exec_lo, vcc_lo
	s_cbranch_execz .LBB216_298
; %bb.303:                              ;   in Loop: Header=BB216_299 Depth=2
	v_perm_b32 v8, v8, s87, 0x5040100
	ds_store_b32 v13, v8 offset:3072
	s_branch .LBB216_298
.LBB216_304:                            ;   in Loop: Header=BB216_6 Depth=1
	s_or_b32 exec_lo, exec_lo, s9
	v_lshrrev_b32_e32 v40, 16, v8
	s_and_b32 s7, s18, exec_lo
.LBB216_305:                            ;   in Loop: Header=BB216_6 Depth=1
	s_or_b32 exec_lo, exec_lo, s8
	s_mov_b32 s19, 0
	s_mov_b32 s18, -1
	s_mov_b32 s23, 0
.LBB216_306:                            ;   in Loop: Header=BB216_6 Depth=1
	s_or_not1_b32 s7, s7, exec_lo
.LBB216_307:                            ;   in Loop: Header=BB216_6 Depth=1
	s_or_b32 exec_lo, exec_lo, s52
                                        ; implicit-def: $vgpr7
                                        ; implicit-def: $vgpr2_vgpr3
                                        ; implicit-def: $vgpr25
                                        ; implicit-def: $vgpr26
                                        ; implicit-def: $vgpr6
	s_and_saveexec_b32 s52, s7
	s_cbranch_execz .LBB216_470
; %bb.308:                              ;   in Loop: Header=BB216_6 Depth=1
	v_dual_mov_b32 v2, 1 :: v_dual_mov_b32 v7, 1
	v_mov_b32_e32 v3, 0
	s_xor_b32 s8, s62, -1
	s_mov_b32 s26, 0
	s_and_saveexec_b32 s7, s8
	s_cbranch_execz .LBB216_318
; %bb.309:                              ;   in Loop: Header=BB216_6 Depth=1
	s_mov_b32 s9, exec_lo
                                        ; implicit-def: $sgpr26
                                        ; implicit-def: $sgpr8
	v_cmpx_ge_u64_e64 s[16:17], v[23:24]
	s_xor_b32 s9, exec_lo, s9
	s_cbranch_execz .LBB216_315
; %bb.310:                              ;   in Loop: Header=BB216_6 Depth=1
	ds_load_b64 v[2:3], v13 offset:5120
	s_waitcnt lgkmcnt(0)
	v_cmp_ne_u64_e32 vcc_lo, 0, v[2:3]
	s_cbranch_vccnz .LBB216_314
; %bb.311:                              ;   in Loop: Header=BB216_6 Depth=1
	s_and_saveexec_b32 s8, s5
	s_cbranch_execz .LBB216_313
; %bb.312:                              ;   in Loop: Header=BB216_6 Depth=1
	v_dual_mov_b32 v2, s16 :: v_dual_mov_b32 v3, s17
	ds_store_b64 v13, v[2:3] offset:5128
.LBB216_313:                            ;   in Loop: Header=BB216_6 Depth=1
	s_or_b32 exec_lo, exec_lo, s8
	s_waitcnt lgkmcnt(0)
	s_barrier
	buffer_gl0_inv
.LBB216_314:                            ;   in Loop: Header=BB216_6 Depth=1
	v_or_b32_e32 v39, s20, v39
	v_or_b32_e32 v38, s20, v38
	s_mov_b32 s8, 0
	s_mov_b32 s26, 5
.LBB216_315:                            ;   in Loop: Header=BB216_6 Depth=1
	s_or_saveexec_b32 s9, s9
	v_mov_b32_e32 v7, s26
	s_xor_b32 exec_lo, exec_lo, s9
; %bb.316:                              ;   in Loop: Header=BB216_6 Depth=1
	v_sub_co_u32 v23, vcc_lo, v23, s16
	v_subrev_co_ci_u32_e32 v24, vcc_lo, s17, v24, vcc_lo
	v_mov_b32_e32 v7, 0
	s_or_b32 s8, s8, exec_lo
; %bb.317:                              ;   in Loop: Header=BB216_6 Depth=1
	s_or_b32 exec_lo, exec_lo, s9
	s_delay_alu instid0(VALU_DEP_2)
	v_dual_mov_b32 v2, v23 :: v_dual_mov_b32 v3, v24
	s_and_b32 s26, s8, exec_lo
.LBB216_318:                            ;   in Loop: Header=BB216_6 Depth=1
	s_or_b32 exec_lo, exec_lo, s7
	s_mov_b32 s17, -1
                                        ; implicit-def: $sgpr8
                                        ; implicit-def: $sgpr9
                                        ; implicit-def: $sgpr16
	s_and_saveexec_b32 s7, s26
	s_delay_alu instid0(SALU_CYCLE_1)
	s_xor_b32 s62, exec_lo, s7
	s_cbranch_execz .LBB216_467
; %bb.319:                              ;   in Loop: Header=BB216_6 Depth=1
	v_cmp_eq_u64_e32 vcc_lo, 1, v[2:3]
	s_cmp_eq_u64 s[14:15], 1
                                        ; implicit-def: $sgpr16
                                        ; implicit-def: $sgpr17
                                        ; implicit-def: $sgpr63
	s_cselect_b32 s7, -1, 0
	s_delay_alu instid0(SALU_CYCLE_1)
	s_and_b32 s65, s7, vcc_lo
	s_mov_b32 s7, -1
	s_and_saveexec_b32 s64, s65
	s_cbranch_execz .LBB216_353
; %bb.320:                              ;   in Loop: Header=BB216_6 Depth=1
	ds_load_b64 v[4:5], v13 offset:5120
	s_waitcnt lgkmcnt(0)
	s_barrier
	buffer_gl0_inv
	v_readfirstlane_b32 s8, v4
	v_readfirstlane_b32 s9, v5
	s_and_saveexec_b32 s7, s6
	s_cbranch_execz .LBB216_322
; %bb.321:                              ;   in Loop: Header=BB216_6 Depth=1
	ds_store_b16 v33, v13
.LBB216_322:                            ;   in Loop: Header=BB216_6 Depth=1
	s_or_b32 exec_lo, exec_lo, s7
	s_lshl_b32 s7, 2, s22
	v_or_b32_e32 v38, s20, v38
	v_and_or_b32 v39, v39, s21, s7
	s_cmp_eq_u64 s[8:9], 0
	s_waitcnt lgkmcnt(0)
	s_barrier
	buffer_gl0_inv
	s_cbranch_scc1 .LBB216_336
; %bb.323:                              ;   in Loop: Header=BB216_6 Depth=1
	s_add_u32 s26, s76, s8
	s_addc_u32 s17, s77, s9
	s_mov_b32 s16, s53
	s_delay_alu instid0(SALU_CYCLE_1)
	s_cmp_lg_u64 s[16:17], 0
	s_cbranch_scc0 .LBB216_380
; %bb.324:                              ;   in Loop: Header=BB216_6 Depth=1
	v_cvt_f32_u32_e32 v4, s33
	s_sub_u32 s63, 0, s33
	s_subb_u32 s66, 0, 0
	s_delay_alu instid0(VALU_DEP_1) | instskip(NEXT) | instid1(VALU_DEP_1)
	v_fmac_f32_e64 v4, 0, 0x4f800000
	v_rcp_f32_e32 v4, v4
	s_waitcnt_depctr 0xfff
	v_mul_f32_e32 v4, 0x5f7ffffc, v4
	s_delay_alu instid0(VALU_DEP_1) | instskip(NEXT) | instid1(VALU_DEP_1)
	v_mul_f32_e32 v5, 0x2f800000, v4
	v_trunc_f32_e32 v5, v5
	s_delay_alu instid0(VALU_DEP_1) | instskip(SKIP_1) | instid1(VALU_DEP_2)
	v_fmac_f32_e32 v4, 0xcf800000, v5
	v_cvt_u32_f32_e32 v5, v5
	v_cvt_u32_f32_e32 v4, v4
	s_delay_alu instid0(VALU_DEP_2) | instskip(NEXT) | instid1(VALU_DEP_2)
	v_readfirstlane_b32 s7, v5
	v_readfirstlane_b32 s16, v4
	s_delay_alu instid0(VALU_DEP_2) | instskip(NEXT) | instid1(VALU_DEP_1)
	s_mul_i32 s67, s63, s7
	s_mul_hi_u32 s69, s63, s16
	s_mul_i32 s68, s66, s16
	s_add_i32 s67, s69, s67
	s_mul_i32 s70, s63, s16
	s_add_i32 s67, s67, s68
	s_mul_hi_u32 s69, s16, s70
	s_mul_hi_u32 s71, s7, s70
	s_mul_i32 s68, s7, s70
	s_mul_hi_u32 s70, s16, s67
	s_mul_i32 s16, s16, s67
	s_mul_hi_u32 s72, s7, s67
	s_add_u32 s16, s69, s16
	s_addc_u32 s69, 0, s70
	s_add_u32 s16, s16, s68
	s_mul_i32 s67, s7, s67
	s_addc_u32 s16, s69, s71
	s_addc_u32 s68, s72, 0
	s_add_u32 s16, s16, s67
	s_addc_u32 s67, 0, s68
	v_add_co_u32 v4, s16, v4, s16
	s_delay_alu instid0(VALU_DEP_1) | instskip(SKIP_1) | instid1(VALU_DEP_1)
	s_cmp_lg_u32 s16, 0
	s_addc_u32 s7, s7, s67
	v_readfirstlane_b32 s16, v4
	s_mul_i32 s67, s63, s7
	s_delay_alu instid0(VALU_DEP_1)
	s_mul_hi_u32 s68, s63, s16
	s_mul_i32 s66, s66, s16
	s_add_i32 s67, s68, s67
	s_mul_i32 s63, s63, s16
	s_add_i32 s67, s67, s66
	s_mul_hi_u32 s68, s7, s63
	s_mul_i32 s69, s7, s63
	s_mul_hi_u32 s63, s16, s63
	s_mul_hi_u32 s70, s16, s67
	s_mul_i32 s16, s16, s67
	s_mul_hi_u32 s66, s7, s67
	s_add_u32 s16, s63, s16
	s_addc_u32 s63, 0, s70
	s_add_u32 s16, s16, s69
	s_mul_i32 s67, s7, s67
	s_addc_u32 s16, s63, s68
	s_addc_u32 s63, s66, 0
	s_add_u32 s16, s16, s67
	s_addc_u32 s63, 0, s63
	v_add_co_u32 v4, s16, v4, s16
	s_delay_alu instid0(VALU_DEP_1) | instskip(SKIP_1) | instid1(VALU_DEP_1)
	s_cmp_lg_u32 s16, 0
	s_addc_u32 s7, s7, s63
	v_readfirstlane_b32 s16, v4
	s_mul_i32 s66, s26, s7
	s_mul_hi_u32 s63, s26, s7
	s_mul_hi_u32 s67, s17, s7
	s_mul_i32 s7, s17, s7
	s_mul_hi_u32 s68, s26, s16
	s_mul_hi_u32 s69, s17, s16
	s_mul_i32 s16, s17, s16
	s_add_u32 s66, s68, s66
	s_addc_u32 s63, 0, s63
	s_add_u32 s16, s66, s16
	s_addc_u32 s16, s63, s69
	s_addc_u32 s63, s67, 0
	s_add_u32 s7, s16, s7
	s_addc_u32 s16, 0, s63
	s_mul_hi_u32 s63, s33, s7
	s_mul_i32 s7, s33, s7
	s_mul_i32 s16, s33, s16
	v_sub_co_u32 v4, s7, s26, s7
	s_add_i32 s63, s63, s16
	s_cmp_lg_u32 s7, 0
	s_delay_alu instid0(VALU_DEP_1) | instskip(SKIP_2) | instid1(VALU_DEP_1)
	v_sub_co_u32 v5, s7, v4, s33
	s_subb_u32 s16, s17, s63
	s_cmp_lg_u32 s7, 0
	v_cmp_le_u32_e32 vcc_lo, s33, v5
	v_sub_co_u32 v6, s7, v5, s33
	s_subb_u32 s63, s16, 0
	s_cmp_lg_u32 s7, 0
	v_cndmask_b32_e64 v7, 0, -1, vcc_lo
	s_subb_u32 s7, s63, 0
	s_cmp_eq_u32 s63, 0
	v_mov_b32_e32 v9, s7
	s_cselect_b32 vcc_lo, -1, 0
	s_cmp_eq_u32 s16, 0
	v_cndmask_b32_e32 v7, -1, v7, vcc_lo
	v_cmp_le_u32_e32 vcc_lo, s33, v4
	s_cselect_b32 s7, -1, 0
	v_cndmask_b32_e64 v8, 0, -1, vcc_lo
	s_delay_alu instid0(VALU_DEP_3) | instskip(NEXT) | instid1(VALU_DEP_2)
	v_cmp_ne_u32_e32 vcc_lo, 0, v7
	v_cndmask_b32_e64 v7, -1, v8, s7
	v_cndmask_b32_e32 v8, s63, v9, vcc_lo
	v_cndmask_b32_e32 v6, v5, v6, vcc_lo
	s_delay_alu instid0(VALU_DEP_3) | instskip(NEXT) | instid1(VALU_DEP_3)
	v_cmp_ne_u32_e32 vcc_lo, 0, v7
	v_cndmask_b32_e32 v5, s16, v8, vcc_lo
	s_delay_alu instid0(VALU_DEP_3)
	v_cndmask_b32_e32 v4, v4, v6, vcc_lo
	s_cbranch_execnz .LBB216_326
.LBB216_325:                            ;   in Loop: Header=BB216_6 Depth=1
	v_cvt_f32_u32_e32 v4, s33
	s_sub_i32 s7, 0, s33
	s_delay_alu instid0(VALU_DEP_1) | instskip(SKIP_2) | instid1(VALU_DEP_1)
	v_rcp_iflag_f32_e32 v4, v4
	s_waitcnt_depctr 0xfff
	v_mul_f32_e32 v4, 0x4f7ffffe, v4
	v_cvt_u32_f32_e32 v4, v4
	s_delay_alu instid0(VALU_DEP_1) | instskip(NEXT) | instid1(VALU_DEP_1)
	v_mul_lo_u32 v5, s7, v4
	v_mul_hi_u32 v5, v4, v5
	s_delay_alu instid0(VALU_DEP_1) | instskip(NEXT) | instid1(VALU_DEP_1)
	v_add_nc_u32_e32 v4, v4, v5
	v_mul_hi_u32 v4, s26, v4
	s_delay_alu instid0(VALU_DEP_1) | instskip(NEXT) | instid1(VALU_DEP_1)
	v_mul_lo_u32 v4, v4, s33
	v_sub_nc_u32_e32 v4, s26, v4
	s_delay_alu instid0(VALU_DEP_1) | instskip(SKIP_1) | instid1(VALU_DEP_2)
	v_subrev_nc_u32_e32 v5, s33, v4
	v_cmp_le_u32_e32 vcc_lo, s33, v4
	v_cndmask_b32_e32 v4, v4, v5, vcc_lo
	s_delay_alu instid0(VALU_DEP_1) | instskip(SKIP_1) | instid1(VALU_DEP_2)
	v_subrev_nc_u32_e32 v5, s33, v4
	v_cmp_le_u32_e32 vcc_lo, s33, v4
	v_cndmask_b32_e32 v12, v4, v5, vcc_lo
	s_delay_alu instid0(VALU_DEP_1)
	v_dual_mov_b32 v4, v12 :: v_dual_mov_b32 v5, v13
.LBB216_326:                            ;   in Loop: Header=BB216_6 Depth=1
	s_delay_alu instid0(VALU_DEP_1) | instskip(NEXT) | instid1(VALU_DEP_2)
	v_sub_co_u32 v4, vcc_lo, s26, v4
	v_sub_co_ci_u32_e32 v5, vcc_lo, s17, v5, vcc_lo
	s_mov_b32 s7, 0
	s_mov_b32 s16, exec_lo
                                        ; implicit-def: $vgpr40
	s_delay_alu instid0(VALU_DEP_1)
	v_cmpx_gt_u64_e64 v[4:5], v[0:1]
	s_cbranch_execz .LBB216_338
; %bb.327:                              ;   in Loop: Header=BB216_6 Depth=1
	v_dual_mov_b32 v8, v31 :: v_dual_mov_b32 v7, v1
	v_mov_b32_e32 v6, v0
	s_mov_b32 s17, 0
                                        ; implicit-def: $sgpr26
	s_branch .LBB216_329
.LBB216_328:                            ;   in Loop: Header=BB216_329 Depth=2
	s_or_b32 exec_lo, exec_lo, s7
	s_waitcnt lgkmcnt(0)
	s_barrier
	buffer_gl0_inv
	ds_load_b32 v9, v13 offset:3072
	v_add_co_u32 v6, vcc_lo, v6, s33
	v_add_co_ci_u32_e32 v7, vcc_lo, 0, v7, vcc_lo
	v_add_nc_u32_e32 v8, s84, v8
	s_waitcnt lgkmcnt(0)
	s_barrier
	s_delay_alu instid0(VALU_DEP_2) | instskip(SKIP_2) | instid1(VALU_DEP_1)
	v_cmp_ge_u64_e32 vcc_lo, v[6:7], v[4:5]
	buffer_gl0_inv
	v_and_b32_e32 v12, 0x7fff, v9
	v_cmp_ne_u16_e64 s7, 0, v12
	s_delay_alu instid0(VALU_DEP_1) | instskip(NEXT) | instid1(SALU_CYCLE_1)
	s_or_b32 s63, vcc_lo, s7
	s_and_b32 s63, exec_lo, s63
	s_delay_alu instid0(SALU_CYCLE_1) | instskip(SKIP_2) | instid1(SALU_CYCLE_1)
	s_or_b32 s17, s63, s17
	s_and_not1_b32 s26, s26, exec_lo
	s_and_b32 s7, s7, exec_lo
	s_or_b32 s26, s26, s7
	s_and_not1_b32 exec_lo, exec_lo, s17
	s_cbranch_execz .LBB216_337
.LBB216_329:                            ;   Parent Loop BB216_6 Depth=1
                                        ; =>  This Inner Loop Header: Depth=2
	s_delay_alu instid0(VALU_DEP_1)
	v_cmp_gt_u64_e32 vcc_lo, s[8:9], v[6:7]
	v_mov_b32_e32 v9, 0
	s_and_saveexec_b32 s7, vcc_lo
	s_cbranch_execz .LBB216_331
; %bb.330:                              ;   in Loop: Header=BB216_329 Depth=2
	ds_load_u16 v9, v8
.LBB216_331:                            ;   in Loop: Header=BB216_329 Depth=2
	s_or_b32 exec_lo, exec_lo, s7
	s_and_saveexec_b32 s7, vcc_lo
	s_cbranch_execz .LBB216_328
; %bb.332:                              ;   in Loop: Header=BB216_329 Depth=2
	s_waitcnt lgkmcnt(0)
	v_cmp_lt_i16_e32 vcc_lo, -1, v9
	v_and_b32_e32 v12, 0xffff, v9
	v_lshlrev_b32_e32 v24, 16, v9
	v_cndmask_b32_e32 v23, 0xffff, v37, vcc_lo
	s_delay_alu instid0(VALU_DEP_2) | instskip(NEXT) | instid1(VALU_DEP_2)
	v_cmp_o_f32_e32 vcc_lo, v24, v24
	v_xor_b32_e32 v12, v23, v12
	s_delay_alu instid0(VALU_DEP_1) | instskip(NEXT) | instid1(VALU_DEP_1)
	v_cndmask_b32_e32 v12, 0xffff, v12, vcc_lo
	v_and_b32_e32 v12, v12, v38
	s_delay_alu instid0(VALU_DEP_1)
	v_cmp_eq_u32_e32 vcc_lo, v12, v39
	s_and_b32 exec_lo, exec_lo, vcc_lo
	s_cbranch_execz .LBB216_328
; %bb.333:                              ;   in Loop: Header=BB216_329 Depth=2
	v_perm_b32 v9, v9, s87, 0x5040100
	ds_store_b32 v13, v9 offset:3072
	s_branch .LBB216_328
.LBB216_334:                            ;   in Loop: Header=BB216_6 Depth=1
                                        ; implicit-def: $vgpr2_vgpr3
	s_branch .LBB216_281
.LBB216_335:                            ;   in Loop: Header=BB216_6 Depth=1
                                        ; implicit-def: $vgpr2_vgpr3
	s_branch .LBB216_295
.LBB216_336:                            ;   in Loop: Header=BB216_6 Depth=1
	s_mov_b32 s16, -1
	s_mov_b32 s7, 0
                                        ; implicit-def: $sgpr17
                                        ; implicit-def: $vgpr40
	s_mov_b32 s63, s16
	s_cbranch_execnz .LBB216_339
	s_branch .LBB216_352
.LBB216_337:                            ;   in Loop: Header=BB216_6 Depth=1
	s_or_b32 exec_lo, exec_lo, s17
	v_lshrrev_b32_e32 v40, 16, v9
	s_and_b32 s7, s26, exec_lo
.LBB216_338:                            ;   in Loop: Header=BB216_6 Depth=1
	s_or_b32 exec_lo, exec_lo, s16
	s_mov_b32 s16, 0
	s_mov_b32 s17, -1
	s_mov_b32 s63, s16
	s_branch .LBB216_352
.LBB216_339:                            ;   in Loop: Header=BB216_6 Depth=1
	s_mov_b32 s26, s53
	s_delay_alu instid0(SALU_CYCLE_1)
	s_cmp_lg_u64 s[26:27], 0
	s_cbranch_scc0 .LBB216_381
; %bb.340:                              ;   in Loop: Header=BB216_6 Depth=1
	v_cvt_f32_u32_e32 v4, s33
	s_sub_u32 s9, 0, s33
	s_subb_u32 s16, 0, 0
	s_delay_alu instid0(VALU_DEP_1) | instskip(NEXT) | instid1(VALU_DEP_1)
	v_fmac_f32_e64 v4, 0, 0x4f800000
	v_rcp_f32_e32 v4, v4
	s_waitcnt_depctr 0xfff
	v_mul_f32_e32 v4, 0x5f7ffffc, v4
	s_delay_alu instid0(VALU_DEP_1) | instskip(NEXT) | instid1(VALU_DEP_1)
	v_mul_f32_e32 v5, 0x2f800000, v4
	v_trunc_f32_e32 v5, v5
	s_delay_alu instid0(VALU_DEP_1) | instskip(SKIP_1) | instid1(VALU_DEP_2)
	v_fmac_f32_e32 v4, 0xcf800000, v5
	v_cvt_u32_f32_e32 v5, v5
	v_cvt_u32_f32_e32 v4, v4
	s_delay_alu instid0(VALU_DEP_2) | instskip(NEXT) | instid1(VALU_DEP_2)
	v_readfirstlane_b32 s7, v5
	v_readfirstlane_b32 s8, v4
	s_delay_alu instid0(VALU_DEP_2) | instskip(NEXT) | instid1(VALU_DEP_1)
	s_mul_i32 s17, s9, s7
	s_mul_hi_u32 s63, s9, s8
	s_mul_i32 s26, s16, s8
	s_add_i32 s17, s63, s17
	s_mul_i32 s66, s9, s8
	s_add_i32 s17, s17, s26
	s_mul_hi_u32 s63, s8, s66
	s_mul_hi_u32 s67, s7, s66
	s_mul_i32 s26, s7, s66
	s_mul_hi_u32 s66, s8, s17
	s_mul_i32 s8, s8, s17
	s_mul_hi_u32 s68, s7, s17
	s_add_u32 s8, s63, s8
	s_addc_u32 s63, 0, s66
	s_add_u32 s8, s8, s26
	s_mul_i32 s17, s7, s17
	s_addc_u32 s8, s63, s67
	s_addc_u32 s26, s68, 0
	s_add_u32 s8, s8, s17
	s_addc_u32 s17, 0, s26
	v_add_co_u32 v4, s8, v4, s8
	s_delay_alu instid0(VALU_DEP_1) | instskip(SKIP_1) | instid1(VALU_DEP_1)
	s_cmp_lg_u32 s8, 0
	s_addc_u32 s7, s7, s17
	v_readfirstlane_b32 s8, v4
	s_mul_i32 s17, s9, s7
	s_delay_alu instid0(VALU_DEP_1)
	s_mul_hi_u32 s26, s9, s8
	s_mul_i32 s16, s16, s8
	s_add_i32 s17, s26, s17
	s_mul_i32 s9, s9, s8
	s_add_i32 s17, s17, s16
	s_mul_hi_u32 s26, s7, s9
	s_mul_i32 s63, s7, s9
	s_mul_hi_u32 s9, s8, s9
	s_mul_hi_u32 s66, s8, s17
	s_mul_i32 s8, s8, s17
	s_mul_hi_u32 s16, s7, s17
	s_add_u32 s8, s9, s8
	s_addc_u32 s9, 0, s66
	s_add_u32 s8, s8, s63
	s_mul_i32 s17, s7, s17
	s_addc_u32 s8, s9, s26
	s_addc_u32 s9, s16, 0
	s_add_u32 s8, s8, s17
	s_addc_u32 s9, 0, s9
	v_add_co_u32 v4, s8, v4, s8
	s_delay_alu instid0(VALU_DEP_1) | instskip(SKIP_1) | instid1(VALU_DEP_1)
	s_cmp_lg_u32 s8, 0
	s_addc_u32 s7, s7, s9
	v_readfirstlane_b32 s8, v4
	s_mul_i32 s16, s78, s7
	s_mul_hi_u32 s9, s78, s7
	s_mul_hi_u32 s17, s27, s7
	s_mul_i32 s7, s27, s7
	s_mul_hi_u32 s26, s78, s8
	s_mul_hi_u32 s63, s27, s8
	s_mul_i32 s8, s27, s8
	s_add_u32 s16, s26, s16
	s_addc_u32 s9, 0, s9
	s_add_u32 s8, s16, s8
	s_addc_u32 s8, s9, s63
	s_addc_u32 s9, s17, 0
	s_add_u32 s7, s8, s7
	s_addc_u32 s8, 0, s9
	s_mul_hi_u32 s9, s33, s7
	s_mul_i32 s7, s33, s7
	s_mul_i32 s8, s33, s8
	v_sub_co_u32 v4, s7, s78, s7
	s_add_i32 s9, s9, s8
	s_cmp_lg_u32 s7, 0
	s_delay_alu instid0(VALU_DEP_1) | instskip(SKIP_2) | instid1(VALU_DEP_1)
	v_sub_co_u32 v5, s7, v4, s33
	s_subb_u32 s8, s27, s9
	s_cmp_lg_u32 s7, 0
	v_cmp_le_u32_e32 vcc_lo, s33, v5
	v_sub_co_u32 v6, s7, v5, s33
	s_subb_u32 s9, s8, 0
	s_cmp_lg_u32 s7, 0
	v_cndmask_b32_e64 v7, 0, -1, vcc_lo
	s_subb_u32 s7, s9, 0
	s_cmp_eq_u32 s9, 0
	v_mov_b32_e32 v9, s7
	s_cselect_b32 vcc_lo, -1, 0
	s_cmp_eq_u32 s8, 0
	v_cndmask_b32_e32 v7, -1, v7, vcc_lo
	v_cmp_le_u32_e32 vcc_lo, s33, v4
	s_cselect_b32 s7, -1, 0
	v_cndmask_b32_e64 v8, 0, -1, vcc_lo
	s_delay_alu instid0(VALU_DEP_3) | instskip(NEXT) | instid1(VALU_DEP_2)
	v_cmp_ne_u32_e32 vcc_lo, 0, v7
	v_cndmask_b32_e64 v7, -1, v8, s7
	v_cndmask_b32_e32 v8, s9, v9, vcc_lo
	v_cndmask_b32_e32 v6, v5, v6, vcc_lo
	s_delay_alu instid0(VALU_DEP_3) | instskip(NEXT) | instid1(VALU_DEP_3)
	v_cmp_ne_u32_e32 vcc_lo, 0, v7
	v_cndmask_b32_e32 v5, s8, v8, vcc_lo
	s_delay_alu instid0(VALU_DEP_3)
	v_cndmask_b32_e32 v4, v4, v6, vcc_lo
	s_cbranch_execnz .LBB216_342
.LBB216_341:                            ;   in Loop: Header=BB216_6 Depth=1
	v_cvt_f32_u32_e32 v4, s33
	s_sub_i32 s7, 0, s33
	s_delay_alu instid0(VALU_DEP_1) | instskip(SKIP_2) | instid1(VALU_DEP_1)
	v_rcp_iflag_f32_e32 v4, v4
	s_waitcnt_depctr 0xfff
	v_mul_f32_e32 v4, 0x4f7ffffe, v4
	v_cvt_u32_f32_e32 v4, v4
	s_delay_alu instid0(VALU_DEP_1) | instskip(NEXT) | instid1(VALU_DEP_1)
	v_mul_lo_u32 v5, s7, v4
	v_mul_hi_u32 v5, v4, v5
	s_delay_alu instid0(VALU_DEP_1) | instskip(NEXT) | instid1(VALU_DEP_1)
	v_add_nc_u32_e32 v4, v4, v5
	v_mul_hi_u32 v4, s78, v4
	s_delay_alu instid0(VALU_DEP_1) | instskip(NEXT) | instid1(VALU_DEP_1)
	v_mul_lo_u32 v4, v4, s33
	v_sub_nc_u32_e32 v4, s78, v4
	s_delay_alu instid0(VALU_DEP_1) | instskip(SKIP_1) | instid1(VALU_DEP_2)
	v_subrev_nc_u32_e32 v5, s33, v4
	v_cmp_le_u32_e32 vcc_lo, s33, v4
	v_cndmask_b32_e32 v4, v4, v5, vcc_lo
	s_delay_alu instid0(VALU_DEP_1) | instskip(SKIP_1) | instid1(VALU_DEP_2)
	v_subrev_nc_u32_e32 v5, s33, v4
	v_cmp_le_u32_e32 vcc_lo, s33, v4
	v_cndmask_b32_e32 v12, v4, v5, vcc_lo
	s_delay_alu instid0(VALU_DEP_1)
	v_dual_mov_b32 v4, v12 :: v_dual_mov_b32 v5, v13
.LBB216_342:                            ;   in Loop: Header=BB216_6 Depth=1
	s_delay_alu instid0(VALU_DEP_1) | instskip(NEXT) | instid1(VALU_DEP_2)
	v_sub_co_u32 v4, vcc_lo, s78, v4
	v_sub_co_ci_u32_e32 v5, vcc_lo, s27, v5, vcc_lo
	s_mov_b32 s7, 0
	s_mov_b32 s8, exec_lo
                                        ; implicit-def: $vgpr40
	s_delay_alu instid0(VALU_DEP_1)
	v_cmpx_gt_u64_e64 v[4:5], v[0:1]
	s_cbranch_execz .LBB216_351
; %bb.343:                              ;   in Loop: Header=BB216_6 Depth=1
	v_dual_mov_b32 v6, v10 :: v_dual_mov_b32 v7, v11
	v_dual_mov_b32 v9, v1 :: v_dual_mov_b32 v8, v0
	s_mov_b32 s9, 0
                                        ; implicit-def: $sgpr16
	s_branch .LBB216_345
.LBB216_344:                            ;   in Loop: Header=BB216_345 Depth=2
	s_or_b32 exec_lo, exec_lo, s7
	s_waitcnt vmcnt(0) lgkmcnt(0)
	s_barrier
	buffer_gl0_inv
	ds_load_b32 v12, v13 offset:3072
	v_add_co_u32 v8, vcc_lo, v8, s33
	v_add_co_ci_u32_e32 v9, vcc_lo, 0, v9, vcc_lo
	s_waitcnt lgkmcnt(0)
	s_barrier
	buffer_gl0_inv
	v_cmp_ge_u64_e32 vcc_lo, v[8:9], v[4:5]
	v_and_b32_e32 v23, 0x7fff, v12
	s_delay_alu instid0(VALU_DEP_1) | instskip(NEXT) | instid1(VALU_DEP_1)
	v_cmp_ne_u16_e64 s7, 0, v23
	s_or_b32 s17, vcc_lo, s7
	v_add_co_u32 v6, vcc_lo, v6, s34
	s_and_b32 s17, exec_lo, s17
	v_add_co_ci_u32_e32 v7, vcc_lo, s35, v7, vcc_lo
	s_or_b32 s9, s17, s9
	s_and_not1_b32 s16, s16, exec_lo
	s_and_b32 s7, s7, exec_lo
	s_delay_alu instid0(SALU_CYCLE_1)
	s_or_b32 s16, s16, s7
	s_and_not1_b32 exec_lo, exec_lo, s9
	s_cbranch_execz .LBB216_350
.LBB216_345:                            ;   Parent Loop BB216_6 Depth=1
                                        ; =>  This Inner Loop Header: Depth=2
	s_delay_alu instid0(VALU_DEP_1)
	v_cmp_gt_u64_e32 vcc_lo, s[28:29], v[8:9]
	v_mov_b32_e32 v12, 0
	s_and_saveexec_b32 s7, vcc_lo
	s_cbranch_execz .LBB216_347
; %bb.346:                              ;   in Loop: Header=BB216_345 Depth=2
	global_load_u16 v12, v[6:7], off
.LBB216_347:                            ;   in Loop: Header=BB216_345 Depth=2
	s_or_b32 exec_lo, exec_lo, s7
	s_and_saveexec_b32 s7, vcc_lo
	s_cbranch_execz .LBB216_344
; %bb.348:                              ;   in Loop: Header=BB216_345 Depth=2
	s_waitcnt vmcnt(0)
	v_cmp_lt_i16_e32 vcc_lo, -1, v12
	v_and_b32_e32 v23, 0xffff, v12
	v_dual_cndmask_b32 v24, 0xffff, v37 :: v_dual_lshlrev_b32 v25, 16, v12
	s_delay_alu instid0(VALU_DEP_1) | instskip(NEXT) | instid1(VALU_DEP_2)
	v_cmp_o_f32_e32 vcc_lo, v25, v25
	v_xor_b32_e32 v23, v24, v23
	s_delay_alu instid0(VALU_DEP_1) | instskip(NEXT) | instid1(VALU_DEP_1)
	v_cndmask_b32_e32 v23, 0xffff, v23, vcc_lo
	v_and_b32_e32 v23, v23, v38
	s_delay_alu instid0(VALU_DEP_1)
	v_cmp_eq_u32_e32 vcc_lo, v23, v39
	s_and_b32 exec_lo, exec_lo, vcc_lo
	s_cbranch_execz .LBB216_344
; %bb.349:                              ;   in Loop: Header=BB216_345 Depth=2
	v_perm_b32 v12, v12, s87, 0x5040100
	ds_store_b32 v13, v12 offset:3072
	s_branch .LBB216_344
.LBB216_350:                            ;   in Loop: Header=BB216_6 Depth=1
	s_or_b32 exec_lo, exec_lo, s9
	v_lshrrev_b32_e32 v40, 16, v12
	s_and_b32 s7, s16, exec_lo
.LBB216_351:                            ;   in Loop: Header=BB216_6 Depth=1
	s_or_b32 exec_lo, exec_lo, s8
	s_mov_b32 s17, 0
	s_mov_b32 s16, -1
	s_mov_b32 s63, 0
.LBB216_352:                            ;   in Loop: Header=BB216_6 Depth=1
	s_or_not1_b32 s7, s7, exec_lo
.LBB216_353:                            ;   in Loop: Header=BB216_6 Depth=1
	s_or_b32 exec_lo, exec_lo, s64
	s_mov_b32 s26, 0
                                        ; implicit-def: $vgpr7
	s_and_saveexec_b32 s64, s7
	s_cbranch_execz .LBB216_466
; %bb.354:                              ;   in Loop: Header=BB216_6 Depth=1
	v_dual_mov_b32 v4, 1 :: v_dual_mov_b32 v7, 1
	v_mov_b32_e32 v5, 0
	s_xor_b32 s8, s65, -1
	s_delay_alu instid0(SALU_CYCLE_1)
	s_and_saveexec_b32 s7, s8
	s_cbranch_execz .LBB216_364
; %bb.355:                              ;   in Loop: Header=BB216_6 Depth=1
	s_mov_b32 s9, exec_lo
                                        ; implicit-def: $sgpr26
                                        ; implicit-def: $sgpr8
	v_cmpx_ge_u64_e64 s[14:15], v[2:3]
	s_xor_b32 s9, exec_lo, s9
	s_cbranch_execz .LBB216_361
; %bb.356:                              ;   in Loop: Header=BB216_6 Depth=1
	ds_load_b64 v[4:5], v13 offset:5120
	s_waitcnt lgkmcnt(0)
	v_cmp_ne_u64_e32 vcc_lo, 0, v[4:5]
	s_cbranch_vccnz .LBB216_360
; %bb.357:                              ;   in Loop: Header=BB216_6 Depth=1
	s_and_saveexec_b32 s8, s5
	s_cbranch_execz .LBB216_359
; %bb.358:                              ;   in Loop: Header=BB216_6 Depth=1
	v_dual_mov_b32 v4, s14 :: v_dual_mov_b32 v5, s15
	ds_store_b64 v13, v[4:5] offset:5128
.LBB216_359:                            ;   in Loop: Header=BB216_6 Depth=1
	s_or_b32 exec_lo, exec_lo, s8
	s_waitcnt lgkmcnt(0)
	s_barrier
	buffer_gl0_inv
.LBB216_360:                            ;   in Loop: Header=BB216_6 Depth=1
	s_lshl_b32 s8, 2, s22
	v_or_b32_e32 v38, s20, v38
	v_and_or_b32 v39, v39, s21, s8
	s_mov_b32 s8, 0
	s_mov_b32 s26, 5
.LBB216_361:                            ;   in Loop: Header=BB216_6 Depth=1
	s_or_saveexec_b32 s9, s9
	v_mov_b32_e32 v7, s26
	s_xor_b32 exec_lo, exec_lo, s9
; %bb.362:                              ;   in Loop: Header=BB216_6 Depth=1
	v_sub_co_u32 v2, vcc_lo, v2, s14
	v_subrev_co_ci_u32_e32 v3, vcc_lo, s15, v3, vcc_lo
	v_mov_b32_e32 v7, 0
	s_or_b32 s8, s8, exec_lo
; %bb.363:                              ;   in Loop: Header=BB216_6 Depth=1
	s_or_b32 exec_lo, exec_lo, s9
	s_delay_alu instid0(VALU_DEP_2)
	v_dual_mov_b32 v5, v3 :: v_dual_mov_b32 v4, v2
	s_and_b32 s26, s8, exec_lo
.LBB216_364:                            ;   in Loop: Header=BB216_6 Depth=1
	s_or_b32 exec_lo, exec_lo, s7
	s_mov_b32 s7, -1
                                        ; implicit-def: $sgpr8
                                        ; implicit-def: $sgpr9
                                        ; implicit-def: $sgpr14
	s_and_saveexec_b32 s65, s26
	s_cbranch_execz .LBB216_465
; %bb.365:                              ;   in Loop: Header=BB216_6 Depth=1
	v_cmp_eq_u64_e32 vcc_lo, 1, v[4:5]
	s_cmp_eq_u64 s[12:13], 1
                                        ; implicit-def: $sgpr14
                                        ; implicit-def: $sgpr15
                                        ; implicit-def: $sgpr66
	s_cselect_b32 s7, -1, 0
	s_delay_alu instid0(SALU_CYCLE_1)
	s_and_b32 s68, s7, vcc_lo
	s_mov_b32 s7, -1
	s_and_saveexec_b32 s67, s68
	s_cbranch_execz .LBB216_399
; %bb.366:                              ;   in Loop: Header=BB216_6 Depth=1
	ds_load_b64 v[2:3], v13 offset:5120
	s_waitcnt lgkmcnt(0)
	s_barrier
	buffer_gl0_inv
	v_readfirstlane_b32 s8, v2
	v_readfirstlane_b32 s9, v3
	s_and_saveexec_b32 s7, s6
	s_cbranch_execz .LBB216_368
; %bb.367:                              ;   in Loop: Header=BB216_6 Depth=1
	ds_store_b16 v33, v13
.LBB216_368:                            ;   in Loop: Header=BB216_6 Depth=1
	s_or_b32 exec_lo, exec_lo, s7
	s_lshl_b32 s7, 1, s22
	v_or_b32_e32 v38, s20, v38
	v_and_or_b32 v39, v39, s21, s7
	s_cmp_eq_u64 s[8:9], 0
	s_waitcnt lgkmcnt(0)
	s_barrier
	buffer_gl0_inv
	s_cbranch_scc1 .LBB216_382
; %bb.369:                              ;   in Loop: Header=BB216_6 Depth=1
	s_add_u32 s26, s76, s8
	s_addc_u32 s15, s77, s9
	s_mov_b32 s14, s53
	s_delay_alu instid0(SALU_CYCLE_1)
	s_cmp_lg_u64 s[14:15], 0
	s_cbranch_scc0 .LBB216_417
; %bb.370:                              ;   in Loop: Header=BB216_6 Depth=1
	v_cvt_f32_u32_e32 v2, s33
	s_sub_u32 s66, 0, s33
	s_subb_u32 s69, 0, 0
	s_delay_alu instid0(VALU_DEP_1) | instskip(NEXT) | instid1(VALU_DEP_1)
	v_fmac_f32_e64 v2, 0, 0x4f800000
	v_rcp_f32_e32 v2, v2
	s_waitcnt_depctr 0xfff
	v_mul_f32_e32 v2, 0x5f7ffffc, v2
	s_delay_alu instid0(VALU_DEP_1) | instskip(NEXT) | instid1(VALU_DEP_1)
	v_mul_f32_e32 v3, 0x2f800000, v2
	v_trunc_f32_e32 v3, v3
	s_delay_alu instid0(VALU_DEP_1) | instskip(SKIP_1) | instid1(VALU_DEP_2)
	v_fmac_f32_e32 v2, 0xcf800000, v3
	v_cvt_u32_f32_e32 v3, v3
	v_cvt_u32_f32_e32 v2, v2
	s_delay_alu instid0(VALU_DEP_2) | instskip(NEXT) | instid1(VALU_DEP_2)
	v_readfirstlane_b32 s7, v3
	v_readfirstlane_b32 s14, v2
	s_delay_alu instid0(VALU_DEP_2) | instskip(NEXT) | instid1(VALU_DEP_1)
	s_mul_i32 s70, s66, s7
	s_mul_hi_u32 s72, s66, s14
	s_mul_i32 s71, s69, s14
	s_add_i32 s70, s72, s70
	s_mul_i32 s73, s66, s14
	s_add_i32 s70, s70, s71
	s_mul_hi_u32 s72, s14, s73
	s_mul_hi_u32 s99, s7, s73
	s_mul_i32 s71, s7, s73
	s_mul_hi_u32 s73, s14, s70
	s_mul_i32 s14, s14, s70
	s_mul_hi_u32 s100, s7, s70
	s_add_u32 s14, s72, s14
	s_addc_u32 s72, 0, s73
	s_add_u32 s14, s14, s71
	s_mul_i32 s70, s7, s70
	s_addc_u32 s14, s72, s99
	s_addc_u32 s71, s100, 0
	s_add_u32 s14, s14, s70
	s_addc_u32 s70, 0, s71
	v_add_co_u32 v2, s14, v2, s14
	s_delay_alu instid0(VALU_DEP_1) | instskip(SKIP_1) | instid1(VALU_DEP_1)
	s_cmp_lg_u32 s14, 0
	s_addc_u32 s7, s7, s70
	v_readfirstlane_b32 s14, v2
	s_mul_i32 s70, s66, s7
	s_delay_alu instid0(VALU_DEP_1)
	s_mul_hi_u32 s71, s66, s14
	s_mul_i32 s69, s69, s14
	s_add_i32 s70, s71, s70
	s_mul_i32 s66, s66, s14
	s_add_i32 s70, s70, s69
	s_mul_hi_u32 s71, s7, s66
	s_mul_i32 s72, s7, s66
	s_mul_hi_u32 s66, s14, s66
	s_mul_hi_u32 s73, s14, s70
	s_mul_i32 s14, s14, s70
	s_mul_hi_u32 s69, s7, s70
	s_add_u32 s14, s66, s14
	s_addc_u32 s66, 0, s73
	s_add_u32 s14, s14, s72
	s_mul_i32 s70, s7, s70
	s_addc_u32 s14, s66, s71
	s_addc_u32 s66, s69, 0
	s_add_u32 s14, s14, s70
	s_addc_u32 s66, 0, s66
	v_add_co_u32 v2, s14, v2, s14
	s_delay_alu instid0(VALU_DEP_1) | instskip(SKIP_1) | instid1(VALU_DEP_1)
	s_cmp_lg_u32 s14, 0
	s_addc_u32 s7, s7, s66
	v_readfirstlane_b32 s14, v2
	s_mul_i32 s69, s26, s7
	s_mul_hi_u32 s66, s26, s7
	s_mul_hi_u32 s70, s15, s7
	s_mul_i32 s7, s15, s7
	s_mul_hi_u32 s71, s26, s14
	s_mul_hi_u32 s72, s15, s14
	s_mul_i32 s14, s15, s14
	s_add_u32 s69, s71, s69
	s_addc_u32 s66, 0, s66
	s_add_u32 s14, s69, s14
	s_addc_u32 s14, s66, s72
	s_addc_u32 s66, s70, 0
	s_add_u32 s7, s14, s7
	s_addc_u32 s14, 0, s66
	s_mul_hi_u32 s66, s33, s7
	s_mul_i32 s7, s33, s7
	s_mul_i32 s14, s33, s14
	v_sub_co_u32 v2, s7, s26, s7
	s_add_i32 s66, s66, s14
	s_cmp_lg_u32 s7, 0
	s_delay_alu instid0(VALU_DEP_1) | instskip(SKIP_2) | instid1(VALU_DEP_1)
	v_sub_co_u32 v3, s7, v2, s33
	s_subb_u32 s14, s15, s66
	s_cmp_lg_u32 s7, 0
	v_cmp_le_u32_e32 vcc_lo, s33, v3
	v_sub_co_u32 v6, s7, v3, s33
	s_subb_u32 s66, s14, 0
	s_cmp_lg_u32 s7, 0
	v_cndmask_b32_e64 v7, 0, -1, vcc_lo
	s_subb_u32 s7, s66, 0
	s_cmp_eq_u32 s66, 0
	v_mov_b32_e32 v9, s7
	s_cselect_b32 vcc_lo, -1, 0
	s_cmp_eq_u32 s14, 0
	v_cndmask_b32_e32 v7, -1, v7, vcc_lo
	v_cmp_le_u32_e32 vcc_lo, s33, v2
	s_cselect_b32 s7, -1, 0
	v_cndmask_b32_e64 v8, 0, -1, vcc_lo
	s_delay_alu instid0(VALU_DEP_3) | instskip(NEXT) | instid1(VALU_DEP_2)
	v_cmp_ne_u32_e32 vcc_lo, 0, v7
	v_cndmask_b32_e64 v7, -1, v8, s7
	v_cndmask_b32_e32 v8, s66, v9, vcc_lo
	v_cndmask_b32_e32 v6, v3, v6, vcc_lo
	s_delay_alu instid0(VALU_DEP_3) | instskip(NEXT) | instid1(VALU_DEP_3)
	v_cmp_ne_u32_e32 vcc_lo, 0, v7
	v_cndmask_b32_e32 v3, s14, v8, vcc_lo
	s_delay_alu instid0(VALU_DEP_3)
	v_cndmask_b32_e32 v2, v2, v6, vcc_lo
	s_cbranch_execnz .LBB216_372
.LBB216_371:                            ;   in Loop: Header=BB216_6 Depth=1
	v_cvt_f32_u32_e32 v2, s33
	s_sub_i32 s7, 0, s33
	s_delay_alu instid0(VALU_DEP_1) | instskip(SKIP_2) | instid1(VALU_DEP_1)
	v_rcp_iflag_f32_e32 v2, v2
	s_waitcnt_depctr 0xfff
	v_mul_f32_e32 v2, 0x4f7ffffe, v2
	v_cvt_u32_f32_e32 v2, v2
	s_delay_alu instid0(VALU_DEP_1) | instskip(NEXT) | instid1(VALU_DEP_1)
	v_mul_lo_u32 v3, s7, v2
	v_mul_hi_u32 v3, v2, v3
	s_delay_alu instid0(VALU_DEP_1) | instskip(NEXT) | instid1(VALU_DEP_1)
	v_add_nc_u32_e32 v2, v2, v3
	v_mul_hi_u32 v2, s26, v2
	s_delay_alu instid0(VALU_DEP_1) | instskip(NEXT) | instid1(VALU_DEP_1)
	v_mul_lo_u32 v2, v2, s33
	v_sub_nc_u32_e32 v2, s26, v2
	s_delay_alu instid0(VALU_DEP_1) | instskip(SKIP_1) | instid1(VALU_DEP_2)
	v_subrev_nc_u32_e32 v3, s33, v2
	v_cmp_le_u32_e32 vcc_lo, s33, v2
	v_cndmask_b32_e32 v2, v2, v3, vcc_lo
	s_delay_alu instid0(VALU_DEP_1) | instskip(SKIP_1) | instid1(VALU_DEP_2)
	v_subrev_nc_u32_e32 v3, s33, v2
	v_cmp_le_u32_e32 vcc_lo, s33, v2
	v_cndmask_b32_e32 v12, v2, v3, vcc_lo
	s_delay_alu instid0(VALU_DEP_1)
	v_dual_mov_b32 v2, v12 :: v_dual_mov_b32 v3, v13
.LBB216_372:                            ;   in Loop: Header=BB216_6 Depth=1
	s_delay_alu instid0(VALU_DEP_1) | instskip(NEXT) | instid1(VALU_DEP_2)
	v_sub_co_u32 v2, vcc_lo, s26, v2
	v_sub_co_ci_u32_e32 v3, vcc_lo, s15, v3, vcc_lo
	s_mov_b32 s7, 0
	s_mov_b32 s14, exec_lo
                                        ; implicit-def: $vgpr40
	s_delay_alu instid0(VALU_DEP_1)
	v_cmpx_gt_u64_e64 v[2:3], v[0:1]
	s_cbranch_execz .LBB216_384
; %bb.373:                              ;   in Loop: Header=BB216_6 Depth=1
	v_dual_mov_b32 v8, v31 :: v_dual_mov_b32 v7, v1
	v_mov_b32_e32 v6, v0
	s_mov_b32 s15, 0
                                        ; implicit-def: $sgpr26
	s_branch .LBB216_375
.LBB216_374:                            ;   in Loop: Header=BB216_375 Depth=2
	s_or_b32 exec_lo, exec_lo, s7
	s_waitcnt lgkmcnt(0)
	s_barrier
	buffer_gl0_inv
	ds_load_b32 v9, v13 offset:3072
	v_add_co_u32 v6, vcc_lo, v6, s33
	v_add_co_ci_u32_e32 v7, vcc_lo, 0, v7, vcc_lo
	v_add_nc_u32_e32 v8, s84, v8
	s_waitcnt lgkmcnt(0)
	s_barrier
	s_delay_alu instid0(VALU_DEP_2) | instskip(SKIP_2) | instid1(VALU_DEP_1)
	v_cmp_ge_u64_e32 vcc_lo, v[6:7], v[2:3]
	buffer_gl0_inv
	v_and_b32_e32 v12, 0x7fff, v9
	v_cmp_ne_u16_e64 s7, 0, v12
	s_delay_alu instid0(VALU_DEP_1) | instskip(NEXT) | instid1(SALU_CYCLE_1)
	s_or_b32 s66, vcc_lo, s7
	s_and_b32 s66, exec_lo, s66
	s_delay_alu instid0(SALU_CYCLE_1) | instskip(SKIP_2) | instid1(SALU_CYCLE_1)
	s_or_b32 s15, s66, s15
	s_and_not1_b32 s26, s26, exec_lo
	s_and_b32 s7, s7, exec_lo
	s_or_b32 s26, s26, s7
	s_and_not1_b32 exec_lo, exec_lo, s15
	s_cbranch_execz .LBB216_383
.LBB216_375:                            ;   Parent Loop BB216_6 Depth=1
                                        ; =>  This Inner Loop Header: Depth=2
	s_delay_alu instid0(VALU_DEP_1)
	v_cmp_gt_u64_e32 vcc_lo, s[8:9], v[6:7]
	v_mov_b32_e32 v9, 0
	s_and_saveexec_b32 s7, vcc_lo
	s_cbranch_execz .LBB216_377
; %bb.376:                              ;   in Loop: Header=BB216_375 Depth=2
	ds_load_u16 v9, v8
.LBB216_377:                            ;   in Loop: Header=BB216_375 Depth=2
	s_or_b32 exec_lo, exec_lo, s7
	s_and_saveexec_b32 s7, vcc_lo
	s_cbranch_execz .LBB216_374
; %bb.378:                              ;   in Loop: Header=BB216_375 Depth=2
	s_waitcnt lgkmcnt(0)
	v_cmp_lt_i16_e32 vcc_lo, -1, v9
	v_and_b32_e32 v12, 0xffff, v9
	v_lshlrev_b32_e32 v24, 16, v9
	v_cndmask_b32_e32 v23, 0xffff, v37, vcc_lo
	s_delay_alu instid0(VALU_DEP_2) | instskip(NEXT) | instid1(VALU_DEP_2)
	v_cmp_o_f32_e32 vcc_lo, v24, v24
	v_xor_b32_e32 v12, v23, v12
	s_delay_alu instid0(VALU_DEP_1) | instskip(NEXT) | instid1(VALU_DEP_1)
	v_cndmask_b32_e32 v12, 0xffff, v12, vcc_lo
	v_and_b32_e32 v12, v12, v38
	s_delay_alu instid0(VALU_DEP_1)
	v_cmp_eq_u32_e32 vcc_lo, v12, v39
	s_and_b32 exec_lo, exec_lo, vcc_lo
	s_cbranch_execz .LBB216_374
; %bb.379:                              ;   in Loop: Header=BB216_375 Depth=2
	v_perm_b32 v9, v9, s87, 0x5040100
	ds_store_b32 v13, v9 offset:3072
	s_branch .LBB216_374
.LBB216_380:                            ;   in Loop: Header=BB216_6 Depth=1
                                        ; implicit-def: $vgpr4_vgpr5
	s_branch .LBB216_325
.LBB216_381:                            ;   in Loop: Header=BB216_6 Depth=1
                                        ; implicit-def: $vgpr4_vgpr5
	s_branch .LBB216_341
.LBB216_382:                            ;   in Loop: Header=BB216_6 Depth=1
	s_mov_b32 s14, -1
	s_mov_b32 s7, 0
                                        ; implicit-def: $sgpr15
                                        ; implicit-def: $vgpr40
	s_mov_b32 s66, s14
	s_cbranch_execnz .LBB216_385
	s_branch .LBB216_398
.LBB216_383:                            ;   in Loop: Header=BB216_6 Depth=1
	s_or_b32 exec_lo, exec_lo, s15
	v_lshrrev_b32_e32 v40, 16, v9
	s_and_b32 s7, s26, exec_lo
.LBB216_384:                            ;   in Loop: Header=BB216_6 Depth=1
	s_or_b32 exec_lo, exec_lo, s14
	s_mov_b32 s14, 0
	s_mov_b32 s15, -1
	s_mov_b32 s66, s14
	s_branch .LBB216_398
.LBB216_385:                            ;   in Loop: Header=BB216_6 Depth=1
	s_mov_b32 s26, s53
	s_delay_alu instid0(SALU_CYCLE_1)
	s_cmp_lg_u64 s[26:27], 0
	s_cbranch_scc0 .LBB216_418
; %bb.386:                              ;   in Loop: Header=BB216_6 Depth=1
	v_cvt_f32_u32_e32 v2, s33
	s_sub_u32 s9, 0, s33
	s_subb_u32 s14, 0, 0
	s_delay_alu instid0(VALU_DEP_1) | instskip(NEXT) | instid1(VALU_DEP_1)
	v_fmac_f32_e64 v2, 0, 0x4f800000
	v_rcp_f32_e32 v2, v2
	s_waitcnt_depctr 0xfff
	v_mul_f32_e32 v2, 0x5f7ffffc, v2
	s_delay_alu instid0(VALU_DEP_1) | instskip(NEXT) | instid1(VALU_DEP_1)
	v_mul_f32_e32 v3, 0x2f800000, v2
	v_trunc_f32_e32 v3, v3
	s_delay_alu instid0(VALU_DEP_1) | instskip(SKIP_1) | instid1(VALU_DEP_2)
	v_fmac_f32_e32 v2, 0xcf800000, v3
	v_cvt_u32_f32_e32 v3, v3
	v_cvt_u32_f32_e32 v2, v2
	s_delay_alu instid0(VALU_DEP_2) | instskip(NEXT) | instid1(VALU_DEP_2)
	v_readfirstlane_b32 s7, v3
	v_readfirstlane_b32 s8, v2
	s_delay_alu instid0(VALU_DEP_2) | instskip(NEXT) | instid1(VALU_DEP_1)
	s_mul_i32 s15, s9, s7
	s_mul_hi_u32 s66, s9, s8
	s_mul_i32 s26, s14, s8
	s_add_i32 s15, s66, s15
	s_mul_i32 s69, s9, s8
	s_add_i32 s15, s15, s26
	s_mul_hi_u32 s66, s8, s69
	s_mul_hi_u32 s70, s7, s69
	s_mul_i32 s26, s7, s69
	s_mul_hi_u32 s69, s8, s15
	s_mul_i32 s8, s8, s15
	s_mul_hi_u32 s71, s7, s15
	s_add_u32 s8, s66, s8
	s_addc_u32 s66, 0, s69
	s_add_u32 s8, s8, s26
	s_mul_i32 s15, s7, s15
	s_addc_u32 s8, s66, s70
	s_addc_u32 s26, s71, 0
	s_add_u32 s8, s8, s15
	s_addc_u32 s15, 0, s26
	v_add_co_u32 v2, s8, v2, s8
	s_delay_alu instid0(VALU_DEP_1) | instskip(SKIP_1) | instid1(VALU_DEP_1)
	s_cmp_lg_u32 s8, 0
	s_addc_u32 s7, s7, s15
	v_readfirstlane_b32 s8, v2
	s_mul_i32 s15, s9, s7
	s_delay_alu instid0(VALU_DEP_1)
	s_mul_hi_u32 s26, s9, s8
	s_mul_i32 s14, s14, s8
	s_add_i32 s15, s26, s15
	s_mul_i32 s9, s9, s8
	s_add_i32 s15, s15, s14
	s_mul_hi_u32 s26, s7, s9
	s_mul_i32 s66, s7, s9
	s_mul_hi_u32 s9, s8, s9
	s_mul_hi_u32 s69, s8, s15
	s_mul_i32 s8, s8, s15
	s_mul_hi_u32 s14, s7, s15
	s_add_u32 s8, s9, s8
	s_addc_u32 s9, 0, s69
	s_add_u32 s8, s8, s66
	s_mul_i32 s15, s7, s15
	s_addc_u32 s8, s9, s26
	s_addc_u32 s9, s14, 0
	s_add_u32 s8, s8, s15
	s_addc_u32 s9, 0, s9
	v_add_co_u32 v2, s8, v2, s8
	s_delay_alu instid0(VALU_DEP_1) | instskip(SKIP_1) | instid1(VALU_DEP_1)
	s_cmp_lg_u32 s8, 0
	s_addc_u32 s7, s7, s9
	v_readfirstlane_b32 s8, v2
	s_mul_i32 s14, s78, s7
	s_mul_hi_u32 s9, s78, s7
	s_mul_hi_u32 s15, s27, s7
	s_mul_i32 s7, s27, s7
	s_mul_hi_u32 s26, s78, s8
	s_mul_hi_u32 s66, s27, s8
	s_mul_i32 s8, s27, s8
	s_add_u32 s14, s26, s14
	s_addc_u32 s9, 0, s9
	s_add_u32 s8, s14, s8
	s_addc_u32 s8, s9, s66
	s_addc_u32 s9, s15, 0
	s_add_u32 s7, s8, s7
	s_addc_u32 s8, 0, s9
	s_mul_hi_u32 s9, s33, s7
	s_mul_i32 s7, s33, s7
	s_mul_i32 s8, s33, s8
	v_sub_co_u32 v2, s7, s78, s7
	s_add_i32 s9, s9, s8
	s_cmp_lg_u32 s7, 0
	s_delay_alu instid0(VALU_DEP_1) | instskip(SKIP_2) | instid1(VALU_DEP_1)
	v_sub_co_u32 v3, s7, v2, s33
	s_subb_u32 s8, s27, s9
	s_cmp_lg_u32 s7, 0
	v_cmp_le_u32_e32 vcc_lo, s33, v3
	v_sub_co_u32 v6, s7, v3, s33
	s_subb_u32 s9, s8, 0
	s_cmp_lg_u32 s7, 0
	v_cndmask_b32_e64 v7, 0, -1, vcc_lo
	s_subb_u32 s7, s9, 0
	s_cmp_eq_u32 s9, 0
	v_mov_b32_e32 v9, s7
	s_cselect_b32 vcc_lo, -1, 0
	s_cmp_eq_u32 s8, 0
	v_cndmask_b32_e32 v7, -1, v7, vcc_lo
	v_cmp_le_u32_e32 vcc_lo, s33, v2
	s_cselect_b32 s7, -1, 0
	v_cndmask_b32_e64 v8, 0, -1, vcc_lo
	s_delay_alu instid0(VALU_DEP_3) | instskip(NEXT) | instid1(VALU_DEP_2)
	v_cmp_ne_u32_e32 vcc_lo, 0, v7
	v_cndmask_b32_e64 v7, -1, v8, s7
	v_cndmask_b32_e32 v8, s9, v9, vcc_lo
	v_cndmask_b32_e32 v6, v3, v6, vcc_lo
	s_delay_alu instid0(VALU_DEP_3) | instskip(NEXT) | instid1(VALU_DEP_3)
	v_cmp_ne_u32_e32 vcc_lo, 0, v7
	v_cndmask_b32_e32 v3, s8, v8, vcc_lo
	s_delay_alu instid0(VALU_DEP_3)
	v_cndmask_b32_e32 v2, v2, v6, vcc_lo
	s_cbranch_execnz .LBB216_388
.LBB216_387:                            ;   in Loop: Header=BB216_6 Depth=1
	v_cvt_f32_u32_e32 v2, s33
	s_sub_i32 s7, 0, s33
	s_delay_alu instid0(VALU_DEP_1) | instskip(SKIP_2) | instid1(VALU_DEP_1)
	v_rcp_iflag_f32_e32 v2, v2
	s_waitcnt_depctr 0xfff
	v_mul_f32_e32 v2, 0x4f7ffffe, v2
	v_cvt_u32_f32_e32 v2, v2
	s_delay_alu instid0(VALU_DEP_1) | instskip(NEXT) | instid1(VALU_DEP_1)
	v_mul_lo_u32 v3, s7, v2
	v_mul_hi_u32 v3, v2, v3
	s_delay_alu instid0(VALU_DEP_1) | instskip(NEXT) | instid1(VALU_DEP_1)
	v_add_nc_u32_e32 v2, v2, v3
	v_mul_hi_u32 v2, s78, v2
	s_delay_alu instid0(VALU_DEP_1) | instskip(NEXT) | instid1(VALU_DEP_1)
	v_mul_lo_u32 v2, v2, s33
	v_sub_nc_u32_e32 v2, s78, v2
	s_delay_alu instid0(VALU_DEP_1) | instskip(SKIP_1) | instid1(VALU_DEP_2)
	v_subrev_nc_u32_e32 v3, s33, v2
	v_cmp_le_u32_e32 vcc_lo, s33, v2
	v_cndmask_b32_e32 v2, v2, v3, vcc_lo
	s_delay_alu instid0(VALU_DEP_1) | instskip(SKIP_1) | instid1(VALU_DEP_2)
	v_subrev_nc_u32_e32 v3, s33, v2
	v_cmp_le_u32_e32 vcc_lo, s33, v2
	v_cndmask_b32_e32 v12, v2, v3, vcc_lo
	s_delay_alu instid0(VALU_DEP_1)
	v_dual_mov_b32 v2, v12 :: v_dual_mov_b32 v3, v13
.LBB216_388:                            ;   in Loop: Header=BB216_6 Depth=1
	s_delay_alu instid0(VALU_DEP_1) | instskip(NEXT) | instid1(VALU_DEP_2)
	v_sub_co_u32 v2, vcc_lo, s78, v2
	v_sub_co_ci_u32_e32 v3, vcc_lo, s27, v3, vcc_lo
	s_mov_b32 s7, 0
	s_mov_b32 s8, exec_lo
                                        ; implicit-def: $vgpr40
	s_delay_alu instid0(VALU_DEP_1)
	v_cmpx_gt_u64_e64 v[2:3], v[0:1]
	s_cbranch_execz .LBB216_397
; %bb.389:                              ;   in Loop: Header=BB216_6 Depth=1
	v_dual_mov_b32 v6, v10 :: v_dual_mov_b32 v7, v11
	v_dual_mov_b32 v9, v1 :: v_dual_mov_b32 v8, v0
	s_mov_b32 s9, 0
                                        ; implicit-def: $sgpr14
	s_branch .LBB216_391
.LBB216_390:                            ;   in Loop: Header=BB216_391 Depth=2
	s_or_b32 exec_lo, exec_lo, s7
	s_waitcnt vmcnt(0) lgkmcnt(0)
	s_barrier
	buffer_gl0_inv
	ds_load_b32 v12, v13 offset:3072
	v_add_co_u32 v8, vcc_lo, v8, s33
	v_add_co_ci_u32_e32 v9, vcc_lo, 0, v9, vcc_lo
	s_waitcnt lgkmcnt(0)
	s_barrier
	buffer_gl0_inv
	v_cmp_ge_u64_e32 vcc_lo, v[8:9], v[2:3]
	v_and_b32_e32 v23, 0x7fff, v12
	s_delay_alu instid0(VALU_DEP_1) | instskip(NEXT) | instid1(VALU_DEP_1)
	v_cmp_ne_u16_e64 s7, 0, v23
	s_or_b32 s15, vcc_lo, s7
	v_add_co_u32 v6, vcc_lo, v6, s34
	s_and_b32 s15, exec_lo, s15
	v_add_co_ci_u32_e32 v7, vcc_lo, s35, v7, vcc_lo
	s_or_b32 s9, s15, s9
	s_and_not1_b32 s14, s14, exec_lo
	s_and_b32 s7, s7, exec_lo
	s_delay_alu instid0(SALU_CYCLE_1)
	s_or_b32 s14, s14, s7
	s_and_not1_b32 exec_lo, exec_lo, s9
	s_cbranch_execz .LBB216_396
.LBB216_391:                            ;   Parent Loop BB216_6 Depth=1
                                        ; =>  This Inner Loop Header: Depth=2
	s_delay_alu instid0(VALU_DEP_1)
	v_cmp_gt_u64_e32 vcc_lo, s[28:29], v[8:9]
	v_mov_b32_e32 v12, 0
	s_and_saveexec_b32 s7, vcc_lo
	s_cbranch_execz .LBB216_393
; %bb.392:                              ;   in Loop: Header=BB216_391 Depth=2
	global_load_u16 v12, v[6:7], off
.LBB216_393:                            ;   in Loop: Header=BB216_391 Depth=2
	s_or_b32 exec_lo, exec_lo, s7
	s_and_saveexec_b32 s7, vcc_lo
	s_cbranch_execz .LBB216_390
; %bb.394:                              ;   in Loop: Header=BB216_391 Depth=2
	s_waitcnt vmcnt(0)
	v_cmp_lt_i16_e32 vcc_lo, -1, v12
	v_and_b32_e32 v23, 0xffff, v12
	v_dual_cndmask_b32 v24, 0xffff, v37 :: v_dual_lshlrev_b32 v25, 16, v12
	s_delay_alu instid0(VALU_DEP_1) | instskip(NEXT) | instid1(VALU_DEP_2)
	v_cmp_o_f32_e32 vcc_lo, v25, v25
	v_xor_b32_e32 v23, v24, v23
	s_delay_alu instid0(VALU_DEP_1) | instskip(NEXT) | instid1(VALU_DEP_1)
	v_cndmask_b32_e32 v23, 0xffff, v23, vcc_lo
	v_and_b32_e32 v23, v23, v38
	s_delay_alu instid0(VALU_DEP_1)
	v_cmp_eq_u32_e32 vcc_lo, v23, v39
	s_and_b32 exec_lo, exec_lo, vcc_lo
	s_cbranch_execz .LBB216_390
; %bb.395:                              ;   in Loop: Header=BB216_391 Depth=2
	v_perm_b32 v12, v12, s87, 0x5040100
	ds_store_b32 v13, v12 offset:3072
	s_branch .LBB216_390
.LBB216_396:                            ;   in Loop: Header=BB216_6 Depth=1
	s_or_b32 exec_lo, exec_lo, s9
	v_lshrrev_b32_e32 v40, 16, v12
	s_and_b32 s7, s14, exec_lo
.LBB216_397:                            ;   in Loop: Header=BB216_6 Depth=1
	s_or_b32 exec_lo, exec_lo, s8
	s_mov_b32 s15, 0
	s_mov_b32 s14, -1
	s_mov_b32 s66, 0
.LBB216_398:                            ;   in Loop: Header=BB216_6 Depth=1
	s_or_not1_b32 s7, s7, exec_lo
.LBB216_399:                            ;   in Loop: Header=BB216_6 Depth=1
	s_or_b32 exec_lo, exec_lo, s67
	s_mov_b32 s26, 0
                                        ; implicit-def: $vgpr7
	s_and_saveexec_b32 s67, s7
	s_cbranch_execz .LBB216_464
; %bb.400:                              ;   in Loop: Header=BB216_6 Depth=1
	v_dual_mov_b32 v2, 1 :: v_dual_mov_b32 v7, 1
	v_mov_b32_e32 v3, 0
	s_xor_b32 s8, s68, -1
	s_delay_alu instid0(SALU_CYCLE_1)
	s_and_saveexec_b32 s7, s8
	s_cbranch_execz .LBB216_410
; %bb.401:                              ;   in Loop: Header=BB216_6 Depth=1
	s_mov_b32 s9, exec_lo
                                        ; implicit-def: $sgpr26
                                        ; implicit-def: $sgpr8
	v_cmpx_ge_u64_e64 s[12:13], v[4:5]
	s_xor_b32 s9, exec_lo, s9
	s_cbranch_execz .LBB216_407
; %bb.402:                              ;   in Loop: Header=BB216_6 Depth=1
	ds_load_b64 v[2:3], v13 offset:5120
	s_waitcnt lgkmcnt(0)
	v_cmp_ne_u64_e32 vcc_lo, 0, v[2:3]
	s_cbranch_vccnz .LBB216_406
; %bb.403:                              ;   in Loop: Header=BB216_6 Depth=1
	s_and_saveexec_b32 s8, s5
	s_cbranch_execz .LBB216_405
; %bb.404:                              ;   in Loop: Header=BB216_6 Depth=1
	v_dual_mov_b32 v2, s12 :: v_dual_mov_b32 v3, s13
	ds_store_b64 v13, v[2:3] offset:5128
.LBB216_405:                            ;   in Loop: Header=BB216_6 Depth=1
	s_or_b32 exec_lo, exec_lo, s8
	s_waitcnt lgkmcnt(0)
	s_barrier
	buffer_gl0_inv
.LBB216_406:                            ;   in Loop: Header=BB216_6 Depth=1
	s_lshl_b32 s8, 1, s22
	v_or_b32_e32 v38, s20, v38
	v_and_or_b32 v39, v39, s21, s8
	s_mov_b32 s8, 0
	s_mov_b32 s26, 5
.LBB216_407:                            ;   in Loop: Header=BB216_6 Depth=1
	s_or_saveexec_b32 s9, s9
	v_mov_b32_e32 v7, s26
	s_xor_b32 exec_lo, exec_lo, s9
; %bb.408:                              ;   in Loop: Header=BB216_6 Depth=1
	v_sub_co_u32 v4, vcc_lo, v4, s12
	v_subrev_co_ci_u32_e32 v5, vcc_lo, s13, v5, vcc_lo
	v_mov_b32_e32 v7, 0
	s_or_b32 s8, s8, exec_lo
; %bb.409:                              ;   in Loop: Header=BB216_6 Depth=1
	s_or_b32 exec_lo, exec_lo, s9
	s_delay_alu instid0(VALU_DEP_2)
	v_dual_mov_b32 v2, v4 :: v_dual_mov_b32 v3, v5
	s_and_b32 s26, s8, exec_lo
.LBB216_410:                            ;   in Loop: Header=BB216_6 Depth=1
	s_or_b32 exec_lo, exec_lo, s7
	s_mov_b32 s12, -1
                                        ; implicit-def: $sgpr7
                                        ; implicit-def: $sgpr8
                                        ; implicit-def: $sgpr9
	s_and_saveexec_b32 s22, s26
	s_cbranch_execz .LBB216_463
; %bb.411:                              ;   in Loop: Header=BB216_6 Depth=1
	v_cmp_eq_u64_e32 vcc_lo, 1, v[2:3]
	s_cmp_eq_u64 s[10:11], 1
	s_mov_b32 s13, -1
	s_cselect_b32 s7, -1, 0
                                        ; implicit-def: $sgpr8
                                        ; implicit-def: $sgpr9
	s_delay_alu instid0(SALU_CYCLE_1) | instskip(NEXT) | instid1(SALU_CYCLE_1)
	s_and_b32 s68, s7, vcc_lo
                                        ; implicit-def: $sgpr7
	s_and_saveexec_b32 s69, s68
	s_cbranch_execz .LBB216_450
; %bb.412:                              ;   in Loop: Header=BB216_6 Depth=1
	ds_load_b64 v[4:5], v13 offset:5120
	s_waitcnt lgkmcnt(0)
	s_barrier
	buffer_gl0_inv
	v_readfirstlane_b32 s8, v4
	v_readfirstlane_b32 s9, v5
	s_and_saveexec_b32 s7, s6
	s_cbranch_execz .LBB216_414
; %bb.413:                              ;   in Loop: Header=BB216_6 Depth=1
	ds_store_b16 v33, v13
.LBB216_414:                            ;   in Loop: Header=BB216_6 Depth=1
	s_or_b32 exec_lo, exec_lo, s7
	v_and_b32_e32 v39, s21, v39
	v_or_b32_e32 v38, s20, v38
	s_cmp_eq_u64 s[8:9], 0
	s_waitcnt lgkmcnt(0)
	s_barrier
	buffer_gl0_inv
	s_cbranch_scc1 .LBB216_419
; %bb.415:                              ;   in Loop: Header=BB216_6 Depth=1
	s_add_u32 s26, s76, s8
	s_addc_u32 s13, s77, s9
	s_mov_b32 s12, s53
	s_delay_alu instid0(SALU_CYCLE_1)
	s_cmp_lg_u64 s[12:13], 0
	s_cbranch_scc0 .LBB216_420
; %bb.416:                              ;   in Loop: Header=BB216_6 Depth=1
	v_cvt_f32_u32_e32 v4, s33
	s_sub_u32 s70, 0, s33
	s_subb_u32 s71, 0, 0
	s_delay_alu instid0(VALU_DEP_1) | instskip(NEXT) | instid1(VALU_DEP_1)
	v_fmac_f32_e64 v4, 0, 0x4f800000
	v_rcp_f32_e32 v4, v4
	s_waitcnt_depctr 0xfff
	v_mul_f32_e32 v4, 0x5f7ffffc, v4
	s_delay_alu instid0(VALU_DEP_1) | instskip(NEXT) | instid1(VALU_DEP_1)
	v_mul_f32_e32 v5, 0x2f800000, v4
	v_trunc_f32_e32 v5, v5
	s_delay_alu instid0(VALU_DEP_1) | instskip(SKIP_1) | instid1(VALU_DEP_2)
	v_fmac_f32_e32 v4, 0xcf800000, v5
	v_cvt_u32_f32_e32 v5, v5
	v_cvt_u32_f32_e32 v4, v4
	s_delay_alu instid0(VALU_DEP_2) | instskip(NEXT) | instid1(VALU_DEP_2)
	v_readfirstlane_b32 s7, v5
	v_readfirstlane_b32 s12, v4
	s_delay_alu instid0(VALU_DEP_2) | instskip(NEXT) | instid1(VALU_DEP_1)
	s_mul_i32 s72, s70, s7
	s_mul_hi_u32 s99, s70, s12
	s_mul_i32 s73, s71, s12
	s_add_i32 s72, s99, s72
	s_mul_i32 s100, s70, s12
	s_add_i32 s72, s72, s73
	s_mul_hi_u32 s99, s12, s100
	s_mul_hi_u32 s101, s7, s100
	s_mul_i32 s73, s7, s100
	s_mul_hi_u32 s100, s12, s72
	s_mul_i32 s12, s12, s72
	s_mul_hi_u32 s102, s7, s72
	s_add_u32 s12, s99, s12
	s_addc_u32 s99, 0, s100
	s_add_u32 s12, s12, s73
	s_mul_i32 s72, s7, s72
	s_addc_u32 s12, s99, s101
	s_addc_u32 s73, s102, 0
	s_add_u32 s12, s12, s72
	s_addc_u32 s72, 0, s73
	v_add_co_u32 v4, s12, v4, s12
	s_delay_alu instid0(VALU_DEP_1) | instskip(SKIP_1) | instid1(VALU_DEP_1)
	s_cmp_lg_u32 s12, 0
	s_addc_u32 s7, s7, s72
	v_readfirstlane_b32 s12, v4
	s_mul_i32 s72, s70, s7
	s_delay_alu instid0(VALU_DEP_1)
	s_mul_hi_u32 s73, s70, s12
	s_mul_i32 s71, s71, s12
	s_add_i32 s72, s73, s72
	s_mul_i32 s70, s70, s12
	s_add_i32 s72, s72, s71
	s_mul_hi_u32 s73, s7, s70
	s_mul_i32 s99, s7, s70
	s_mul_hi_u32 s70, s12, s70
	s_mul_hi_u32 s100, s12, s72
	s_mul_i32 s12, s12, s72
	s_mul_hi_u32 s71, s7, s72
	s_add_u32 s12, s70, s12
	s_addc_u32 s70, 0, s100
	s_add_u32 s12, s12, s99
	s_mul_i32 s72, s7, s72
	s_addc_u32 s12, s70, s73
	s_addc_u32 s70, s71, 0
	s_add_u32 s12, s12, s72
	s_addc_u32 s70, 0, s70
	v_add_co_u32 v4, s12, v4, s12
	s_delay_alu instid0(VALU_DEP_1) | instskip(SKIP_1) | instid1(VALU_DEP_1)
	s_cmp_lg_u32 s12, 0
	s_addc_u32 s7, s7, s70
	v_readfirstlane_b32 s12, v4
	s_mul_i32 s71, s26, s7
	s_mul_hi_u32 s70, s26, s7
	s_mul_hi_u32 s72, s13, s7
	s_mul_i32 s7, s13, s7
	s_mul_hi_u32 s73, s26, s12
	s_mul_hi_u32 s99, s13, s12
	s_mul_i32 s12, s13, s12
	s_add_u32 s71, s73, s71
	s_addc_u32 s70, 0, s70
	s_add_u32 s12, s71, s12
	s_addc_u32 s12, s70, s99
	s_addc_u32 s70, s72, 0
	s_add_u32 s7, s12, s7
	s_addc_u32 s12, 0, s70
	s_mul_hi_u32 s70, s33, s7
	s_mul_i32 s7, s33, s7
	s_mul_i32 s12, s33, s12
	v_sub_co_u32 v4, s7, s26, s7
	s_add_i32 s70, s70, s12
	s_cmp_lg_u32 s7, 0
	s_delay_alu instid0(VALU_DEP_1) | instskip(SKIP_2) | instid1(VALU_DEP_1)
	v_sub_co_u32 v5, s7, v4, s33
	s_subb_u32 s12, s13, s70
	s_cmp_lg_u32 s7, 0
	v_cmp_le_u32_e32 vcc_lo, s33, v5
	v_sub_co_u32 v6, s7, v5, s33
	s_subb_u32 s70, s12, 0
	s_cmp_lg_u32 s7, 0
	v_cndmask_b32_e64 v7, 0, -1, vcc_lo
	s_subb_u32 s7, s70, 0
	s_cmp_eq_u32 s70, 0
	v_mov_b32_e32 v9, s7
	s_cselect_b32 vcc_lo, -1, 0
	s_cmp_eq_u32 s12, 0
	v_cndmask_b32_e32 v7, -1, v7, vcc_lo
	v_cmp_le_u32_e32 vcc_lo, s33, v4
	s_cselect_b32 s7, -1, 0
	v_cndmask_b32_e64 v8, 0, -1, vcc_lo
	s_delay_alu instid0(VALU_DEP_3) | instskip(NEXT) | instid1(VALU_DEP_2)
	v_cmp_ne_u32_e32 vcc_lo, 0, v7
	v_cndmask_b32_e64 v7, -1, v8, s7
	v_cndmask_b32_e32 v8, s70, v9, vcc_lo
	v_cndmask_b32_e32 v6, v5, v6, vcc_lo
	s_mov_b32 s7, 0
	s_delay_alu instid0(VALU_DEP_3) | instskip(NEXT) | instid1(VALU_DEP_3)
	v_cmp_ne_u32_e32 vcc_lo, 0, v7
	v_cndmask_b32_e32 v5, s12, v8, vcc_lo
	s_delay_alu instid0(VALU_DEP_3)
	v_cndmask_b32_e32 v4, v4, v6, vcc_lo
	s_branch .LBB216_421
.LBB216_417:                            ;   in Loop: Header=BB216_6 Depth=1
                                        ; implicit-def: $vgpr2_vgpr3
	s_branch .LBB216_371
.LBB216_418:                            ;   in Loop: Header=BB216_6 Depth=1
                                        ; implicit-def: $vgpr2_vgpr3
	s_branch .LBB216_387
.LBB216_419:                            ;   in Loop: Header=BB216_6 Depth=1
	s_mov_b32 s7, -1
	s_mov_b32 s13, 0
                                        ; implicit-def: $sgpr8
                                        ; implicit-def: $vgpr40
	s_branch .LBB216_433
.LBB216_420:                            ;   in Loop: Header=BB216_6 Depth=1
	s_mov_b32 s7, -1
                                        ; implicit-def: $vgpr4_vgpr5
.LBB216_421:                            ;   in Loop: Header=BB216_6 Depth=1
	s_delay_alu instid0(SALU_CYCLE_1)
	s_and_not1_b32 vcc_lo, exec_lo, s7
	s_cbranch_vccnz .LBB216_423
; %bb.422:                              ;   in Loop: Header=BB216_6 Depth=1
	v_cvt_f32_u32_e32 v4, s33
	s_sub_i32 s7, 0, s33
	s_delay_alu instid0(VALU_DEP_1) | instskip(SKIP_2) | instid1(VALU_DEP_1)
	v_rcp_iflag_f32_e32 v4, v4
	s_waitcnt_depctr 0xfff
	v_mul_f32_e32 v4, 0x4f7ffffe, v4
	v_cvt_u32_f32_e32 v4, v4
	s_delay_alu instid0(VALU_DEP_1) | instskip(NEXT) | instid1(VALU_DEP_1)
	v_mul_lo_u32 v5, s7, v4
	v_mul_hi_u32 v5, v4, v5
	s_delay_alu instid0(VALU_DEP_1) | instskip(NEXT) | instid1(VALU_DEP_1)
	v_add_nc_u32_e32 v4, v4, v5
	v_mul_hi_u32 v4, s26, v4
	s_delay_alu instid0(VALU_DEP_1) | instskip(NEXT) | instid1(VALU_DEP_1)
	v_mul_lo_u32 v4, v4, s33
	v_sub_nc_u32_e32 v4, s26, v4
	s_delay_alu instid0(VALU_DEP_1) | instskip(SKIP_1) | instid1(VALU_DEP_2)
	v_subrev_nc_u32_e32 v5, s33, v4
	v_cmp_le_u32_e32 vcc_lo, s33, v4
	v_cndmask_b32_e32 v4, v4, v5, vcc_lo
	s_delay_alu instid0(VALU_DEP_1) | instskip(SKIP_1) | instid1(VALU_DEP_2)
	v_subrev_nc_u32_e32 v5, s33, v4
	v_cmp_le_u32_e32 vcc_lo, s33, v4
	v_cndmask_b32_e32 v12, v4, v5, vcc_lo
	s_delay_alu instid0(VALU_DEP_1)
	v_dual_mov_b32 v4, v12 :: v_dual_mov_b32 v5, v13
.LBB216_423:                            ;   in Loop: Header=BB216_6 Depth=1
	s_delay_alu instid0(VALU_DEP_1) | instskip(NEXT) | instid1(VALU_DEP_2)
	v_sub_co_u32 v4, vcc_lo, s26, v4
	v_sub_co_ci_u32_e32 v5, vcc_lo, s13, v5, vcc_lo
	s_mov_b32 s13, 0
	s_mov_b32 s12, exec_lo
                                        ; implicit-def: $vgpr40
	s_delay_alu instid0(VALU_DEP_1)
	v_cmpx_gt_u64_e64 v[4:5], v[0:1]
	s_cbranch_execz .LBB216_432
; %bb.424:                              ;   in Loop: Header=BB216_6 Depth=1
	v_dual_mov_b32 v8, v31 :: v_dual_mov_b32 v7, v1
	v_mov_b32_e32 v6, v0
                                        ; implicit-def: $sgpr26
	s_branch .LBB216_426
.LBB216_425:                            ;   in Loop: Header=BB216_426 Depth=2
	s_or_b32 exec_lo, exec_lo, s7
	s_waitcnt lgkmcnt(0)
	s_barrier
	buffer_gl0_inv
	ds_load_b32 v9, v13 offset:3072
	v_add_co_u32 v6, vcc_lo, v6, s33
	v_add_co_ci_u32_e32 v7, vcc_lo, 0, v7, vcc_lo
	v_add_nc_u32_e32 v8, s84, v8
	s_waitcnt lgkmcnt(0)
	s_barrier
	s_delay_alu instid0(VALU_DEP_2) | instskip(SKIP_2) | instid1(VALU_DEP_1)
	v_cmp_ge_u64_e32 vcc_lo, v[6:7], v[4:5]
	buffer_gl0_inv
	v_and_b32_e32 v12, 0x7fff, v9
	v_cmp_ne_u16_e64 s7, 0, v12
	s_delay_alu instid0(VALU_DEP_1) | instskip(NEXT) | instid1(SALU_CYCLE_1)
	s_or_b32 s70, vcc_lo, s7
	s_and_b32 s70, exec_lo, s70
	s_delay_alu instid0(SALU_CYCLE_1) | instskip(SKIP_2) | instid1(SALU_CYCLE_1)
	s_or_b32 s13, s70, s13
	s_and_not1_b32 s26, s26, exec_lo
	s_and_b32 s7, s7, exec_lo
	s_or_b32 s26, s26, s7
	s_and_not1_b32 exec_lo, exec_lo, s13
	s_cbranch_execz .LBB216_431
.LBB216_426:                            ;   Parent Loop BB216_6 Depth=1
                                        ; =>  This Inner Loop Header: Depth=2
	s_delay_alu instid0(VALU_DEP_1)
	v_cmp_gt_u64_e32 vcc_lo, s[8:9], v[6:7]
	v_mov_b32_e32 v9, 0
	s_and_saveexec_b32 s7, vcc_lo
	s_cbranch_execz .LBB216_428
; %bb.427:                              ;   in Loop: Header=BB216_426 Depth=2
	ds_load_u16 v9, v8
.LBB216_428:                            ;   in Loop: Header=BB216_426 Depth=2
	s_or_b32 exec_lo, exec_lo, s7
	s_and_saveexec_b32 s7, vcc_lo
	s_cbranch_execz .LBB216_425
; %bb.429:                              ;   in Loop: Header=BB216_426 Depth=2
	s_waitcnt lgkmcnt(0)
	v_cmp_lt_i16_e32 vcc_lo, -1, v9
	v_and_b32_e32 v12, 0xffff, v9
	v_lshlrev_b32_e32 v24, 16, v9
	v_cndmask_b32_e32 v23, 0xffff, v37, vcc_lo
	s_delay_alu instid0(VALU_DEP_2) | instskip(NEXT) | instid1(VALU_DEP_2)
	v_cmp_o_f32_e32 vcc_lo, v24, v24
	v_xor_b32_e32 v12, v23, v12
	s_delay_alu instid0(VALU_DEP_1) | instskip(NEXT) | instid1(VALU_DEP_1)
	v_cndmask_b32_e32 v12, 0xffff, v12, vcc_lo
	v_and_b32_e32 v12, v12, v38
	s_delay_alu instid0(VALU_DEP_1)
	v_cmp_eq_u32_e32 vcc_lo, v12, v39
	s_and_b32 exec_lo, exec_lo, vcc_lo
	s_cbranch_execz .LBB216_425
; %bb.430:                              ;   in Loop: Header=BB216_426 Depth=2
	v_perm_b32 v9, v9, s87, 0x5040100
	ds_store_b32 v13, v9 offset:3072
	s_branch .LBB216_425
.LBB216_431:                            ;   in Loop: Header=BB216_6 Depth=1
	s_or_b32 exec_lo, exec_lo, s13
	v_lshrrev_b32_e32 v40, 16, v9
	s_and_b32 s13, s26, exec_lo
.LBB216_432:                            ;   in Loop: Header=BB216_6 Depth=1
	s_or_b32 exec_lo, exec_lo, s12
	s_mov_b32 s7, 0
	s_mov_b32 s8, -1
.LBB216_433:                            ;   in Loop: Header=BB216_6 Depth=1
	s_and_b32 vcc_lo, exec_lo, s7
	s_mov_b32 s9, s7
	s_cbranch_vccz .LBB216_449
; %bb.434:                              ;   in Loop: Header=BB216_6 Depth=1
	s_mov_b32 s26, s53
	s_delay_alu instid0(SALU_CYCLE_1)
	s_cmp_lg_u64 s[26:27], 0
	s_cbranch_scc0 .LBB216_436
; %bb.435:                              ;   in Loop: Header=BB216_6 Depth=1
	v_cvt_f32_u32_e32 v4, s33
	s_sub_u32 s9, 0, s33
	s_subb_u32 s12, 0, 0
	s_delay_alu instid0(VALU_DEP_1) | instskip(NEXT) | instid1(VALU_DEP_1)
	v_fmac_f32_e64 v4, 0, 0x4f800000
	v_rcp_f32_e32 v4, v4
	s_waitcnt_depctr 0xfff
	v_mul_f32_e32 v4, 0x5f7ffffc, v4
	s_delay_alu instid0(VALU_DEP_1) | instskip(NEXT) | instid1(VALU_DEP_1)
	v_mul_f32_e32 v5, 0x2f800000, v4
	v_trunc_f32_e32 v5, v5
	s_delay_alu instid0(VALU_DEP_1) | instskip(SKIP_1) | instid1(VALU_DEP_2)
	v_fmac_f32_e32 v4, 0xcf800000, v5
	v_cvt_u32_f32_e32 v5, v5
	v_cvt_u32_f32_e32 v4, v4
	s_delay_alu instid0(VALU_DEP_2) | instskip(NEXT) | instid1(VALU_DEP_2)
	v_readfirstlane_b32 s7, v5
	v_readfirstlane_b32 s8, v4
	s_delay_alu instid0(VALU_DEP_2) | instskip(NEXT) | instid1(VALU_DEP_1)
	s_mul_i32 s13, s9, s7
	s_mul_hi_u32 s70, s9, s8
	s_mul_i32 s26, s12, s8
	s_add_i32 s13, s70, s13
	s_mul_i32 s71, s9, s8
	s_add_i32 s13, s13, s26
	s_mul_hi_u32 s70, s8, s71
	s_mul_hi_u32 s72, s7, s71
	s_mul_i32 s26, s7, s71
	s_mul_hi_u32 s71, s8, s13
	s_mul_i32 s8, s8, s13
	s_mul_hi_u32 s73, s7, s13
	s_add_u32 s8, s70, s8
	s_addc_u32 s70, 0, s71
	s_add_u32 s8, s8, s26
	s_mul_i32 s13, s7, s13
	s_addc_u32 s8, s70, s72
	s_addc_u32 s26, s73, 0
	s_add_u32 s8, s8, s13
	s_addc_u32 s13, 0, s26
	v_add_co_u32 v4, s8, v4, s8
	s_delay_alu instid0(VALU_DEP_1) | instskip(SKIP_1) | instid1(VALU_DEP_1)
	s_cmp_lg_u32 s8, 0
	s_addc_u32 s7, s7, s13
	v_readfirstlane_b32 s8, v4
	s_mul_i32 s13, s9, s7
	s_delay_alu instid0(VALU_DEP_1)
	s_mul_hi_u32 s26, s9, s8
	s_mul_i32 s12, s12, s8
	s_add_i32 s13, s26, s13
	s_mul_i32 s9, s9, s8
	s_add_i32 s13, s13, s12
	s_mul_hi_u32 s26, s7, s9
	s_mul_i32 s70, s7, s9
	s_mul_hi_u32 s9, s8, s9
	s_mul_hi_u32 s71, s8, s13
	s_mul_i32 s8, s8, s13
	s_mul_hi_u32 s12, s7, s13
	s_add_u32 s8, s9, s8
	s_addc_u32 s9, 0, s71
	s_add_u32 s8, s8, s70
	s_mul_i32 s13, s7, s13
	s_addc_u32 s8, s9, s26
	s_addc_u32 s9, s12, 0
	s_add_u32 s8, s8, s13
	s_addc_u32 s9, 0, s9
	v_add_co_u32 v4, s8, v4, s8
	s_delay_alu instid0(VALU_DEP_1) | instskip(SKIP_1) | instid1(VALU_DEP_1)
	s_cmp_lg_u32 s8, 0
	s_addc_u32 s7, s7, s9
	v_readfirstlane_b32 s8, v4
	s_mul_i32 s12, s78, s7
	s_mul_hi_u32 s9, s78, s7
	s_mul_hi_u32 s13, s27, s7
	s_mul_i32 s7, s27, s7
	s_mul_hi_u32 s26, s78, s8
	s_mul_hi_u32 s70, s27, s8
	s_mul_i32 s8, s27, s8
	s_add_u32 s12, s26, s12
	s_addc_u32 s9, 0, s9
	s_add_u32 s8, s12, s8
	s_addc_u32 s8, s9, s70
	s_addc_u32 s9, s13, 0
	s_add_u32 s7, s8, s7
	s_addc_u32 s8, 0, s9
	s_mul_hi_u32 s9, s33, s7
	s_mul_i32 s7, s33, s7
	s_mul_i32 s8, s33, s8
	v_sub_co_u32 v4, s7, s78, s7
	s_add_i32 s9, s9, s8
	s_cmp_lg_u32 s7, 0
	s_delay_alu instid0(VALU_DEP_1) | instskip(SKIP_2) | instid1(VALU_DEP_1)
	v_sub_co_u32 v5, s7, v4, s33
	s_subb_u32 s8, s27, s9
	s_cmp_lg_u32 s7, 0
	v_cmp_le_u32_e32 vcc_lo, s33, v5
	v_sub_co_u32 v6, s7, v5, s33
	s_subb_u32 s9, s8, 0
	s_cmp_lg_u32 s7, 0
	v_cndmask_b32_e64 v7, 0, -1, vcc_lo
	s_subb_u32 s7, s9, 0
	s_cmp_eq_u32 s9, 0
	v_mov_b32_e32 v9, s7
	s_cselect_b32 vcc_lo, -1, 0
	s_cmp_eq_u32 s8, 0
	v_cndmask_b32_e32 v7, -1, v7, vcc_lo
	v_cmp_le_u32_e32 vcc_lo, s33, v4
	s_cselect_b32 s7, -1, 0
	v_cndmask_b32_e64 v8, 0, -1, vcc_lo
	s_delay_alu instid0(VALU_DEP_3) | instskip(NEXT) | instid1(VALU_DEP_2)
	v_cmp_ne_u32_e32 vcc_lo, 0, v7
	v_cndmask_b32_e64 v7, -1, v8, s7
	v_cndmask_b32_e32 v8, s9, v9, vcc_lo
	v_cndmask_b32_e32 v6, v5, v6, vcc_lo
	s_mov_b32 s7, 0
	s_delay_alu instid0(VALU_DEP_3) | instskip(NEXT) | instid1(VALU_DEP_3)
	v_cmp_ne_u32_e32 vcc_lo, 0, v7
	v_cndmask_b32_e32 v5, s8, v8, vcc_lo
	s_delay_alu instid0(VALU_DEP_3)
	v_cndmask_b32_e32 v4, v4, v6, vcc_lo
	s_branch .LBB216_437
.LBB216_436:                            ;   in Loop: Header=BB216_6 Depth=1
	s_mov_b32 s7, -1
                                        ; implicit-def: $vgpr4_vgpr5
.LBB216_437:                            ;   in Loop: Header=BB216_6 Depth=1
	s_delay_alu instid0(SALU_CYCLE_1)
	s_and_not1_b32 vcc_lo, exec_lo, s7
	s_cbranch_vccnz .LBB216_439
; %bb.438:                              ;   in Loop: Header=BB216_6 Depth=1
	v_cvt_f32_u32_e32 v4, s33
	s_sub_i32 s7, 0, s33
	s_delay_alu instid0(VALU_DEP_1) | instskip(SKIP_2) | instid1(VALU_DEP_1)
	v_rcp_iflag_f32_e32 v4, v4
	s_waitcnt_depctr 0xfff
	v_mul_f32_e32 v4, 0x4f7ffffe, v4
	v_cvt_u32_f32_e32 v4, v4
	s_delay_alu instid0(VALU_DEP_1) | instskip(NEXT) | instid1(VALU_DEP_1)
	v_mul_lo_u32 v5, s7, v4
	v_mul_hi_u32 v5, v4, v5
	s_delay_alu instid0(VALU_DEP_1) | instskip(NEXT) | instid1(VALU_DEP_1)
	v_add_nc_u32_e32 v4, v4, v5
	v_mul_hi_u32 v4, s78, v4
	s_delay_alu instid0(VALU_DEP_1) | instskip(NEXT) | instid1(VALU_DEP_1)
	v_mul_lo_u32 v4, v4, s33
	v_sub_nc_u32_e32 v4, s78, v4
	s_delay_alu instid0(VALU_DEP_1) | instskip(SKIP_1) | instid1(VALU_DEP_2)
	v_subrev_nc_u32_e32 v5, s33, v4
	v_cmp_le_u32_e32 vcc_lo, s33, v4
	v_cndmask_b32_e32 v4, v4, v5, vcc_lo
	s_delay_alu instid0(VALU_DEP_1) | instskip(SKIP_1) | instid1(VALU_DEP_2)
	v_subrev_nc_u32_e32 v5, s33, v4
	v_cmp_le_u32_e32 vcc_lo, s33, v4
	v_cndmask_b32_e32 v12, v4, v5, vcc_lo
	s_delay_alu instid0(VALU_DEP_1)
	v_dual_mov_b32 v4, v12 :: v_dual_mov_b32 v5, v13
.LBB216_439:                            ;   in Loop: Header=BB216_6 Depth=1
	s_delay_alu instid0(VALU_DEP_1) | instskip(NEXT) | instid1(VALU_DEP_2)
	v_sub_co_u32 v4, vcc_lo, s78, v4
	v_sub_co_ci_u32_e32 v5, vcc_lo, s27, v5, vcc_lo
	s_mov_b32 s13, 0
	s_mov_b32 s8, exec_lo
                                        ; implicit-def: $vgpr40
	s_delay_alu instid0(VALU_DEP_1)
	v_cmpx_gt_u64_e64 v[4:5], v[0:1]
	s_cbranch_execz .LBB216_448
; %bb.440:                              ;   in Loop: Header=BB216_6 Depth=1
	v_dual_mov_b32 v6, v10 :: v_dual_mov_b32 v7, v11
	v_dual_mov_b32 v9, v1 :: v_dual_mov_b32 v8, v0
	s_mov_b32 s9, 0
                                        ; implicit-def: $sgpr12
	s_branch .LBB216_442
.LBB216_441:                            ;   in Loop: Header=BB216_442 Depth=2
	s_or_b32 exec_lo, exec_lo, s7
	s_waitcnt vmcnt(0) lgkmcnt(0)
	s_barrier
	buffer_gl0_inv
	ds_load_b32 v12, v13 offset:3072
	v_add_co_u32 v8, vcc_lo, v8, s33
	v_add_co_ci_u32_e32 v9, vcc_lo, 0, v9, vcc_lo
	s_waitcnt lgkmcnt(0)
	s_barrier
	buffer_gl0_inv
	v_cmp_ge_u64_e32 vcc_lo, v[8:9], v[4:5]
	v_and_b32_e32 v23, 0x7fff, v12
	s_delay_alu instid0(VALU_DEP_1) | instskip(NEXT) | instid1(VALU_DEP_1)
	v_cmp_ne_u16_e64 s7, 0, v23
	s_or_b32 s13, vcc_lo, s7
	v_add_co_u32 v6, vcc_lo, v6, s34
	s_and_b32 s13, exec_lo, s13
	v_add_co_ci_u32_e32 v7, vcc_lo, s35, v7, vcc_lo
	s_or_b32 s9, s13, s9
	s_and_not1_b32 s12, s12, exec_lo
	s_and_b32 s7, s7, exec_lo
	s_delay_alu instid0(SALU_CYCLE_1)
	s_or_b32 s12, s12, s7
	s_and_not1_b32 exec_lo, exec_lo, s9
	s_cbranch_execz .LBB216_447
.LBB216_442:                            ;   Parent Loop BB216_6 Depth=1
                                        ; =>  This Inner Loop Header: Depth=2
	s_delay_alu instid0(VALU_DEP_1)
	v_cmp_gt_u64_e32 vcc_lo, s[28:29], v[8:9]
	v_mov_b32_e32 v12, 0
	s_and_saveexec_b32 s7, vcc_lo
	s_cbranch_execz .LBB216_444
; %bb.443:                              ;   in Loop: Header=BB216_442 Depth=2
	global_load_u16 v12, v[6:7], off
.LBB216_444:                            ;   in Loop: Header=BB216_442 Depth=2
	s_or_b32 exec_lo, exec_lo, s7
	s_and_saveexec_b32 s7, vcc_lo
	s_cbranch_execz .LBB216_441
; %bb.445:                              ;   in Loop: Header=BB216_442 Depth=2
	s_waitcnt vmcnt(0)
	v_cmp_lt_i16_e32 vcc_lo, -1, v12
	v_and_b32_e32 v23, 0xffff, v12
	v_dual_cndmask_b32 v24, 0xffff, v37 :: v_dual_lshlrev_b32 v25, 16, v12
	s_delay_alu instid0(VALU_DEP_1) | instskip(NEXT) | instid1(VALU_DEP_2)
	v_cmp_o_f32_e32 vcc_lo, v25, v25
	v_xor_b32_e32 v23, v24, v23
	s_delay_alu instid0(VALU_DEP_1) | instskip(NEXT) | instid1(VALU_DEP_1)
	v_cndmask_b32_e32 v23, 0xffff, v23, vcc_lo
	v_and_b32_e32 v23, v23, v38
	s_delay_alu instid0(VALU_DEP_1)
	v_cmp_eq_u32_e32 vcc_lo, v23, v39
	s_and_b32 exec_lo, exec_lo, vcc_lo
	s_cbranch_execz .LBB216_441
; %bb.446:                              ;   in Loop: Header=BB216_442 Depth=2
	v_perm_b32 v12, v12, s87, 0x5040100
	ds_store_b32 v13, v12 offset:3072
	s_branch .LBB216_441
.LBB216_447:                            ;   in Loop: Header=BB216_6 Depth=1
	s_or_b32 exec_lo, exec_lo, s9
	v_lshrrev_b32_e32 v40, 16, v12
	s_and_b32 s13, s12, exec_lo
.LBB216_448:                            ;   in Loop: Header=BB216_6 Depth=1
	s_or_b32 exec_lo, exec_lo, s8
	s_mov_b32 s8, 0
	s_mov_b32 s7, -1
	s_mov_b32 s9, 0
.LBB216_449:                            ;   in Loop: Header=BB216_6 Depth=1
	s_or_not1_b32 s13, s13, exec_lo
.LBB216_450:                            ;   in Loop: Header=BB216_6 Depth=1
	s_or_b32 exec_lo, exec_lo, s69
	s_mov_b32 s26, 0
                                        ; implicit-def: $vgpr7
                                        ; implicit-def: $vgpr4_vgpr5
	s_and_saveexec_b32 s12, s13
	s_cbranch_execz .LBB216_462
; %bb.451:                              ;   in Loop: Header=BB216_6 Depth=1
	v_dual_mov_b32 v4, 1 :: v_dual_mov_b32 v7, 1
	v_mov_b32_e32 v5, 0
	s_xor_b32 s26, s68, -1
	s_delay_alu instid0(SALU_CYCLE_1)
	s_and_saveexec_b32 s13, s26
	s_cbranch_execz .LBB216_461
; %bb.452:                              ;   in Loop: Header=BB216_6 Depth=1
	s_mov_b32 s26, exec_lo
                                        ; implicit-def: $sgpr68
	v_cmpx_ge_u64_e64 s[10:11], v[2:3]
	s_xor_b32 s26, exec_lo, s26
	s_cbranch_execz .LBB216_458
; %bb.453:                              ;   in Loop: Header=BB216_6 Depth=1
	ds_load_b64 v[4:5], v13 offset:5120
	s_waitcnt lgkmcnt(0)
	v_cmp_ne_u64_e32 vcc_lo, 0, v[4:5]
	s_cbranch_vccnz .LBB216_457
; %bb.454:                              ;   in Loop: Header=BB216_6 Depth=1
	s_and_saveexec_b32 s68, s5
	s_cbranch_execz .LBB216_456
; %bb.455:                              ;   in Loop: Header=BB216_6 Depth=1
	v_dual_mov_b32 v4, s10 :: v_dual_mov_b32 v5, s11
	ds_store_b64 v13, v[4:5] offset:5128
.LBB216_456:                            ;   in Loop: Header=BB216_6 Depth=1
	s_or_b32 exec_lo, exec_lo, s68
	s_waitcnt lgkmcnt(0)
	s_barrier
	buffer_gl0_inv
.LBB216_457:                            ;   in Loop: Header=BB216_6 Depth=1
	v_and_b32_e32 v39, s21, v39
	v_or_b32_e32 v38, s20, v38
	s_mov_b32 s68, 5
.LBB216_458:                            ;   in Loop: Header=BB216_6 Depth=1
	s_or_saveexec_b32 s20, s26
	v_mov_b32_e32 v7, s68
	s_xor_b32 exec_lo, exec_lo, s20
; %bb.459:                              ;   in Loop: Header=BB216_6 Depth=1
	v_sub_co_u32 v2, vcc_lo, v2, s10
	v_subrev_co_ci_u32_e32 v3, vcc_lo, s11, v3, vcc_lo
	v_mov_b32_e32 v7, 5
; %bb.460:                              ;   in Loop: Header=BB216_6 Depth=1
	s_or_b32 exec_lo, exec_lo, s20
	s_delay_alu instid0(VALU_DEP_2)
	v_dual_mov_b32 v5, v3 :: v_dual_mov_b32 v4, v2
.LBB216_461:                            ;   in Loop: Header=BB216_6 Depth=1
	s_or_b32 exec_lo, exec_lo, s13
	s_delay_alu instid0(SALU_CYCLE_1)
	s_mov_b32 s26, exec_lo
.LBB216_462:                            ;   in Loop: Header=BB216_6 Depth=1
	s_or_b32 exec_lo, exec_lo, s12
	s_delay_alu instid0(VALU_DEP_1)
	v_dual_mov_b32 v2, v4 :: v_dual_mov_b32 v3, v5
	s_or_not1_b32 s12, s26, exec_lo
.LBB216_463:                            ;   in Loop: Header=BB216_6 Depth=1
	s_or_b32 exec_lo, exec_lo, s22
	s_delay_alu instid0(SALU_CYCLE_1)
	s_and_not1_b32 s10, s14, exec_lo
	s_and_b32 s7, s7, exec_lo
	s_and_b32 s8, s8, exec_lo
	s_or_b32 s14, s10, s7
	s_and_not1_b32 s7, s15, exec_lo
	s_and_not1_b32 s10, s66, exec_lo
	s_and_b32 s9, s9, exec_lo
	v_dual_mov_b32 v5, v3 :: v_dual_mov_b32 v4, v2
	s_or_b32 s15, s7, s8
	s_or_b32 s66, s10, s9
	s_and_b32 s26, s12, exec_lo
.LBB216_464:                            ;   in Loop: Header=BB216_6 Depth=1
	s_or_b32 exec_lo, exec_lo, s67
	s_delay_alu instid0(SALU_CYCLE_1)
	s_and_b32 s14, s14, exec_lo
	s_and_b32 s9, s15, exec_lo
	;; [unrolled: 1-line block ×3, first 2 shown]
	s_or_not1_b32 s7, s26, exec_lo
.LBB216_465:                            ;   in Loop: Header=BB216_6 Depth=1
	s_or_b32 exec_lo, exec_lo, s65
	s_delay_alu instid0(SALU_CYCLE_1)
	s_and_not1_b32 s10, s16, exec_lo
	s_and_b32 s11, s14, exec_lo
	s_and_b32 s9, s9, exec_lo
	s_or_b32 s16, s10, s11
	s_and_not1_b32 s10, s17, exec_lo
	s_and_not1_b32 s11, s63, exec_lo
	s_and_b32 s8, s8, exec_lo
	v_dual_mov_b32 v2, v4 :: v_dual_mov_b32 v3, v5
	s_or_b32 s17, s10, s9
	s_or_b32 s63, s11, s8
	s_and_b32 s26, s7, exec_lo
.LBB216_466:                            ;   in Loop: Header=BB216_6 Depth=1
	s_or_b32 exec_lo, exec_lo, s64
	s_delay_alu instid0(SALU_CYCLE_1)
	s_and_b32 s16, s16, exec_lo
	s_and_b32 s9, s17, exec_lo
	;; [unrolled: 1-line block ×3, first 2 shown]
	s_or_not1_b32 s17, s26, exec_lo
.LBB216_467:                            ;   in Loop: Header=BB216_6 Depth=1
	s_or_b32 exec_lo, exec_lo, s62
	s_mov_b32 s7, s25
	s_mov_b32 s10, s24
	s_and_saveexec_b32 s11, s17
; %bb.468:                              ;   in Loop: Header=BB216_6 Depth=1
	v_cmp_eq_u32_e32 vcc_lo, 5, v7
	v_cmp_ne_u32_e64 s7, 5, v7
	s_and_not1_b32 s10, s24, exec_lo
	s_and_not1_b32 s12, s25, exec_lo
	;; [unrolled: 1-line block ×3, first 2 shown]
	s_and_b32 s13, vcc_lo, exec_lo
	s_and_b32 s7, s7, exec_lo
	s_and_not1_b32 s9, s9, exec_lo
	s_and_not1_b32 s8, s8, exec_lo
	s_or_b32 s10, s10, s7
	s_or_b32 s7, s12, s13
; %bb.469:                              ;   in Loop: Header=BB216_6 Depth=1
	s_or_b32 exec_lo, exec_lo, s11
	s_delay_alu instid0(SALU_CYCLE_1)
	s_and_not1_b32 s11, s18, exec_lo
	s_and_b32 s12, s16, exec_lo
	s_and_b32 s9, s9, exec_lo
	s_or_b32 s18, s11, s12
	s_and_not1_b32 s11, s19, exec_lo
	s_and_not1_b32 s12, s23, exec_lo
	s_and_b32 s8, s8, exec_lo
	v_dual_mov_b32 v25, v39 :: v_dual_mov_b32 v26, v38
	v_mov_b32_e32 v6, v40
	s_or_b32 s19, s11, s9
	s_or_b32 s23, s12, s8
	s_and_not1_b32 s8, s24, exec_lo
	s_and_b32 s9, s10, exec_lo
	s_and_not1_b32 s10, s25, exec_lo
	s_and_b32 s7, s7, exec_lo
	s_or_b32 s24, s8, s9
	s_or_b32 s25, s10, s7
.LBB216_470:                            ;   in Loop: Header=BB216_6 Depth=1
	s_or_b32 exec_lo, exec_lo, s52
	s_mov_b32 s62, s23
	s_mov_b32 s52, s23
	s_and_saveexec_b32 s7, s25
.LBB216_471:                            ;   in Loop: Header=BB216_6 Depth=1
	v_mov_b32_e32 v7, 0
	s_and_not1_b32 s23, s23, exec_lo
	s_and_not1_b32 s18, s18, exec_lo
	;; [unrolled: 1-line block ×5, first 2 shown]
	s_or_b32 s24, s24, exec_lo
.LBB216_472:                            ;   in Loop: Header=BB216_6 Depth=1
	s_or_b32 exec_lo, exec_lo, s7
	s_delay_alu instid0(SALU_CYCLE_1)
	s_and_not1_b32 s7, s98, exec_lo
	s_and_b32 s9, s23, exec_lo
	s_and_not1_b32 s10, s95, exec_lo
	s_or_b32 s98, s7, s9
	s_and_not1_b32 s7, s97, exec_lo
	s_and_b32 s9, s18, exec_lo
	s_and_b32 s11, s19, exec_lo
	s_or_b32 s97, s7, s9
	s_or_b32 s95, s10, s11
	s_and_not1_b32 s7, s96, exec_lo
	s_and_b32 s9, s62, exec_lo
	s_and_not1_b32 s10, s94, exec_lo
	s_and_b32 s11, s52, exec_lo
	s_mov_b32 s8, -1
	s_or_b32 s96, s7, s9
	s_or_b32 s94, s10, s11
                                        ; implicit-def: $vgpr38
                                        ; implicit-def: $vgpr39
                                        ; implicit-def: $vgpr23_vgpr24
                                        ; implicit-def: $vgpr40
	s_and_saveexec_b32 s7, s24
	s_delay_alu instid0(SALU_CYCLE_1)
	s_xor_b32 s7, exec_lo, s7
	s_cbranch_execz .LBB216_5
; %bb.473:                              ;   in Loop: Header=BB216_6 Depth=1
	s_mov_b32 s9, -1
	s_mov_b32 s10, exec_lo
	v_cmpx_eq_u32_e32 0, v7
	s_cbranch_execz .LBB216_4
; %bb.474:                              ;   in Loop: Header=BB216_6 Depth=1
	s_xor_b32 s89, s89, 1
	s_add_i32 s11, s85, -2
	s_cmp_eq_u32 s85, 0
	s_mov_b32 s85, s11
	s_cselect_b32 s8, -1, 0
	s_xor_b32 s9, exec_lo, -1
	s_or_not1_b32 s8, s8, exec_lo
	s_branch .LBB216_4
.LBB216_475:
	s_or_b32 exec_lo, exec_lo, s86
	s_xor_b32 s7, s93, -1
	s_xor_b32 s9, s91, -1
	;; [unrolled: 1-line block ×5, first 2 shown]
	s_mov_b32 s8, 0
	s_and_saveexec_b32 s12, s11
	s_delay_alu instid0(SALU_CYCLE_1)
	s_xor_b32 s12, exec_lo, s12
	s_cbranch_execz .LBB216_536
; %bb.476:
	s_and_saveexec_b32 s11, s10
	s_delay_alu instid0(SALU_CYCLE_1)
	s_xor_b32 s13, exec_lo, s11
	s_cbranch_execz .LBB216_534
; %bb.477:
	;; [unrolled: 5-line block ×4, first 2 shown]
	s_and_saveexec_b32 s7, s6
	s_delay_alu instid0(SALU_CYCLE_1)
	s_xor_b32 s6, exec_lo, s7
; %bb.480:
	v_and_b32_e32 v2, 0x8000, v25
	v_mov_b32_e32 v3, 0xffff
	s_delay_alu instid0(VALU_DEP_2) | instskip(NEXT) | instid1(VALU_DEP_2)
	v_cmp_eq_u32_e32 vcc_lo, 0, v2
	v_cndmask_b32_e32 v2, 0x8000, v3, vcc_lo
	s_delay_alu instid0(VALU_DEP_1)
	v_xor_b32_e32 v6, v2, v25
; %bb.481:
	s_or_b32 exec_lo, exec_lo, s6
	s_and_saveexec_b32 s6, s5
	s_cbranch_execz .LBB216_483
; %bb.482:
	v_mov_b32_e32 v2, 0
	s_delay_alu instid0(VALU_DEP_1)
	v_mov_b32_e32 v3, v2
	ds_store_b64 v2, v[2:3] offset:5136
.LBB216_483:
	s_or_b32 exec_lo, exec_lo, s6
	v_mov_b32_e32 v18, 0
	s_waitcnt lgkmcnt(0)
	s_barrier
	buffer_gl0_inv
	s_and_saveexec_b32 s5, s3
	s_cbranch_execz .LBB216_485
; %bb.484:
	global_load_u16 v18, v[10:11], off
.LBB216_485:
	s_or_b32 exec_lo, exec_lo, s5
	v_dual_mov_b32 v17, 0x8000 :: v_dual_lshlrev_b32 v4, 16, v6
	v_cmp_lt_i16_e32 vcc_lo, -1, v6
	s_clause 0x1
	s_load_b64 s[6:7], s[0:1], 0x368
	s_load_b64 s[8:9], s[0:1], 0x510
	s_add_u32 s5, s28, 31
	s_mul_i32 s16, s51, s42
	s_mul_hi_u32 s17, s50, s42
	v_dual_cndmask_b32 v3, 0xffff, v17 :: v_dual_and_b32 v2, 0xffff, v6
	s_addc_u32 s11, s29, 0
	s_and_b32 s10, s5, 0xffffffe0
	s_add_i32 s1, s17, s16
	s_mul_i32 s5, s47, s42
	s_mul_hi_u32 s16, s46, s42
	s_mul_i32 s0, s50, s42
	s_add_i32 s19, s16, s5
	v_readlane_b32 s16, v45, 2
	v_readlane_b32 s17, v45, 3
	v_xor_b32_e32 v2, v3, v2
	v_cmp_o_f32_e32 vcc_lo, v4, v4
	s_lshl_b64 s[0:1], s[0:1], 1
	s_mul_i32 s18, s46, s42
	s_add_u32 s5, s16, s0
	s_addc_u32 s16, s17, s1
	s_lshl_b64 s[0:1], s[18:19], 3
	v_readlane_b32 s18, v45, 0
	v_readlane_b32 s19, v45, 1
	v_cndmask_b32_e32 v16, 0xffff, v2, vcc_lo
	v_cmp_gt_u64_e32 vcc_lo, s[10:11], v[0:1]
	s_mov_b32 s21, -1
	s_add_u32 s17, s18, s0
	s_addc_u32 s18, s19, s1
	s_mov_b32 s19, 0
	s_mov_b32 s1, 0
	s_and_saveexec_b32 s20, vcc_lo
	s_cbranch_execz .LBB216_503
; %bb.486:
	v_add_nc_u32_e32 v6, s33, v0
	s_add_u32 s0, s36, s40
	s_addc_u32 s1, s37, s41
	v_mov_b32_e32 v13, v1
	s_mov_b32 s21, 0
	v_mad_u64_u32 v[2:3], null, s38, v6, 0
                                        ; implicit-def: $sgpr22
                                        ; implicit-def: $vgpr8_vgpr9
	v_mov_b32_e32 v12, v0
	s_delay_alu instid0(VALU_DEP_2) | instskip(NEXT) | instid1(VALU_DEP_1)
	v_mad_u64_u32 v[4:5], null, s39, v6, v[3:4]
	v_mov_b32_e32 v3, v4
	s_delay_alu instid0(VALU_DEP_1) | instskip(SKIP_1) | instid1(VALU_DEP_2)
	v_lshlrev_b64 v[4:5], 1, v[2:3]
	v_mov_b32_e32 v3, 0
	v_add_co_u32 v4, s0, s0, v4
	s_delay_alu instid0(VALU_DEP_1)
	v_add_co_ci_u32_e64 v5, s0, s1, v5, s0
	s_branch .LBB216_488
.LBB216_487:                            ;   in Loop: Header=BB216_488 Depth=1
	s_or_b32 exec_lo, exec_lo, s23
	s_xor_b32 s0, s25, -1
	s_and_b32 s1, exec_lo, s1
	v_dual_mov_b32 v13, v7 :: v_dual_mov_b32 v12, v6
	s_or_b32 s21, s1, s21
	s_waitcnt vmcnt(0)
	v_mov_b32_e32 v18, v19
	s_and_not1_b32 s1, s22, exec_lo
	s_and_b32 s0, s0, exec_lo
	s_delay_alu instid0(SALU_CYCLE_1)
	s_or_b32 s22, s1, s0
	s_and_not1_b32 exec_lo, exec_lo, s21
	s_cbranch_execz .LBB216_502
.LBB216_488:                            ; =>This Inner Loop Header: Depth=1
	v_add_co_u32 v6, s0, v12, s33
	s_delay_alu instid0(VALU_DEP_1) | instskip(SKIP_2) | instid1(VALU_DEP_2)
	v_add_co_ci_u32_e64 v7, s0, 0, v13, s0
	v_mov_b32_e32 v19, 0
	s_mov_b32 s1, exec_lo
	v_cmpx_gt_u64_e64 s[28:29], v[6:7]
	s_cbranch_execz .LBB216_490
; %bb.489:                              ;   in Loop: Header=BB216_488 Depth=1
	global_load_u16 v19, v[4:5], off
.LBB216_490:                            ;   in Loop: Header=BB216_488 Depth=1
	s_or_b32 exec_lo, exec_lo, s1
	s_mov_b32 s23, 0
	s_mov_b32 s1, exec_lo
	v_cmpx_gt_u64_e64 s[28:29], v[12:13]
	s_cbranch_execz .LBB216_492
; %bb.491:                              ;   in Loop: Header=BB216_488 Depth=1
	s_waitcnt vmcnt(0)
	v_cmp_lt_i16_e64 s0, -1, v18
	v_and_b32_e32 v2, 0xffff, v18
	v_lshlrev_b32_e32 v15, 16, v18
	s_delay_alu instid0(VALU_DEP_3) | instskip(NEXT) | instid1(VALU_DEP_2)
	v_cndmask_b32_e64 v14, 0xffff, v17, s0
	v_cmp_o_f32_e64 s0, v15, v15
	s_delay_alu instid0(VALU_DEP_2) | instskip(NEXT) | instid1(VALU_DEP_1)
	v_xor_b32_e32 v2, v14, v2
	v_cndmask_b32_e64 v2, 0xffff, v2, s0
	s_delay_alu instid0(VALU_DEP_1) | instskip(NEXT) | instid1(VALU_DEP_1)
	v_cmp_gt_u32_e64 s0, v2, v16
	v_cndmask_b32_e64 v14, 0, 1, s0
	v_cmp_lt_u32_e64 s0, v2, v16
	s_delay_alu instid0(VALU_DEP_1) | instskip(NEXT) | instid1(VALU_DEP_1)
	v_cndmask_b32_e64 v2, 0, 1, s0
	v_cndmask_b32_e64 v2, v2, v14, s4
	s_delay_alu instid0(VALU_DEP_1) | instskip(NEXT) | instid1(VALU_DEP_1)
	v_and_b32_e32 v2, 1, v2
	v_cmp_eq_u32_e64 s0, 1, v2
	s_delay_alu instid0(VALU_DEP_1)
	s_and_b32 s23, s0, exec_lo
.LBB216_492:                            ;   in Loop: Header=BB216_488 Depth=1
	s_or_b32 exec_lo, exec_lo, s1
	v_cndmask_b32_e64 v2, 0, 1, s23
	s_delay_alu instid0(VALU_DEP_1) | instskip(NEXT) | instid1(VALU_DEP_1)
	v_cmp_ne_u32_e64 s0, 0, v2
	s_cmp_lg_u32 s0, 0
	s_cselect_b32 s1, -1, 0
	s_delay_alu instid0(SALU_CYCLE_1) | instskip(NEXT) | instid1(SALU_CYCLE_1)
	s_and_b32 s1, s2, s1
	s_and_saveexec_b32 s24, s1
	s_cbranch_execz .LBB216_496
; %bb.493:                              ;   in Loop: Header=BB216_488 Depth=1
	s_mov_b32 s27, exec_lo
	s_bcnt1_i32_b32 s25, s0
	v_mbcnt_lo_u32_b32 v14, s27, 0
	s_mov_b32 s26, exec_lo
                                        ; implicit-def: $vgpr8_vgpr9
	s_delay_alu instid0(VALU_DEP_1)
	v_cmpx_eq_u32_e32 0, v14
	s_cbranch_execz .LBB216_495
; %bb.494:                              ;   in Loop: Header=BB216_488 Depth=1
	s_bcnt1_i32_b32 s1, s27
	s_delay_alu instid0(SALU_CYCLE_1) | instskip(NEXT) | instid1(SALU_CYCLE_1)
	s_mul_i32 s1, s25, s1
	v_mov_b32_e32 v2, s1
	s_waitcnt lgkmcnt(0)
	ds_add_rtn_u64 v[8:9], v3, v[2:3] offset:5136
.LBB216_495:                            ;   in Loop: Header=BB216_488 Depth=1
	s_or_b32 exec_lo, exec_lo, s26
	s_waitcnt lgkmcnt(0)
	v_readfirstlane_b32 s27, v9
	v_readfirstlane_b32 s26, v8
	s_delay_alu instid0(VALU_DEP_1)
	v_mad_u64_u32 v[8:9], null, s25, v14, s[26:27]
.LBB216_496:                            ;   in Loop: Header=BB216_488 Depth=1
	s_or_b32 exec_lo, exec_lo, s24
	s_waitcnt lgkmcnt(0)
	ds_bpermute_b32 v8, v3, v8
	ds_bpermute_b32 v9, v3, v9
	s_mov_b32 s1, -1
	s_mov_b32 s26, -1
                                        ; implicit-def: $sgpr25
	s_and_saveexec_b32 s24, s23
	s_cbranch_execz .LBB216_500
; %bb.497:                              ;   in Loop: Header=BB216_488 Depth=1
	v_and_b32_e32 v2, s0, v29
	s_mov_b32 s23, 0
	s_mov_b32 s25, exec_lo
	s_delay_alu instid0(VALU_DEP_1) | instskip(SKIP_1) | instid1(VALU_DEP_1)
	v_bcnt_u32_b32 v2, v2, 0
	s_waitcnt lgkmcnt(0)
	v_add_co_u32 v14, s0, v8, v2
	s_delay_alu instid0(VALU_DEP_1) | instskip(NEXT) | instid1(VALU_DEP_1)
	v_add_co_ci_u32_e64 v15, s0, 0, v9, s0
	v_cmpx_gt_u64_e64 s[30:31], v[14:15]
	s_cbranch_execz .LBB216_499
; %bb.498:                              ;   in Loop: Header=BB216_488 Depth=1
	v_mul_lo_u32 v2, v15, s6
	v_mul_lo_u32 v24, v14, s7
	v_mad_u64_u32 v[20:21], null, v14, s6, 0
	v_mul_lo_u32 v15, v15, s8
	v_mul_lo_u32 v25, v14, s9
	v_mad_u64_u32 v[22:23], null, v14, s8, 0
	s_mov_b32 s23, exec_lo
	s_delay_alu instid0(VALU_DEP_4) | instskip(NEXT) | instid1(VALU_DEP_2)
	v_add3_u32 v21, v21, v24, v2
	v_add3_u32 v23, v23, v25, v15
	s_delay_alu instid0(VALU_DEP_2) | instskip(NEXT) | instid1(VALU_DEP_2)
	v_lshlrev_b64 v[14:15], 1, v[20:21]
	v_lshlrev_b64 v[20:21], 3, v[22:23]
	s_delay_alu instid0(VALU_DEP_2) | instskip(NEXT) | instid1(VALU_DEP_1)
	v_add_co_u32 v14, s0, s5, v14
	v_add_co_ci_u32_e64 v15, s0, s16, v15, s0
	s_delay_alu instid0(VALU_DEP_3) | instskip(NEXT) | instid1(VALU_DEP_1)
	v_add_co_u32 v20, s0, s17, v20
	v_add_co_ci_u32_e64 v21, s0, s18, v21, s0
	s_waitcnt vmcnt(0)
	global_store_b16 v[14:15], v18, off
	global_store_b64 v[20:21], v[12:13], off
.LBB216_499:                            ;   in Loop: Header=BB216_488 Depth=1
	s_or_b32 exec_lo, exec_lo, s25
	s_mov_b32 s25, -1
	s_or_not1_b32 s26, s23, exec_lo
.LBB216_500:                            ;   in Loop: Header=BB216_488 Depth=1
	s_or_b32 exec_lo, exec_lo, s24
	s_and_saveexec_b32 s23, s26
	s_cbranch_execz .LBB216_487
; %bb.501:                              ;   in Loop: Header=BB216_488 Depth=1
	v_cmp_le_u64_e64 s0, s[10:11], v[6:7]
	v_add_co_u32 v4, s1, v4, s34
	s_delay_alu instid0(VALU_DEP_1) | instskip(SKIP_1) | instid1(VALU_DEP_3)
	v_add_co_ci_u32_e64 v5, s1, s35, v5, s1
	s_and_not1_b32 s25, s25, exec_lo
	s_or_not1_b32 s1, s0, exec_lo
	s_branch .LBB216_487
.LBB216_502:
	s_or_b32 exec_lo, exec_lo, s21
	s_delay_alu instid0(SALU_CYCLE_1)
	s_mov_b32 s1, exec_lo
	s_or_not1_b32 s21, s22, exec_lo
.LBB216_503:
	s_or_b32 exec_lo, exec_lo, s20
	s_and_saveexec_b32 s4, s21
	s_cbranch_execz .LBB216_528
; %bb.504:
	v_mov_b32_e32 v13, 0
	s_waitcnt vmcnt(0) lgkmcnt(0)
	s_waitcnt_vscnt null, 0x0
	s_barrier
	buffer_gl0_inv
	s_and_saveexec_b32 s0, s3
	s_cbranch_execz .LBB216_506
; %bb.505:
	global_load_u16 v13, v[10:11], off
.LBB216_506:
	s_or_b32 exec_lo, exec_lo, s0
	s_mov_b32 s0, 0
	s_and_saveexec_b32 s3, vcc_lo
	s_cbranch_execz .LBB216_527
; %bb.507:
	v_add_nc_u32_e32 v6, s33, v0
	s_add_u32 s0, s36, s40
	s_addc_u32 s19, s37, s41
	s_mov_b32 s20, 0
	v_mov_b32_e32 v12, 0x8000
	v_mad_u64_u32 v[2:3], null, s38, v6, 0
	s_delay_alu instid0(VALU_DEP_1) | instskip(NEXT) | instid1(VALU_DEP_1)
	v_mad_u64_u32 v[4:5], null, s39, v6, v[3:4]
                                        ; implicit-def: $vgpr6_vgpr7
	v_mov_b32_e32 v3, v4
	s_delay_alu instid0(VALU_DEP_1) | instskip(SKIP_1) | instid1(VALU_DEP_2)
	v_lshlrev_b64 v[4:5], 1, v[2:3]
	v_mov_b32_e32 v3, 0
	v_add_co_u32 v4, vcc_lo, s0, v4
	s_delay_alu instid0(VALU_DEP_3)
	v_add_co_ci_u32_e32 v5, vcc_lo, s19, v5, vcc_lo
                                        ; implicit-def: $sgpr19
	s_branch .LBB216_510
.LBB216_508:                            ;   in Loop: Header=BB216_510 Depth=1
	s_or_b32 exec_lo, exec_lo, s22
	s_waitcnt vmcnt(0)
	v_dual_mov_b32 v13, v14 :: v_dual_mov_b32 v0, v8
	v_mov_b32_e32 v1, v9
	s_or_not1_b32 s24, s23, exec_lo
	s_or_not1_b32 s23, s0, exec_lo
.LBB216_509:                            ;   in Loop: Header=BB216_510 Depth=1
	s_or_b32 exec_lo, exec_lo, s21
	s_xor_b32 s0, s24, -1
	s_and_b32 s21, exec_lo, s23
	s_delay_alu instid0(SALU_CYCLE_1) | instskip(SKIP_2) | instid1(SALU_CYCLE_1)
	s_or_b32 s20, s21, s20
	s_and_not1_b32 s19, s19, exec_lo
	s_and_b32 s0, s0, exec_lo
	s_or_b32 s19, s19, s0
	s_and_not1_b32 exec_lo, exec_lo, s20
	s_cbranch_execz .LBB216_525
.LBB216_510:                            ; =>This Inner Loop Header: Depth=1
	v_add_co_u32 v8, vcc_lo, v0, s33
	v_add_co_ci_u32_e32 v9, vcc_lo, 0, v1, vcc_lo
	s_waitcnt vmcnt(0)
	v_mov_b32_e32 v14, 0
	s_mov_b32 s0, exec_lo
	s_delay_alu instid0(VALU_DEP_2)
	v_cmpx_gt_u64_e64 s[28:29], v[8:9]
	s_cbranch_execz .LBB216_512
; %bb.511:                              ;   in Loop: Header=BB216_510 Depth=1
	global_load_u16 v14, v[4:5], off
.LBB216_512:                            ;   in Loop: Header=BB216_510 Depth=1
	s_or_b32 exec_lo, exec_lo, s0
	s_mov_b32 s22, 0
	s_mov_b32 s0, exec_lo
	v_cmpx_gt_u64_e64 s[28:29], v[0:1]
	s_cbranch_execz .LBB216_514
; %bb.513:                              ;   in Loop: Header=BB216_510 Depth=1
	s_waitcnt vmcnt(0)
	v_cmp_lt_i16_e32 vcc_lo, -1, v13
	v_and_b32_e32 v2, 0xffff, v13
	v_dual_cndmask_b32 v10, 0xffff, v12 :: v_dual_lshlrev_b32 v11, 16, v13
	s_delay_alu instid0(VALU_DEP_1) | instskip(NEXT) | instid1(VALU_DEP_2)
	v_cmp_o_f32_e32 vcc_lo, v11, v11
	v_xor_b32_e32 v2, v10, v2
	s_delay_alu instid0(VALU_DEP_1) | instskip(NEXT) | instid1(VALU_DEP_1)
	v_cndmask_b32_e32 v2, 0xffff, v2, vcc_lo
	v_cmp_eq_u32_e32 vcc_lo, v2, v16
	s_and_b32 s22, vcc_lo, exec_lo
.LBB216_514:                            ;   in Loop: Header=BB216_510 Depth=1
	s_or_b32 exec_lo, exec_lo, s0
	v_cndmask_b32_e64 v2, 0, 1, s22
	s_delay_alu instid0(VALU_DEP_1) | instskip(SKIP_2) | instid1(SALU_CYCLE_1)
	v_cmp_ne_u32_e32 vcc_lo, 0, v2
	s_cmp_lg_u32 vcc_lo, 0
	s_cselect_b32 s0, -1, 0
	s_and_b32 s0, s2, s0
	s_delay_alu instid0(SALU_CYCLE_1)
	s_and_saveexec_b32 s21, s0
	s_cbranch_execz .LBB216_518
; %bb.515:                              ;   in Loop: Header=BB216_510 Depth=1
	s_mov_b32 s25, exec_lo
	s_bcnt1_i32_b32 s23, vcc_lo
	v_mbcnt_lo_u32_b32 v10, s25, 0
	s_mov_b32 s24, exec_lo
                                        ; implicit-def: $vgpr6_vgpr7
	s_delay_alu instid0(VALU_DEP_1)
	v_cmpx_eq_u32_e32 0, v10
	s_cbranch_execz .LBB216_517
; %bb.516:                              ;   in Loop: Header=BB216_510 Depth=1
	s_bcnt1_i32_b32 s0, s25
	s_delay_alu instid0(SALU_CYCLE_1) | instskip(NEXT) | instid1(SALU_CYCLE_1)
	s_mul_i32 s0, s23, s0
	v_mov_b32_e32 v2, s0
	ds_add_rtn_u64 v[6:7], v3, v[2:3] offset:5136
.LBB216_517:                            ;   in Loop: Header=BB216_510 Depth=1
	s_or_b32 exec_lo, exec_lo, s24
	s_waitcnt lgkmcnt(0)
	v_readfirstlane_b32 s25, v7
	v_readfirstlane_b32 s24, v6
	s_delay_alu instid0(VALU_DEP_1)
	v_mad_u64_u32 v[6:7], null, s23, v10, s[24:25]
.LBB216_518:                            ;   in Loop: Header=BB216_510 Depth=1
	s_or_b32 exec_lo, exec_lo, s21
	ds_bpermute_b32 v6, v3, v6
	ds_bpermute_b32 v7, v3, v7
	s_cmp_eq_u32 vcc_lo, 0
	s_mov_b32 s23, -1
	s_cselect_b32 s21, -1, 0
	s_mov_b32 s24, -1
	s_waitcnt lgkmcnt(0)
	v_cmp_gt_u64_e64 s0, s[30:31], v[6:7]
	s_delay_alu instid0(VALU_DEP_1) | instskip(NEXT) | instid1(SALU_CYCLE_1)
	s_or_b32 s0, s21, s0
	s_and_saveexec_b32 s21, s0
	s_cbranch_execz .LBB216_509
; %bb.519:                              ;   in Loop: Header=BB216_510 Depth=1
	v_and_b32_e32 v2, vcc_lo, v29
	v_sub_co_u32 v10, vcc_lo, s30, v6
	v_sub_co_ci_u32_e32 v11, vcc_lo, s31, v7, vcc_lo
	s_delay_alu instid0(VALU_DEP_3) | instskip(SKIP_1) | instid1(VALU_DEP_1)
	v_bcnt_u32_b32 v2, v2, 0
	s_mov_b32 s0, -1
	v_bcnt_u32_b32 v2, 0, v2
	s_delay_alu instid0(VALU_DEP_1) | instskip(SKIP_1) | instid1(SALU_CYCLE_1)
	v_cmp_gt_u64_e32 vcc_lo, v[10:11], v[2:3]
	s_and_b32 s25, s22, vcc_lo
	s_and_saveexec_b32 s22, s25
	s_cbranch_execz .LBB216_523
; %bb.520:                              ;   in Loop: Header=BB216_510 Depth=1
	v_add_co_u32 v10, vcc_lo, v6, v2
	v_add_co_ci_u32_e32 v11, vcc_lo, 0, v7, vcc_lo
	s_mov_b32 s24, 0
	s_mov_b32 s23, exec_lo
	s_delay_alu instid0(VALU_DEP_1)
	v_cmpx_gt_u64_e64 s[30:31], v[10:11]
	s_cbranch_execz .LBB216_522
; %bb.521:                              ;   in Loop: Header=BB216_510 Depth=1
	v_mul_lo_u32 v2, v11, s6
	v_mul_lo_u32 v15, v10, s7
	v_mad_u64_u32 v[17:18], null, v10, s6, 0
	v_mul_lo_u32 v11, v11, s8
	v_mul_lo_u32 v21, v10, s9
	v_mad_u64_u32 v[19:20], null, v10, s8, 0
	s_mov_b32 s24, exec_lo
	s_delay_alu instid0(VALU_DEP_4) | instskip(NEXT) | instid1(VALU_DEP_2)
	v_add3_u32 v18, v18, v15, v2
	v_add3_u32 v20, v20, v21, v11
	s_delay_alu instid0(VALU_DEP_2) | instskip(NEXT) | instid1(VALU_DEP_2)
	v_lshlrev_b64 v[10:11], 1, v[17:18]
	v_lshlrev_b64 v[17:18], 3, v[19:20]
	s_delay_alu instid0(VALU_DEP_2) | instskip(NEXT) | instid1(VALU_DEP_3)
	v_add_co_u32 v10, vcc_lo, s5, v10
	v_add_co_ci_u32_e32 v11, vcc_lo, s16, v11, vcc_lo
	s_delay_alu instid0(VALU_DEP_3) | instskip(NEXT) | instid1(VALU_DEP_4)
	v_add_co_u32 v17, vcc_lo, s17, v17
	v_add_co_ci_u32_e32 v18, vcc_lo, s18, v18, vcc_lo
	s_waitcnt vmcnt(0)
	global_store_b16 v[10:11], v13, off
	global_store_b64 v[17:18], v[0:1], off
.LBB216_522:                            ;   in Loop: Header=BB216_510 Depth=1
	s_or_b32 exec_lo, exec_lo, s23
	s_delay_alu instid0(SALU_CYCLE_1)
	s_xor_b32 s23, exec_lo, -1
	s_or_not1_b32 s24, s24, exec_lo
.LBB216_523:                            ;   in Loop: Header=BB216_510 Depth=1
	s_or_b32 exec_lo, exec_lo, s22
	s_and_saveexec_b32 s22, s24
	s_cbranch_execz .LBB216_508
; %bb.524:                              ;   in Loop: Header=BB216_510 Depth=1
	v_cmp_le_u64_e32 vcc_lo, s[10:11], v[8:9]
	v_add_co_u32 v4, s0, v4, s34
	s_delay_alu instid0(VALU_DEP_1)
	v_add_co_ci_u32_e64 v5, s0, s35, v5, s0
	s_or_b32 s23, s23, exec_lo
	s_or_not1_b32 s0, vcc_lo, exec_lo
	s_branch .LBB216_508
.LBB216_525:
	s_or_b32 exec_lo, exec_lo, s20
	s_mov_b32 s0, 0
	s_and_saveexec_b32 s2, s19
	s_delay_alu instid0(SALU_CYCLE_1)
	s_xor_b32 s2, exec_lo, s2
	s_cbranch_execnz .LBB216_560
.LBB216_526:
	s_or_b32 exec_lo, exec_lo, s2
	s_delay_alu instid0(SALU_CYCLE_1)
	s_and_b32 s0, s0, exec_lo
.LBB216_527:
	s_or_b32 exec_lo, exec_lo, s3
	s_delay_alu instid0(SALU_CYCLE_1)
	s_and_b32 s19, s0, exec_lo
	s_and_not1_b32 s1, s1, exec_lo
.LBB216_528:
	s_or_b32 exec_lo, exec_lo, s4
	s_and_saveexec_b32 s0, s1
	s_delay_alu instid0(SALU_CYCLE_1)
	s_xor_b32 s0, exec_lo, s0
	s_cbranch_execnz .LBB216_554
.LBB216_529:
	s_or_b32 exec_lo, exec_lo, s0
	s_waitcnt lgkmcnt(0)
	s_and_b32 s8, s19, exec_lo
.LBB216_530:
	s_and_not1_saveexec_b32 s0, s15
	s_cbranch_execnz .LBB216_550
.LBB216_531:
	s_or_b32 exec_lo, exec_lo, s0
	s_delay_alu instid0(SALU_CYCLE_1)
	s_and_b32 s8, s8, exec_lo
.LBB216_532:
	s_and_not1_saveexec_b32 s0, s14
	s_cbranch_execnz .LBB216_546
.LBB216_533:
	s_or_b32 exec_lo, exec_lo, s0
	s_delay_alu instid0(SALU_CYCLE_1)
	s_and_b32 s8, s8, exec_lo
.LBB216_534:
	s_and_not1_saveexec_b32 s0, s13
	s_cbranch_execnz .LBB216_542
.LBB216_535:
	s_or_b32 exec_lo, exec_lo, s0
	s_delay_alu instid0(SALU_CYCLE_1)
	s_and_b32 s8, s8, exec_lo
.LBB216_536:
	s_and_not1_saveexec_b32 s0, s12
	s_cbranch_execnz .LBB216_540
; %bb.537:
	s_or_b32 exec_lo, exec_lo, s0
	s_and_saveexec_b32 s0, s8
.LBB216_538:
	; divergent unreachable
.LBB216_539:
	s_nop 0
	s_sendmsg sendmsg(MSG_DEALLOC_VGPRS)
	s_endpgm
.LBB216_540:
	s_cbranch_execnz .LBB216_544
; %bb.541:
	s_or_b32 s8, s8, exec_lo
	s_or_b32 exec_lo, exec_lo, s0
	s_and_saveexec_b32 s0, s8
	s_cbranch_execnz .LBB216_538
	s_branch .LBB216_539
.LBB216_542:
	s_cbranch_execnz .LBB216_548
; %bb.543:
	s_or_b32 s8, s8, exec_lo
	s_branch .LBB216_535
.LBB216_544:
	s_trap 2
	s_sendmsg_rtn_b32 s0, sendmsg(MSG_RTN_GET_DOORBELL)
	s_mov_b32 ttmp2, m0
	s_waitcnt lgkmcnt(0)
	s_and_b32 s0, s0, 0x3ff
	s_delay_alu instid0(SALU_CYCLE_1) | instskip(NEXT) | instid1(SALU_CYCLE_1)
	s_bitset1_b32 s0, 10
	s_mov_b32 m0, s0
	s_sendmsg sendmsg(MSG_INTERRUPT)
	s_mov_b32 m0, ttmp2
.LBB216_545:                            ; =>This Inner Loop Header: Depth=1
	s_sethalt 5
	s_branch .LBB216_545
.LBB216_546:
	s_cbranch_execnz .LBB216_552
; %bb.547:
	s_or_b32 s8, s8, exec_lo
	s_branch .LBB216_533
.LBB216_548:
	s_trap 2
	s_sendmsg_rtn_b32 s0, sendmsg(MSG_RTN_GET_DOORBELL)
	s_mov_b32 ttmp2, m0
	s_waitcnt lgkmcnt(0)
	s_and_b32 s0, s0, 0x3ff
	s_delay_alu instid0(SALU_CYCLE_1) | instskip(NEXT) | instid1(SALU_CYCLE_1)
	s_bitset1_b32 s0, 10
	s_mov_b32 m0, s0
	s_sendmsg sendmsg(MSG_INTERRUPT)
	s_mov_b32 m0, ttmp2
.LBB216_549:                            ; =>This Inner Loop Header: Depth=1
	s_sethalt 5
	s_branch .LBB216_549
.LBB216_550:
	s_cbranch_execnz .LBB216_556
; %bb.551:
	s_or_b32 s8, s8, exec_lo
	s_branch .LBB216_531
.LBB216_552:
	s_trap 2
	s_sendmsg_rtn_b32 s0, sendmsg(MSG_RTN_GET_DOORBELL)
	s_mov_b32 ttmp2, m0
	s_waitcnt lgkmcnt(0)
	s_and_b32 s0, s0, 0x3ff
	s_delay_alu instid0(SALU_CYCLE_1) | instskip(NEXT) | instid1(SALU_CYCLE_1)
	s_bitset1_b32 s0, 10
	s_mov_b32 m0, s0
	s_sendmsg sendmsg(MSG_INTERRUPT)
	s_mov_b32 m0, ttmp2
.LBB216_553:                            ; =>This Inner Loop Header: Depth=1
	s_sethalt 5
	s_branch .LBB216_553
.LBB216_554:
	s_cbranch_execnz .LBB216_558
; %bb.555:
	s_or_b32 s19, s19, exec_lo
	s_branch .LBB216_529
.LBB216_556:
	s_trap 2
	s_sendmsg_rtn_b32 s0, sendmsg(MSG_RTN_GET_DOORBELL)
	s_mov_b32 ttmp2, m0
	s_waitcnt lgkmcnt(0)
	s_and_b32 s0, s0, 0x3ff
	s_delay_alu instid0(SALU_CYCLE_1) | instskip(NEXT) | instid1(SALU_CYCLE_1)
	s_bitset1_b32 s0, 10
	s_mov_b32 m0, s0
	s_sendmsg sendmsg(MSG_INTERRUPT)
	s_mov_b32 m0, ttmp2
.LBB216_557:                            ; =>This Inner Loop Header: Depth=1
	s_sethalt 5
	s_branch .LBB216_557
.LBB216_558:
	s_trap 2
	s_sendmsg_rtn_b32 s0, sendmsg(MSG_RTN_GET_DOORBELL)
	s_mov_b32 ttmp2, m0
	s_waitcnt lgkmcnt(0)
	s_and_b32 s0, s0, 0x3ff
	s_delay_alu instid0(SALU_CYCLE_1) | instskip(NEXT) | instid1(SALU_CYCLE_1)
	s_bitset1_b32 s0, 10
	s_mov_b32 m0, s0
	s_sendmsg sendmsg(MSG_INTERRUPT)
	s_mov_b32 m0, ttmp2
.LBB216_559:                            ; =>This Inner Loop Header: Depth=1
	s_sethalt 5
	s_branch .LBB216_559
.LBB216_560:
	s_cbranch_execnz .LBB216_562
; %bb.561:
	s_mov_b32 s0, exec_lo
	s_branch .LBB216_526
.LBB216_562:
	s_trap 2
	s_sendmsg_rtn_b32 s0, sendmsg(MSG_RTN_GET_DOORBELL)
	s_mov_b32 ttmp2, m0
	s_waitcnt lgkmcnt(0)
	s_and_b32 s0, s0, 0x3ff
	s_delay_alu instid0(SALU_CYCLE_1) | instskip(NEXT) | instid1(SALU_CYCLE_1)
	s_bitset1_b32 s0, 10
	s_mov_b32 m0, s0
	s_sendmsg sendmsg(MSG_INTERRUPT)
	s_mov_b32 m0, ttmp2
.LBB216_563:                            ; =>This Inner Loop Header: Depth=1
	s_sethalt 5
	s_branch .LBB216_563
	.section	.rodata,"a",@progbits
	.p2align	6, 0x0
	.amdhsa_kernel _ZN2at6native6sbtopk10gatherTopKIN3c108BFloat16EmLi1ELb0EEEvNS_4cuda6detail10TensorInfoIKT_T0_EESA_SA_bSA_SA_NS7_IS8_SA_EESA_NS7_IlSA_EESA_PS8_
		.amdhsa_group_segment_fixed_size 5152
		.amdhsa_private_segment_fixed_size 0
		.amdhsa_kernarg_size 1568
		.amdhsa_user_sgpr_count 13
		.amdhsa_user_sgpr_dispatch_ptr 0
		.amdhsa_user_sgpr_queue_ptr 0
		.amdhsa_user_sgpr_kernarg_segment_ptr 1
		.amdhsa_user_sgpr_dispatch_id 0
		.amdhsa_user_sgpr_private_segment_size 0
		.amdhsa_wavefront_size32 1
		.amdhsa_uses_dynamic_stack 0
		.amdhsa_enable_private_segment 0
		.amdhsa_system_sgpr_workgroup_id_x 1
		.amdhsa_system_sgpr_workgroup_id_y 1
		.amdhsa_system_sgpr_workgroup_id_z 1
		.amdhsa_system_sgpr_workgroup_info 0
		.amdhsa_system_vgpr_workitem_id 0
		.amdhsa_next_free_vgpr 46
		.amdhsa_next_free_sgpr 105
		.amdhsa_reserve_vcc 1
		.amdhsa_float_round_mode_32 0
		.amdhsa_float_round_mode_16_64 0
		.amdhsa_float_denorm_mode_32 3
		.amdhsa_float_denorm_mode_16_64 3
		.amdhsa_dx10_clamp 1
		.amdhsa_ieee_mode 1
		.amdhsa_fp16_overflow 0
		.amdhsa_workgroup_processor_mode 1
		.amdhsa_memory_ordered 1
		.amdhsa_forward_progress 0
		.amdhsa_shared_vgpr_count 0
		.amdhsa_exception_fp_ieee_invalid_op 0
		.amdhsa_exception_fp_denorm_src 0
		.amdhsa_exception_fp_ieee_div_zero 0
		.amdhsa_exception_fp_ieee_overflow 0
		.amdhsa_exception_fp_ieee_underflow 0
		.amdhsa_exception_fp_ieee_inexact 0
		.amdhsa_exception_int_div_zero 0
	.end_amdhsa_kernel
	.section	.text._ZN2at6native6sbtopk10gatherTopKIN3c108BFloat16EmLi1ELb0EEEvNS_4cuda6detail10TensorInfoIKT_T0_EESA_SA_bSA_SA_NS7_IS8_SA_EESA_NS7_IlSA_EESA_PS8_,"axG",@progbits,_ZN2at6native6sbtopk10gatherTopKIN3c108BFloat16EmLi1ELb0EEEvNS_4cuda6detail10TensorInfoIKT_T0_EESA_SA_bSA_SA_NS7_IS8_SA_EESA_NS7_IlSA_EESA_PS8_,comdat
.Lfunc_end216:
	.size	_ZN2at6native6sbtopk10gatherTopKIN3c108BFloat16EmLi1ELb0EEEvNS_4cuda6detail10TensorInfoIKT_T0_EESA_SA_bSA_SA_NS7_IS8_SA_EESA_NS7_IlSA_EESA_PS8_, .Lfunc_end216-_ZN2at6native6sbtopk10gatherTopKIN3c108BFloat16EmLi1ELb0EEEvNS_4cuda6detail10TensorInfoIKT_T0_EESA_SA_bSA_SA_NS7_IS8_SA_EESA_NS7_IlSA_EESA_PS8_
                                        ; -- End function
	.section	.AMDGPU.csdata,"",@progbits
; Kernel info:
; codeLenInByte = 29696
; NumSgprs: 107
; NumVgprs: 46
; ScratchSize: 0
; MemoryBound: 0
; FloatMode: 240
; IeeeMode: 1
; LDSByteSize: 5152 bytes/workgroup (compile time only)
; SGPRBlocks: 13
; VGPRBlocks: 5
; NumSGPRsForWavesPerEU: 107
; NumVGPRsForWavesPerEU: 46
; Occupancy: 16
; WaveLimiterHint : 1
; COMPUTE_PGM_RSRC2:SCRATCH_EN: 0
; COMPUTE_PGM_RSRC2:USER_SGPR: 13
; COMPUTE_PGM_RSRC2:TRAP_HANDLER: 0
; COMPUTE_PGM_RSRC2:TGID_X_EN: 1
; COMPUTE_PGM_RSRC2:TGID_Y_EN: 1
; COMPUTE_PGM_RSRC2:TGID_Z_EN: 1
; COMPUTE_PGM_RSRC2:TIDIG_COMP_CNT: 0
	.section	.text._ZN2at6native6mbtopk23computeBlockDigitCountsIN3c108BFloat16EmjLi2EEEvNS_4cuda6detail10TensorInfoIKT_T0_EEjPjjSA_iijT1_PSD_Ps,"axG",@progbits,_ZN2at6native6mbtopk23computeBlockDigitCountsIN3c108BFloat16EmjLi2EEEvNS_4cuda6detail10TensorInfoIKT_T0_EEjPjjSA_iijT1_PSD_Ps,comdat
	.protected	_ZN2at6native6mbtopk23computeBlockDigitCountsIN3c108BFloat16EmjLi2EEEvNS_4cuda6detail10TensorInfoIKT_T0_EEjPjjSA_iijT1_PSD_Ps ; -- Begin function _ZN2at6native6mbtopk23computeBlockDigitCountsIN3c108BFloat16EmjLi2EEEvNS_4cuda6detail10TensorInfoIKT_T0_EEjPjjSA_iijT1_PSD_Ps
	.globl	_ZN2at6native6mbtopk23computeBlockDigitCountsIN3c108BFloat16EmjLi2EEEvNS_4cuda6detail10TensorInfoIKT_T0_EEjPjjSA_iijT1_PSD_Ps
	.p2align	8
	.type	_ZN2at6native6mbtopk23computeBlockDigitCountsIN3c108BFloat16EmjLi2EEEvNS_4cuda6detail10TensorInfoIKT_T0_EEjPjjSA_iijT1_PSD_Ps,@function
_ZN2at6native6mbtopk23computeBlockDigitCountsIN3c108BFloat16EmjLi2EEEvNS_4cuda6detail10TensorInfoIKT_T0_EEjPjjSA_iijT1_PSD_Ps: ; @_ZN2at6native6mbtopk23computeBlockDigitCountsIN3c108BFloat16EmjLi2EEEvNS_4cuda6detail10TensorInfoIKT_T0_EEjPjjSA_iijT1_PSD_Ps
; %bb.0:
	s_clause 0x2
	s_load_b128 s[8:11], s[0:1], 0x1c0
	s_load_b32 s5, s[0:1], 0x1b0
	s_load_b64 s[2:3], s[0:1], 0x1e0
	s_waitcnt lgkmcnt(0)
	v_cvt_f32_u32_e32 v1, s10
	s_sub_i32 s6, 0, s10
	s_mul_i32 s3, s3, s15
	s_delay_alu instid0(SALU_CYCLE_1) | instskip(NEXT) | instid1(VALU_DEP_1)
	s_add_i32 s3, s3, s14
	v_rcp_iflag_f32_e32 v1, v1
	s_mul_i32 s16, s3, s2
	s_delay_alu instid0(SALU_CYCLE_1) | instskip(SKIP_3) | instid1(VALU_DEP_1)
	s_add_i32 s16, s16, s13
	s_mov_b32 s13, 0
	s_waitcnt_depctr 0xfff
	v_mul_f32_e32 v1, 0x4f7ffffe, v1
	v_cvt_u32_f32_e32 v1, v1
	s_delay_alu instid0(VALU_DEP_1) | instskip(NEXT) | instid1(VALU_DEP_1)
	v_readfirstlane_b32 s4, v1
	s_mul_i32 s6, s6, s4
	s_delay_alu instid0(SALU_CYCLE_1) | instskip(NEXT) | instid1(SALU_CYCLE_1)
	s_mul_hi_u32 s2, s4, s6
	s_add_i32 s4, s4, s2
	s_delay_alu instid0(SALU_CYCLE_1) | instskip(NEXT) | instid1(SALU_CYCLE_1)
	s_mul_hi_u32 s2, s16, s4
	s_mul_i32 s3, s2, s10
	s_add_i32 s4, s2, 1
	s_sub_i32 s3, s16, s3
	s_delay_alu instid0(SALU_CYCLE_1)
	s_sub_i32 s6, s3, s10
	s_cmp_ge_u32 s3, s10
	s_cselect_b32 s2, s4, s2
	s_cselect_b32 s3, s6, s3
	s_add_i32 s4, s2, 1
	s_cmp_ge_u32 s3, s10
	s_cselect_b32 s12, s4, s2
	s_delay_alu instid0(SALU_CYCLE_1)
	s_cmp_ge_u32 s12, s5
	s_cbranch_scc1 .LBB217_25
; %bb.1:
	s_clause 0x1
	s_load_b64 s[2:3], s[0:1], 0x10
	s_load_b128 s[4:7], s[0:1], 0x1d0
	s_lshl_b64 s[14:15], s[12:13], 2
	s_waitcnt lgkmcnt(0)
	v_cmp_lt_u64_e64 s17, s[12:13], s[2:3]
	s_add_u32 s14, s4, s14
	s_addc_u32 s15, s5, s15
	s_mov_b64 s[4:5], 0
	s_delay_alu instid0(VALU_DEP_1)
	s_and_b32 vcc_lo, exec_lo, s17
	s_cbranch_vccnz .LBB217_3
; %bb.2:
	v_cvt_f32_u32_e32 v1, s2
	s_sub_i32 s5, 0, s2
	s_delay_alu instid0(VALU_DEP_1) | instskip(SKIP_2) | instid1(VALU_DEP_1)
	v_rcp_iflag_f32_e32 v1, v1
	s_waitcnt_depctr 0xfff
	v_mul_f32_e32 v1, 0x4f7ffffe, v1
	v_cvt_u32_f32_e32 v1, v1
	s_delay_alu instid0(VALU_DEP_1) | instskip(NEXT) | instid1(VALU_DEP_1)
	v_readfirstlane_b32 s4, v1
	s_mul_i32 s5, s5, s4
	s_delay_alu instid0(SALU_CYCLE_1) | instskip(NEXT) | instid1(SALU_CYCLE_1)
	s_mul_hi_u32 s5, s4, s5
	s_add_i32 s4, s4, s5
	s_delay_alu instid0(SALU_CYCLE_1) | instskip(NEXT) | instid1(SALU_CYCLE_1)
	s_mul_hi_u32 s4, s12, s4
	s_mul_i32 s5, s4, s2
	s_add_i32 s13, s4, 1
	s_sub_i32 s5, s12, s5
	s_delay_alu instid0(SALU_CYCLE_1)
	s_sub_i32 s17, s5, s2
	s_cmp_ge_u32 s5, s2
	s_cselect_b32 s4, s13, s4
	s_cselect_b32 s5, s17, s5
	s_add_i32 s13, s4, 1
	s_cmp_ge_u32 s5, s2
	s_cselect_b32 s4, s13, s4
.LBB217_3:
	v_cmp_gt_u32_e32 vcc_lo, 0x100, v0
	v_lshlrev_b32_e32 v1, 2, v0
	s_and_saveexec_b32 s5, vcc_lo
	s_cbranch_execz .LBB217_5
; %bb.4:
	v_mov_b32_e32 v2, 0
	ds_store_b32 v1, v2
.LBB217_5:
	s_or_b32 exec_lo, exec_lo, s5
	s_load_b32 s5, s[0:1], 0x1a0
	s_mul_i32 s13, s12, s10
	s_waitcnt lgkmcnt(0)
	s_sub_i32 s13, s16, s13
	s_barrier
	s_mul_i32 s17, s9, s13
	s_add_i32 s13, s13, 1
	s_lshl_b32 s17, s17, 8
	buffer_gl0_inv
	s_sub_i32 s18, s5, s17
	s_delay_alu instid0(SALU_CYCLE_1) | instskip(SKIP_4) | instid1(VALU_DEP_1)
	s_add_u32 s18, s18, 0xff
	s_addc_u32 s19, 0, 0
	s_cmp_lt_u32 s13, s10
	v_alignbit_b32 v2, s19, s18, 8
	s_mov_b32 s13, 0
	v_readfirstlane_b32 s18, v2
	s_delay_alu instid0(VALU_DEP_1) | instskip(NEXT) | instid1(SALU_CYCLE_1)
	s_cselect_b32 s10, s9, s18
	s_cmp_lt_i32 s10, 1
	s_cbranch_scc1 .LBB217_21
; %bb.6:
	s_clause 0x1
	s_load_b128 s[20:23], s[0:1], 0xd0
	s_load_b64 s[18:19], s[0:1], 0x0
	s_load_b32 s9, s[14:15], 0x0
	s_mul_i32 s14, s4, s3
	s_mul_hi_u32 s15, s4, s2
	s_mul_i32 s24, s4, s2
	s_load_b64 s[2:3], s[0:1], 0x1b8
	s_add_i32 s15, s15, s14
	s_sub_u32 s0, s12, s24
	s_subb_u32 s1, 0, s15
	v_add_nc_u32_e32 v2, s17, v0
	s_waitcnt lgkmcnt(0)
	s_mul_i32 s15, s4, s21
	s_mul_hi_u32 s21, s4, s20
	s_mul_i32 s12, s0, s23
	s_mul_hi_u32 s23, s0, s22
	s_mul_i32 s14, s4, s20
	s_add_i32 s15, s21, s15
	s_mul_i32 s1, s1, s22
	s_add_i32 s4, s23, s12
	s_lshl_b64 s[14:15], s[14:15], 1
	s_mul_i32 s0, s0, s22
	s_add_i32 s1, s4, s1
	s_add_u32 s4, s18, s14
	s_addc_u32 s12, s19, s15
	s_lshl_b64 s[0:1], s[0:1], 1
	s_delay_alu instid0(SALU_CYCLE_1)
	s_add_u32 s4, s4, s0
	s_addc_u32 s12, s12, s1
	s_and_b32 s1, s8, 0xff
	s_cmp_eq_u32 s10, 1
	s_cbranch_scc1 .LBB217_16
; %bb.7:
	v_dual_mov_b32 v3, 1 :: v_dual_mov_b32 v4, 0x8000
	v_mov_b32_e32 v5, v2
	s_and_b32 s8, s10, 0x7ffffffe
	s_branch .LBB217_9
.LBB217_8:                              ;   in Loop: Header=BB217_9 Depth=1
	s_or_b32 exec_lo, exec_lo, s14
	v_add_nc_u32_e32 v5, 0x200, v5
	s_add_i32 s13, s13, 2
	s_delay_alu instid0(SALU_CYCLE_1)
	s_cmp_eq_u32 s8, s13
	s_cbranch_scc1 .LBB217_15
.LBB217_9:                              ; =>This Inner Loop Header: Depth=1
	s_mov_b32 s14, exec_lo
	s_delay_alu instid0(VALU_DEP_1)
	v_cmpx_gt_u32_e64 s5, v5
	s_cbranch_execz .LBB217_12
; %bb.10:                               ;   in Loop: Header=BB217_9 Depth=1
	v_mad_u64_u32 v[6:7], null, v5, s2, 0
	s_delay_alu instid0(VALU_DEP_1) | instskip(NEXT) | instid1(VALU_DEP_1)
	v_mad_u64_u32 v[8:9], null, v5, s3, v[7:8]
	v_mov_b32_e32 v7, v8
	s_delay_alu instid0(VALU_DEP_1) | instskip(NEXT) | instid1(VALU_DEP_1)
	v_lshlrev_b64 v[6:7], 1, v[6:7]
	v_add_co_u32 v6, s0, s4, v6
	s_delay_alu instid0(VALU_DEP_1)
	v_add_co_ci_u32_e64 v7, s0, s12, v7, s0
	global_load_u16 v6, v[6:7], off
	s_waitcnt vmcnt(0)
	v_cmp_lt_i16_e64 s0, -1, v6
	v_and_b32_e32 v7, 0xffff, v6
	v_lshlrev_b32_e32 v6, 16, v6
	s_delay_alu instid0(VALU_DEP_3) | instskip(NEXT) | instid1(VALU_DEP_2)
	v_cndmask_b32_e64 v8, 0xffff, v4, s0
	v_cmp_o_f32_e64 s0, v6, v6
	s_delay_alu instid0(VALU_DEP_2) | instskip(NEXT) | instid1(VALU_DEP_1)
	v_xor_b32_e32 v7, v8, v7
	v_cndmask_b32_e64 v6, 0xffff, v7, s0
	s_delay_alu instid0(VALU_DEP_1) | instskip(NEXT) | instid1(VALU_DEP_1)
	v_xor_b32_e32 v7, s9, v6
	v_and_b32_e32 v7, s11, v7
	s_delay_alu instid0(VALU_DEP_1) | instskip(NEXT) | instid1(VALU_DEP_1)
	v_cmp_eq_u32_e64 s0, 0, v7
	s_and_b32 exec_lo, exec_lo, s0
	s_cbranch_execz .LBB217_12
; %bb.11:                               ;   in Loop: Header=BB217_9 Depth=1
	v_bfe_u32 v6, v6, s1, 8
	s_delay_alu instid0(VALU_DEP_1)
	v_lshlrev_b32_e32 v6, 2, v6
	ds_add_u32 v6, v3
.LBB217_12:                             ;   in Loop: Header=BB217_9 Depth=1
	s_or_b32 exec_lo, exec_lo, s14
	v_add_nc_u32_e32 v6, 0x100, v5
	s_mov_b32 s14, exec_lo
	s_delay_alu instid0(VALU_DEP_1)
	v_cmpx_gt_u32_e64 s5, v6
	s_cbranch_execz .LBB217_8
; %bb.13:                               ;   in Loop: Header=BB217_9 Depth=1
	v_mad_u64_u32 v[7:8], null, v6, s2, 0
	s_delay_alu instid0(VALU_DEP_1) | instskip(NEXT) | instid1(VALU_DEP_1)
	v_mad_u64_u32 v[9:10], null, v6, s3, v[8:9]
	v_mov_b32_e32 v8, v9
	s_delay_alu instid0(VALU_DEP_1) | instskip(NEXT) | instid1(VALU_DEP_1)
	v_lshlrev_b64 v[6:7], 1, v[7:8]
	v_add_co_u32 v6, s0, s4, v6
	s_delay_alu instid0(VALU_DEP_1)
	v_add_co_ci_u32_e64 v7, s0, s12, v7, s0
	global_load_u16 v6, v[6:7], off
	s_waitcnt vmcnt(0)
	v_and_b32_e32 v7, 0xffff, v6
	v_cmp_lt_i16_e64 s0, -1, v6
	v_lshlrev_b32_e32 v6, 16, v6
	s_delay_alu instid0(VALU_DEP_2) | instskip(NEXT) | instid1(VALU_DEP_2)
	v_cndmask_b32_e64 v8, 0xffff, v4, s0
	v_cmp_o_f32_e64 s0, v6, v6
	s_delay_alu instid0(VALU_DEP_2) | instskip(NEXT) | instid1(VALU_DEP_1)
	v_xor_b32_e32 v7, v8, v7
	v_cndmask_b32_e64 v6, 0xffff, v7, s0
	s_delay_alu instid0(VALU_DEP_1) | instskip(NEXT) | instid1(VALU_DEP_1)
	v_xor_b32_e32 v7, s9, v6
	v_and_b32_e32 v7, s11, v7
	s_delay_alu instid0(VALU_DEP_1) | instskip(NEXT) | instid1(VALU_DEP_1)
	v_cmp_eq_u32_e64 s0, 0, v7
	s_and_b32 exec_lo, exec_lo, s0
	s_cbranch_execz .LBB217_8
; %bb.14:                               ;   in Loop: Header=BB217_9 Depth=1
	v_bfe_u32 v6, v6, s1, 8
	s_delay_alu instid0(VALU_DEP_1)
	v_lshlrev_b32_e32 v6, 2, v6
	ds_add_u32 v6, v3
	s_branch .LBB217_8
.LBB217_15:
	s_lshl_b32 s13, s8, 8
.LBB217_16:
	s_bitcmp0_b32 s10, 0
	s_cbranch_scc1 .LBB217_21
; %bb.17:
	v_add_nc_u32_e32 v2, s13, v2
	s_delay_alu instid0(VALU_DEP_1) | instskip(NEXT) | instid1(VALU_DEP_1)
	v_cmp_gt_u32_e64 s0, s5, v2
	s_and_saveexec_b32 s5, s0
	s_cbranch_execz .LBB217_20
; %bb.18:
	v_mad_u64_u32 v[3:4], null, v2, s2, 0
	s_delay_alu instid0(VALU_DEP_1) | instskip(NEXT) | instid1(VALU_DEP_1)
	v_mad_u64_u32 v[5:6], null, v2, s3, v[4:5]
	v_mov_b32_e32 v4, v5
	s_delay_alu instid0(VALU_DEP_1) | instskip(NEXT) | instid1(VALU_DEP_1)
	v_lshlrev_b64 v[2:3], 1, v[3:4]
	v_add_co_u32 v2, s0, s4, v2
	s_delay_alu instid0(VALU_DEP_1)
	v_add_co_ci_u32_e64 v3, s0, s12, v3, s0
	global_load_u16 v2, v[2:3], off
	v_mov_b32_e32 v3, 0x8000
	s_waitcnt vmcnt(0)
	v_cmp_lt_i16_e64 s0, -1, v2
	v_and_b32_e32 v4, 0xffff, v2
	v_lshlrev_b32_e32 v2, 16, v2
	s_delay_alu instid0(VALU_DEP_3) | instskip(NEXT) | instid1(VALU_DEP_2)
	v_cndmask_b32_e64 v3, 0xffff, v3, s0
	v_cmp_o_f32_e64 s0, v2, v2
	s_delay_alu instid0(VALU_DEP_2) | instskip(NEXT) | instid1(VALU_DEP_1)
	v_xor_b32_e32 v3, v3, v4
	v_cndmask_b32_e64 v2, 0xffff, v3, s0
	s_delay_alu instid0(VALU_DEP_1) | instskip(NEXT) | instid1(VALU_DEP_1)
	v_xor_b32_e32 v3, s9, v2
	v_and_b32_e32 v3, s11, v3
	s_delay_alu instid0(VALU_DEP_1) | instskip(NEXT) | instid1(VALU_DEP_1)
	v_cmp_eq_u32_e64 s0, 0, v3
	s_and_b32 exec_lo, exec_lo, s0
	s_cbranch_execz .LBB217_20
; %bb.19:
	v_bfe_u32 v2, v2, s1, 8
	s_delay_alu instid0(VALU_DEP_1)
	v_dual_mov_b32 v3, 1 :: v_dual_lshlrev_b32 v2, 2, v2
	ds_add_u32 v2, v3
.LBB217_20:
	s_or_b32 exec_lo, exec_lo, s5
.LBB217_21:
	v_mov_b32_e32 v2, 0
	s_waitcnt lgkmcnt(0)
	s_barrier
	buffer_gl0_inv
	s_and_saveexec_b32 s0, vcc_lo
	s_cbranch_execz .LBB217_23
; %bb.22:
	ds_load_b32 v2, v1
.LBB217_23:
	s_or_b32 exec_lo, exec_lo, s0
	s_and_saveexec_b32 s0, vcc_lo
	s_cbranch_execz .LBB217_25
; %bb.24:
	v_lshl_or_b32 v0, s16, 8, v0
	v_mov_b32_e32 v1, 0
	s_delay_alu instid0(VALU_DEP_1) | instskip(NEXT) | instid1(VALU_DEP_1)
	v_lshlrev_b64 v[0:1], 1, v[0:1]
	v_add_co_u32 v0, vcc_lo, s6, v0
	s_delay_alu instid0(VALU_DEP_2)
	v_add_co_ci_u32_e32 v1, vcc_lo, s7, v1, vcc_lo
	s_waitcnt lgkmcnt(0)
	global_store_b16 v[0:1], v2, off
.LBB217_25:
	s_nop 0
	s_sendmsg sendmsg(MSG_DEALLOC_VGPRS)
	s_endpgm
	.section	.rodata,"a",@progbits
	.p2align	6, 0x0
	.amdhsa_kernel _ZN2at6native6mbtopk23computeBlockDigitCountsIN3c108BFloat16EmjLi2EEEvNS_4cuda6detail10TensorInfoIKT_T0_EEjPjjSA_iijT1_PSD_Ps
		.amdhsa_group_segment_fixed_size 1024
		.amdhsa_private_segment_fixed_size 0
		.amdhsa_kernarg_size 736
		.amdhsa_user_sgpr_count 13
		.amdhsa_user_sgpr_dispatch_ptr 0
		.amdhsa_user_sgpr_queue_ptr 0
		.amdhsa_user_sgpr_kernarg_segment_ptr 1
		.amdhsa_user_sgpr_dispatch_id 0
		.amdhsa_user_sgpr_private_segment_size 0
		.amdhsa_wavefront_size32 1
		.amdhsa_uses_dynamic_stack 0
		.amdhsa_enable_private_segment 0
		.amdhsa_system_sgpr_workgroup_id_x 1
		.amdhsa_system_sgpr_workgroup_id_y 1
		.amdhsa_system_sgpr_workgroup_id_z 1
		.amdhsa_system_sgpr_workgroup_info 0
		.amdhsa_system_vgpr_workitem_id 0
		.amdhsa_next_free_vgpr 11
		.amdhsa_next_free_sgpr 25
		.amdhsa_reserve_vcc 1
		.amdhsa_float_round_mode_32 0
		.amdhsa_float_round_mode_16_64 0
		.amdhsa_float_denorm_mode_32 3
		.amdhsa_float_denorm_mode_16_64 3
		.amdhsa_dx10_clamp 1
		.amdhsa_ieee_mode 1
		.amdhsa_fp16_overflow 0
		.amdhsa_workgroup_processor_mode 1
		.amdhsa_memory_ordered 1
		.amdhsa_forward_progress 0
		.amdhsa_shared_vgpr_count 0
		.amdhsa_exception_fp_ieee_invalid_op 0
		.amdhsa_exception_fp_denorm_src 0
		.amdhsa_exception_fp_ieee_div_zero 0
		.amdhsa_exception_fp_ieee_overflow 0
		.amdhsa_exception_fp_ieee_underflow 0
		.amdhsa_exception_fp_ieee_inexact 0
		.amdhsa_exception_int_div_zero 0
	.end_amdhsa_kernel
	.section	.text._ZN2at6native6mbtopk23computeBlockDigitCountsIN3c108BFloat16EmjLi2EEEvNS_4cuda6detail10TensorInfoIKT_T0_EEjPjjSA_iijT1_PSD_Ps,"axG",@progbits,_ZN2at6native6mbtopk23computeBlockDigitCountsIN3c108BFloat16EmjLi2EEEvNS_4cuda6detail10TensorInfoIKT_T0_EEjPjjSA_iijT1_PSD_Ps,comdat
.Lfunc_end217:
	.size	_ZN2at6native6mbtopk23computeBlockDigitCountsIN3c108BFloat16EmjLi2EEEvNS_4cuda6detail10TensorInfoIKT_T0_EEjPjjSA_iijT1_PSD_Ps, .Lfunc_end217-_ZN2at6native6mbtopk23computeBlockDigitCountsIN3c108BFloat16EmjLi2EEEvNS_4cuda6detail10TensorInfoIKT_T0_EEjPjjSA_iijT1_PSD_Ps
                                        ; -- End function
	.section	.AMDGPU.csdata,"",@progbits
; Kernel info:
; codeLenInByte = 1472
; NumSgprs: 27
; NumVgprs: 11
; ScratchSize: 0
; MemoryBound: 0
; FloatMode: 240
; IeeeMode: 1
; LDSByteSize: 1024 bytes/workgroup (compile time only)
; SGPRBlocks: 3
; VGPRBlocks: 1
; NumSGPRsForWavesPerEU: 27
; NumVGPRsForWavesPerEU: 11
; Occupancy: 16
; WaveLimiterHint : 1
; COMPUTE_PGM_RSRC2:SCRATCH_EN: 0
; COMPUTE_PGM_RSRC2:USER_SGPR: 13
; COMPUTE_PGM_RSRC2:TRAP_HANDLER: 0
; COMPUTE_PGM_RSRC2:TGID_X_EN: 1
; COMPUTE_PGM_RSRC2:TGID_Y_EN: 1
; COMPUTE_PGM_RSRC2:TGID_Z_EN: 1
; COMPUTE_PGM_RSRC2:TIDIG_COMP_CNT: 0
	.section	.text._ZN2at6native6mbtopk10gatherTopKIN3c108BFloat16EmLi2EEEvNS_4cuda6detail10TensorInfoIKT_T0_EESA_SA_bjSA_NS7_IS8_SA_EESA_NS7_IlSA_EESA_jjPS8_PjSF_j,"axG",@progbits,_ZN2at6native6mbtopk10gatherTopKIN3c108BFloat16EmLi2EEEvNS_4cuda6detail10TensorInfoIKT_T0_EESA_SA_bjSA_NS7_IS8_SA_EESA_NS7_IlSA_EESA_jjPS8_PjSF_j,comdat
	.protected	_ZN2at6native6mbtopk10gatherTopKIN3c108BFloat16EmLi2EEEvNS_4cuda6detail10TensorInfoIKT_T0_EESA_SA_bjSA_NS7_IS8_SA_EESA_NS7_IlSA_EESA_jjPS8_PjSF_j ; -- Begin function _ZN2at6native6mbtopk10gatherTopKIN3c108BFloat16EmLi2EEEvNS_4cuda6detail10TensorInfoIKT_T0_EESA_SA_bjSA_NS7_IS8_SA_EESA_NS7_IlSA_EESA_jjPS8_PjSF_j
	.globl	_ZN2at6native6mbtopk10gatherTopKIN3c108BFloat16EmLi2EEEvNS_4cuda6detail10TensorInfoIKT_T0_EESA_SA_bjSA_NS7_IS8_SA_EESA_NS7_IlSA_EESA_jjPS8_PjSF_j
	.p2align	8
	.type	_ZN2at6native6mbtopk10gatherTopKIN3c108BFloat16EmLi2EEEvNS_4cuda6detail10TensorInfoIKT_T0_EESA_SA_bjSA_NS7_IS8_SA_EESA_NS7_IlSA_EESA_jjPS8_PjSF_j,@function
_ZN2at6native6mbtopk10gatherTopKIN3c108BFloat16EmLi2EEEvNS_4cuda6detail10TensorInfoIKT_T0_EESA_SA_bjSA_NS7_IS8_SA_EESA_NS7_IlSA_EESA_jjPS8_PjSF_j: ; @_ZN2at6native6mbtopk10gatherTopKIN3c108BFloat16EmLi2EEEvNS_4cuda6detail10TensorInfoIKT_T0_EESA_SA_bjSA_NS7_IS8_SA_EESA_NS7_IlSA_EESA_jjPS8_PjSF_j
; %bb.0:
	s_clause 0x1
	s_load_b64 s[2:3], s[0:1], 0x538
	s_load_b32 s4, s[0:1], 0x530
	s_waitcnt lgkmcnt(0)
	s_mul_i32 s3, s3, s15
	s_delay_alu instid0(SALU_CYCLE_1) | instskip(NEXT) | instid1(SALU_CYCLE_1)
	s_add_i32 s3, s3, s14
	s_mul_i32 s2, s3, s2
	s_delay_alu instid0(SALU_CYCLE_1) | instskip(NEXT) | instid1(SALU_CYCLE_1)
	s_add_i32 s2, s2, s13
	s_cmp_ge_u32 s2, s4
	s_cbranch_scc1 .LBB218_48
; %bb.1:
	s_clause 0x1
	s_load_b64 s[28:29], s[0:1], 0x510
	s_load_b64 s[36:37], s[0:1], 0x1d0
	s_mov_b32 s31, 0
	s_waitcnt lgkmcnt(0)
	v_cvt_f32_u32_e32 v1, s29
	s_sub_i32 s4, 0, s29
	s_lshl_b32 s33, s28, 8
	s_delay_alu instid0(VALU_DEP_1) | instskip(SKIP_2) | instid1(VALU_DEP_1)
	v_rcp_iflag_f32_e32 v1, v1
	s_waitcnt_depctr 0xfff
	v_mul_f32_e32 v1, 0x4f7ffffe, v1
	v_cvt_u32_f32_e32 v1, v1
	s_delay_alu instid0(VALU_DEP_1) | instskip(NEXT) | instid1(VALU_DEP_1)
	v_readfirstlane_b32 s3, v1
	s_mul_i32 s4, s4, s3
	s_delay_alu instid0(SALU_CYCLE_1) | instskip(NEXT) | instid1(SALU_CYCLE_1)
	s_mul_hi_u32 s4, s3, s4
	s_add_i32 s3, s3, s4
	s_clause 0x1
	s_load_b128 s[4:7], s[0:1], 0x1a0
	s_load_b64 s[34:35], s[0:1], 0x10
	s_mul_hi_u32 s3, s2, s3
	s_delay_alu instid0(SALU_CYCLE_1) | instskip(SKIP_2) | instid1(SALU_CYCLE_1)
	s_mul_i32 s8, s3, s29
	s_add_i32 s9, s3, 1
	s_sub_i32 s8, s2, s8
	s_sub_i32 s10, s8, s29
	s_cmp_ge_u32 s8, s29
	s_cselect_b32 s3, s9, s3
	s_cselect_b32 s8, s10, s8
	s_add_i32 s9, s3, 1
	s_cmp_ge_u32 s8, s29
	s_cselect_b32 s30, s9, s3
	s_delay_alu instid0(SALU_CYCLE_1) | instskip(NEXT) | instid1(SALU_CYCLE_1)
	s_mul_i32 s16, s30, s29
	s_sub_i32 s48, s2, s16
	s_delay_alu instid0(SALU_CYCLE_1) | instskip(NEXT) | instid1(SALU_CYCLE_1)
	s_add_i32 s2, s48, 1
	s_cmp_lt_u32 s2, s29
	s_cbranch_scc1 .LBB218_3
; %bb.2:
	s_mul_i32 s2, s48, s33
	s_waitcnt lgkmcnt(0)
	s_sub_u32 s2, s4, s2
	s_subb_u32 s3, s5, 0
	s_add_u32 s2, s2, 0xff
	s_addc_u32 s3, s3, 0
	s_delay_alu instid0(SALU_CYCLE_1) | instskip(NEXT) | instid1(SALU_CYCLE_1)
	s_ashr_i32 s8, s3, 31
	s_lshr_b32 s8, s8, 24
	s_delay_alu instid0(SALU_CYCLE_1) | instskip(SKIP_1) | instid1(SALU_CYCLE_1)
	s_add_u32 s2, s2, s8
	s_addc_u32 s3, s3, 0
	v_alignbit_b32 v1, s3, s2, 8
	s_delay_alu instid0(VALU_DEP_1)
	v_readfirstlane_b32 s28, v1
.LBB218_3:
	s_load_b64 s[38:39], s[0:1], 0x378
	s_waitcnt lgkmcnt(0)
	v_cmp_lt_u64_e64 s2, s[30:31], s[34:35]
	s_mov_b64 s[40:41], 0
	s_mov_b64 s[42:43], 0
	s_delay_alu instid0(VALU_DEP_1)
	s_and_b32 vcc_lo, exec_lo, s2
	s_cbranch_vccz .LBB218_20
; %bb.4:
	v_cmp_lt_u64_e64 s2, s[30:31], s[36:37]
	s_delay_alu instid0(VALU_DEP_1)
	s_and_b32 vcc_lo, exec_lo, s2
	s_cbranch_vccz .LBB218_21
.LBB218_5:
	v_cmp_lt_u64_e64 s2, s[30:31], s[38:39]
	s_mov_b64 s[44:45], 0
	s_delay_alu instid0(VALU_DEP_1)
	s_and_b32 vcc_lo, exec_lo, s2
	s_cbranch_vccnz .LBB218_7
.LBB218_6:
	v_cvt_f32_u32_e32 v1, s38
	s_sub_i32 s3, 0, s38
	s_waitcnt_depctr 0xfff
	v_rcp_iflag_f32_e32 v1, v1
	s_waitcnt_depctr 0xfff
	v_mul_f32_e32 v1, 0x4f7ffffe, v1
	s_delay_alu instid0(VALU_DEP_1) | instskip(NEXT) | instid1(VALU_DEP_1)
	v_cvt_u32_f32_e32 v1, v1
	v_readfirstlane_b32 s2, v1
	s_delay_alu instid0(VALU_DEP_1) | instskip(NEXT) | instid1(SALU_CYCLE_1)
	s_mul_i32 s3, s3, s2
	s_mul_hi_u32 s3, s2, s3
	s_delay_alu instid0(SALU_CYCLE_1) | instskip(NEXT) | instid1(SALU_CYCLE_1)
	s_add_i32 s2, s2, s3
	s_mul_hi_u32 s2, s30, s2
	s_delay_alu instid0(SALU_CYCLE_1) | instskip(SKIP_2) | instid1(SALU_CYCLE_1)
	s_mul_i32 s3, s2, s38
	s_add_i32 s8, s2, 1
	s_sub_i32 s3, s30, s3
	s_sub_i32 s9, s3, s38
	s_cmp_ge_u32 s3, s38
	s_cselect_b32 s2, s8, s2
	s_cselect_b32 s3, s9, s3
	s_add_i32 s8, s2, 1
	s_cmp_ge_u32 s3, s38
	s_cselect_b32 s44, s8, s2
.LBB218_7:
	s_clause 0x1
	s_load_b128 s[8:11], s[0:1], 0x518
	s_load_b64 s[46:47], s[0:1], 0x0
	s_lshl_b64 s[2:3], s[30:31], 1
	v_mov_b32_e32 v1, 0
	s_mov_b32 s17, 0
	s_waitcnt lgkmcnt(0)
	s_add_u32 s2, s8, s2
	s_addc_u32 s3, s9, s3
	global_load_u16 v1, v1, s[2:3]
	v_cmp_ne_u32_e64 s2, 0, v0
	v_cmp_eq_u32_e64 s3, 0, v0
	s_waitcnt vmcnt(0)
	v_readfirstlane_b32 s31, v1
	s_delay_alu instid0(VALU_DEP_2)
	s_and_saveexec_b32 s22, s3
	s_cbranch_execz .LBB218_25
; %bb.8:
	s_load_b64 s[8:9], s[0:1], 0x528
	s_lshl_b64 s[18:19], s[16:17], 2
	s_mov_b32 s16, 0
	s_add_u32 s12, s10, s18
	s_addc_u32 s13, s11, s19
	s_mov_b32 s23, 0
	s_waitcnt lgkmcnt(0)
	s_add_u32 s14, s8, s18
	s_addc_u32 s15, s9, s19
	s_cmp_lt_u32 s29, 4
	s_cbranch_scc1 .LBB218_22
; %bb.9:
	s_mov_b32 s24, 0
.LBB218_10:                             ; =>This Inner Loop Header: Depth=1
	s_add_u32 s12, s10, s18
	s_addc_u32 s13, s11, s19
	s_add_u32 s20, s8, s18
	s_load_b128 s[12:15], s[12:13], 0x0
	s_addc_u32 s21, s9, s19
	s_cmp_ge_u32 s24, s48
	s_cbranch_scc0 .LBB218_17
; %bb.11:                               ;   in Loop: Header=BB218_10 Depth=1
	s_add_i32 s25, s24, 1
	s_delay_alu instid0(SALU_CYCLE_1)
	s_cmp_ge_u32 s25, s48
	s_cbranch_scc0 .LBB218_18
.LBB218_12:                             ;   in Loop: Header=BB218_10 Depth=1
	s_add_i32 s25, s25, 1
	s_delay_alu instid0(SALU_CYCLE_1)
	s_cmp_ge_u32 s25, s48
	s_cbranch_scc0 .LBB218_19
.LBB218_13:                             ;   in Loop: Header=BB218_10 Depth=1
	s_add_i32 s25, s25, 1
	s_delay_alu instid0(SALU_CYCLE_1)
	s_cmp_ge_u32 s25, s48
	s_cbranch_scc1 .LBB218_15
.LBB218_14:                             ;   in Loop: Header=BB218_10 Depth=1
	s_load_b32 s20, s[20:21], 0xc
	s_waitcnt lgkmcnt(0)
	s_add_i32 s17, s17, s15
	s_add_i32 s16, s20, s16
.LBB218_15:                             ;   in Loop: Header=BB218_10 Depth=1
	s_waitcnt lgkmcnt(0)
	s_add_i32 s12, s12, s23
	s_delay_alu instid0(SALU_CYCLE_1) | instskip(NEXT) | instid1(SALU_CYCLE_1)
	s_add_i32 s12, s12, s13
	s_add_i32 s12, s12, s14
	s_delay_alu instid0(SALU_CYCLE_1)
	s_add_i32 s23, s12, s15
	s_add_u32 s10, s10, 16
	s_addc_u32 s11, s11, 0
	s_add_u32 s8, s8, 16
	s_addc_u32 s9, s9, 0
	s_add_i32 s21, s25, 4
	s_add_u32 s14, s8, s18
	s_addc_u32 s15, s9, s19
	s_add_u32 s12, s10, s18
	s_addc_u32 s13, s11, s19
	s_add_i32 s20, s25, 1
	s_cmp_ge_u32 s21, s29
	s_cbranch_scc1 .LBB218_23
; %bb.16:                               ;   in Loop: Header=BB218_10 Depth=1
	s_mov_b32 s24, s20
	s_branch .LBB218_10
.LBB218_17:                             ;   in Loop: Header=BB218_10 Depth=1
	s_load_b32 s25, s[20:21], 0x0
	s_waitcnt lgkmcnt(0)
	s_add_i32 s17, s12, s17
	s_add_i32 s16, s25, s16
	s_add_i32 s25, s24, 1
	s_delay_alu instid0(SALU_CYCLE_1)
	s_cmp_ge_u32 s25, s48
	s_cbranch_scc1 .LBB218_12
.LBB218_18:                             ;   in Loop: Header=BB218_10 Depth=1
	s_load_b32 s26, s[20:21], 0x4
	s_waitcnt lgkmcnt(0)
	s_add_i32 s17, s17, s13
	s_add_i32 s16, s26, s16
	s_add_i32 s25, s25, 1
	s_delay_alu instid0(SALU_CYCLE_1)
	s_cmp_ge_u32 s25, s48
	s_cbranch_scc1 .LBB218_13
.LBB218_19:                             ;   in Loop: Header=BB218_10 Depth=1
	s_load_b32 s26, s[20:21], 0x8
	s_waitcnt lgkmcnt(0)
	s_add_i32 s17, s17, s14
	s_add_i32 s16, s26, s16
	;; [unrolled: 1-line block ×3, first 2 shown]
	s_delay_alu instid0(SALU_CYCLE_1)
	s_cmp_ge_u32 s25, s48
	s_cbranch_scc0 .LBB218_14
	s_branch .LBB218_15
.LBB218_20:
	v_cvt_f32_u32_e32 v1, s34
	s_sub_i32 s3, 0, s34
	s_delay_alu instid0(VALU_DEP_1) | instskip(SKIP_2) | instid1(VALU_DEP_1)
	v_rcp_iflag_f32_e32 v1, v1
	s_waitcnt_depctr 0xfff
	v_mul_f32_e32 v1, 0x4f7ffffe, v1
	v_cvt_u32_f32_e32 v1, v1
	s_delay_alu instid0(VALU_DEP_1) | instskip(NEXT) | instid1(VALU_DEP_1)
	v_readfirstlane_b32 s2, v1
	s_mul_i32 s3, s3, s2
	s_delay_alu instid0(SALU_CYCLE_1) | instskip(NEXT) | instid1(SALU_CYCLE_1)
	s_mul_hi_u32 s3, s2, s3
	s_add_i32 s2, s2, s3
	s_delay_alu instid0(SALU_CYCLE_1) | instskip(NEXT) | instid1(SALU_CYCLE_1)
	s_mul_hi_u32 s2, s30, s2
	s_mul_i32 s3, s2, s34
	s_add_i32 s8, s2, 1
	s_sub_i32 s3, s30, s3
	s_delay_alu instid0(SALU_CYCLE_1)
	s_sub_i32 s9, s3, s34
	s_cmp_ge_u32 s3, s34
	s_cselect_b32 s2, s8, s2
	s_cselect_b32 s3, s9, s3
	s_add_i32 s8, s2, 1
	s_cmp_ge_u32 s3, s34
	s_cselect_b32 s42, s8, s2
	v_cmp_lt_u64_e64 s2, s[30:31], s[36:37]
	s_delay_alu instid0(VALU_DEP_1)
	s_and_b32 vcc_lo, exec_lo, s2
	s_cbranch_vccnz .LBB218_5
.LBB218_21:
	v_cvt_f32_u32_e32 v1, s36
	s_sub_i32 s3, 0, s36
	s_delay_alu instid0(VALU_DEP_1) | instskip(SKIP_2) | instid1(VALU_DEP_1)
	v_rcp_iflag_f32_e32 v1, v1
	s_waitcnt_depctr 0xfff
	v_mul_f32_e32 v1, 0x4f7ffffe, v1
	v_cvt_u32_f32_e32 v1, v1
	s_delay_alu instid0(VALU_DEP_1) | instskip(NEXT) | instid1(VALU_DEP_1)
	v_readfirstlane_b32 s2, v1
	s_mul_i32 s3, s3, s2
	s_delay_alu instid0(SALU_CYCLE_1) | instskip(NEXT) | instid1(SALU_CYCLE_1)
	s_mul_hi_u32 s3, s2, s3
	s_add_i32 s2, s2, s3
	s_delay_alu instid0(SALU_CYCLE_1) | instskip(NEXT) | instid1(SALU_CYCLE_1)
	s_mul_hi_u32 s2, s30, s2
	s_mul_i32 s3, s2, s36
	s_add_i32 s8, s2, 1
	s_sub_i32 s3, s30, s3
	s_delay_alu instid0(SALU_CYCLE_1)
	s_sub_i32 s9, s3, s36
	s_cmp_ge_u32 s3, s36
	s_cselect_b32 s2, s8, s2
	s_cselect_b32 s3, s9, s3
	s_add_i32 s8, s2, 1
	s_cmp_ge_u32 s3, s36
	s_cselect_b32 s40, s8, s2
	v_cmp_lt_u64_e64 s2, s[30:31], s[38:39]
	s_mov_b64 s[44:45], 0
	s_delay_alu instid0(VALU_DEP_1)
	s_and_b32 vcc_lo, exec_lo, s2
	s_cbranch_vccz .LBB218_6
	s_branch .LBB218_7
.LBB218_22:
	s_mov_b32 s8, 0
	s_delay_alu instid0(SALU_CYCLE_1)
	s_cmp_ge_u32 s8, s29
	s_cbranch_scc0 .LBB218_46
	s_branch .LBB218_24
.LBB218_23:
	s_add_i32 s8, s24, 4
	s_delay_alu instid0(SALU_CYCLE_1)
	s_cmp_ge_u32 s8, s29
	s_cbranch_scc0 .LBB218_46
.LBB218_24:
	v_dual_mov_b32 v1, s16 :: v_dual_mov_b32 v2, s23
	v_dual_mov_b32 v3, s17 :: v_dual_mov_b32 v4, 0
	ds_store_b96 v4, v[1:3] offset:1056
.LBB218_25:
	s_or_b32 exec_lo, exec_lo, s22
	s_clause 0x4
	s_load_b128 s[8:11], s[0:1], 0x1b8
	s_load_b128 s[24:27], s[0:1], 0xd0
	;; [unrolled: 1-line block ×5, first 2 shown]
	s_cmp_eq_u32 s28, 0
	s_waitcnt lgkmcnt(0)
	s_barrier
	buffer_gl0_inv
	s_cbranch_scc1 .LBB218_48
; %bb.26:
	s_mul_i32 s29, s40, s37
	s_mul_hi_u32 s37, s40, s36
	s_mul_i32 s36, s40, s36
	s_add_i32 s37, s37, s29
	s_sub_u32 s29, s30, s36
	s_subb_u32 s37, 0, s37
	s_mul_i32 s23, s29, s23
	s_mul_hi_u32 s36, s29, s22
	s_mul_i32 s37, s37, s22
	s_add_i32 s23, s36, s23
	s_mul_i32 s36, s40, s21
	s_mul_hi_u32 s41, s40, s20
	s_add_i32 s21, s23, s37
	s_mul_i32 s23, s42, s35
	s_mul_hi_u32 s35, s42, s34
	s_mul_i32 s34, s42, s34
	s_add_i32 s37, s41, s36
	s_add_i32 s35, s35, s23
	s_sub_u32 s23, s30, s34
	s_subb_u32 s35, 0, s35
	s_mul_i32 s27, s23, s27
	s_mul_hi_u32 s34, s23, s26
	s_mul_i32 s35, s35, s26
	s_add_i32 s27, s34, s27
	s_mul_i32 s25, s42, s25
	s_mul_hi_u32 s34, s42, s24
	s_add_i32 s27, s27, s35
	s_add_i32 s25, s34, s25
	s_mul_i32 s34, s44, s39
	s_mul_hi_u32 s35, s44, s38
	s_mul_i32 s36, s44, s38
	s_add_i32 s35, s35, s34
	s_sub_u32 s30, s30, s36
	s_mul_i32 s26, s23, s26
	s_mul_i32 s19, s30, s19
	s_mul_hi_u32 s23, s30, s18
	s_subb_u32 s34, 0, s35
	s_add_i32 s19, s23, s19
	s_mul_i32 s34, s34, s18
	s_mul_i32 s24, s42, s24
	s_add_i32 s23, s19, s34
	s_mul_i32 s17, s44, s17
	s_mul_hi_u32 s19, s44, s16
	s_lshl_b64 s[24:25], s[24:25], 1
	s_add_i32 s35, s19, s17
	s_add_u32 s17, s46, s24
	s_addc_u32 s19, s47, s25
	s_lshl_b64 s[24:25], s[26:27], 1
	s_mul_i32 s36, s40, s20
	s_add_u32 s17, s17, s24
	s_addc_u32 s19, s19, s25
	s_lshl_b64 s[24:25], s[36:37], 1
	v_dual_mov_b32 v5, 0 :: v_dual_add_nc_u32 v10, -1, v0
	s_mul_i32 s20, s29, s22
	s_add_u32 s22, s10, s24
	s_addc_u32 s24, s11, s25
	s_lshl_b64 s[10:11], s[20:21], 1
	s_mul_i32 s34, s44, s16
	s_add_u32 s16, s22, s10
	ds_load_b96 v[1:3], v5 offset:1056
	s_addc_u32 s20, s24, s11
	s_lshl_b64 s[10:11], s[34:35], 3
	s_mul_i32 s22, s30, s18
	s_add_u32 s14, s14, s10
	s_addc_u32 s15, s15, s11
	s_lshl_b64 s[10:11], s[22:23], 3
	s_load_b32 s21, s[0:1], 0x1b0
	s_add_u32 s14, s14, s10
	s_sext_i32_i16 s10, s31
	s_addc_u32 s15, s15, s11
	s_and_b32 s11, 0xffff, s31
	s_cmp_gt_i32 s10, -1
	s_mov_b32 s10, 0x8000
	v_lshrrev_b32_e32 v4, 5, v0
	s_cselect_b32 s10, s10, 0xffff
	s_lshl_b32 s18, s31, 16
	s_xor_b32 s10, s10, s11
	v_cmp_o_f32_e64 s18, s18, s18
	s_waitcnt lgkmcnt(0)
	v_dual_mov_b32 v14, 0x8000 :: v_dual_add_nc_u32 v1, v1, v2
	v_add_lshl_u32 v8, v4, v0, 2
	v_lshlrev_b32_e32 v2, 3, v0
	s_and_b32 s11, s18, exec_lo
	s_cselect_b32 s18, s10, 0xffff
	s_load_b64 s[10:11], s[0:1], 0x508
	v_mad_u64_u32 v[6:7], null, s48, s33, v[0:1]
	v_lshrrev_b32_e32 v4, 2, v0
	v_lshrrev_b32_e32 v11, 5, v10
	v_mbcnt_lo_u32_b32 v9, -1, 0
	v_cmp_gt_u32_e64 s0, 32, v0
	s_bitcmp1_b32 s21, 0
	v_add_lshl_u32 v0, v4, v2, 2
	v_add_lshl_u32 v10, v11, v10, 2
	v_dual_mov_b32 v4, v6 :: v_dual_and_b32 v11, 15, v9
	v_bfe_i32 v12, v9, 4, 1
	v_add_nc_u32_e32 v13, -1, v9
	s_cselect_b32 s1, -1, 0
                                        ; implicit-def: $vgpr15
	s_branch .LBB218_29
.LBB218_27:                             ;   in Loop: Header=BB218_29 Depth=1
	s_or_b32 exec_lo, exec_lo, s21
	v_add_nc_u32_e32 v1, v2, v1
.LBB218_28:                             ;   in Loop: Header=BB218_29 Depth=1
	v_add_nc_u32_e32 v3, v16, v3
	v_add_nc_u32_e32 v4, 0x100, v4
	s_add_i32 s28, s28, -1
	s_delay_alu instid0(SALU_CYCLE_1)
	s_cmp_lg_u32 s28, 0
	s_cbranch_scc0 .LBB218_48
.LBB218_29:                             ; =>This Inner Loop Header: Depth=1
	v_mov_b32_e32 v2, v5
	v_mov_b32_e32 v6, v5
	s_mov_b32 s21, exec_lo
	v_cmpx_gt_u64_e64 s[4:5], v[4:5]
	s_cbranch_execz .LBB218_31
; %bb.30:                               ;   in Loop: Header=BB218_29 Depth=1
	v_mad_u64_u32 v[6:7], null, v4, s8, 0
	s_delay_alu instid0(VALU_DEP_1) | instskip(NEXT) | instid1(VALU_DEP_1)
	v_mov_b32_e32 v2, v7
	v_mad_u64_u32 v[15:16], null, v4, s9, v[2:3]
	s_delay_alu instid0(VALU_DEP_1) | instskip(NEXT) | instid1(VALU_DEP_1)
	v_mov_b32_e32 v7, v15
	v_lshlrev_b64 v[6:7], 1, v[6:7]
	s_delay_alu instid0(VALU_DEP_1) | instskip(NEXT) | instid1(VALU_DEP_2)
	v_add_co_u32 v6, vcc_lo, s17, v6
	v_add_co_ci_u32_e32 v7, vcc_lo, s19, v7, vcc_lo
	global_load_u16 v15, v[6:7], off
	s_waitcnt vmcnt(0)
	v_and_b32_e32 v2, 0xffff, v15
	v_cmp_lt_i16_e32 vcc_lo, -1, v15
	v_dual_cndmask_b32 v6, 0xffff, v14 :: v_dual_lshlrev_b32 v7, 16, v15
	s_delay_alu instid0(VALU_DEP_1) | instskip(NEXT) | instid1(VALU_DEP_2)
	v_cmp_o_f32_e32 vcc_lo, v7, v7
	v_xor_b32_e32 v2, v6, v2
	s_delay_alu instid0(VALU_DEP_1) | instskip(NEXT) | instid1(VALU_DEP_1)
	v_cndmask_b32_e32 v6, 0xffff, v2, vcc_lo
	v_cmp_lt_u32_e32 vcc_lo, s18, v6
	v_cndmask_b32_e64 v2, 0, 1, vcc_lo
	v_cmp_gt_u32_e32 vcc_lo, s18, v6
	v_cndmask_b32_e64 v7, 0, 1, vcc_lo
	v_cmp_eq_u32_e32 vcc_lo, s18, v6
	s_delay_alu instid0(VALU_DEP_2) | instskip(SKIP_1) | instid1(VALU_DEP_2)
	v_cndmask_b32_e64 v2, v7, v2, s1
	v_cndmask_b32_e64 v6, 0, 1, vcc_lo
	v_and_b32_e32 v2, 1, v2
.LBB218_31:                             ;   in Loop: Header=BB218_29 Depth=1
	s_or_b32 exec_lo, exec_lo, s21
	ds_store_b32 v8, v2
	s_waitcnt lgkmcnt(0)
	s_waitcnt_vscnt null, 0x0
	s_barrier
	buffer_gl0_inv
	s_and_saveexec_b32 s21, s0
	s_cbranch_execz .LBB218_33
; %bb.32:                               ;   in Loop: Header=BB218_29 Depth=1
	ds_load_2addr_b32 v[16:17], v0 offset1:1
	ds_load_2addr_b32 v[18:19], v0 offset0:2 offset1:3
	ds_load_2addr_b32 v[20:21], v0 offset0:4 offset1:5
	;; [unrolled: 1-line block ×3, first 2 shown]
	v_cmp_ne_u32_e32 vcc_lo, 0, v11
	; wave barrier
	s_waitcnt lgkmcnt(3)
	v_add_nc_u32_e32 v7, v17, v16
	s_waitcnt lgkmcnt(2)
	s_delay_alu instid0(VALU_DEP_1) | instskip(SKIP_1) | instid1(VALU_DEP_1)
	v_add3_u32 v7, v7, v18, v19
	s_waitcnt lgkmcnt(1)
	v_add3_u32 v7, v7, v20, v21
	s_waitcnt lgkmcnt(0)
	s_delay_alu instid0(VALU_DEP_1) | instskip(NEXT) | instid1(VALU_DEP_1)
	v_add3_u32 v7, v7, v22, v23
	v_mov_b32_dpp v17, v7 row_shr:1 row_mask:0xf bank_mask:0xf
	s_delay_alu instid0(VALU_DEP_1) | instskip(SKIP_1) | instid1(VALU_DEP_2)
	v_cndmask_b32_e32 v17, 0, v17, vcc_lo
	v_cmp_lt_u32_e32 vcc_lo, 1, v11
	v_add_nc_u32_e32 v7, v17, v7
	s_delay_alu instid0(VALU_DEP_1) | instskip(NEXT) | instid1(VALU_DEP_1)
	v_mov_b32_dpp v17, v7 row_shr:2 row_mask:0xf bank_mask:0xf
	v_cndmask_b32_e32 v17, 0, v17, vcc_lo
	v_cmp_lt_u32_e32 vcc_lo, 3, v11
	s_delay_alu instid0(VALU_DEP_2) | instskip(NEXT) | instid1(VALU_DEP_1)
	v_add_nc_u32_e32 v7, v7, v17
	v_mov_b32_dpp v17, v7 row_shr:4 row_mask:0xf bank_mask:0xf
	s_delay_alu instid0(VALU_DEP_1) | instskip(SKIP_1) | instid1(VALU_DEP_2)
	v_cndmask_b32_e32 v17, 0, v17, vcc_lo
	v_cmp_lt_u32_e32 vcc_lo, 7, v11
	v_add_nc_u32_e32 v7, v7, v17
	s_delay_alu instid0(VALU_DEP_1) | instskip(NEXT) | instid1(VALU_DEP_1)
	v_mov_b32_dpp v17, v7 row_shr:8 row_mask:0xf bank_mask:0xf
	v_cndmask_b32_e32 v17, 0, v17, vcc_lo
	v_cmp_gt_i32_e32 vcc_lo, 0, v13
	s_delay_alu instid0(VALU_DEP_2)
	v_add_nc_u32_e32 v7, v7, v17
	v_cndmask_b32_e32 v18, v13, v9, vcc_lo
	ds_swizzle_b32 v17, v7 offset:swizzle(BROADCAST,32,15)
	v_lshlrev_b32_e32 v18, 2, v18
	s_waitcnt lgkmcnt(0)
	v_and_b32_e32 v17, v12, v17
	s_delay_alu instid0(VALU_DEP_1) | instskip(SKIP_3) | instid1(VALU_DEP_1)
	v_add_nc_u32_e32 v7, v7, v17
	ds_bpermute_b32 v7, v18, v7
	s_waitcnt lgkmcnt(0)
	v_add_nc_u32_e32 v7, v7, v16
	v_cndmask_b32_e64 v7, v7, v2, s3
	ds_store_b32 v0, v7
	; wave barrier
	ds_load_2addr_b32 v[16:17], v0 offset0:1 offset1:2
	ds_load_2addr_b32 v[18:19], v0 offset0:3 offset1:4
	;; [unrolled: 1-line block ×3, first 2 shown]
	ds_load_b32 v22, v0 offset:28
	s_waitcnt lgkmcnt(3)
	v_add_nc_u32_e32 v7, v16, v7
	s_delay_alu instid0(VALU_DEP_1) | instskip(SKIP_1) | instid1(VALU_DEP_1)
	v_add_nc_u32_e32 v16, v17, v7
	s_waitcnt lgkmcnt(2)
	v_add_nc_u32_e32 v17, v18, v16
	s_delay_alu instid0(VALU_DEP_1) | instskip(SKIP_1) | instid1(VALU_DEP_1)
	v_add_nc_u32_e32 v18, v19, v17
	;; [unrolled: 4-line block ×3, first 2 shown]
	s_waitcnt lgkmcnt(0)
	v_add_nc_u32_e32 v21, v22, v20
	ds_store_2addr_b32 v0, v7, v16 offset0:1 offset1:2
	ds_store_2addr_b32 v0, v17, v18 offset0:3 offset1:4
	;; [unrolled: 1-line block ×3, first 2 shown]
	ds_store_b32 v0, v21 offset:28
.LBB218_33:                             ;   in Loop: Header=BB218_29 Depth=1
	s_or_b32 exec_lo, exec_lo, s21
	v_mov_b32_e32 v7, 0
	s_waitcnt lgkmcnt(0)
	s_barrier
	buffer_gl0_inv
	s_and_saveexec_b32 s21, s2
	s_cbranch_execz .LBB218_35
; %bb.34:                               ;   in Loop: Header=BB218_29 Depth=1
	ds_load_b32 v7, v10
.LBB218_35:                             ;   in Loop: Header=BB218_29 Depth=1
	s_or_b32 exec_lo, exec_lo, s21
	ds_load_b32 v16, v5 offset:1048
	s_mov_b32 s21, exec_lo
	s_waitcnt lgkmcnt(0)
	s_barrier
	buffer_gl0_inv
	v_cmpx_ne_u32_e32 0, v2
	s_cbranch_execz .LBB218_37
; %bb.36:                               ;   in Loop: Header=BB218_29 Depth=1
	v_add_nc_u32_e32 v23, v7, v3
	s_delay_alu instid0(VALU_DEP_1) | instskip(NEXT) | instid1(VALU_DEP_1)
	v_mad_u64_u32 v[17:18], null, v23, s12, 0
	v_mov_b32_e32 v2, v18
	v_mad_u64_u32 v[19:20], null, v23, s10, 0
	s_delay_alu instid0(VALU_DEP_1) | instskip(NEXT) | instid1(VALU_DEP_3)
	v_mov_b32_e32 v7, v20
	v_mad_u64_u32 v[20:21], null, v23, s13, v[2:3]
	s_delay_alu instid0(VALU_DEP_2) | instskip(NEXT) | instid1(VALU_DEP_2)
	v_mad_u64_u32 v[21:22], null, v23, s11, v[7:8]
	v_mov_b32_e32 v18, v20
	s_delay_alu instid0(VALU_DEP_2) | instskip(NEXT) | instid1(VALU_DEP_2)
	v_mov_b32_e32 v20, v21
	v_lshlrev_b64 v[17:18], 1, v[17:18]
	s_delay_alu instid0(VALU_DEP_2) | instskip(NEXT) | instid1(VALU_DEP_2)
	v_lshlrev_b64 v[19:20], 3, v[19:20]
	v_add_co_u32 v17, vcc_lo, s16, v17
	s_delay_alu instid0(VALU_DEP_3) | instskip(NEXT) | instid1(VALU_DEP_3)
	v_add_co_ci_u32_e32 v18, vcc_lo, s20, v18, vcc_lo
	v_add_co_u32 v19, vcc_lo, s14, v19
	s_delay_alu instid0(VALU_DEP_4)
	v_add_co_ci_u32_e32 v20, vcc_lo, s15, v20, vcc_lo
	global_store_b16 v[17:18], v15, off
	global_store_b64 v[19:20], v[4:5], off
.LBB218_37:                             ;   in Loop: Header=BB218_29 Depth=1
	s_or_b32 exec_lo, exec_lo, s21
	v_mov_b32_e32 v2, v5
	s_delay_alu instid0(VALU_DEP_1)
	v_cmp_le_u64_e32 vcc_lo, s[6:7], v[1:2]
	s_cbranch_vccnz .LBB218_28
; %bb.38:                               ;   in Loop: Header=BB218_29 Depth=1
	ds_store_b32 v8, v6
	s_waitcnt lgkmcnt(0)
	s_waitcnt_vscnt null, 0x0
	s_barrier
	buffer_gl0_inv
	s_and_saveexec_b32 s21, s0
	s_cbranch_execz .LBB218_40
; %bb.39:                               ;   in Loop: Header=BB218_29 Depth=1
	ds_load_2addr_b32 v[17:18], v0 offset1:1
	ds_load_2addr_b32 v[19:20], v0 offset0:2 offset1:3
	ds_load_2addr_b32 v[21:22], v0 offset0:4 offset1:5
	;; [unrolled: 1-line block ×3, first 2 shown]
	v_cmp_ne_u32_e32 vcc_lo, 0, v11
	; wave barrier
	s_waitcnt lgkmcnt(3)
	v_add_nc_u32_e32 v2, v18, v17
	s_waitcnt lgkmcnt(2)
	s_delay_alu instid0(VALU_DEP_1) | instskip(SKIP_1) | instid1(VALU_DEP_1)
	v_add3_u32 v2, v2, v19, v20
	s_waitcnt lgkmcnt(1)
	v_add3_u32 v2, v2, v21, v22
	s_waitcnt lgkmcnt(0)
	s_delay_alu instid0(VALU_DEP_1) | instskip(NEXT) | instid1(VALU_DEP_1)
	v_add3_u32 v2, v2, v23, v24
	v_mov_b32_dpp v7, v2 row_shr:1 row_mask:0xf bank_mask:0xf
	s_delay_alu instid0(VALU_DEP_1) | instskip(SKIP_1) | instid1(VALU_DEP_2)
	v_cndmask_b32_e32 v7, 0, v7, vcc_lo
	v_cmp_lt_u32_e32 vcc_lo, 1, v11
	v_add_nc_u32_e32 v2, v7, v2
	s_delay_alu instid0(VALU_DEP_1) | instskip(NEXT) | instid1(VALU_DEP_1)
	v_mov_b32_dpp v7, v2 row_shr:2 row_mask:0xf bank_mask:0xf
	v_cndmask_b32_e32 v7, 0, v7, vcc_lo
	v_cmp_lt_u32_e32 vcc_lo, 3, v11
	s_delay_alu instid0(VALU_DEP_2) | instskip(NEXT) | instid1(VALU_DEP_1)
	v_add_nc_u32_e32 v2, v2, v7
	v_mov_b32_dpp v7, v2 row_shr:4 row_mask:0xf bank_mask:0xf
	s_delay_alu instid0(VALU_DEP_1) | instskip(SKIP_1) | instid1(VALU_DEP_2)
	v_cndmask_b32_e32 v7, 0, v7, vcc_lo
	v_cmp_lt_u32_e32 vcc_lo, 7, v11
	v_add_nc_u32_e32 v2, v2, v7
	s_delay_alu instid0(VALU_DEP_1) | instskip(NEXT) | instid1(VALU_DEP_1)
	v_mov_b32_dpp v7, v2 row_shr:8 row_mask:0xf bank_mask:0xf
	v_cndmask_b32_e32 v7, 0, v7, vcc_lo
	v_cmp_gt_i32_e32 vcc_lo, 0, v13
	v_cndmask_b32_e32 v18, v13, v9, vcc_lo
	s_delay_alu instid0(VALU_DEP_1) | instskip(NEXT) | instid1(VALU_DEP_4)
	v_lshlrev_b32_e32 v18, 2, v18
	v_add_nc_u32_e32 v2, v2, v7
	ds_swizzle_b32 v7, v2 offset:swizzle(BROADCAST,32,15)
	s_waitcnt lgkmcnt(0)
	v_and_b32_e32 v7, v12, v7
	s_delay_alu instid0(VALU_DEP_1) | instskip(SKIP_3) | instid1(VALU_DEP_1)
	v_add_nc_u32_e32 v2, v2, v7
	ds_bpermute_b32 v2, v18, v2
	s_waitcnt lgkmcnt(0)
	v_add_nc_u32_e32 v2, v2, v17
	v_cndmask_b32_e64 v2, v2, v6, s3
	ds_store_b32 v0, v2
	; wave barrier
	ds_load_2addr_b32 v[17:18], v0 offset0:1 offset1:2
	ds_load_2addr_b32 v[19:20], v0 offset0:3 offset1:4
	;; [unrolled: 1-line block ×3, first 2 shown]
	ds_load_b32 v7, v0 offset:28
	s_waitcnt lgkmcnt(3)
	v_add_nc_u32_e32 v2, v17, v2
	s_delay_alu instid0(VALU_DEP_1) | instskip(SKIP_1) | instid1(VALU_DEP_1)
	v_add_nc_u32_e32 v17, v18, v2
	s_waitcnt lgkmcnt(2)
	v_add_nc_u32_e32 v18, v19, v17
	s_delay_alu instid0(VALU_DEP_1) | instskip(SKIP_1) | instid1(VALU_DEP_1)
	v_add_nc_u32_e32 v19, v20, v18
	;; [unrolled: 4-line block ×3, first 2 shown]
	s_waitcnt lgkmcnt(0)
	v_add_nc_u32_e32 v7, v7, v21
	ds_store_2addr_b32 v0, v2, v17 offset0:1 offset1:2
	ds_store_2addr_b32 v0, v18, v19 offset0:3 offset1:4
	;; [unrolled: 1-line block ×3, first 2 shown]
	ds_store_b32 v0, v7 offset:28
.LBB218_40:                             ;   in Loop: Header=BB218_29 Depth=1
	s_or_b32 exec_lo, exec_lo, s21
	v_mov_b32_e32 v7, 0
	s_waitcnt lgkmcnt(0)
	s_barrier
	buffer_gl0_inv
	s_and_saveexec_b32 s21, s2
	s_cbranch_execz .LBB218_42
; %bb.41:                               ;   in Loop: Header=BB218_29 Depth=1
	ds_load_b32 v7, v10
.LBB218_42:                             ;   in Loop: Header=BB218_29 Depth=1
	s_or_b32 exec_lo, exec_lo, s21
	ds_load_b32 v2, v5 offset:1048
	s_mov_b32 s21, exec_lo
	s_waitcnt lgkmcnt(0)
	s_barrier
	buffer_gl0_inv
	v_cmpx_ne_u32_e32 0, v6
	s_cbranch_execz .LBB218_27
; %bb.43:                               ;   in Loop: Header=BB218_29 Depth=1
	v_dual_mov_b32 v7, v5 :: v_dual_add_nc_u32 v6, v7, v1
	s_delay_alu instid0(VALU_DEP_1)
	v_cmp_gt_u64_e32 vcc_lo, s[6:7], v[6:7]
	s_and_b32 exec_lo, exec_lo, vcc_lo
	s_cbranch_execz .LBB218_27
; %bb.44:                               ;   in Loop: Header=BB218_29 Depth=1
	v_mad_u64_u32 v[17:18], null, v6, s12, 0
	v_mad_u64_u32 v[19:20], null, v6, s10, 0
	s_delay_alu instid0(VALU_DEP_1) | instskip(NEXT) | instid1(VALU_DEP_1)
	v_dual_mov_b32 v7, v18 :: v_dual_mov_b32 v18, v20
	v_mad_u64_u32 v[20:21], null, v6, s13, v[7:8]
	s_delay_alu instid0(VALU_DEP_2) | instskip(NEXT) | instid1(VALU_DEP_2)
	v_mad_u64_u32 v[21:22], null, v6, s11, v[18:19]
	v_mov_b32_e32 v18, v20
	s_delay_alu instid0(VALU_DEP_2) | instskip(NEXT) | instid1(VALU_DEP_2)
	v_mov_b32_e32 v20, v21
	v_lshlrev_b64 v[6:7], 1, v[17:18]
	s_delay_alu instid0(VALU_DEP_2) | instskip(NEXT) | instid1(VALU_DEP_2)
	v_lshlrev_b64 v[17:18], 3, v[19:20]
	v_add_co_u32 v6, vcc_lo, s16, v6
	s_delay_alu instid0(VALU_DEP_3) | instskip(NEXT) | instid1(VALU_DEP_3)
	v_add_co_ci_u32_e32 v7, vcc_lo, s20, v7, vcc_lo
	v_add_co_u32 v17, vcc_lo, s14, v17
	s_delay_alu instid0(VALU_DEP_4)
	v_add_co_ci_u32_e32 v18, vcc_lo, s15, v18, vcc_lo
	global_store_b16 v[6:7], v15, off
	global_store_b64 v[17:18], v[4:5], off
	s_branch .LBB218_27
	.p2align	6
.LBB218_45:                             ;   in Loop: Header=BB218_46 Depth=1
	s_add_u32 s12, s12, 4
	s_addc_u32 s13, s13, 0
	s_waitcnt lgkmcnt(0)
	s_add_i32 s23, s9, s23
	s_add_u32 s14, s14, 4
	s_addc_u32 s15, s15, 0
	s_add_i32 s8, s8, 1
	s_delay_alu instid0(SALU_CYCLE_1)
	s_cmp_lt_u32 s8, s29
	s_cbranch_scc0 .LBB218_24
.LBB218_46:                             ; =>This Inner Loop Header: Depth=1
	s_load_b32 s9, s[12:13], 0x0
	s_cmp_ge_u32 s8, s48
	s_cbranch_scc1 .LBB218_45
; %bb.47:                               ;   in Loop: Header=BB218_46 Depth=1
	s_load_b32 s10, s[14:15], 0x0
	s_waitcnt lgkmcnt(0)
	s_add_i32 s17, s9, s17
	s_add_i32 s16, s10, s16
	s_branch .LBB218_45
.LBB218_48:
	s_nop 0
	s_sendmsg sendmsg(MSG_DEALLOC_VGPRS)
	s_endpgm
	.section	.rodata,"a",@progbits
	.p2align	6, 0x0
	.amdhsa_kernel _ZN2at6native6mbtopk10gatherTopKIN3c108BFloat16EmLi2EEEvNS_4cuda6detail10TensorInfoIKT_T0_EESA_SA_bjSA_NS7_IS8_SA_EESA_NS7_IlSA_EESA_jjPS8_PjSF_j
		.amdhsa_group_segment_fixed_size 1068
		.amdhsa_private_segment_fixed_size 0
		.amdhsa_kernarg_size 1592
		.amdhsa_user_sgpr_count 13
		.amdhsa_user_sgpr_dispatch_ptr 0
		.amdhsa_user_sgpr_queue_ptr 0
		.amdhsa_user_sgpr_kernarg_segment_ptr 1
		.amdhsa_user_sgpr_dispatch_id 0
		.amdhsa_user_sgpr_private_segment_size 0
		.amdhsa_wavefront_size32 1
		.amdhsa_uses_dynamic_stack 0
		.amdhsa_enable_private_segment 0
		.amdhsa_system_sgpr_workgroup_id_x 1
		.amdhsa_system_sgpr_workgroup_id_y 1
		.amdhsa_system_sgpr_workgroup_id_z 1
		.amdhsa_system_sgpr_workgroup_info 0
		.amdhsa_system_vgpr_workitem_id 0
		.amdhsa_next_free_vgpr 25
		.amdhsa_next_free_sgpr 49
		.amdhsa_reserve_vcc 1
		.amdhsa_float_round_mode_32 0
		.amdhsa_float_round_mode_16_64 0
		.amdhsa_float_denorm_mode_32 3
		.amdhsa_float_denorm_mode_16_64 3
		.amdhsa_dx10_clamp 1
		.amdhsa_ieee_mode 1
		.amdhsa_fp16_overflow 0
		.amdhsa_workgroup_processor_mode 1
		.amdhsa_memory_ordered 1
		.amdhsa_forward_progress 0
		.amdhsa_shared_vgpr_count 0
		.amdhsa_exception_fp_ieee_invalid_op 0
		.amdhsa_exception_fp_denorm_src 0
		.amdhsa_exception_fp_ieee_div_zero 0
		.amdhsa_exception_fp_ieee_overflow 0
		.amdhsa_exception_fp_ieee_underflow 0
		.amdhsa_exception_fp_ieee_inexact 0
		.amdhsa_exception_int_div_zero 0
	.end_amdhsa_kernel
	.section	.text._ZN2at6native6mbtopk10gatherTopKIN3c108BFloat16EmLi2EEEvNS_4cuda6detail10TensorInfoIKT_T0_EESA_SA_bjSA_NS7_IS8_SA_EESA_NS7_IlSA_EESA_jjPS8_PjSF_j,"axG",@progbits,_ZN2at6native6mbtopk10gatherTopKIN3c108BFloat16EmLi2EEEvNS_4cuda6detail10TensorInfoIKT_T0_EESA_SA_bjSA_NS7_IS8_SA_EESA_NS7_IlSA_EESA_jjPS8_PjSF_j,comdat
.Lfunc_end218:
	.size	_ZN2at6native6mbtopk10gatherTopKIN3c108BFloat16EmLi2EEEvNS_4cuda6detail10TensorInfoIKT_T0_EESA_SA_bjSA_NS7_IS8_SA_EESA_NS7_IlSA_EESA_jjPS8_PjSF_j, .Lfunc_end218-_ZN2at6native6mbtopk10gatherTopKIN3c108BFloat16EmLi2EEEvNS_4cuda6detail10TensorInfoIKT_T0_EESA_SA_bjSA_NS7_IS8_SA_EESA_NS7_IlSA_EESA_jjPS8_PjSF_j
                                        ; -- End function
	.section	.AMDGPU.csdata,"",@progbits
; Kernel info:
; codeLenInByte = 3420
; NumSgprs: 51
; NumVgprs: 25
; ScratchSize: 0
; MemoryBound: 0
; FloatMode: 240
; IeeeMode: 1
; LDSByteSize: 1068 bytes/workgroup (compile time only)
; SGPRBlocks: 6
; VGPRBlocks: 3
; NumSGPRsForWavesPerEU: 51
; NumVGPRsForWavesPerEU: 25
; Occupancy: 16
; WaveLimiterHint : 1
; COMPUTE_PGM_RSRC2:SCRATCH_EN: 0
; COMPUTE_PGM_RSRC2:USER_SGPR: 13
; COMPUTE_PGM_RSRC2:TRAP_HANDLER: 0
; COMPUTE_PGM_RSRC2:TGID_X_EN: 1
; COMPUTE_PGM_RSRC2:TGID_Y_EN: 1
; COMPUTE_PGM_RSRC2:TGID_Z_EN: 1
; COMPUTE_PGM_RSRC2:TIDIG_COMP_CNT: 0
	.section	.text._ZN2at6native6sbtopk10gatherTopKIN3c108BFloat16EmLi2ELb0EEEvNS_4cuda6detail10TensorInfoIKT_T0_EESA_SA_bSA_SA_NS7_IS8_SA_EESA_NS7_IlSA_EESA_PS8_,"axG",@progbits,_ZN2at6native6sbtopk10gatherTopKIN3c108BFloat16EmLi2ELb0EEEvNS_4cuda6detail10TensorInfoIKT_T0_EESA_SA_bSA_SA_NS7_IS8_SA_EESA_NS7_IlSA_EESA_PS8_,comdat
	.protected	_ZN2at6native6sbtopk10gatherTopKIN3c108BFloat16EmLi2ELb0EEEvNS_4cuda6detail10TensorInfoIKT_T0_EESA_SA_bSA_SA_NS7_IS8_SA_EESA_NS7_IlSA_EESA_PS8_ ; -- Begin function _ZN2at6native6sbtopk10gatherTopKIN3c108BFloat16EmLi2ELb0EEEvNS_4cuda6detail10TensorInfoIKT_T0_EESA_SA_bSA_SA_NS7_IS8_SA_EESA_NS7_IlSA_EESA_PS8_
	.globl	_ZN2at6native6sbtopk10gatherTopKIN3c108BFloat16EmLi2ELb0EEEvNS_4cuda6detail10TensorInfoIKT_T0_EESA_SA_bSA_SA_NS7_IS8_SA_EESA_NS7_IlSA_EESA_PS8_
	.p2align	8
	.type	_ZN2at6native6sbtopk10gatherTopKIN3c108BFloat16EmLi2ELb0EEEvNS_4cuda6detail10TensorInfoIKT_T0_EESA_SA_bSA_SA_NS7_IS8_SA_EESA_NS7_IlSA_EESA_PS8_,@function
_ZN2at6native6sbtopk10gatherTopKIN3c108BFloat16EmLi2ELb0EEEvNS_4cuda6detail10TensorInfoIKT_T0_EESA_SA_bSA_SA_NS7_IS8_SA_EESA_NS7_IlSA_EESA_PS8_: ; @_ZN2at6native6sbtopk10gatherTopKIN3c108BFloat16EmLi2ELb0EEEvNS_4cuda6detail10TensorInfoIKT_T0_EESA_SA_bSA_SA_NS7_IS8_SA_EESA_NS7_IlSA_EESA_PS8_
; %bb.0:
	s_clause 0x1
	s_load_b64 s[18:19], s[0:1], 0x520
	s_load_b128 s[28:31], s[0:1], 0x1b8
	s_add_u32 s16, s0, 0x520
	s_addc_u32 s17, s1, 0
	s_mov_b32 s35, 0
	s_waitcnt lgkmcnt(0)
	s_mul_i32 s2, s19, s15
	s_delay_alu instid0(SALU_CYCLE_1) | instskip(NEXT) | instid1(SALU_CYCLE_1)
	s_add_i32 s2, s2, s14
	s_mul_i32 s2, s2, s18
	s_delay_alu instid0(SALU_CYCLE_1) | instskip(NEXT) | instid1(SALU_CYCLE_1)
	s_add_i32 s34, s2, s13
	v_cmp_ge_u64_e64 s2, s[34:35], s[28:29]
	s_delay_alu instid0(VALU_DEP_1)
	s_and_b32 vcc_lo, exec_lo, s2
	s_cbranch_vccnz .LBB219_545
; %bb.1:
	s_clause 0x2
	s_load_b64 s[6:7], s[0:1], 0x10
	s_load_b64 s[28:29], s[0:1], 0x380
	s_load_b64 s[50:51], s[0:1], 0x1d8
	s_mov_b64 s[48:49], 0
	s_waitcnt lgkmcnt(0)
	v_cmp_lt_u64_e64 s2, s[34:35], s[6:7]
	s_delay_alu instid0(VALU_DEP_1)
	s_and_b32 vcc_lo, exec_lo, s2
	s_mov_b64 s[2:3], 0
	s_cbranch_vccnz .LBB219_3
; %bb.2:
	v_cvt_f32_u32_e32 v1, s6
	s_sub_i32 s3, 0, s6
	s_delay_alu instid0(VALU_DEP_1) | instskip(SKIP_2) | instid1(VALU_DEP_1)
	v_rcp_iflag_f32_e32 v1, v1
	s_waitcnt_depctr 0xfff
	v_mul_f32_e32 v1, 0x4f7ffffe, v1
	v_cvt_u32_f32_e32 v1, v1
	s_delay_alu instid0(VALU_DEP_1) | instskip(NEXT) | instid1(VALU_DEP_1)
	v_readfirstlane_b32 s2, v1
	s_mul_i32 s3, s3, s2
	s_delay_alu instid0(SALU_CYCLE_1) | instskip(NEXT) | instid1(SALU_CYCLE_1)
	s_mul_hi_u32 s3, s2, s3
	s_add_i32 s2, s2, s3
	s_delay_alu instid0(SALU_CYCLE_1) | instskip(NEXT) | instid1(SALU_CYCLE_1)
	s_mul_hi_u32 s2, s34, s2
	s_mul_i32 s3, s2, s6
	s_add_i32 s4, s2, 1
	s_sub_i32 s3, s34, s3
	s_delay_alu instid0(SALU_CYCLE_1)
	s_sub_i32 s5, s3, s6
	s_cmp_ge_u32 s3, s6
	s_cselect_b32 s2, s4, s2
	s_cselect_b32 s3, s5, s3
	s_add_i32 s4, s2, 1
	s_cmp_ge_u32 s3, s6
	s_cselect_b32 s2, s4, s2
.LBB219_3:
	v_cmp_lt_u64_e64 s3, s[34:35], s[50:51]
	s_delay_alu instid0(VALU_DEP_1)
	s_and_b32 vcc_lo, exec_lo, s3
	s_cbranch_vccnz .LBB219_5
; %bb.4:
	v_cvt_f32_u32_e32 v1, s50
	s_sub_i32 s4, 0, s50
	s_delay_alu instid0(VALU_DEP_1) | instskip(SKIP_2) | instid1(VALU_DEP_1)
	v_rcp_iflag_f32_e32 v1, v1
	s_waitcnt_depctr 0xfff
	v_mul_f32_e32 v1, 0x4f7ffffe, v1
	v_cvt_u32_f32_e32 v1, v1
	s_delay_alu instid0(VALU_DEP_1) | instskip(NEXT) | instid1(VALU_DEP_1)
	v_readfirstlane_b32 s3, v1
	s_mul_i32 s4, s4, s3
	s_delay_alu instid0(SALU_CYCLE_1) | instskip(NEXT) | instid1(SALU_CYCLE_1)
	s_mul_hi_u32 s4, s3, s4
	s_add_i32 s3, s3, s4
	s_delay_alu instid0(SALU_CYCLE_1) | instskip(NEXT) | instid1(SALU_CYCLE_1)
	s_mul_hi_u32 s3, s34, s3
	s_mul_i32 s4, s3, s50
	s_add_i32 s5, s3, 1
	s_sub_i32 s4, s34, s4
	s_delay_alu instid0(SALU_CYCLE_1)
	s_sub_i32 s8, s4, s50
	s_cmp_ge_u32 s4, s50
	s_cselect_b32 s3, s5, s3
	s_cselect_b32 s4, s8, s4
	s_add_i32 s5, s3, 1
	s_cmp_ge_u32 s4, s50
	s_cselect_b32 s48, s5, s3
.LBB219_5:
	s_load_b64 s[14:15], s[0:1], 0x0
	v_cmp_lt_u64_e64 s3, s[34:35], s[28:29]
	s_mov_b64 s[52:53], 0
	s_delay_alu instid0(VALU_DEP_1)
	s_and_b32 vcc_lo, exec_lo, s3
	s_cbranch_vccnz .LBB219_7
; %bb.6:
	v_cvt_f32_u32_e32 v1, s28
	s_sub_i32 s4, 0, s28
	s_delay_alu instid0(VALU_DEP_1) | instskip(SKIP_2) | instid1(VALU_DEP_1)
	v_rcp_iflag_f32_e32 v1, v1
	s_waitcnt_depctr 0xfff
	v_mul_f32_e32 v1, 0x4f7ffffe, v1
	v_cvt_u32_f32_e32 v1, v1
	s_delay_alu instid0(VALU_DEP_1) | instskip(NEXT) | instid1(VALU_DEP_1)
	v_readfirstlane_b32 s3, v1
	s_mul_i32 s4, s4, s3
	s_delay_alu instid0(SALU_CYCLE_1) | instskip(NEXT) | instid1(SALU_CYCLE_1)
	s_mul_hi_u32 s4, s3, s4
	s_add_i32 s3, s3, s4
	s_delay_alu instid0(SALU_CYCLE_1) | instskip(NEXT) | instid1(SALU_CYCLE_1)
	s_mul_hi_u32 s3, s34, s3
	s_mul_i32 s4, s3, s28
	s_add_i32 s5, s3, 1
	s_sub_i32 s4, s34, s4
	s_delay_alu instid0(SALU_CYCLE_1)
	s_sub_i32 s8, s4, s28
	s_cmp_ge_u32 s4, s28
	s_cselect_b32 s3, s5, s3
	s_cselect_b32 s4, s8, s4
	s_add_i32 s5, s3, 1
	s_cmp_ge_u32 s4, s28
	s_cselect_b32 s52, s5, s3
.LBB219_7:
	s_clause 0x3
	s_load_b64 s[40:41], s[0:1], 0x370
	s_load_b64 s[42:43], s[0:1], 0x1c8
	s_load_b128 s[8:11], s[0:1], 0xd0
	s_load_b128 s[36:39], s[0:1], 0x1a0
	v_cmp_eq_u32_e64 s5, 0, v0
	s_mov_b32 s59, 0
	s_delay_alu instid0(VALU_DEP_1)
	s_and_saveexec_b32 s3, s5
	s_cbranch_execz .LBB219_9
; %bb.8:
	s_waitcnt lgkmcnt(0)
	v_dual_mov_b32 v1, 0 :: v_dual_mov_b32 v4, s37
	s_delay_alu instid0(VALU_DEP_1)
	v_dual_mov_b32 v3, s36 :: v_dual_mov_b32 v2, v1
	ds_store_b32 v1, v1 offset:5144
	ds_store_b128 v1, v[1:4] offset:5120
.LBB219_9:
	s_or_b32 exec_lo, exec_lo, s3
	s_mul_i32 s3, s2, s7
	s_mul_hi_u32 s4, s2, s6
	s_mul_i32 s6, s2, s6
	s_add_i32 s4, s4, s3
	s_sub_u32 s6, s34, s6
	s_subb_u32 s4, 0, s4
	s_waitcnt lgkmcnt(0)
	s_mul_i32 s3, s6, s11
	s_mul_hi_u32 s7, s6, s10
	s_mul_i32 s4, s4, s10
	s_add_i32 s7, s7, s3
	s_mul_i32 s3, s2, s9
	s_mul_hi_u32 s9, s2, s8
	s_mul_i32 s2, s2, s8
	s_add_i32 s3, s9, s3
	s_clause 0x1
	s_load_b32 s11, s[0:1], 0x1b0
	s_load_b128 s[44:47], s[0:1], 0x440
	s_lshl_b64 s[2:3], s[2:3], 1
	s_add_i32 s7, s7, s4
	s_mul_i32 s6, s6, s10
	s_add_u32 s4, s14, s2
	v_mad_u64_u32 v[1:2], null, v0, s30, 0
	s_addc_u32 s8, s15, s3
	s_lshl_b64 s[2:3], s[6:7], 1
	s_waitcnt lgkmcnt(0)
	s_barrier
	buffer_gl0_inv
	s_load_b32 s7, s[16:17], 0xc
	v_mad_u64_u32 v[3:4], null, v0, s31, v[2:3]
	v_mbcnt_lo_u32_b32 v23, -1, 0
	s_add_u32 s33, s4, s2
	s_addc_u32 s35, s8, s3
	v_cmp_gt_u32_e32 vcc_lo, 32, v0
	s_bitcmp1_b32 s11, 0
	v_cmp_gt_i32_e64 s4, 4, v23
	s_delay_alu instid0(VALU_DEP_4) | instskip(SKIP_3) | instid1(VALU_DEP_2)
	v_dual_mov_b32 v2, v3 :: v_dual_mov_b32 v13, 0
	s_cselect_b32 s3, -1, 0
	v_lshrrev_b32_e32 v4, 3, v0
	s_xor_b32 s53, s3, -1
	v_lshlrev_b64 v[2:3], 1, v[1:2]
	s_and_b32 s72, vcc_lo, s4
	v_dual_mov_b32 v1, v13 :: v_dual_lshlrev_b32 v14, 2, v0
	v_dual_mov_b32 v16, s38 :: v_dual_lshlrev_b32 v25, 1, v0
	s_waitcnt lgkmcnt(0)
	s_and_b32 s49, s7, 0xffff
	s_bfe_u32 s8, s7, 0xb0005
	s_add_u32 s74, s49, -1
	s_addc_u32 s75, 0, -1
	s_add_u32 s76, s74, s36
	s_addc_u32 s27, s75, s37
	s_cmp_lt_u32 s13, s18
	v_add_co_u32 v10, vcc_lo, s33, v2
	s_cselect_b32 s9, 12, 18
	v_add_co_ci_u32_e32 v11, vcc_lo, s35, v3, vcc_lo
	v_lshlrev_b64 v[2:3], v23, -1
	s_add_u32 s60, s16, s9
	s_addc_u32 s61, s17, 0
	s_add_i32 s9, s8, -1
	s_bfe_u32 s77, s49, 0x30005
	s_cmp_gt_u32 s9, 6
	v_cmp_lt_u64_e64 s73, 0x600, s[36:37]
	v_cmp_gt_u64_e64 s4, s[36:37], v[0:1]
	v_cmp_eq_u32_e64 s2, 0, v23
	v_dual_mov_b32 v15, v13 :: v_dual_and_b32 v24, 0x7c, v4
	v_cmp_gt_u32_e64 s6, 2, v0
	v_dual_mov_b32 v17, s39 :: v_dual_add_nc_u32 v26, 0xc00, v25
	v_not_b32_e32 v22, v2
	s_cselect_b32 s78, -1, 0
	s_and_b32 s79, s8, 0x7f8
	v_cmp_gt_u16_e64 s80, s7, 31
	v_dual_mov_b32 v32, 0 :: v_dual_lshlrev_b32 v27, 3, v0
	v_lshl_or_b32 v28, v23, 3, 0xc00
	v_dual_mov_b32 v29, 0x8000 :: v_dual_mov_b32 v30, 0
	v_mov_b32_e32 v31, 0
	s_cmp_lg_u32 s77, 0
	s_mov_b32 s83, 14
	s_cselect_b32 s81, -1, 0
	s_lshl_b32 s82, s49, 1
	s_movk_i32 s85, 0x3f80
	s_mov_b32 s84, 0
	s_mov_b32 s87, 0
                                        ; implicit-def: $sgpr86
                                        ; implicit-def: $sgpr90
                                        ; implicit-def: $sgpr89
                                        ; implicit-def: $sgpr91
                                        ; implicit-def: $sgpr88
                                        ; implicit-def: $sgpr92
                                        ; implicit-def: $sgpr94
                                        ; implicit-def: $sgpr93
                                        ; implicit-def: $sgpr95
                                        ; implicit-def: $sgpr96
	s_branch .LBB219_12
.LBB219_10:                             ;   in Loop: Header=BB219_12 Depth=1
	s_or_b32 exec_lo, exec_lo, s10
	v_dual_mov_b32 v30, v9 :: v_dual_mov_b32 v31, v8
	v_dual_mov_b32 v17, v3 :: v_dual_mov_b32 v16, v2
	v_mov_b32_e32 v32, v6
	s_and_not1_b32 s10, s96, exec_lo
	s_and_b32 s9, s9, exec_lo
	s_and_not1_b32 s95, s95, exec_lo
	s_or_b32 s96, s10, s9
	s_and_not1_b32 s93, s93, exec_lo
	s_and_not1_b32 s94, s94, exec_lo
	;; [unrolled: 1-line block ×3, first 2 shown]
	s_or_not1_b32 s8, s8, exec_lo
.LBB219_11:                             ;   in Loop: Header=BB219_12 Depth=1
	s_or_b32 exec_lo, exec_lo, s7
	s_delay_alu instid0(SALU_CYCLE_1) | instskip(NEXT) | instid1(SALU_CYCLE_1)
	s_and_b32 s7, exec_lo, s8
	s_or_b32 s84, s7, s84
	s_and_not1_b32 s7, s88, exec_lo
	s_and_b32 s8, s96, exec_lo
	s_and_not1_b32 s9, s91, exec_lo
	s_or_b32 s88, s7, s8
	s_and_b32 s7, s95, exec_lo
	s_and_not1_b32 s8, s89, exec_lo
	s_and_b32 s10, s93, exec_lo
	s_or_b32 s91, s9, s7
	s_or_b32 s89, s8, s10
	s_and_not1_b32 s7, s90, exec_lo
	s_and_b32 s8, s94, exec_lo
	s_and_not1_b32 s9, s86, exec_lo
	s_and_b32 s10, s92, exec_lo
	s_or_b32 s90, s7, s8
	s_or_b32 s86, s9, s10
	s_and_not1_b32 exec_lo, exec_lo, s84
	s_cbranch_execz .LBB219_481
.LBB219_12:                             ; =>This Loop Header: Depth=1
                                        ;     Child Loop BB219_17 Depth 2
                                        ;     Child Loop BB219_35 Depth 2
	;; [unrolled: 1-line block ×24, first 2 shown]
	ds_load_b128 v[2:5], v13 offset:5120
	s_waitcnt lgkmcnt(0)
	v_readfirstlane_b32 s63, v3
	v_readfirstlane_b32 s62, v2
	s_delay_alu instid0(VALU_DEP_1)
	s_cmp_lg_u64 s[62:63], 0
	s_cbranch_scc1 .LBB219_42
; %bb.13:                               ;   in Loop: Header=BB219_12 Depth=1
	s_and_b32 vcc_lo, exec_lo, s73
	s_cbranch_vccz .LBB219_25
; %bb.14:                               ;   in Loop: Header=BB219_12 Depth=1
	v_cmp_gt_u64_e32 vcc_lo, 0x601, v[4:5]
	s_mov_b32 s9, 0
	s_mov_b32 s7, 0
	s_cbranch_vccz .LBB219_26
; %bb.15:                               ;   in Loop: Header=BB219_12 Depth=1
	global_load_u16 v2, v13, s[60:61]
	global_load_u16 v5, v[10:11], off
	s_mov_b32 s10, 0
	s_waitcnt vmcnt(1)
	v_dual_mov_b32 v3, v1 :: v_dual_and_b32 v4, 0xffff, v2
	v_mov_b32_e32 v2, v0
	s_branch .LBB219_17
.LBB219_16:                             ;   in Loop: Header=BB219_17 Depth=2
	s_or_b32 exec_lo, exec_lo, s8
	v_mov_b32_e32 v5, v6
	s_and_not1_b32 exec_lo, exec_lo, s10
	s_cbranch_execz .LBB219_27
.LBB219_17:                             ;   Parent Loop BB219_12 Depth=1
                                        ; =>  This Inner Loop Header: Depth=2
	s_delay_alu instid0(VALU_DEP_1) | instskip(NEXT) | instid1(VALU_DEP_3)
	v_add_co_u32 v2, vcc_lo, v2, v4
	v_add_co_ci_u32_e32 v3, vcc_lo, 0, v3, vcc_lo
	s_waitcnt lgkmcnt(0)
	v_dual_mov_b32 v7, 0 :: v_dual_mov_b32 v6, 0
	s_mov_b32 s8, exec_lo
	s_delay_alu instid0(VALU_DEP_2)
	v_cmp_le_u64_e32 vcc_lo, s[36:37], v[2:3]
	v_cmpx_gt_u64_e64 s[36:37], v[2:3]
	s_cbranch_execz .LBB219_19
; %bb.18:                               ;   in Loop: Header=BB219_17 Depth=2
	v_mul_lo_u32 v6, v3, s30
	v_mul_lo_u32 v12, v2, s31
	v_mad_u64_u32 v[8:9], null, v2, s30, 0
	s_delay_alu instid0(VALU_DEP_1) | instskip(NEXT) | instid1(VALU_DEP_1)
	v_add3_u32 v9, v9, v12, v6
	v_lshlrev_b64 v[8:9], 1, v[8:9]
	s_delay_alu instid0(VALU_DEP_1) | instskip(NEXT) | instid1(VALU_DEP_1)
	v_add_co_u32 v8, s7, s33, v8
	v_add_co_ci_u32_e64 v9, s7, s35, v9, s7
	global_load_u16 v6, v[8:9], off
.LBB219_19:                             ;   in Loop: Header=BB219_17 Depth=2
	s_or_b32 exec_lo, exec_lo, s8
	s_waitcnt vmcnt(0)
	v_cmp_lt_i16_e64 s7, -1, v5
	v_and_b32_e32 v8, 0xffff, v5
	v_lshlrev_b32_e32 v12, 16, v5
	s_delay_alu instid0(VALU_DEP_3) | instskip(NEXT) | instid1(VALU_DEP_2)
	v_cndmask_b32_e64 v9, 0xffff, v29, s7
	v_cmp_o_f32_e64 s7, v12, v12
	s_delay_alu instid0(VALU_DEP_2) | instskip(NEXT) | instid1(VALU_DEP_1)
	v_xor_b32_e32 v8, v9, v8
	v_cndmask_b32_e64 v8, 0xffff, v8, s7
	s_delay_alu instid0(VALU_DEP_1) | instskip(NEXT) | instid1(VALU_DEP_1)
	v_and_b32_e32 v8, v8, v30
	v_cmp_eq_u32_e64 s7, v8, v31
	s_delay_alu instid0(VALU_DEP_1) | instskip(SKIP_1) | instid1(SALU_CYCLE_1)
	s_cmp_lg_u32 s7, 0
	s_cselect_b32 s8, -1, 0
	s_and_b32 s8, s2, s8
	s_delay_alu instid0(SALU_CYCLE_1)
	s_and_saveexec_b32 s11, s8
	s_cbranch_execz .LBB219_23
; %bb.20:                               ;   in Loop: Header=BB219_17 Depth=2
	s_mov_b32 s14, exec_lo
	s_bcnt1_i32_b32 s12, s7
	v_mbcnt_lo_u32_b32 v7, s14, 0
	s_mov_b32 s13, exec_lo
                                        ; implicit-def: $vgpr8
	s_delay_alu instid0(VALU_DEP_1)
	v_cmpx_eq_u32_e32 0, v7
	s_cbranch_execz .LBB219_22
; %bb.21:                               ;   in Loop: Header=BB219_17 Depth=2
	s_bcnt1_i32_b32 s8, s14
	s_delay_alu instid0(SALU_CYCLE_1) | instskip(NEXT) | instid1(SALU_CYCLE_1)
	s_mul_i32 s8, s12, s8
	v_mov_b32_e32 v8, s8
	ds_add_rtn_u32 v8, v13, v8 offset:5144
.LBB219_22:                             ;   in Loop: Header=BB219_17 Depth=2
	s_or_b32 exec_lo, exec_lo, s13
	s_waitcnt lgkmcnt(0)
	v_readfirstlane_b32 s8, v8
	s_delay_alu instid0(VALU_DEP_1)
	v_mad_u32_u24 v7, s12, v7, s8
.LBB219_23:                             ;   in Loop: Header=BB219_17 Depth=2
	s_or_b32 exec_lo, exec_lo, s11
	ds_bpermute_b32 v7, v13, v7
	s_and_b32 s8, exec_lo, vcc_lo
	s_delay_alu instid0(SALU_CYCLE_1)
	s_or_b32 s10, s8, s10
	s_and_saveexec_b32 s8, s7
	s_cbranch_execz .LBB219_16
; %bb.24:                               ;   in Loop: Header=BB219_17 Depth=2
	v_and_b32_e32 v8, s7, v22
	s_delay_alu instid0(VALU_DEP_1) | instskip(NEXT) | instid1(VALU_DEP_1)
	v_bcnt_u32_b32 v8, v8, 0
	v_lshlrev_b32_e32 v8, 1, v8
	s_waitcnt lgkmcnt(0)
	s_delay_alu instid0(VALU_DEP_1)
	v_lshl_add_u32 v7, v7, 1, v8
	ds_store_b16 v7, v5
	s_branch .LBB219_16
.LBB219_25:                             ;   in Loop: Header=BB219_12 Depth=1
	s_mov_b32 s7, 0
                                        ; implicit-def: $sgpr62_sgpr63
	s_cbranch_execnz .LBB219_30
	s_branch .LBB219_40
.LBB219_26:                             ;   in Loop: Header=BB219_12 Depth=1
	s_mov_b64 s[62:63], 0
	s_and_b32 vcc_lo, exec_lo, s9
	s_cbranch_vccnz .LBB219_30
	s_branch .LBB219_40
.LBB219_27:                             ;   in Loop: Header=BB219_12 Depth=1
	s_or_b32 exec_lo, exec_lo, s10
	s_waitcnt lgkmcnt(0)
	s_barrier
	buffer_gl0_inv
	s_and_saveexec_b32 s7, s5
	s_cbranch_execz .LBB219_29
; %bb.28:                               ;   in Loop: Header=BB219_12 Depth=1
	ds_load_b32 v2, v13 offset:5144
	s_waitcnt lgkmcnt(0)
	v_ashrrev_i32_e32 v3, 31, v2
	ds_store_b64 v13, v[2:3] offset:5120
.LBB219_29:                             ;   in Loop: Header=BB219_12 Depth=1
	s_or_b32 exec_lo, exec_lo, s7
	s_waitcnt lgkmcnt(0)
	s_mov_b32 s7, -1
	s_barrier
	s_mov_b64 s[62:63], 0
	s_and_b32 vcc_lo, exec_lo, s9
	s_cbranch_vccz .LBB219_40
.LBB219_30:                             ;   in Loop: Header=BB219_12 Depth=1
	v_mov_b32_e32 v4, 0
	s_and_saveexec_b32 s7, s4
	s_cbranch_execz .LBB219_32
; %bb.31:                               ;   in Loop: Header=BB219_12 Depth=1
	global_load_u16 v4, v[10:11], off
.LBB219_32:                             ;   in Loop: Header=BB219_12 Depth=1
	s_or_b32 exec_lo, exec_lo, s7
	s_and_saveexec_b32 s8, s4
	s_cbranch_execz .LBB219_37
; %bb.33:                               ;   in Loop: Header=BB219_12 Depth=1
	global_load_u16 v2, v13, s[60:61]
	s_mov_b32 s9, 0
	s_waitcnt vmcnt(0)
	v_dual_mov_b32 v6, v25 :: v_dual_and_b32 v5, 0xffff, v2
	v_dual_mov_b32 v3, v1 :: v_dual_mov_b32 v2, v0
	s_delay_alu instid0(VALU_DEP_2)
	v_lshlrev_b32_e32 v7, 1, v5
	s_set_inst_prefetch_distance 0x1
	s_branch .LBB219_35
	.p2align	6
.LBB219_34:                             ;   in Loop: Header=BB219_35 Depth=2
	s_or_b32 exec_lo, exec_lo, s10
	ds_store_b16 v6, v4
	v_add_nc_u32_e32 v6, v6, v7
	s_waitcnt vmcnt(0)
	v_mov_b32_e32 v4, v8
	s_and_b32 s7, exec_lo, vcc_lo
	s_delay_alu instid0(SALU_CYCLE_1) | instskip(NEXT) | instid1(SALU_CYCLE_1)
	s_or_b32 s9, s7, s9
	s_and_not1_b32 exec_lo, exec_lo, s9
	s_cbranch_execz .LBB219_37
.LBB219_35:                             ;   Parent Loop BB219_12 Depth=1
                                        ; =>  This Inner Loop Header: Depth=2
	s_delay_alu instid0(VALU_DEP_2) | instskip(SKIP_3) | instid1(VALU_DEP_2)
	v_add_co_u32 v2, vcc_lo, v2, v5
	v_add_co_ci_u32_e32 v3, vcc_lo, 0, v3, vcc_lo
	v_mov_b32_e32 v8, 0
	s_mov_b32 s10, exec_lo
	v_cmp_le_u64_e32 vcc_lo, s[36:37], v[2:3]
	v_cmpx_gt_u64_e64 s[36:37], v[2:3]
	s_cbranch_execz .LBB219_34
; %bb.36:                               ;   in Loop: Header=BB219_35 Depth=2
	v_mul_lo_u32 v12, v3, s30
	v_mul_lo_u32 v18, v2, s31
	v_mad_u64_u32 v[8:9], null, v2, s30, 0
	s_delay_alu instid0(VALU_DEP_1) | instskip(NEXT) | instid1(VALU_DEP_1)
	v_add3_u32 v9, v9, v18, v12
	v_lshlrev_b64 v[8:9], 1, v[8:9]
	s_delay_alu instid0(VALU_DEP_1) | instskip(NEXT) | instid1(VALU_DEP_1)
	v_add_co_u32 v8, s7, s33, v8
	v_add_co_ci_u32_e64 v9, s7, s35, v9, s7
	global_load_u16 v8, v[8:9], off
	s_branch .LBB219_34
.LBB219_37:                             ;   in Loop: Header=BB219_12 Depth=1
	s_set_inst_prefetch_distance 0x2
	s_or_b32 exec_lo, exec_lo, s8
	s_waitcnt vmcnt(0) lgkmcnt(0)
	s_barrier
	buffer_gl0_inv
	s_and_saveexec_b32 s7, s5
	s_cbranch_execz .LBB219_39
; %bb.38:                               ;   in Loop: Header=BB219_12 Depth=1
	v_dual_mov_b32 v2, s36 :: v_dual_mov_b32 v3, s37
	ds_store_b64 v13, v[2:3] offset:5120
.LBB219_39:                             ;   in Loop: Header=BB219_12 Depth=1
	s_or_b32 exec_lo, exec_lo, s7
	s_mov_b32 s7, -1
	s_waitcnt lgkmcnt(0)
	s_barrier
                                        ; implicit-def: $sgpr62_sgpr63
.LBB219_40:                             ;   in Loop: Header=BB219_12 Depth=1
	s_and_b32 vcc_lo, exec_lo, s7
	s_cbranch_vccz .LBB219_42
; %bb.41:                               ;   in Loop: Header=BB219_12 Depth=1
	buffer_gl0_inv
	ds_load_b64 v[2:3], v13 offset:5120
	s_waitcnt lgkmcnt(0)
	v_readfirstlane_b32 s62, v2
.LBB219_42:                             ;   in Loop: Header=BB219_12 Depth=1
	s_delay_alu instid0(VALU_DEP_1)
	s_cmp_lt_i32 s62, 1
	s_cbranch_scc0 .LBB219_57
; %bb.43:                               ;   in Loop: Header=BB219_12 Depth=1
	global_load_u16 v33, v13, s[60:61]
	s_mov_b32 s8, s59
	s_mov_b32 s9, s37
	s_waitcnt vmcnt(0)
	v_readfirstlane_b32 s7, v33
	s_delay_alu instid0(VALU_DEP_1) | instskip(NEXT) | instid1(SALU_CYCLE_1)
	s_and_b32 s7, 0xffff, s7
	s_lshl_b32 s25, s7, 2
	s_cmp_lg_u64 s[8:9], 0
	s_cbranch_scc0 .LBB219_77
; %bb.44:                               ;   in Loop: Header=BB219_12 Depth=1
	v_cvt_f32_u32_e32 v2, s25
	s_sub_u32 s9, 0, s25
	s_subb_u32 s10, 0, 0
	s_delay_alu instid0(VALU_DEP_1) | instskip(NEXT) | instid1(VALU_DEP_1)
	v_fmac_f32_e64 v2, 0, 0x4f800000
	v_rcp_f32_e32 v2, v2
	s_waitcnt_depctr 0xfff
	v_mul_f32_e32 v2, 0x5f7ffffc, v2
	s_delay_alu instid0(VALU_DEP_1) | instskip(NEXT) | instid1(VALU_DEP_1)
	v_mul_f32_e32 v3, 0x2f800000, v2
	v_trunc_f32_e32 v3, v3
	s_delay_alu instid0(VALU_DEP_1) | instskip(SKIP_1) | instid1(VALU_DEP_2)
	v_fmac_f32_e32 v2, 0xcf800000, v3
	v_cvt_u32_f32_e32 v3, v3
	v_cvt_u32_f32_e32 v2, v2
	s_delay_alu instid0(VALU_DEP_2) | instskip(NEXT) | instid1(VALU_DEP_2)
	v_readfirstlane_b32 s7, v3
	v_readfirstlane_b32 s8, v2
	s_delay_alu instid0(VALU_DEP_2) | instskip(NEXT) | instid1(VALU_DEP_1)
	s_mul_i32 s11, s9, s7
	s_mul_hi_u32 s13, s9, s8
	s_mul_i32 s12, s10, s8
	s_add_i32 s11, s13, s11
	s_mul_i32 s14, s9, s8
	s_add_i32 s11, s11, s12
	s_mul_hi_u32 s13, s8, s14
	s_mul_hi_u32 s15, s7, s14
	s_mul_i32 s12, s7, s14
	s_mul_hi_u32 s14, s8, s11
	s_mul_i32 s8, s8, s11
	s_mul_hi_u32 s16, s7, s11
	s_add_u32 s8, s13, s8
	s_addc_u32 s13, 0, s14
	s_add_u32 s8, s8, s12
	s_mul_i32 s11, s7, s11
	s_addc_u32 s8, s13, s15
	s_addc_u32 s12, s16, 0
	s_add_u32 s8, s8, s11
	s_addc_u32 s11, 0, s12
	v_add_co_u32 v2, s8, v2, s8
	s_delay_alu instid0(VALU_DEP_1) | instskip(SKIP_1) | instid1(VALU_DEP_1)
	s_cmp_lg_u32 s8, 0
	s_addc_u32 s7, s7, s11
	v_readfirstlane_b32 s8, v2
	s_mul_i32 s11, s9, s7
	s_delay_alu instid0(VALU_DEP_1)
	s_mul_hi_u32 s12, s9, s8
	s_mul_i32 s10, s10, s8
	s_add_i32 s11, s12, s11
	s_mul_i32 s9, s9, s8
	s_add_i32 s11, s11, s10
	s_mul_hi_u32 s12, s7, s9
	s_mul_i32 s13, s7, s9
	s_mul_hi_u32 s9, s8, s9
	s_mul_hi_u32 s14, s8, s11
	s_mul_i32 s8, s8, s11
	s_mul_hi_u32 s10, s7, s11
	s_add_u32 s8, s9, s8
	s_addc_u32 s9, 0, s14
	s_add_u32 s8, s8, s13
	s_mul_i32 s11, s7, s11
	s_addc_u32 s8, s9, s12
	s_addc_u32 s9, s10, 0
	s_add_u32 s8, s8, s11
	s_addc_u32 s9, 0, s9
	v_add_co_u32 v2, s8, v2, s8
	s_delay_alu instid0(VALU_DEP_1) | instskip(SKIP_1) | instid1(VALU_DEP_1)
	s_cmp_lg_u32 s8, 0
	s_addc_u32 s7, s7, s9
	v_readfirstlane_b32 s8, v2
	s_mul_i32 s10, s36, s7
	s_mul_hi_u32 s9, s36, s7
	s_mul_hi_u32 s11, s37, s7
	s_mul_i32 s7, s37, s7
	s_mul_hi_u32 s12, s36, s8
	s_mul_hi_u32 s13, s37, s8
	s_mul_i32 s8, s37, s8
	s_add_u32 s10, s12, s10
	s_addc_u32 s9, 0, s9
	s_add_u32 s8, s10, s8
	s_addc_u32 s8, s9, s13
	s_addc_u32 s9, s11, 0
	s_add_u32 s7, s8, s7
	s_addc_u32 s8, 0, s9
	s_mul_hi_u32 s9, s25, s7
	s_mul_i32 s7, s25, s7
	s_mul_i32 s8, s25, s8
	v_sub_co_u32 v2, s7, s36, s7
	s_add_i32 s9, s9, s8
	s_cmp_lg_u32 s7, 0
	s_delay_alu instid0(VALU_DEP_1) | instskip(SKIP_2) | instid1(VALU_DEP_1)
	v_sub_co_u32 v3, s7, v2, s25
	s_subb_u32 s8, s37, s9
	s_cmp_lg_u32 s7, 0
	v_cmp_le_u32_e32 vcc_lo, s25, v3
	v_sub_co_u32 v4, s7, v3, s25
	s_subb_u32 s9, s8, 0
	s_cmp_lg_u32 s7, 0
	v_cndmask_b32_e64 v5, 0, -1, vcc_lo
	s_subb_u32 s7, s9, 0
	s_cmp_eq_u32 s9, 0
	v_mov_b32_e32 v7, s7
	s_cselect_b32 vcc_lo, -1, 0
	s_cmp_eq_u32 s8, 0
	v_cndmask_b32_e32 v5, -1, v5, vcc_lo
	v_cmp_le_u32_e32 vcc_lo, s25, v2
	s_cselect_b32 s7, -1, 0
	v_cndmask_b32_e64 v6, 0, -1, vcc_lo
	s_delay_alu instid0(VALU_DEP_3) | instskip(NEXT) | instid1(VALU_DEP_2)
	v_cmp_ne_u32_e32 vcc_lo, 0, v5
	v_cndmask_b32_e64 v5, -1, v6, s7
	v_cndmask_b32_e32 v6, s9, v7, vcc_lo
	v_cndmask_b32_e32 v4, v3, v4, vcc_lo
	s_delay_alu instid0(VALU_DEP_3) | instskip(NEXT) | instid1(VALU_DEP_3)
	v_cmp_ne_u32_e32 vcc_lo, 0, v5
	v_cndmask_b32_e32 v3, s8, v6, vcc_lo
	s_delay_alu instid0(VALU_DEP_3)
	v_cndmask_b32_e32 v2, v2, v4, vcc_lo
	s_cbranch_execnz .LBB219_46
.LBB219_45:                             ;   in Loop: Header=BB219_12 Depth=1
	v_cvt_f32_u32_e32 v2, s25
	s_sub_i32 s7, 0, s25
	s_delay_alu instid0(VALU_DEP_1) | instskip(SKIP_2) | instid1(VALU_DEP_1)
	v_rcp_iflag_f32_e32 v2, v2
	s_waitcnt_depctr 0xfff
	v_mul_f32_e32 v2, 0x4f7ffffe, v2
	v_cvt_u32_f32_e32 v2, v2
	s_delay_alu instid0(VALU_DEP_1) | instskip(NEXT) | instid1(VALU_DEP_1)
	v_mul_lo_u32 v3, s7, v2
	v_mul_hi_u32 v3, v2, v3
	s_delay_alu instid0(VALU_DEP_1) | instskip(NEXT) | instid1(VALU_DEP_1)
	v_add_nc_u32_e32 v2, v2, v3
	v_mul_hi_u32 v2, s36, v2
	s_delay_alu instid0(VALU_DEP_1) | instskip(NEXT) | instid1(VALU_DEP_1)
	v_mul_lo_u32 v2, v2, s25
	v_sub_nc_u32_e32 v2, s36, v2
	s_delay_alu instid0(VALU_DEP_1) | instskip(SKIP_1) | instid1(VALU_DEP_2)
	v_subrev_nc_u32_e32 v3, s25, v2
	v_cmp_le_u32_e32 vcc_lo, s25, v2
	v_cndmask_b32_e32 v2, v2, v3, vcc_lo
	s_delay_alu instid0(VALU_DEP_1) | instskip(SKIP_1) | instid1(VALU_DEP_2)
	v_subrev_nc_u32_e32 v3, s25, v2
	v_cmp_le_u32_e32 vcc_lo, s25, v2
	v_cndmask_b32_e32 v12, v2, v3, vcc_lo
	s_delay_alu instid0(VALU_DEP_1)
	v_dual_mov_b32 v2, v12 :: v_dual_mov_b32 v3, v13
.LBB219_46:                             ;   in Loop: Header=BB219_12 Depth=1
	s_delay_alu instid0(VALU_DEP_1) | instskip(NEXT) | instid1(VALU_DEP_2)
	v_sub_co_u32 v18, vcc_lo, s36, v2
	v_sub_co_ci_u32_e32 v19, vcc_lo, s37, v3, vcc_lo
	v_mov_b32_e32 v2, 0
	v_mov_b32_e32 v3, 0
	s_mov_b64 s[64:65], 0
	s_mov_b32 s26, exec_lo
	s_delay_alu instid0(VALU_DEP_1)
	v_dual_mov_b32 v5, v3 :: v_dual_mov_b32 v4, v2
	v_dual_mov_b32 v7, v3 :: v_dual_mov_b32 v6, v2
	;; [unrolled: 1-line block ×3, first 2 shown]
	v_cmpx_gt_u64_e64 v[18:19], v[14:15]
	s_cbranch_execz .LBB219_50
; %bb.47:                               ;   in Loop: Header=BB219_12 Depth=1
	v_dual_mov_b32 v21, v15 :: v_dual_mov_b32 v20, v14
	s_and_b32 s63, s83, 0xfe
	s_mov_b32 s58, 0
	s_mov_b64 s[66:67], 0
	s_mov_b64 s[68:69], 0
	;; [unrolled: 1-line block ×3, first 2 shown]
.LBB219_48:                             ;   Parent Loop BB219_12 Depth=1
                                        ; =>  This Inner Loop Header: Depth=2
	v_mul_lo_u32 v4, v21, s30
	v_mul_lo_u32 v5, v20, s31
	v_mad_u64_u32 v[2:3], null, v20, s30, 0
	s_lshl_b64 s[8:9], s[30:31], 1
	s_delay_alu instid0(VALU_DEP_1) | instskip(NEXT) | instid1(VALU_DEP_1)
	v_add3_u32 v3, v3, v5, v4
	v_lshlrev_b64 v[2:3], 1, v[2:3]
	s_delay_alu instid0(VALU_DEP_1) | instskip(NEXT) | instid1(VALU_DEP_2)
	v_add_co_u32 v2, vcc_lo, s33, v2
	v_add_co_ci_u32_e32 v3, vcc_lo, s35, v3, vcc_lo
	s_delay_alu instid0(VALU_DEP_2) | instskip(NEXT) | instid1(VALU_DEP_2)
	v_add_co_u32 v4, vcc_lo, v2, s8
	v_add_co_ci_u32_e32 v5, vcc_lo, s9, v3, vcc_lo
	s_clause 0x1
	global_load_u16 v6, v[2:3], off
	global_load_u16 v7, v[4:5], off
	v_add_co_u32 v2, vcc_lo, v4, s8
	v_add_co_ci_u32_e32 v3, vcc_lo, s9, v5, vcc_lo
	global_load_u16 v4, v[2:3], off
	v_add_co_u32 v2, vcc_lo, v2, s8
	v_add_co_ci_u32_e32 v3, vcc_lo, s9, v3, vcc_lo
	v_add_co_u32 v20, vcc_lo, v20, s25
	v_add_co_ci_u32_e32 v21, vcc_lo, 0, v21, vcc_lo
	global_load_u16 v2, v[2:3], off
	v_cmp_ge_u64_e32 vcc_lo, v[20:21], v[18:19]
	s_waitcnt vmcnt(3)
	v_cmp_lt_i16_e64 s7, -1, v6
	v_and_b32_e32 v3, 0xffff, v6
	v_lshlrev_b32_e32 v6, 16, v6
	s_waitcnt vmcnt(2)
	v_and_b32_e32 v8, 0xffff, v7
	v_cndmask_b32_e64 v5, 0xffff, v29, s7
	v_cmp_lt_i16_e64 s7, -1, v7
	s_waitcnt vmcnt(1)
	v_cmp_lt_i16_e64 s8, -1, v4
	s_delay_alu instid0(VALU_DEP_3) | instskip(NEXT) | instid1(VALU_DEP_3)
	v_xor_b32_e32 v3, v5, v3
	v_cndmask_b32_e64 v9, 0xffff, v29, s7
	v_cmp_o_f32_e64 s7, v6, v6
	v_lshlrev_b32_e32 v5, 16, v7
	v_and_b32_e32 v7, 0xffff, v4
	v_lshlrev_b32_e32 v4, 16, v4
	v_xor_b32_e32 v6, v9, v8
	v_cndmask_b32_e64 v3, 0xffff, v3, s7
	v_cmp_o_f32_e64 s7, v5, v5
	v_cndmask_b32_e64 v8, 0xffff, v29, s8
	s_delay_alu instid0(VALU_DEP_3) | instskip(NEXT) | instid1(VALU_DEP_3)
	v_and_b32_e32 v9, v3, v30
	v_cndmask_b32_e64 v5, 0xffff, v6, s7
	s_waitcnt vmcnt(0)
	v_cmp_lt_i16_e64 s7, -1, v2
	v_xor_b32_e32 v6, v8, v7
	v_and_b32_e32 v7, 0xffff, v2
	v_lshlrev_b32_e32 v2, 16, v2
	v_bfe_u32 v3, v3, s63, 2
	v_cndmask_b32_e64 v8, 0xffff, v29, s7
	v_cmp_o_f32_e64 s7, v4, v4
	s_delay_alu instid0(VALU_DEP_4) | instskip(NEXT) | instid1(VALU_DEP_4)
	v_cmp_o_f32_e64 s12, v2, v2
	v_cmp_eq_u32_e64 s8, 0, v3
	v_cmp_eq_u32_e64 s9, 1, v3
	s_delay_alu instid0(VALU_DEP_4)
	v_cndmask_b32_e64 v4, 0xffff, v6, s7
	v_xor_b32_e32 v6, v8, v7
	v_cmp_eq_u32_e64 s7, v9, v31
	v_and_b32_e32 v7, v5, v30
	v_bfe_u32 v5, v5, s63, 2
	v_cmp_eq_u32_e64 s10, 2, v3
	v_cmp_eq_u32_e64 s11, 3, v3
	v_cndmask_b32_e64 v2, 0xffff, v6, s12
	v_and_b32_e32 v3, v4, v30
	v_cmp_eq_u32_e64 s12, v7, v31
	v_bfe_u32 v4, v4, s63, 2
	v_cmp_eq_u32_e64 s13, 0, v5
	s_and_b32 s8, s7, s8
	v_cmp_eq_u32_e64 s16, v3, v31
	v_cndmask_b32_e64 v6, 0, 1, s8
	v_and_b32_e32 v3, v2, v30
	v_bfe_u32 v2, v2, s63, 2
	v_cmp_eq_u32_e64 s17, 0, v4
	s_and_b32 s13, s12, s13
	v_cmp_eq_u32_e64 s8, 1, v5
	v_cmp_eq_u32_e64 s14, 2, v5
	;; [unrolled: 1-line block ×3, first 2 shown]
	v_cmp_ne_u32_e64 s18, 0, v6
	v_cndmask_b32_e64 v5, 0, 1, s13
	v_cmp_eq_u32_e64 s21, v3, v31
	v_cmp_eq_u32_e64 s22, 0, v2
	s_and_b32 s17, s16, s17
	s_bcnt1_i32_b32 s97, s18
	v_cmp_ne_u32_e64 s18, 0, v5
	v_cndmask_b32_e64 v3, 0, 1, s17
	s_and_b32 s22, s21, s22
	v_cmp_eq_u32_e64 s17, 1, v2
	v_cmp_eq_u32_e64 s23, 2, v2
	;; [unrolled: 1-line block ×3, first 2 shown]
	v_cndmask_b32_e64 v2, 0, 1, s22
	s_bcnt1_i32_b32 s22, s18
	v_cmp_ne_u32_e64 s18, 0, v3
	s_add_i32 s97, s22, s97
	v_cmp_eq_u32_e64 s13, 1, v4
	v_cmp_ne_u32_e64 s22, 0, v2
	v_cmp_eq_u32_e64 s19, 2, v4
	s_bcnt1_i32_b32 s18, s18
	v_cmp_eq_u32_e64 s20, 3, v4
	s_add_i32 s18, s97, s18
	s_bcnt1_i32_b32 s22, s22
	s_delay_alu instid0(SALU_CYCLE_1) | instskip(NEXT) | instid1(SALU_CYCLE_1)
	s_add_i32 s18, s18, s22
	s_add_u32 s70, s70, s18
	s_addc_u32 s71, s71, 0
	s_and_b32 s9, s7, s9
	s_and_b32 s8, s12, s8
	v_cndmask_b32_e64 v2, 0, 1, s9
	v_cndmask_b32_e64 v3, 0, 1, s8
	s_and_b32 s8, s16, s13
	s_delay_alu instid0(SALU_CYCLE_1) | instskip(SKIP_1) | instid1(VALU_DEP_2)
	v_cndmask_b32_e64 v4, 0, 1, s8
	s_and_b32 s8, s21, s17
	v_cmp_ne_u32_e64 s9, 0, v3
	v_cndmask_b32_e64 v5, 0, 1, s8
	v_cmp_ne_u32_e64 s8, 0, v2
	v_cmp_ne_u32_e64 s13, 0, v4
	s_delay_alu instid0(VALU_DEP_4) | instskip(NEXT) | instid1(VALU_DEP_3)
	s_bcnt1_i32_b32 s9, s9
	v_cmp_ne_u32_e64 s17, 0, v5
	s_delay_alu instid0(VALU_DEP_3) | instskip(NEXT) | instid1(VALU_DEP_2)
	s_bcnt1_i32_b32 s8, s8
	s_bcnt1_i32_b32 s13, s13
	s_add_i32 s8, s9, s8
	s_delay_alu instid0(VALU_DEP_1) | instskip(SKIP_1) | instid1(SALU_CYCLE_1)
	s_bcnt1_i32_b32 s17, s17
	s_add_i32 s8, s8, s13
	s_add_i32 s8, s8, s17
	s_delay_alu instid0(SALU_CYCLE_1) | instskip(SKIP_2) | instid1(SALU_CYCLE_1)
	s_add_u32 s68, s68, s8
	s_addc_u32 s69, s69, 0
	s_and_b32 s8, s7, s10
	v_cndmask_b32_e64 v2, 0, 1, s8
	s_and_b32 s8, s12, s14
	s_delay_alu instid0(SALU_CYCLE_1) | instskip(SKIP_1) | instid1(SALU_CYCLE_1)
	v_cndmask_b32_e64 v3, 0, 1, s8
	s_and_b32 s8, s16, s19
	v_cndmask_b32_e64 v4, 0, 1, s8
	s_and_b32 s8, s21, s23
	s_delay_alu instid0(VALU_DEP_2) | instskip(SKIP_3) | instid1(VALU_DEP_4)
	v_cmp_ne_u32_e64 s9, 0, v3
	v_cndmask_b32_e64 v5, 0, 1, s8
	v_cmp_ne_u32_e64 s8, 0, v2
	v_cmp_ne_u32_e64 s10, 0, v4
	s_bcnt1_i32_b32 s9, s9
	s_delay_alu instid0(VALU_DEP_3) | instskip(NEXT) | instid1(VALU_DEP_3)
	v_cmp_ne_u32_e64 s13, 0, v5
	s_bcnt1_i32_b32 s8, s8
	s_delay_alu instid0(VALU_DEP_2) | instskip(SKIP_1) | instid1(VALU_DEP_1)
	s_bcnt1_i32_b32 s10, s10
	s_add_i32 s8, s9, s8
	s_bcnt1_i32_b32 s13, s13
	s_add_i32 s8, s8, s10
	s_delay_alu instid0(SALU_CYCLE_1) | instskip(NEXT) | instid1(SALU_CYCLE_1)
	s_add_i32 s8, s8, s13
	s_add_u32 s66, s66, s8
	s_addc_u32 s67, s67, 0
	s_and_b32 s7, s7, s11
	v_mov_b32_e32 v6, s66
	v_cndmask_b32_e64 v2, 0, 1, s7
	s_and_b32 s7, s12, s15
	v_mov_b32_e32 v7, s67
	v_cndmask_b32_e64 v3, 0, 1, s7
	s_and_b32 s7, s16, s20
	s_delay_alu instid0(SALU_CYCLE_1) | instskip(SKIP_1) | instid1(VALU_DEP_2)
	v_cndmask_b32_e64 v4, 0, 1, s7
	s_and_b32 s7, s21, s24
	v_cmp_ne_u32_e64 s8, 0, v3
	v_cndmask_b32_e64 v5, 0, 1, s7
	v_cmp_ne_u32_e64 s7, 0, v2
	v_cmp_ne_u32_e64 s9, 0, v4
	v_mov_b32_e32 v2, s70
	s_bcnt1_i32_b32 s8, s8
	v_cmp_ne_u32_e64 s10, 0, v5
	s_bcnt1_i32_b32 s7, s7
	s_bcnt1_i32_b32 s9, s9
	s_add_i32 s7, s8, s7
	v_mov_b32_e32 v4, s68
	s_bcnt1_i32_b32 s8, s10
	s_add_i32 s7, s7, s9
	v_mov_b32_e32 v3, s71
	s_add_i32 s7, s7, s8
	v_mov_b32_e32 v5, s69
	s_add_u32 s64, s64, s7
	s_addc_u32 s65, s65, 0
	s_delay_alu instid0(SALU_CYCLE_1) | instskip(SKIP_1) | instid1(SALU_CYCLE_1)
	v_dual_mov_b32 v8, s64 :: v_dual_mov_b32 v9, s65
	s_or_b32 s58, vcc_lo, s58
	s_and_not1_b32 exec_lo, exec_lo, s58
	s_cbranch_execnz .LBB219_48
; %bb.49:                               ;   in Loop: Header=BB219_12 Depth=1
	s_or_b32 exec_lo, exec_lo, s58
.LBB219_50:                             ;   in Loop: Header=BB219_12 Depth=1
	s_delay_alu instid0(SALU_CYCLE_1) | instskip(SKIP_3) | instid1(VALU_DEP_2)
	s_or_b32 exec_lo, exec_lo, s26
	v_add_co_u32 v18, vcc_lo, v18, v0
	v_add_co_ci_u32_e32 v19, vcc_lo, 0, v19, vcc_lo
	v_dual_mov_b32 v21, 0 :: v_dual_and_b32 v12, 0xffff, v33
	v_cmp_gt_u64_e32 vcc_lo, s[36:37], v[18:19]
	s_and_saveexec_b32 s8, vcc_lo
	s_cbranch_execz .LBB219_52
; %bb.51:                               ;   in Loop: Header=BB219_12 Depth=1
	v_mul_lo_u32 v33, v19, s30
	v_mul_lo_u32 v34, v18, s31
	v_mad_u64_u32 v[20:21], null, v18, s30, 0
	s_delay_alu instid0(VALU_DEP_1) | instskip(NEXT) | instid1(VALU_DEP_1)
	v_add3_u32 v21, v21, v34, v33
	v_lshlrev_b64 v[20:21], 1, v[20:21]
	s_delay_alu instid0(VALU_DEP_1) | instskip(NEXT) | instid1(VALU_DEP_1)
	v_add_co_u32 v20, s7, s33, v20
	v_add_co_ci_u32_e64 v21, s7, s35, v21, s7
	global_load_u16 v21, v[20:21], off
.LBB219_52:                             ;   in Loop: Header=BB219_12 Depth=1
	s_or_b32 exec_lo, exec_lo, s8
	s_and_saveexec_b32 s11, vcc_lo
	s_cbranch_execz .LBB219_59
; %bb.53:                               ;   in Loop: Header=BB219_12 Depth=1
	s_and_b32 s13, s83, 0xfe
	s_mov_b32 s12, 0
	s_branch .LBB219_55
.LBB219_54:                             ;   in Loop: Header=BB219_55 Depth=2
	s_or_b32 exec_lo, exec_lo, s8
	s_waitcnt vmcnt(0)
	v_cmp_lt_i16_e64 s7, -1, v21
	v_and_b32_e32 v33, 0xffff, v21
	v_lshlrev_b32_e32 v21, 16, v21
	s_and_b32 s9, exec_lo, vcc_lo
	s_delay_alu instid0(SALU_CYCLE_1) | instskip(SKIP_1) | instid1(VALU_DEP_2)
	s_or_b32 s12, s9, s12
	v_cndmask_b32_e64 v34, 0xffff, v29, s7
	v_cmp_o_f32_e64 s7, v21, v21
	s_delay_alu instid0(VALU_DEP_2) | instskip(NEXT) | instid1(VALU_DEP_1)
	v_xor_b32_e32 v33, v34, v33
	v_cndmask_b32_e64 v21, 0xffff, v33, s7
	s_delay_alu instid0(VALU_DEP_1) | instskip(SKIP_1) | instid1(VALU_DEP_2)
	v_and_b32_e32 v33, v21, v30
	v_bfe_u32 v21, v21, s13, 2
	v_cmp_eq_u32_e64 s7, v33, v31
	s_delay_alu instid0(VALU_DEP_2) | instskip(SKIP_2) | instid1(VALU_DEP_3)
	v_cmp_eq_u32_e64 s8, 0, v21
	v_cmp_eq_u32_e32 vcc_lo, 1, v21
	v_cmp_eq_u32_e64 s9, 2, v21
	s_and_b32 s8, s7, s8
	s_delay_alu instid0(SALU_CYCLE_1) | instskip(SKIP_4) | instid1(SALU_CYCLE_1)
	v_cndmask_b32_e64 v33, 0, 1, s8
	s_and_b32 s8, s7, vcc_lo
	v_cmp_eq_u32_e32 vcc_lo, 3, v21
	v_cndmask_b32_e64 v34, 0, 1, s8
	s_and_b32 s8, s7, s9
	v_cndmask_b32_e64 v35, 0, 1, s8
	v_cmp_ne_u32_e64 s8, 0, v33
	s_delay_alu instid0(VALU_DEP_3) | instskip(SKIP_1) | instid1(SALU_CYCLE_1)
	v_cmp_ne_u32_e64 s9, 0, v34
	s_and_b32 s7, s7, vcc_lo
	v_cndmask_b32_e64 v21, 0, 1, s7
	s_delay_alu instid0(VALU_DEP_3)
	s_bcnt1_i32_b32 s7, s8
	v_cmp_ne_u32_e64 s10, 0, v35
	v_add_co_u32 v2, vcc_lo, v2, s7
	s_bcnt1_i32_b32 s8, s9
	v_add_co_ci_u32_e32 v3, vcc_lo, 0, v3, vcc_lo
	v_add_co_u32 v4, vcc_lo, v4, s8
	v_add_co_ci_u32_e32 v5, vcc_lo, 0, v5, vcc_lo
	s_bcnt1_i32_b32 s9, s10
	v_cmp_ne_u32_e32 vcc_lo, 0, v21
	v_add_co_u32 v6, s7, v6, s9
	s_delay_alu instid0(VALU_DEP_1)
	v_add_co_ci_u32_e64 v7, s7, 0, v7, s7
	s_bcnt1_i32_b32 s7, vcc_lo
	v_mov_b32_e32 v21, v20
	v_add_co_u32 v8, vcc_lo, v8, s7
	v_add_co_ci_u32_e32 v9, vcc_lo, 0, v9, vcc_lo
	s_and_not1_b32 exec_lo, exec_lo, s12
	s_cbranch_execz .LBB219_58
.LBB219_55:                             ;   Parent Loop BB219_12 Depth=1
                                        ; =>  This Inner Loop Header: Depth=2
	v_add_co_u32 v18, vcc_lo, v18, v12
	v_add_co_ci_u32_e32 v19, vcc_lo, 0, v19, vcc_lo
	v_mov_b32_e32 v20, 0
	s_mov_b32 s8, exec_lo
	s_delay_alu instid0(VALU_DEP_2)
	v_cmp_le_u64_e32 vcc_lo, s[36:37], v[18:19]
	v_cmpx_gt_u64_e64 s[36:37], v[18:19]
	s_cbranch_execz .LBB219_54
; %bb.56:                               ;   in Loop: Header=BB219_55 Depth=2
	v_mul_lo_u32 v20, v19, s30
	v_mul_lo_u32 v35, v18, s31
	v_mad_u64_u32 v[33:34], null, v18, s30, 0
	s_delay_alu instid0(VALU_DEP_1) | instskip(NEXT) | instid1(VALU_DEP_1)
	v_add3_u32 v34, v34, v35, v20
	v_lshlrev_b64 v[33:34], 1, v[33:34]
	s_delay_alu instid0(VALU_DEP_1) | instskip(NEXT) | instid1(VALU_DEP_1)
	v_add_co_u32 v33, s7, s33, v33
	v_add_co_ci_u32_e64 v34, s7, s35, v34, s7
	global_load_u16 v20, v[33:34], off
	s_branch .LBB219_54
.LBB219_57:                             ;   in Loop: Header=BB219_12 Depth=1
                                        ; implicit-def: $vgpr8_vgpr9
                                        ; implicit-def: $vgpr4_vgpr5
	s_cbranch_execnz .LBB219_60
	s_branch .LBB219_69
.LBB219_58:                             ;   in Loop: Header=BB219_12 Depth=1
	s_or_b32 exec_lo, exec_lo, s12
.LBB219_59:                             ;   in Loop: Header=BB219_12 Depth=1
	s_delay_alu instid0(SALU_CYCLE_1)
	s_or_b32 exec_lo, exec_lo, s11
	s_branch .LBB219_69
.LBB219_60:                             ;   in Loop: Header=BB219_12 Depth=1
	global_load_u16 v8, v13, s[60:61]
	s_mov_b64 s[64:65], 0
	s_mov_b32 s97, exec_lo
	s_waitcnt vmcnt(0)
	v_readfirstlane_b32 s7, v8
	v_and_b32_e32 v20, 0xffff, v8
	s_delay_alu instid0(VALU_DEP_2) | instskip(NEXT) | instid1(SALU_CYCLE_1)
	s_and_b32 s7, 0xffff, s7
	s_lshl_b32 s63, s7, 2
	s_delay_alu instid0(SALU_CYCLE_1) | instskip(SKIP_1) | instid1(VALU_DEP_1)
	v_cvt_f32_u32_e32 v2, s63
	s_sub_i32 s8, 0, s63
	v_rcp_iflag_f32_e32 v2, v2
	s_waitcnt_depctr 0xfff
	v_mul_f32_e32 v2, 0x4f7ffffe, v2
	s_delay_alu instid0(VALU_DEP_1) | instskip(NEXT) | instid1(VALU_DEP_1)
	v_cvt_u32_f32_e32 v2, v2
	v_readfirstlane_b32 s7, v2
	v_mov_b32_e32 v2, 0
	v_mov_b32_e32 v3, 0
	s_delay_alu instid0(VALU_DEP_3) | instskip(NEXT) | instid1(VALU_DEP_1)
	s_mul_i32 s8, s8, s7
	v_dual_mov_b32 v5, v3 :: v_dual_mov_b32 v4, v2
	s_mul_hi_u32 s8, s7, s8
	v_dual_mov_b32 v7, v3 :: v_dual_mov_b32 v6, v2
	s_add_i32 s7, s7, s8
	v_dual_mov_b32 v9, v3 :: v_dual_mov_b32 v8, v2
	s_mul_hi_u32 s7, s62, s7
	s_delay_alu instid0(SALU_CYCLE_1) | instskip(NEXT) | instid1(SALU_CYCLE_1)
	s_mul_i32 s7, s7, s63
	s_sub_i32 s7, s62, s7
	s_delay_alu instid0(SALU_CYCLE_1) | instskip(SKIP_2) | instid1(SALU_CYCLE_1)
	s_sub_i32 s8, s7, s63
	s_cmp_ge_u32 s7, s63
	s_cselect_b32 s7, s8, s7
	s_sub_i32 s8, s7, s63
	s_cmp_ge_u32 s7, s63
	s_cselect_b32 s7, s8, s7
	s_delay_alu instid0(SALU_CYCLE_1) | instskip(NEXT) | instid1(SALU_CYCLE_1)
	s_sub_i32 s58, s62, s7
	v_cmpx_gt_u32_e64 s58, v14
	s_cbranch_execz .LBB219_64
; %bb.61:                               ;   in Loop: Header=BB219_12 Depth=1
	v_dual_mov_b32 v21, v27 :: v_dual_lshlrev_b32 v12, 3, v20
	v_dual_mov_b32 v19, v15 :: v_dual_mov_b32 v18, v14
	s_and_b32 s98, s83, 0xfe
	s_mov_b32 s99, 0
	s_mov_b64 s[66:67], 0
	s_mov_b64 s[68:69], 0
	;; [unrolled: 1-line block ×3, first 2 shown]
.LBB219_62:                             ;   Parent Loop BB219_12 Depth=1
                                        ; =>  This Inner Loop Header: Depth=2
	ds_load_b64 v[2:3], v21
	v_add_co_u32 v18, vcc_lo, v18, s63
	v_add_co_ci_u32_e32 v19, vcc_lo, 0, v19, vcc_lo
	s_delay_alu instid0(VALU_DEP_1)
	v_cmp_le_u64_e32 vcc_lo, s[58:59], v[18:19]
	s_waitcnt lgkmcnt(0)
	v_cmp_lt_i16_e64 s7, -1, v2
	v_lshrrev_b32_e32 v4, 16, v2
	v_lshrrev_b32_e32 v5, 16, v3
	v_and_b32_e32 v6, 0xffff, v2
	v_lshlrev_b32_e32 v8, 16, v2
	v_cndmask_b32_e64 v7, 0xffff, v29, s7
	v_cmp_lt_i16_e64 s7, -1, v3
	v_and_b32_e32 v9, 0xffff, v3
	v_cmp_lt_i16_e64 s8, -1, v5
	v_lshlrev_b32_e32 v34, 16, v3
	v_and_b32_e32 v2, 0xffff0000, v2
	v_cndmask_b32_e64 v33, 0xffff, v29, s7
	v_cmp_lt_i16_e64 s7, -1, v4
	v_xor_b32_e32 v6, v7, v6
	v_and_b32_e32 v3, 0xffff0000, v3
	s_delay_alu instid0(VALU_DEP_4) | instskip(NEXT) | instid1(VALU_DEP_4)
	v_xor_b32_e32 v9, v33, v9
	v_cndmask_b32_e64 v7, 0xffff, v29, s7
	v_cndmask_b32_e64 v33, 0xffff, v29, s8
	v_cmp_o_f32_e64 s8, v8, v8
	v_cmp_o_f32_e64 s7, v34, v34
	s_delay_alu instid0(VALU_DEP_4) | instskip(NEXT) | instid1(VALU_DEP_4)
	v_xor_b32_e32 v4, v7, v4
	v_xor_b32_e32 v5, v33, v5
	s_delay_alu instid0(VALU_DEP_4) | instskip(SKIP_3) | instid1(VALU_DEP_4)
	v_cndmask_b32_e64 v6, 0xffff, v6, s8
	v_cmp_o_f32_e64 s8, v2, v2
	v_cndmask_b32_e64 v7, 0xffff, v9, s7
	v_cmp_o_f32_e64 s7, v3, v3
	v_and_b32_e32 v3, v6, v30
	s_delay_alu instid0(VALU_DEP_4) | instskip(SKIP_1) | instid1(VALU_DEP_4)
	v_cndmask_b32_e64 v2, 0xffff, v4, s8
	v_bfe_u32 v6, v6, s98, 2
	v_cndmask_b32_e64 v4, 0xffff, v5, s7
	v_and_b32_e32 v5, v7, v30
	v_bfe_u32 v7, v7, s98, 2
	v_cmp_eq_u32_e64 s7, v3, v31
	v_and_b32_e32 v3, v2, v30
	v_bfe_u32 v2, v2, s98, 2
	v_cmp_eq_u32_e64 s9, 0, v6
	v_cmp_eq_u32_e64 s8, v5, v31
	v_and_b32_e32 v5, v4, v30
	v_bfe_u32 v4, v4, s98, 2
	v_cmp_eq_u32_e64 s10, 0, v7
	v_cmp_eq_u32_e64 s17, v3, v31
	;; [unrolled: 1-line block ×3, first 2 shown]
	s_and_b32 s9, s7, s9
	v_cmp_eq_u32_e64 s18, v5, v31
	v_cmp_eq_u32_e64 s20, 0, v4
	v_cndmask_b32_e64 v3, 0, 1, s9
	s_and_b32 s9, s8, s10
	s_and_b32 s19, s17, s19
	v_cndmask_b32_e64 v5, 0, 1, s9
	v_cmp_eq_u32_e64 s9, 1, v2
	v_cmp_eq_u32_e64 s21, 2, v2
	;; [unrolled: 1-line block ×3, first 2 shown]
	v_cndmask_b32_e64 v2, 0, 1, s19
	s_and_b32 s19, s18, s20
	v_cmp_eq_u32_e64 s10, 1, v4
	v_cmp_eq_u32_e64 s22, 2, v4
	;; [unrolled: 1-line block ×3, first 2 shown]
	v_cndmask_b32_e64 v4, 0, 1, s19
	v_cmp_ne_u32_e64 s19, 0, v3
	v_cmp_ne_u32_e64 s25, 0, v2
	;; [unrolled: 1-line block ×3, first 2 shown]
	v_cmp_eq_u32_e64 s11, 1, v6
	v_cmp_ne_u32_e64 s26, 0, v4
	s_bcnt1_i32_b32 s19, s19
	s_bcnt1_i32_b32 s25, s25
	;; [unrolled: 1-line block ×3, first 2 shown]
	s_add_i32 s19, s25, s19
	s_bcnt1_i32_b32 s26, s26
	s_add_i32 s19, s19, s20
	v_cmp_eq_u32_e64 s12, 1, v7
	s_add_i32 s19, s19, s26
	v_cmp_eq_u32_e64 s13, 2, v6
	s_add_u32 s70, s70, s19
	s_addc_u32 s71, s71, 0
	s_and_b32 s11, s7, s11
	s_and_b32 s9, s17, s9
	v_cndmask_b32_e64 v2, 0, 1, s11
	v_cndmask_b32_e64 v3, 0, 1, s9
	s_and_b32 s9, s8, s12
	v_cmp_eq_u32_e64 s14, 2, v7
	v_cndmask_b32_e64 v4, 0, 1, s9
	s_and_b32 s9, s18, s10
	v_cmp_ne_u32_e64 s10, 0, v3
	v_cndmask_b32_e64 v5, 0, 1, s9
	v_cmp_ne_u32_e64 s9, 0, v2
	v_cmp_ne_u32_e64 s11, 0, v4
	v_cmp_eq_u32_e64 s15, 3, v6
	s_bcnt1_i32_b32 s10, s10
	v_cmp_ne_u32_e64 s12, 0, v5
	s_bcnt1_i32_b32 s9, s9
	s_bcnt1_i32_b32 s11, s11
	s_add_i32 s9, s10, s9
	v_cmp_eq_u32_e64 s16, 3, v7
	s_bcnt1_i32_b32 s12, s12
	s_add_i32 s9, s9, s11
	v_add_nc_u32_e32 v21, v21, v12
	s_add_i32 s9, s9, s12
	s_delay_alu instid0(SALU_CYCLE_1) | instskip(SKIP_2) | instid1(SALU_CYCLE_1)
	s_add_u32 s68, s68, s9
	s_addc_u32 s69, s69, 0
	s_and_b32 s9, s7, s13
	v_cndmask_b32_e64 v2, 0, 1, s9
	s_and_b32 s9, s17, s21
	s_delay_alu instid0(SALU_CYCLE_1) | instskip(SKIP_1) | instid1(SALU_CYCLE_1)
	v_cndmask_b32_e64 v3, 0, 1, s9
	s_and_b32 s9, s8, s14
	v_cndmask_b32_e64 v4, 0, 1, s9
	s_and_b32 s9, s18, s22
	s_delay_alu instid0(VALU_DEP_2) | instskip(SKIP_3) | instid1(VALU_DEP_4)
	v_cmp_ne_u32_e64 s10, 0, v3
	v_cndmask_b32_e64 v5, 0, 1, s9
	v_cmp_ne_u32_e64 s9, 0, v2
	v_cmp_ne_u32_e64 s11, 0, v4
	s_bcnt1_i32_b32 s10, s10
	s_delay_alu instid0(VALU_DEP_3) | instskip(NEXT) | instid1(VALU_DEP_3)
	v_cmp_ne_u32_e64 s12, 0, v5
	s_bcnt1_i32_b32 s9, s9
	s_delay_alu instid0(VALU_DEP_2) | instskip(SKIP_1) | instid1(VALU_DEP_1)
	s_bcnt1_i32_b32 s11, s11
	s_add_i32 s9, s10, s9
	s_bcnt1_i32_b32 s12, s12
	s_add_i32 s9, s9, s11
	s_delay_alu instid0(SALU_CYCLE_1) | instskip(NEXT) | instid1(SALU_CYCLE_1)
	s_add_i32 s9, s9, s12
	s_add_u32 s66, s66, s9
	s_addc_u32 s67, s67, 0
	s_and_b32 s7, s7, s15
	v_mov_b32_e32 v6, s66
	v_cndmask_b32_e64 v2, 0, 1, s7
	s_and_b32 s7, s17, s23
	v_mov_b32_e32 v7, s67
	v_cndmask_b32_e64 v3, 0, 1, s7
	s_and_b32 s7, s8, s16
	s_delay_alu instid0(SALU_CYCLE_1) | instskip(SKIP_1) | instid1(VALU_DEP_2)
	v_cndmask_b32_e64 v4, 0, 1, s7
	s_and_b32 s7, s18, s24
	v_cmp_ne_u32_e64 s8, 0, v3
	v_cndmask_b32_e64 v5, 0, 1, s7
	v_cmp_ne_u32_e64 s7, 0, v2
	v_mov_b32_e32 v2, s70
	v_cmp_ne_u32_e64 s9, 0, v4
	s_bcnt1_i32_b32 s8, s8
	v_cmp_ne_u32_e64 s10, 0, v5
	s_bcnt1_i32_b32 s7, s7
	v_mov_b32_e32 v4, s68
	s_bcnt1_i32_b32 s9, s9
	s_add_i32 s7, s8, s7
	s_bcnt1_i32_b32 s8, s10
	s_add_i32 s7, s7, s9
	v_mov_b32_e32 v3, s71
	s_add_i32 s7, s7, s8
	v_mov_b32_e32 v5, s69
	s_add_u32 s64, s64, s7
	s_addc_u32 s65, s65, 0
	s_delay_alu instid0(SALU_CYCLE_1) | instskip(SKIP_1) | instid1(SALU_CYCLE_1)
	v_dual_mov_b32 v8, s64 :: v_dual_mov_b32 v9, s65
	s_or_b32 s99, vcc_lo, s99
	s_and_not1_b32 exec_lo, exec_lo, s99
	s_cbranch_execnz .LBB219_62
; %bb.63:                               ;   in Loop: Header=BB219_12 Depth=1
	s_or_b32 exec_lo, exec_lo, s99
.LBB219_64:                             ;   in Loop: Header=BB219_12 Depth=1
	s_delay_alu instid0(SALU_CYCLE_1) | instskip(SKIP_2) | instid1(VALU_DEP_1)
	s_or_b32 exec_lo, exec_lo, s97
	v_add_nc_u32_e32 v12, s58, v0
	s_mov_b32 s14, exec_lo
	v_cmpx_gt_u32_e64 s62, v12
	s_cbranch_execz .LBB219_68
; %bb.65:                               ;   in Loop: Header=BB219_12 Depth=1
	v_mov_b32_e32 v19, v13
	v_dual_mov_b32 v18, v12 :: v_dual_lshlrev_b32 v21, 1, v12
	v_lshlrev_b32_e32 v33, 1, v20
	s_mov_b32 s13, 0
	s_and_b32 s12, s62, 0x7fffffff
	s_and_b32 s16, s83, 0xfe
	s_mov_b32 s15, s13
.LBB219_66:                             ;   Parent Loop BB219_12 Depth=1
                                        ; =>  This Inner Loop Header: Depth=2
	ds_load_u16 v12, v21
	v_add_co_u32 v18, vcc_lo, v18, v20
	v_add_co_ci_u32_e32 v19, vcc_lo, 0, v19, vcc_lo
	v_add_nc_u32_e32 v21, v21, v33
	s_delay_alu instid0(VALU_DEP_2) | instskip(SKIP_4) | instid1(VALU_DEP_3)
	v_cmp_le_u64_e32 vcc_lo, s[12:13], v[18:19]
	s_waitcnt lgkmcnt(0)
	v_cmp_lt_i16_e64 s7, -1, v12
	v_and_b32_e32 v34, 0xffff, v12
	v_lshlrev_b32_e32 v12, 16, v12
	v_cndmask_b32_e64 v35, 0xffff, v29, s7
	s_delay_alu instid0(VALU_DEP_2) | instskip(NEXT) | instid1(VALU_DEP_2)
	v_cmp_o_f32_e64 s7, v12, v12
	v_xor_b32_e32 v34, v35, v34
	s_delay_alu instid0(VALU_DEP_1) | instskip(NEXT) | instid1(VALU_DEP_1)
	v_cndmask_b32_e64 v12, 0xffff, v34, s7
	v_and_b32_e32 v34, v12, v30
	v_bfe_u32 v12, v12, s16, 2
	s_delay_alu instid0(VALU_DEP_2) | instskip(NEXT) | instid1(VALU_DEP_2)
	v_cmp_eq_u32_e64 s7, v34, v31
	v_cmp_eq_u32_e64 s8, 0, v12
	;; [unrolled: 1-line block ×5, first 2 shown]
	s_delay_alu instid0(VALU_DEP_4) | instskip(NEXT) | instid1(SALU_CYCLE_1)
	s_and_b32 s8, s7, s8
	v_cndmask_b32_e64 v12, 0, 1, s8
	s_and_b32 s8, s7, s9
	s_delay_alu instid0(SALU_CYCLE_1)
	v_cndmask_b32_e64 v34, 0, 1, s8
	s_and_b32 s8, s7, s10
	s_and_b32 s7, s7, s11
	v_cndmask_b32_e64 v35, 0, 1, s8
	v_cndmask_b32_e64 v36, 0, 1, s7
	v_cmp_ne_u32_e64 s7, 0, v12
	v_cmp_ne_u32_e64 s8, 0, v34
	s_delay_alu instid0(VALU_DEP_4) | instskip(NEXT) | instid1(VALU_DEP_4)
	v_cmp_ne_u32_e64 s9, 0, v35
	v_cmp_ne_u32_e64 s10, 0, v36
	s_delay_alu instid0(VALU_DEP_4) | instskip(NEXT) | instid1(VALU_DEP_3)
	s_bcnt1_i32_b32 s7, s7
	s_bcnt1_i32_b32 s8, s8
	v_add_co_u32 v2, s7, v2, s7
	s_delay_alu instid0(VALU_DEP_1)
	v_add_co_ci_u32_e64 v3, s7, 0, v3, s7
	v_add_co_u32 v4, s7, v4, s8
	s_bcnt1_i32_b32 s9, s9
	v_add_co_ci_u32_e64 v5, s7, 0, v5, s7
	v_add_co_u32 v6, s7, v6, s9
	s_bcnt1_i32_b32 s10, s10
	v_add_co_ci_u32_e64 v7, s7, 0, v7, s7
	v_add_co_u32 v8, s7, v8, s10
	s_delay_alu instid0(VALU_DEP_1) | instskip(SKIP_1) | instid1(SALU_CYCLE_1)
	v_add_co_ci_u32_e64 v9, s7, 0, v9, s7
	s_or_b32 s15, vcc_lo, s15
	s_and_not1_b32 exec_lo, exec_lo, s15
	s_cbranch_execnz .LBB219_66
; %bb.67:                               ;   in Loop: Header=BB219_12 Depth=1
	s_or_b32 exec_lo, exec_lo, s15
.LBB219_68:                             ;   in Loop: Header=BB219_12 Depth=1
	s_delay_alu instid0(SALU_CYCLE_1)
	s_or_b32 exec_lo, exec_lo, s14
.LBB219_69:                             ;   in Loop: Header=BB219_12 Depth=1
	s_lshl_b32 s7, s87, 7
	s_and_saveexec_b32 s8, s2
	s_cbranch_execz .LBB219_71
; %bb.70:                               ;   in Loop: Header=BB219_12 Depth=1
	v_or_b32_e32 v12, s7, v24
	s_delay_alu instid0(VALU_DEP_1)
	v_lshlrev_b32_e32 v12, 3, v12
	ds_store_b128 v12, v[2:5] offset:3072
	ds_store_b128 v12, v[6:9] offset:3088
.LBB219_71:                             ;   in Loop: Header=BB219_12 Depth=1
	s_or_b32 exec_lo, exec_lo, s8
	s_waitcnt vmcnt(0) lgkmcnt(0)
	s_barrier
	buffer_gl0_inv
	s_and_saveexec_b32 s8, s72
	s_cbranch_execz .LBB219_82
; %bb.72:                               ;   in Loop: Header=BB219_12 Depth=1
	v_mov_b32_e32 v2, 0
	v_mov_b32_e32 v3, 0
	s_and_not1_b32 vcc_lo, exec_lo, s80
	s_cbranch_vccnz .LBB219_81
; %bb.73:                               ;   in Loop: Header=BB219_12 Depth=1
	v_mov_b32_e32 v2, 0
	v_mov_b32_e32 v3, 0
	s_and_not1_b32 vcc_lo, exec_lo, s78
	s_cbranch_vccnz .LBB219_78
; %bb.74:                               ;   in Loop: Header=BB219_12 Depth=1
	v_lshl_add_u32 v4, s87, 10, v28
	s_mov_b32 s9, 0
	s_set_inst_prefetch_distance 0x1
	.p2align	6
.LBB219_75:                             ;   Parent Loop BB219_12 Depth=1
                                        ; =>  This Inner Loop Header: Depth=2
	ds_load_2addr_b64 v[5:8], v4 offset1:4
	ds_load_2addr_b64 v[18:21], v4 offset0:8 offset1:12
	ds_load_2addr_b64 v[33:36], v4 offset0:16 offset1:20
	s_add_i32 s9, s9, 8
	s_delay_alu instid0(SALU_CYCLE_1) | instskip(SKIP_3) | instid1(VALU_DEP_2)
	s_cmp_eq_u32 s79, s9
	s_waitcnt lgkmcnt(2)
	v_add_co_u32 v2, vcc_lo, v5, v2
	v_add_co_ci_u32_e32 v3, vcc_lo, v6, v3, vcc_lo
	v_add_co_u32 v2, vcc_lo, v7, v2
	s_delay_alu instid0(VALU_DEP_2)
	v_add_co_ci_u32_e32 v3, vcc_lo, v8, v3, vcc_lo
	ds_load_2addr_b64 v[5:8], v4 offset0:24 offset1:28
	s_waitcnt lgkmcnt(2)
	v_add_co_u32 v2, vcc_lo, v18, v2
	v_add_co_ci_u32_e32 v3, vcc_lo, v19, v3, vcc_lo
	v_add_nc_u32_e32 v4, 0x100, v4
	s_delay_alu instid0(VALU_DEP_3) | instskip(NEXT) | instid1(VALU_DEP_3)
	v_add_co_u32 v2, vcc_lo, v20, v2
	v_add_co_ci_u32_e32 v3, vcc_lo, v21, v3, vcc_lo
	s_waitcnt lgkmcnt(1)
	s_delay_alu instid0(VALU_DEP_2) | instskip(NEXT) | instid1(VALU_DEP_2)
	v_add_co_u32 v2, vcc_lo, v33, v2
	v_add_co_ci_u32_e32 v3, vcc_lo, v34, v3, vcc_lo
	s_delay_alu instid0(VALU_DEP_2) | instskip(NEXT) | instid1(VALU_DEP_2)
	v_add_co_u32 v2, vcc_lo, v35, v2
	v_add_co_ci_u32_e32 v3, vcc_lo, v36, v3, vcc_lo
	s_waitcnt lgkmcnt(0)
	s_delay_alu instid0(VALU_DEP_2) | instskip(NEXT) | instid1(VALU_DEP_2)
	v_add_co_u32 v2, vcc_lo, v5, v2
	v_add_co_ci_u32_e32 v3, vcc_lo, v6, v3, vcc_lo
	s_delay_alu instid0(VALU_DEP_2) | instskip(NEXT) | instid1(VALU_DEP_2)
	v_add_co_u32 v2, vcc_lo, v7, v2
	v_add_co_ci_u32_e32 v3, vcc_lo, v8, v3, vcc_lo
	s_cbranch_scc0 .LBB219_75
; %bb.76:                               ;   in Loop: Header=BB219_12 Depth=1
	s_set_inst_prefetch_distance 0x2
	s_mov_b32 s9, s79
	s_and_not1_b32 vcc_lo, exec_lo, s81
	s_cbranch_vccz .LBB219_79
	s_branch .LBB219_81
.LBB219_77:                             ;   in Loop: Header=BB219_12 Depth=1
                                        ; implicit-def: $vgpr2_vgpr3
	s_branch .LBB219_45
.LBB219_78:                             ;   in Loop: Header=BB219_12 Depth=1
	s_mov_b32 s9, 0
	s_and_not1_b32 vcc_lo, exec_lo, s81
	s_cbranch_vccnz .LBB219_81
.LBB219_79:                             ;   in Loop: Header=BB219_12 Depth=1
	s_lshl_b32 s10, s87, 10
	s_lshl_b32 s9, s9, 5
	s_delay_alu instid0(SALU_CYCLE_1)
	v_add3_u32 v4, s10, s9, v28
	s_mov_b32 s9, s77
.LBB219_80:                             ;   Parent Loop BB219_12 Depth=1
                                        ; =>  This Inner Loop Header: Depth=2
	ds_load_b64 v[5:6], v4
	v_add_nc_u32_e32 v4, 32, v4
	s_add_i32 s9, s9, -1
	s_delay_alu instid0(SALU_CYCLE_1)
	s_cmp_lg_u32 s9, 0
	s_waitcnt lgkmcnt(0)
	v_add_co_u32 v2, vcc_lo, v5, v2
	v_add_co_ci_u32_e32 v3, vcc_lo, v6, v3, vcc_lo
	s_cbranch_scc1 .LBB219_80
.LBB219_81:                             ;   in Loop: Header=BB219_12 Depth=1
	v_add_lshl_u32 v4, s7, v23, 3
	ds_store_b64 v4, v[2:3] offset:3072
.LBB219_82:                             ;   in Loop: Header=BB219_12 Depth=1
	s_or_b32 exec_lo, exec_lo, s8
	s_lshl_b32 s7, s7, 3
	s_waitcnt lgkmcnt(0)
	v_mov_b32_e32 v6, s7
	s_barrier
	buffer_gl0_inv
	s_and_b32 s22, s83, 0xfe
	v_cmp_eq_u64_e64 s7, 1, v[16:17]
	ds_load_b128 v[2:5], v6 offset:3072
	ds_load_b128 v[6:9], v6 offset:3088
	s_lshl_b32 s20, 3, s22
	s_and_not1_b32 vcc_lo, exec_lo, s53
	s_not_b32 s21, s20
	s_waitcnt lgkmcnt(1)
	v_readfirstlane_b32 s11, v3
	v_readfirstlane_b32 s10, v2
	;; [unrolled: 1-line block ×4, first 2 shown]
	s_waitcnt lgkmcnt(0)
	v_readfirstlane_b32 s15, v7
	v_readfirstlane_b32 s14, v6
	;; [unrolled: 1-line block ×4, first 2 shown]
	s_cbranch_vccnz .LBB219_98
; %bb.83:                               ;   in Loop: Header=BB219_12 Depth=1
	s_cmp_eq_u64 s[10:11], 1
	v_dual_mov_b32 v8, v31 :: v_dual_mov_b32 v9, v30
	v_mov_b32_e32 v6, v32
	s_cselect_b32 s8, -1, 0
                                        ; implicit-def: $sgpr23
                                        ; implicit-def: $sgpr62
                                        ; implicit-def: $sgpr58
	s_delay_alu instid0(SALU_CYCLE_1)
	s_and_b32 s65, s8, s7
	s_mov_b32 s8, -1
	s_and_saveexec_b32 s24, s65
	s_cbranch_execz .LBB219_117
; %bb.84:                               ;   in Loop: Header=BB219_12 Depth=1
	ds_load_b64 v[2:3], v13 offset:5120
	s_waitcnt lgkmcnt(0)
	s_barrier
	buffer_gl0_inv
	v_readfirstlane_b32 s18, v2
	v_readfirstlane_b32 s19, v3
	s_and_saveexec_b32 s8, s6
	s_cbranch_execz .LBB219_86
; %bb.85:                               ;   in Loop: Header=BB219_12 Depth=1
	ds_store_b16 v26, v13
.LBB219_86:                             ;   in Loop: Header=BB219_12 Depth=1
	s_or_b32 exec_lo, exec_lo, s8
	v_and_b32_e32 v8, s21, v31
	v_or_b32_e32 v9, s20, v30
	s_cmp_eq_u64 s[18:19], 0
	s_waitcnt lgkmcnt(0)
	s_barrier
	buffer_gl0_inv
	s_cbranch_scc1 .LBB219_100
; %bb.87:                               ;   in Loop: Header=BB219_12 Depth=1
	s_add_u32 s23, s74, s18
	s_addc_u32 s9, s75, s19
	s_mov_b32 s8, s59
	s_delay_alu instid0(SALU_CYCLE_1)
	s_cmp_lg_u64 s[8:9], 0
	s_cbranch_scc0 .LBB219_144
; %bb.88:                               ;   in Loop: Header=BB219_12 Depth=1
	v_cvt_f32_u32_e32 v2, s49
	s_sub_u32 s26, 0, s49
	s_subb_u32 s54, 0, 0
	s_delay_alu instid0(VALU_DEP_1) | instskip(NEXT) | instid1(VALU_DEP_1)
	v_fmac_f32_e64 v2, 0, 0x4f800000
	v_rcp_f32_e32 v2, v2
	s_waitcnt_depctr 0xfff
	v_mul_f32_e32 v2, 0x5f7ffffc, v2
	s_delay_alu instid0(VALU_DEP_1) | instskip(NEXT) | instid1(VALU_DEP_1)
	v_mul_f32_e32 v3, 0x2f800000, v2
	v_trunc_f32_e32 v3, v3
	s_delay_alu instid0(VALU_DEP_1) | instskip(SKIP_1) | instid1(VALU_DEP_2)
	v_fmac_f32_e32 v2, 0xcf800000, v3
	v_cvt_u32_f32_e32 v3, v3
	v_cvt_u32_f32_e32 v2, v2
	s_delay_alu instid0(VALU_DEP_2) | instskip(NEXT) | instid1(VALU_DEP_2)
	v_readfirstlane_b32 s8, v3
	v_readfirstlane_b32 s25, v2
	s_delay_alu instid0(VALU_DEP_2) | instskip(NEXT) | instid1(VALU_DEP_1)
	s_mul_i32 s55, s26, s8
	s_mul_hi_u32 s57, s26, s25
	s_mul_i32 s56, s54, s25
	s_add_i32 s55, s57, s55
	s_mul_i32 s58, s26, s25
	s_add_i32 s55, s55, s56
	s_mul_hi_u32 s57, s25, s58
	s_mul_hi_u32 s62, s8, s58
	s_mul_i32 s56, s8, s58
	s_mul_hi_u32 s58, s25, s55
	s_mul_i32 s25, s25, s55
	s_mul_hi_u32 s63, s8, s55
	s_add_u32 s25, s57, s25
	s_addc_u32 s57, 0, s58
	s_add_u32 s25, s25, s56
	s_mul_i32 s55, s8, s55
	s_addc_u32 s25, s57, s62
	s_addc_u32 s56, s63, 0
	s_add_u32 s25, s25, s55
	s_addc_u32 s55, 0, s56
	v_add_co_u32 v2, s25, v2, s25
	s_delay_alu instid0(VALU_DEP_1) | instskip(SKIP_1) | instid1(VALU_DEP_1)
	s_cmp_lg_u32 s25, 0
	s_addc_u32 s8, s8, s55
	v_readfirstlane_b32 s25, v2
	s_mul_i32 s55, s26, s8
	s_delay_alu instid0(VALU_DEP_1)
	s_mul_hi_u32 s56, s26, s25
	s_mul_i32 s54, s54, s25
	s_add_i32 s55, s56, s55
	s_mul_i32 s26, s26, s25
	s_add_i32 s55, s55, s54
	s_mul_hi_u32 s56, s8, s26
	s_mul_i32 s57, s8, s26
	s_mul_hi_u32 s26, s25, s26
	s_mul_hi_u32 s58, s25, s55
	s_mul_i32 s25, s25, s55
	s_mul_hi_u32 s54, s8, s55
	s_add_u32 s25, s26, s25
	s_addc_u32 s26, 0, s58
	s_add_u32 s25, s25, s57
	s_mul_i32 s55, s8, s55
	s_addc_u32 s25, s26, s56
	s_addc_u32 s26, s54, 0
	s_add_u32 s25, s25, s55
	s_addc_u32 s26, 0, s26
	v_add_co_u32 v2, s25, v2, s25
	s_delay_alu instid0(VALU_DEP_1) | instskip(SKIP_1) | instid1(VALU_DEP_1)
	s_cmp_lg_u32 s25, 0
	s_addc_u32 s8, s8, s26
	v_readfirstlane_b32 s25, v2
	s_mul_i32 s54, s23, s8
	s_mul_hi_u32 s26, s23, s8
	s_mul_hi_u32 s55, s9, s8
	s_mul_i32 s8, s9, s8
	s_mul_hi_u32 s56, s23, s25
	s_mul_hi_u32 s57, s9, s25
	s_mul_i32 s25, s9, s25
	s_add_u32 s54, s56, s54
	s_addc_u32 s26, 0, s26
	s_add_u32 s25, s54, s25
	s_addc_u32 s25, s26, s57
	s_addc_u32 s26, s55, 0
	s_add_u32 s8, s25, s8
	s_addc_u32 s25, 0, s26
	s_mul_hi_u32 s26, s49, s8
	s_mul_i32 s8, s49, s8
	s_mul_i32 s25, s49, s25
	v_sub_co_u32 v2, s8, s23, s8
	s_add_i32 s26, s26, s25
	s_cmp_lg_u32 s8, 0
	s_delay_alu instid0(VALU_DEP_1) | instskip(SKIP_2) | instid1(VALU_DEP_1)
	v_sub_co_u32 v3, s8, v2, s49
	s_subb_u32 s25, s9, s26
	s_cmp_lg_u32 s8, 0
	v_cmp_le_u32_e32 vcc_lo, s49, v3
	v_sub_co_u32 v4, s8, v3, s49
	s_subb_u32 s26, s25, 0
	s_cmp_lg_u32 s8, 0
	v_cndmask_b32_e64 v5, 0, -1, vcc_lo
	s_subb_u32 s8, s26, 0
	s_cmp_eq_u32 s26, 0
	v_mov_b32_e32 v7, s8
	s_cselect_b32 vcc_lo, -1, 0
	s_cmp_eq_u32 s25, 0
	v_cndmask_b32_e32 v5, -1, v5, vcc_lo
	v_cmp_le_u32_e32 vcc_lo, s49, v2
	s_cselect_b32 s8, -1, 0
	v_cndmask_b32_e64 v6, 0, -1, vcc_lo
	s_delay_alu instid0(VALU_DEP_3) | instskip(NEXT) | instid1(VALU_DEP_2)
	v_cmp_ne_u32_e32 vcc_lo, 0, v5
	v_cndmask_b32_e64 v5, -1, v6, s8
	v_cndmask_b32_e32 v6, s26, v7, vcc_lo
	v_cndmask_b32_e32 v4, v3, v4, vcc_lo
	s_delay_alu instid0(VALU_DEP_3) | instskip(NEXT) | instid1(VALU_DEP_3)
	v_cmp_ne_u32_e32 vcc_lo, 0, v5
	v_cndmask_b32_e32 v3, s25, v6, vcc_lo
	s_delay_alu instid0(VALU_DEP_3)
	v_cndmask_b32_e32 v2, v2, v4, vcc_lo
	s_cbranch_execnz .LBB219_90
.LBB219_89:                             ;   in Loop: Header=BB219_12 Depth=1
	v_cvt_f32_u32_e32 v2, s49
	s_sub_i32 s8, 0, s49
	s_delay_alu instid0(VALU_DEP_1) | instskip(SKIP_2) | instid1(VALU_DEP_1)
	v_rcp_iflag_f32_e32 v2, v2
	s_waitcnt_depctr 0xfff
	v_mul_f32_e32 v2, 0x4f7ffffe, v2
	v_cvt_u32_f32_e32 v2, v2
	s_delay_alu instid0(VALU_DEP_1) | instskip(NEXT) | instid1(VALU_DEP_1)
	v_mul_lo_u32 v3, s8, v2
	v_mul_hi_u32 v3, v2, v3
	s_delay_alu instid0(VALU_DEP_1) | instskip(NEXT) | instid1(VALU_DEP_1)
	v_add_nc_u32_e32 v2, v2, v3
	v_mul_hi_u32 v2, s23, v2
	s_delay_alu instid0(VALU_DEP_1) | instskip(NEXT) | instid1(VALU_DEP_1)
	v_mul_lo_u32 v2, v2, s49
	v_sub_nc_u32_e32 v2, s23, v2
	s_delay_alu instid0(VALU_DEP_1) | instskip(SKIP_1) | instid1(VALU_DEP_2)
	v_subrev_nc_u32_e32 v3, s49, v2
	v_cmp_le_u32_e32 vcc_lo, s49, v2
	v_cndmask_b32_e32 v2, v2, v3, vcc_lo
	s_delay_alu instid0(VALU_DEP_1) | instskip(SKIP_1) | instid1(VALU_DEP_2)
	v_subrev_nc_u32_e32 v3, s49, v2
	v_cmp_le_u32_e32 vcc_lo, s49, v2
	v_cndmask_b32_e32 v12, v2, v3, vcc_lo
	s_delay_alu instid0(VALU_DEP_1)
	v_dual_mov_b32 v2, v12 :: v_dual_mov_b32 v3, v13
.LBB219_90:                             ;   in Loop: Header=BB219_12 Depth=1
	s_delay_alu instid0(VALU_DEP_1) | instskip(NEXT) | instid1(VALU_DEP_2)
	v_sub_co_u32 v2, vcc_lo, s23, v2
	v_sub_co_ci_u32_e32 v3, vcc_lo, s9, v3, vcc_lo
	s_mov_b32 s8, 0
	s_mov_b32 s9, exec_lo
                                        ; implicit-def: $vgpr6
	s_delay_alu instid0(VALU_DEP_1)
	v_cmpx_gt_u64_e64 v[2:3], v[0:1]
	s_cbranch_execz .LBB219_102
; %bb.91:                               ;   in Loop: Header=BB219_12 Depth=1
	v_mov_b32_e32 v6, v25
	v_dual_mov_b32 v5, v1 :: v_dual_mov_b32 v4, v0
	s_mov_b32 s23, 0
                                        ; implicit-def: $sgpr25
	s_branch .LBB219_93
.LBB219_92:                             ;   in Loop: Header=BB219_93 Depth=2
	s_or_b32 exec_lo, exec_lo, s8
	s_waitcnt lgkmcnt(0)
	s_barrier
	buffer_gl0_inv
	ds_load_b32 v7, v13 offset:3072
	v_add_co_u32 v4, vcc_lo, v4, s49
	v_add_co_ci_u32_e32 v5, vcc_lo, 0, v5, vcc_lo
	v_add_nc_u32_e32 v6, s82, v6
	s_waitcnt lgkmcnt(0)
	s_barrier
	s_delay_alu instid0(VALU_DEP_2) | instskip(SKIP_2) | instid1(VALU_DEP_1)
	v_cmp_ge_u64_e32 vcc_lo, v[4:5], v[2:3]
	buffer_gl0_inv
	v_and_b32_e32 v12, 0x7fff, v7
	v_cmp_ne_u16_e64 s8, 0, v12
	s_delay_alu instid0(VALU_DEP_1) | instskip(NEXT) | instid1(SALU_CYCLE_1)
	s_or_b32 s26, vcc_lo, s8
	s_and_b32 s26, exec_lo, s26
	s_delay_alu instid0(SALU_CYCLE_1) | instskip(SKIP_2) | instid1(SALU_CYCLE_1)
	s_or_b32 s23, s26, s23
	s_and_not1_b32 s25, s25, exec_lo
	s_and_b32 s8, s8, exec_lo
	s_or_b32 s25, s25, s8
	s_and_not1_b32 exec_lo, exec_lo, s23
	s_cbranch_execz .LBB219_101
.LBB219_93:                             ;   Parent Loop BB219_12 Depth=1
                                        ; =>  This Inner Loop Header: Depth=2
	s_delay_alu instid0(VALU_DEP_1)
	v_cmp_gt_u64_e32 vcc_lo, s[18:19], v[4:5]
	v_mov_b32_e32 v7, 0
	s_and_saveexec_b32 s8, vcc_lo
	s_cbranch_execz .LBB219_95
; %bb.94:                               ;   in Loop: Header=BB219_93 Depth=2
	ds_load_u16 v7, v6
.LBB219_95:                             ;   in Loop: Header=BB219_93 Depth=2
	s_or_b32 exec_lo, exec_lo, s8
	s_and_saveexec_b32 s8, vcc_lo
	s_cbranch_execz .LBB219_92
; %bb.96:                               ;   in Loop: Header=BB219_93 Depth=2
	s_waitcnt lgkmcnt(0)
	v_cmp_lt_i16_e32 vcc_lo, -1, v7
	v_and_b32_e32 v12, 0xffff, v7
	v_dual_cndmask_b32 v18, 0xffff, v29 :: v_dual_lshlrev_b32 v19, 16, v7
	s_delay_alu instid0(VALU_DEP_1) | instskip(NEXT) | instid1(VALU_DEP_2)
	v_cmp_o_f32_e32 vcc_lo, v19, v19
	v_xor_b32_e32 v12, v18, v12
	s_delay_alu instid0(VALU_DEP_1) | instskip(NEXT) | instid1(VALU_DEP_1)
	v_cndmask_b32_e32 v12, 0xffff, v12, vcc_lo
	v_and_b32_e32 v12, v12, v9
	s_delay_alu instid0(VALU_DEP_1)
	v_cmp_eq_u32_e32 vcc_lo, v12, v8
	s_and_b32 exec_lo, exec_lo, vcc_lo
	s_cbranch_execz .LBB219_92
; %bb.97:                               ;   in Loop: Header=BB219_93 Depth=2
	v_perm_b32 v7, v7, s85, 0x5040100
	ds_store_b32 v13, v7 offset:3072
	s_branch .LBB219_92
.LBB219_98:                             ;   in Loop: Header=BB219_12 Depth=1
	s_mov_b32 s25, 0
	s_mov_b32 s24, 0
                                        ; implicit-def: $sgpr58
                                        ; implicit-def: $sgpr62
                                        ; implicit-def: $sgpr23
                                        ; implicit-def: $vgpr7
                                        ; implicit-def: $vgpr2_vgpr3
                                        ; implicit-def: $vgpr8
                                        ; implicit-def: $vgpr9
                                        ; implicit-def: $vgpr6
	s_cbranch_execnz .LBB219_281
.LBB219_99:                             ;   in Loop: Header=BB219_12 Depth=1
	s_mov_b32 s18, s23
	s_mov_b32 s19, s23
	s_and_saveexec_b32 s7, s25
	s_cbranch_execnz .LBB219_477
	s_branch .LBB219_478
.LBB219_100:                            ;   in Loop: Header=BB219_12 Depth=1
	s_mov_b32 s23, -1
	s_mov_b32 s8, 0
                                        ; implicit-def: $sgpr58
                                        ; implicit-def: $vgpr6
	s_mov_b32 s62, s23
	s_cbranch_execnz .LBB219_103
	s_branch .LBB219_116
.LBB219_101:                            ;   in Loop: Header=BB219_12 Depth=1
	s_or_b32 exec_lo, exec_lo, s23
	v_lshrrev_b32_e32 v6, 16, v7
	s_and_b32 s8, s25, exec_lo
.LBB219_102:                            ;   in Loop: Header=BB219_12 Depth=1
	s_or_b32 exec_lo, exec_lo, s9
	s_mov_b32 s58, -1
	s_mov_b32 s23, 0
	s_delay_alu instid0(SALU_CYCLE_1)
	s_mov_b32 s62, s23
	s_branch .LBB219_116
.LBB219_103:                            ;   in Loop: Header=BB219_12 Depth=1
	s_mov_b32 s26, s59
	s_delay_alu instid0(SALU_CYCLE_1)
	s_cmp_lg_u64 s[26:27], 0
	s_cbranch_scc0 .LBB219_145
; %bb.104:                              ;   in Loop: Header=BB219_12 Depth=1
	v_cvt_f32_u32_e32 v2, s49
	s_sub_u32 s18, 0, s49
	s_subb_u32 s19, 0, 0
	s_delay_alu instid0(VALU_DEP_1) | instskip(NEXT) | instid1(VALU_DEP_1)
	v_fmac_f32_e64 v2, 0, 0x4f800000
	v_rcp_f32_e32 v2, v2
	s_waitcnt_depctr 0xfff
	v_mul_f32_e32 v2, 0x5f7ffffc, v2
	s_delay_alu instid0(VALU_DEP_1) | instskip(NEXT) | instid1(VALU_DEP_1)
	v_mul_f32_e32 v3, 0x2f800000, v2
	v_trunc_f32_e32 v3, v3
	s_delay_alu instid0(VALU_DEP_1) | instskip(SKIP_1) | instid1(VALU_DEP_2)
	v_fmac_f32_e32 v2, 0xcf800000, v3
	v_cvt_u32_f32_e32 v3, v3
	v_cvt_u32_f32_e32 v2, v2
	s_delay_alu instid0(VALU_DEP_2) | instskip(NEXT) | instid1(VALU_DEP_2)
	v_readfirstlane_b32 s8, v3
	v_readfirstlane_b32 s9, v2
	s_delay_alu instid0(VALU_DEP_2) | instskip(NEXT) | instid1(VALU_DEP_1)
	s_mul_i32 s23, s18, s8
	s_mul_hi_u32 s26, s18, s9
	s_mul_i32 s25, s19, s9
	s_add_i32 s23, s26, s23
	s_mul_i32 s54, s18, s9
	s_add_i32 s23, s23, s25
	s_mul_hi_u32 s26, s9, s54
	s_mul_hi_u32 s55, s8, s54
	s_mul_i32 s25, s8, s54
	s_mul_hi_u32 s54, s9, s23
	s_mul_i32 s9, s9, s23
	s_mul_hi_u32 s56, s8, s23
	s_add_u32 s9, s26, s9
	s_addc_u32 s26, 0, s54
	s_add_u32 s9, s9, s25
	s_mul_i32 s23, s8, s23
	s_addc_u32 s9, s26, s55
	s_addc_u32 s25, s56, 0
	s_add_u32 s9, s9, s23
	s_addc_u32 s23, 0, s25
	v_add_co_u32 v2, s9, v2, s9
	s_delay_alu instid0(VALU_DEP_1) | instskip(SKIP_1) | instid1(VALU_DEP_1)
	s_cmp_lg_u32 s9, 0
	s_addc_u32 s8, s8, s23
	v_readfirstlane_b32 s9, v2
	s_mul_i32 s23, s18, s8
	s_delay_alu instid0(VALU_DEP_1)
	s_mul_hi_u32 s25, s18, s9
	s_mul_i32 s19, s19, s9
	s_add_i32 s23, s25, s23
	s_mul_i32 s18, s18, s9
	s_add_i32 s23, s23, s19
	s_mul_hi_u32 s25, s8, s18
	s_mul_i32 s26, s8, s18
	s_mul_hi_u32 s18, s9, s18
	s_mul_hi_u32 s54, s9, s23
	s_mul_i32 s9, s9, s23
	s_mul_hi_u32 s19, s8, s23
	s_add_u32 s9, s18, s9
	s_addc_u32 s18, 0, s54
	s_add_u32 s9, s9, s26
	s_mul_i32 s23, s8, s23
	s_addc_u32 s9, s18, s25
	s_addc_u32 s18, s19, 0
	s_add_u32 s9, s9, s23
	s_addc_u32 s18, 0, s18
	v_add_co_u32 v2, s9, v2, s9
	s_delay_alu instid0(VALU_DEP_1) | instskip(SKIP_1) | instid1(VALU_DEP_1)
	s_cmp_lg_u32 s9, 0
	s_addc_u32 s8, s8, s18
	v_readfirstlane_b32 s9, v2
	s_mul_i32 s19, s76, s8
	s_mul_hi_u32 s18, s76, s8
	s_mul_hi_u32 s23, s27, s8
	s_mul_i32 s8, s27, s8
	s_mul_hi_u32 s25, s76, s9
	s_mul_hi_u32 s26, s27, s9
	s_mul_i32 s9, s27, s9
	s_add_u32 s19, s25, s19
	s_addc_u32 s18, 0, s18
	s_add_u32 s9, s19, s9
	s_addc_u32 s9, s18, s26
	s_addc_u32 s18, s23, 0
	s_add_u32 s8, s9, s8
	s_addc_u32 s9, 0, s18
	s_mul_hi_u32 s18, s49, s8
	s_mul_i32 s8, s49, s8
	s_mul_i32 s9, s49, s9
	v_sub_co_u32 v2, s8, s76, s8
	s_add_i32 s18, s18, s9
	s_cmp_lg_u32 s8, 0
	s_delay_alu instid0(VALU_DEP_1) | instskip(SKIP_2) | instid1(VALU_DEP_1)
	v_sub_co_u32 v3, s8, v2, s49
	s_subb_u32 s9, s27, s18
	s_cmp_lg_u32 s8, 0
	v_cmp_le_u32_e32 vcc_lo, s49, v3
	v_sub_co_u32 v4, s8, v3, s49
	s_subb_u32 s18, s9, 0
	s_cmp_lg_u32 s8, 0
	v_cndmask_b32_e64 v5, 0, -1, vcc_lo
	s_subb_u32 s8, s18, 0
	s_cmp_eq_u32 s18, 0
	v_mov_b32_e32 v7, s8
	s_cselect_b32 vcc_lo, -1, 0
	s_cmp_eq_u32 s9, 0
	v_cndmask_b32_e32 v5, -1, v5, vcc_lo
	v_cmp_le_u32_e32 vcc_lo, s49, v2
	s_cselect_b32 s8, -1, 0
	v_cndmask_b32_e64 v6, 0, -1, vcc_lo
	s_delay_alu instid0(VALU_DEP_3) | instskip(NEXT) | instid1(VALU_DEP_2)
	v_cmp_ne_u32_e32 vcc_lo, 0, v5
	v_cndmask_b32_e64 v5, -1, v6, s8
	v_cndmask_b32_e32 v6, s18, v7, vcc_lo
	v_cndmask_b32_e32 v4, v3, v4, vcc_lo
	s_delay_alu instid0(VALU_DEP_3) | instskip(NEXT) | instid1(VALU_DEP_3)
	v_cmp_ne_u32_e32 vcc_lo, 0, v5
	v_cndmask_b32_e32 v3, s9, v6, vcc_lo
	s_delay_alu instid0(VALU_DEP_3)
	v_cndmask_b32_e32 v2, v2, v4, vcc_lo
	s_cbranch_execnz .LBB219_106
.LBB219_105:                            ;   in Loop: Header=BB219_12 Depth=1
	v_cvt_f32_u32_e32 v2, s49
	s_sub_i32 s8, 0, s49
	s_delay_alu instid0(VALU_DEP_1) | instskip(SKIP_2) | instid1(VALU_DEP_1)
	v_rcp_iflag_f32_e32 v2, v2
	s_waitcnt_depctr 0xfff
	v_mul_f32_e32 v2, 0x4f7ffffe, v2
	v_cvt_u32_f32_e32 v2, v2
	s_delay_alu instid0(VALU_DEP_1) | instskip(NEXT) | instid1(VALU_DEP_1)
	v_mul_lo_u32 v3, s8, v2
	v_mul_hi_u32 v3, v2, v3
	s_delay_alu instid0(VALU_DEP_1) | instskip(NEXT) | instid1(VALU_DEP_1)
	v_add_nc_u32_e32 v2, v2, v3
	v_mul_hi_u32 v2, s76, v2
	s_delay_alu instid0(VALU_DEP_1) | instskip(NEXT) | instid1(VALU_DEP_1)
	v_mul_lo_u32 v2, v2, s49
	v_sub_nc_u32_e32 v2, s76, v2
	s_delay_alu instid0(VALU_DEP_1) | instskip(SKIP_1) | instid1(VALU_DEP_2)
	v_subrev_nc_u32_e32 v3, s49, v2
	v_cmp_le_u32_e32 vcc_lo, s49, v2
	v_cndmask_b32_e32 v2, v2, v3, vcc_lo
	s_delay_alu instid0(VALU_DEP_1) | instskip(SKIP_1) | instid1(VALU_DEP_2)
	v_subrev_nc_u32_e32 v3, s49, v2
	v_cmp_le_u32_e32 vcc_lo, s49, v2
	v_cndmask_b32_e32 v12, v2, v3, vcc_lo
	s_delay_alu instid0(VALU_DEP_1)
	v_dual_mov_b32 v2, v12 :: v_dual_mov_b32 v3, v13
.LBB219_106:                            ;   in Loop: Header=BB219_12 Depth=1
	s_delay_alu instid0(VALU_DEP_1) | instskip(NEXT) | instid1(VALU_DEP_2)
	v_sub_co_u32 v2, vcc_lo, s76, v2
	v_sub_co_ci_u32_e32 v3, vcc_lo, s27, v3, vcc_lo
	s_mov_b32 s8, 0
	s_mov_b32 s9, exec_lo
                                        ; implicit-def: $vgpr6
	s_delay_alu instid0(VALU_DEP_1)
	v_cmpx_gt_u64_e64 v[2:3], v[0:1]
	s_cbranch_execz .LBB219_115
; %bb.107:                              ;   in Loop: Header=BB219_12 Depth=1
	v_dual_mov_b32 v5, v1 :: v_dual_mov_b32 v4, v0
	s_mov_b32 s18, 0
                                        ; implicit-def: $sgpr19
	s_branch .LBB219_109
.LBB219_108:                            ;   in Loop: Header=BB219_109 Depth=2
	s_or_b32 exec_lo, exec_lo, s8
	s_waitcnt vmcnt(0) lgkmcnt(0)
	s_barrier
	buffer_gl0_inv
	ds_load_b32 v6, v13 offset:3072
	v_add_co_u32 v4, vcc_lo, v4, s49
	v_add_co_ci_u32_e32 v5, vcc_lo, 0, v5, vcc_lo
	s_waitcnt lgkmcnt(0)
	s_barrier
	buffer_gl0_inv
	v_cmp_ge_u64_e32 vcc_lo, v[4:5], v[2:3]
	v_and_b32_e32 v7, 0x7fff, v6
	s_delay_alu instid0(VALU_DEP_1) | instskip(NEXT) | instid1(VALU_DEP_1)
	v_cmp_ne_u16_e64 s8, 0, v7
	s_or_b32 s23, vcc_lo, s8
	s_delay_alu instid0(SALU_CYCLE_1) | instskip(NEXT) | instid1(SALU_CYCLE_1)
	s_and_b32 s23, exec_lo, s23
	s_or_b32 s18, s23, s18
	s_and_not1_b32 s19, s19, exec_lo
	s_and_b32 s8, s8, exec_lo
	s_delay_alu instid0(SALU_CYCLE_1)
	s_or_b32 s19, s19, s8
	s_and_not1_b32 exec_lo, exec_lo, s18
	s_cbranch_execz .LBB219_114
.LBB219_109:                            ;   Parent Loop BB219_12 Depth=1
                                        ; =>  This Inner Loop Header: Depth=2
	s_delay_alu instid0(VALU_DEP_1)
	v_cmp_gt_u64_e32 vcc_lo, s[36:37], v[4:5]
	v_mov_b32_e32 v6, 0
	s_and_saveexec_b32 s23, vcc_lo
	s_cbranch_execz .LBB219_111
; %bb.110:                              ;   in Loop: Header=BB219_109 Depth=2
	v_mul_lo_u32 v12, v5, s30
	v_mul_lo_u32 v18, v4, s31
	v_mad_u64_u32 v[6:7], null, v4, s30, 0
	s_delay_alu instid0(VALU_DEP_1) | instskip(NEXT) | instid1(VALU_DEP_1)
	v_add3_u32 v7, v7, v18, v12
	v_lshlrev_b64 v[6:7], 1, v[6:7]
	s_delay_alu instid0(VALU_DEP_1) | instskip(NEXT) | instid1(VALU_DEP_1)
	v_add_co_u32 v6, s8, s33, v6
	v_add_co_ci_u32_e64 v7, s8, s35, v7, s8
	global_load_u16 v6, v[6:7], off
.LBB219_111:                            ;   in Loop: Header=BB219_109 Depth=2
	s_or_b32 exec_lo, exec_lo, s23
	s_and_saveexec_b32 s8, vcc_lo
	s_cbranch_execz .LBB219_108
; %bb.112:                              ;   in Loop: Header=BB219_109 Depth=2
	s_waitcnt vmcnt(0)
	v_cmp_lt_i16_e32 vcc_lo, -1, v6
	v_dual_cndmask_b32 v12, 0xffff, v29 :: v_dual_and_b32 v7, 0xffff, v6
	s_delay_alu instid0(VALU_DEP_1) | instskip(SKIP_1) | instid1(VALU_DEP_1)
	v_xor_b32_e32 v7, v12, v7
	v_lshlrev_b32_e32 v18, 16, v6
	v_cmp_o_f32_e32 vcc_lo, v18, v18
	s_delay_alu instid0(VALU_DEP_3) | instskip(NEXT) | instid1(VALU_DEP_1)
	v_cndmask_b32_e32 v7, 0xffff, v7, vcc_lo
	v_and_b32_e32 v7, v7, v9
	s_delay_alu instid0(VALU_DEP_1)
	v_cmp_eq_u32_e32 vcc_lo, v7, v8
	s_and_b32 exec_lo, exec_lo, vcc_lo
	s_cbranch_execz .LBB219_108
; %bb.113:                              ;   in Loop: Header=BB219_109 Depth=2
	v_perm_b32 v6, v6, s85, 0x5040100
	ds_store_b32 v13, v6 offset:3072
	s_branch .LBB219_108
.LBB219_114:                            ;   in Loop: Header=BB219_12 Depth=1
	s_or_b32 exec_lo, exec_lo, s18
	v_lshrrev_b32_e32 v6, 16, v6
	s_and_b32 s8, s19, exec_lo
.LBB219_115:                            ;   in Loop: Header=BB219_12 Depth=1
	s_or_b32 exec_lo, exec_lo, s9
	s_mov_b32 s62, -1
	s_mov_b32 s23, 0
	s_mov_b32 s58, 0
.LBB219_116:                            ;   in Loop: Header=BB219_12 Depth=1
	s_or_not1_b32 s8, s8, exec_lo
.LBB219_117:                            ;   in Loop: Header=BB219_12 Depth=1
	s_or_b32 exec_lo, exec_lo, s24
	s_mov_b32 s63, 0
	s_mov_b32 s25, 0
	;; [unrolled: 1-line block ×3, first 2 shown]
                                        ; implicit-def: $vgpr7
                                        ; implicit-def: $vgpr2_vgpr3
	s_and_saveexec_b32 s64, s8
	s_cbranch_execz .LBB219_280
; %bb.118:                              ;   in Loop: Header=BB219_12 Depth=1
	v_dual_mov_b32 v2, 1 :: v_dual_mov_b32 v7, 1
	v_mov_b32_e32 v3, 0
	s_xor_b32 s9, s65, -1
	s_delay_alu instid0(SALU_CYCLE_1)
	s_and_saveexec_b32 s8, s9
	s_cbranch_execz .LBB219_128
; %bb.119:                              ;   in Loop: Header=BB219_12 Depth=1
	s_mov_b32 s18, exec_lo
                                        ; implicit-def: $sgpr19
                                        ; implicit-def: $sgpr9
	v_cmpx_ge_u64_e64 s[10:11], v[16:17]
	s_xor_b32 s18, exec_lo, s18
	s_cbranch_execz .LBB219_125
; %bb.120:                              ;   in Loop: Header=BB219_12 Depth=1
	ds_load_b64 v[2:3], v13 offset:5120
	s_waitcnt lgkmcnt(0)
	v_cmp_ne_u64_e32 vcc_lo, 0, v[2:3]
	s_cbranch_vccnz .LBB219_124
; %bb.121:                              ;   in Loop: Header=BB219_12 Depth=1
	s_and_saveexec_b32 s9, s5
	s_cbranch_execz .LBB219_123
; %bb.122:                              ;   in Loop: Header=BB219_12 Depth=1
	v_dual_mov_b32 v2, s10 :: v_dual_mov_b32 v3, s11
	ds_store_b64 v13, v[2:3] offset:5128
.LBB219_123:                            ;   in Loop: Header=BB219_12 Depth=1
	s_or_b32 exec_lo, exec_lo, s9
	s_waitcnt lgkmcnt(0)
	s_barrier
	buffer_gl0_inv
.LBB219_124:                            ;   in Loop: Header=BB219_12 Depth=1
	v_and_b32_e32 v8, s21, v8
	v_or_b32_e32 v9, s20, v9
	s_mov_b32 s9, 0
	s_mov_b32 s19, 8
.LBB219_125:                            ;   in Loop: Header=BB219_12 Depth=1
	s_or_saveexec_b32 s18, s18
	v_dual_mov_b32 v7, s19 :: v_dual_mov_b32 v2, v16
	v_mov_b32_e32 v3, v17
	s_xor_b32 exec_lo, exec_lo, s18
; %bb.126:                              ;   in Loop: Header=BB219_12 Depth=1
	v_sub_co_u32 v2, vcc_lo, v16, s10
	v_subrev_co_ci_u32_e32 v3, vcc_lo, s11, v17, vcc_lo
	v_mov_b32_e32 v7, 0
	s_or_b32 s9, s9, exec_lo
; %bb.127:                              ;   in Loop: Header=BB219_12 Depth=1
	s_or_b32 exec_lo, exec_lo, s18
	s_delay_alu instid0(SALU_CYCLE_1)
	s_and_b32 s24, s9, exec_lo
.LBB219_128:                            ;   in Loop: Header=BB219_12 Depth=1
	s_or_b32 exec_lo, exec_lo, s8
	s_mov_b32 s25, -1
                                        ; implicit-def: $sgpr9
                                        ; implicit-def: $sgpr18
                                        ; implicit-def: $sgpr19
	s_and_saveexec_b32 s8, s24
	s_delay_alu instid0(SALU_CYCLE_1)
	s_xor_b32 s24, exec_lo, s8
	s_cbranch_execz .LBB219_277
; %bb.129:                              ;   in Loop: Header=BB219_12 Depth=1
	v_cmp_eq_u64_e32 vcc_lo, 1, v[2:3]
	s_cmp_eq_u64 s[12:13], 1
                                        ; implicit-def: $sgpr25
                                        ; implicit-def: $sgpr66
                                        ; implicit-def: $sgpr65
	s_cselect_b32 s8, -1, 0
	s_delay_alu instid0(SALU_CYCLE_1)
	s_and_b32 s68, s8, vcc_lo
	s_mov_b32 s8, -1
	s_and_saveexec_b32 s67, s68
	s_cbranch_execz .LBB219_163
; %bb.130:                              ;   in Loop: Header=BB219_12 Depth=1
	ds_load_b64 v[4:5], v13 offset:5120
	s_waitcnt lgkmcnt(0)
	s_barrier
	buffer_gl0_inv
	v_readfirstlane_b32 s18, v4
	v_readfirstlane_b32 s19, v5
	s_and_saveexec_b32 s8, s6
	s_cbranch_execz .LBB219_132
; %bb.131:                              ;   in Loop: Header=BB219_12 Depth=1
	ds_store_b16 v26, v13
.LBB219_132:                            ;   in Loop: Header=BB219_12 Depth=1
	s_or_b32 exec_lo, exec_lo, s8
	s_lshl_b32 s8, 1, s22
	v_or_b32_e32 v9, s20, v9
	v_and_or_b32 v8, v8, s21, s8
	s_cmp_eq_u64 s[18:19], 0
	s_waitcnt lgkmcnt(0)
	s_barrier
	buffer_gl0_inv
	s_cbranch_scc1 .LBB219_146
; %bb.133:                              ;   in Loop: Header=BB219_12 Depth=1
	s_add_u32 s25, s74, s18
	s_addc_u32 s9, s75, s19
	s_mov_b32 s8, s59
	s_delay_alu instid0(SALU_CYCLE_1)
	s_cmp_lg_u64 s[8:9], 0
	s_cbranch_scc0 .LBB219_190
; %bb.134:                              ;   in Loop: Header=BB219_12 Depth=1
	v_cvt_f32_u32_e32 v4, s49
	s_sub_u32 s65, 0, s49
	s_subb_u32 s66, 0, 0
	s_delay_alu instid0(VALU_DEP_1) | instskip(NEXT) | instid1(VALU_DEP_1)
	v_fmac_f32_e64 v4, 0, 0x4f800000
	v_rcp_f32_e32 v4, v4
	s_waitcnt_depctr 0xfff
	v_mul_f32_e32 v4, 0x5f7ffffc, v4
	s_delay_alu instid0(VALU_DEP_1) | instskip(NEXT) | instid1(VALU_DEP_1)
	v_mul_f32_e32 v5, 0x2f800000, v4
	v_trunc_f32_e32 v5, v5
	s_delay_alu instid0(VALU_DEP_1) | instskip(SKIP_1) | instid1(VALU_DEP_2)
	v_fmac_f32_e32 v4, 0xcf800000, v5
	v_cvt_u32_f32_e32 v5, v5
	v_cvt_u32_f32_e32 v4, v4
	s_delay_alu instid0(VALU_DEP_2) | instskip(NEXT) | instid1(VALU_DEP_2)
	v_readfirstlane_b32 s8, v5
	v_readfirstlane_b32 s26, v4
	s_delay_alu instid0(VALU_DEP_2) | instskip(NEXT) | instid1(VALU_DEP_1)
	s_mul_i32 s69, s65, s8
	s_mul_hi_u32 s71, s65, s26
	s_mul_i32 s70, s66, s26
	s_add_i32 s69, s71, s69
	s_mul_i32 s97, s65, s26
	s_add_i32 s69, s69, s70
	s_mul_hi_u32 s71, s26, s97
	s_mul_hi_u32 s98, s8, s97
	s_mul_i32 s70, s8, s97
	s_mul_hi_u32 s97, s26, s69
	s_mul_i32 s26, s26, s69
	s_mul_hi_u32 s99, s8, s69
	s_add_u32 s26, s71, s26
	s_addc_u32 s71, 0, s97
	s_add_u32 s26, s26, s70
	s_mul_i32 s69, s8, s69
	s_addc_u32 s26, s71, s98
	s_addc_u32 s70, s99, 0
	s_add_u32 s26, s26, s69
	s_addc_u32 s69, 0, s70
	v_add_co_u32 v4, s26, v4, s26
	s_delay_alu instid0(VALU_DEP_1) | instskip(SKIP_1) | instid1(VALU_DEP_1)
	s_cmp_lg_u32 s26, 0
	s_addc_u32 s8, s8, s69
	v_readfirstlane_b32 s26, v4
	s_mul_i32 s69, s65, s8
	s_delay_alu instid0(VALU_DEP_1)
	s_mul_hi_u32 s70, s65, s26
	s_mul_i32 s66, s66, s26
	s_add_i32 s69, s70, s69
	s_mul_i32 s65, s65, s26
	s_add_i32 s69, s69, s66
	s_mul_hi_u32 s70, s8, s65
	s_mul_i32 s71, s8, s65
	s_mul_hi_u32 s65, s26, s65
	s_mul_hi_u32 s97, s26, s69
	s_mul_i32 s26, s26, s69
	s_mul_hi_u32 s66, s8, s69
	s_add_u32 s26, s65, s26
	s_addc_u32 s65, 0, s97
	s_add_u32 s26, s26, s71
	s_mul_i32 s69, s8, s69
	s_addc_u32 s26, s65, s70
	s_addc_u32 s65, s66, 0
	s_add_u32 s26, s26, s69
	s_addc_u32 s65, 0, s65
	v_add_co_u32 v4, s26, v4, s26
	s_delay_alu instid0(VALU_DEP_1) | instskip(SKIP_1) | instid1(VALU_DEP_1)
	s_cmp_lg_u32 s26, 0
	s_addc_u32 s8, s8, s65
	v_readfirstlane_b32 s26, v4
	s_mul_i32 s66, s25, s8
	s_mul_hi_u32 s65, s25, s8
	s_mul_hi_u32 s69, s9, s8
	s_mul_i32 s8, s9, s8
	s_mul_hi_u32 s70, s25, s26
	s_mul_hi_u32 s71, s9, s26
	s_mul_i32 s26, s9, s26
	s_add_u32 s66, s70, s66
	s_addc_u32 s65, 0, s65
	s_add_u32 s26, s66, s26
	s_addc_u32 s26, s65, s71
	s_addc_u32 s65, s69, 0
	s_add_u32 s8, s26, s8
	s_addc_u32 s26, 0, s65
	s_mul_hi_u32 s65, s49, s8
	s_mul_i32 s8, s49, s8
	s_mul_i32 s26, s49, s26
	v_sub_co_u32 v4, s8, s25, s8
	s_add_i32 s65, s65, s26
	s_cmp_lg_u32 s8, 0
	s_delay_alu instid0(VALU_DEP_1) | instskip(SKIP_2) | instid1(VALU_DEP_1)
	v_sub_co_u32 v5, s8, v4, s49
	s_subb_u32 s26, s9, s65
	s_cmp_lg_u32 s8, 0
	v_cmp_le_u32_e32 vcc_lo, s49, v5
	v_sub_co_u32 v6, s8, v5, s49
	s_subb_u32 s65, s26, 0
	s_cmp_lg_u32 s8, 0
	v_cndmask_b32_e64 v7, 0, -1, vcc_lo
	s_subb_u32 s8, s65, 0
	s_cmp_eq_u32 s65, 0
	v_mov_b32_e32 v18, s8
	s_cselect_b32 vcc_lo, -1, 0
	s_cmp_eq_u32 s26, 0
	v_cndmask_b32_e32 v7, -1, v7, vcc_lo
	v_cmp_le_u32_e32 vcc_lo, s49, v4
	s_cselect_b32 s8, -1, 0
	v_cndmask_b32_e64 v12, 0, -1, vcc_lo
	s_delay_alu instid0(VALU_DEP_3) | instskip(NEXT) | instid1(VALU_DEP_2)
	v_cmp_ne_u32_e32 vcc_lo, 0, v7
	v_cndmask_b32_e64 v7, -1, v12, s8
	v_cndmask_b32_e32 v12, s65, v18, vcc_lo
	v_cndmask_b32_e32 v6, v5, v6, vcc_lo
	s_delay_alu instid0(VALU_DEP_3) | instskip(NEXT) | instid1(VALU_DEP_3)
	v_cmp_ne_u32_e32 vcc_lo, 0, v7
	v_cndmask_b32_e32 v5, s26, v12, vcc_lo
	s_delay_alu instid0(VALU_DEP_3)
	v_cndmask_b32_e32 v4, v4, v6, vcc_lo
	s_cbranch_execnz .LBB219_136
.LBB219_135:                            ;   in Loop: Header=BB219_12 Depth=1
	v_cvt_f32_u32_e32 v4, s49
	s_sub_i32 s8, 0, s49
	s_delay_alu instid0(VALU_DEP_1) | instskip(SKIP_2) | instid1(VALU_DEP_1)
	v_rcp_iflag_f32_e32 v4, v4
	s_waitcnt_depctr 0xfff
	v_mul_f32_e32 v4, 0x4f7ffffe, v4
	v_cvt_u32_f32_e32 v4, v4
	s_delay_alu instid0(VALU_DEP_1) | instskip(NEXT) | instid1(VALU_DEP_1)
	v_mul_lo_u32 v5, s8, v4
	v_mul_hi_u32 v5, v4, v5
	s_delay_alu instid0(VALU_DEP_1) | instskip(NEXT) | instid1(VALU_DEP_1)
	v_add_nc_u32_e32 v4, v4, v5
	v_mul_hi_u32 v4, s25, v4
	s_delay_alu instid0(VALU_DEP_1) | instskip(NEXT) | instid1(VALU_DEP_1)
	v_mul_lo_u32 v4, v4, s49
	v_sub_nc_u32_e32 v4, s25, v4
	s_delay_alu instid0(VALU_DEP_1) | instskip(SKIP_1) | instid1(VALU_DEP_2)
	v_subrev_nc_u32_e32 v5, s49, v4
	v_cmp_le_u32_e32 vcc_lo, s49, v4
	v_cndmask_b32_e32 v4, v4, v5, vcc_lo
	s_delay_alu instid0(VALU_DEP_1) | instskip(SKIP_1) | instid1(VALU_DEP_2)
	v_subrev_nc_u32_e32 v5, s49, v4
	v_cmp_le_u32_e32 vcc_lo, s49, v4
	v_cndmask_b32_e32 v12, v4, v5, vcc_lo
	s_delay_alu instid0(VALU_DEP_1)
	v_dual_mov_b32 v4, v12 :: v_dual_mov_b32 v5, v13
.LBB219_136:                            ;   in Loop: Header=BB219_12 Depth=1
	s_delay_alu instid0(VALU_DEP_1) | instskip(NEXT) | instid1(VALU_DEP_2)
	v_sub_co_u32 v4, vcc_lo, s25, v4
	v_sub_co_ci_u32_e32 v5, vcc_lo, s9, v5, vcc_lo
	s_mov_b32 s8, 0
	s_mov_b32 s9, exec_lo
                                        ; implicit-def: $vgpr6
	s_delay_alu instid0(VALU_DEP_1)
	v_cmpx_gt_u64_e64 v[4:5], v[0:1]
	s_cbranch_execz .LBB219_148
; %bb.137:                              ;   in Loop: Header=BB219_12 Depth=1
	v_mov_b32_e32 v12, v25
	v_dual_mov_b32 v7, v1 :: v_dual_mov_b32 v6, v0
	s_mov_b32 s25, 0
                                        ; implicit-def: $sgpr26
	s_branch .LBB219_139
.LBB219_138:                            ;   in Loop: Header=BB219_139 Depth=2
	s_or_b32 exec_lo, exec_lo, s8
	s_waitcnt lgkmcnt(0)
	s_barrier
	buffer_gl0_inv
	ds_load_b32 v18, v13 offset:3072
	v_add_co_u32 v6, vcc_lo, v6, s49
	v_add_co_ci_u32_e32 v7, vcc_lo, 0, v7, vcc_lo
	v_add_nc_u32_e32 v12, s82, v12
	s_waitcnt lgkmcnt(0)
	s_barrier
	s_delay_alu instid0(VALU_DEP_2) | instskip(SKIP_2) | instid1(VALU_DEP_1)
	v_cmp_ge_u64_e32 vcc_lo, v[6:7], v[4:5]
	buffer_gl0_inv
	v_and_b32_e32 v19, 0x7fff, v18
	v_cmp_ne_u16_e64 s8, 0, v19
	s_delay_alu instid0(VALU_DEP_1) | instskip(NEXT) | instid1(SALU_CYCLE_1)
	s_or_b32 s65, vcc_lo, s8
	s_and_b32 s65, exec_lo, s65
	s_delay_alu instid0(SALU_CYCLE_1) | instskip(SKIP_2) | instid1(SALU_CYCLE_1)
	s_or_b32 s25, s65, s25
	s_and_not1_b32 s26, s26, exec_lo
	s_and_b32 s8, s8, exec_lo
	s_or_b32 s26, s26, s8
	s_and_not1_b32 exec_lo, exec_lo, s25
	s_cbranch_execz .LBB219_147
.LBB219_139:                            ;   Parent Loop BB219_12 Depth=1
                                        ; =>  This Inner Loop Header: Depth=2
	s_delay_alu instid0(VALU_DEP_1)
	v_cmp_gt_u64_e32 vcc_lo, s[18:19], v[6:7]
	v_mov_b32_e32 v18, 0
	s_and_saveexec_b32 s8, vcc_lo
	s_cbranch_execz .LBB219_141
; %bb.140:                              ;   in Loop: Header=BB219_139 Depth=2
	ds_load_u16 v18, v12
.LBB219_141:                            ;   in Loop: Header=BB219_139 Depth=2
	s_or_b32 exec_lo, exec_lo, s8
	s_and_saveexec_b32 s8, vcc_lo
	s_cbranch_execz .LBB219_138
; %bb.142:                              ;   in Loop: Header=BB219_139 Depth=2
	s_waitcnt lgkmcnt(0)
	v_cmp_lt_i16_e32 vcc_lo, -1, v18
	v_and_b32_e32 v19, 0xffff, v18
	v_dual_cndmask_b32 v20, 0xffff, v29 :: v_dual_lshlrev_b32 v21, 16, v18
	s_delay_alu instid0(VALU_DEP_1) | instskip(NEXT) | instid1(VALU_DEP_2)
	v_cmp_o_f32_e32 vcc_lo, v21, v21
	v_xor_b32_e32 v19, v20, v19
	s_delay_alu instid0(VALU_DEP_1) | instskip(NEXT) | instid1(VALU_DEP_1)
	v_cndmask_b32_e32 v19, 0xffff, v19, vcc_lo
	v_and_b32_e32 v19, v19, v9
	s_delay_alu instid0(VALU_DEP_1)
	v_cmp_eq_u32_e32 vcc_lo, v19, v8
	s_and_b32 exec_lo, exec_lo, vcc_lo
	s_cbranch_execz .LBB219_138
; %bb.143:                              ;   in Loop: Header=BB219_139 Depth=2
	v_perm_b32 v18, v18, s85, 0x5040100
	ds_store_b32 v13, v18 offset:3072
	s_branch .LBB219_138
.LBB219_144:                            ;   in Loop: Header=BB219_12 Depth=1
                                        ; implicit-def: $vgpr2_vgpr3
	s_branch .LBB219_89
.LBB219_145:                            ;   in Loop: Header=BB219_12 Depth=1
                                        ; implicit-def: $vgpr2_vgpr3
	s_branch .LBB219_105
.LBB219_146:                            ;   in Loop: Header=BB219_12 Depth=1
	s_mov_b32 s25, -1
	s_mov_b32 s8, 0
                                        ; implicit-def: $sgpr65
                                        ; implicit-def: $vgpr6
	s_mov_b32 s66, s25
	s_cbranch_execnz .LBB219_149
	s_branch .LBB219_162
.LBB219_147:                            ;   in Loop: Header=BB219_12 Depth=1
	s_or_b32 exec_lo, exec_lo, s25
	v_lshrrev_b32_e32 v6, 16, v18
	s_and_b32 s8, s26, exec_lo
.LBB219_148:                            ;   in Loop: Header=BB219_12 Depth=1
	s_or_b32 exec_lo, exec_lo, s9
	s_mov_b32 s65, -1
	s_mov_b32 s25, 0
	s_delay_alu instid0(SALU_CYCLE_1)
	s_mov_b32 s66, s25
	s_branch .LBB219_162
.LBB219_149:                            ;   in Loop: Header=BB219_12 Depth=1
	s_mov_b32 s26, s59
	s_delay_alu instid0(SALU_CYCLE_1)
	s_cmp_lg_u64 s[26:27], 0
	s_cbranch_scc0 .LBB219_191
; %bb.150:                              ;   in Loop: Header=BB219_12 Depth=1
	v_cvt_f32_u32_e32 v4, s49
	s_sub_u32 s18, 0, s49
	s_subb_u32 s19, 0, 0
	s_delay_alu instid0(VALU_DEP_1) | instskip(NEXT) | instid1(VALU_DEP_1)
	v_fmac_f32_e64 v4, 0, 0x4f800000
	v_rcp_f32_e32 v4, v4
	s_waitcnt_depctr 0xfff
	v_mul_f32_e32 v4, 0x5f7ffffc, v4
	s_delay_alu instid0(VALU_DEP_1) | instskip(NEXT) | instid1(VALU_DEP_1)
	v_mul_f32_e32 v5, 0x2f800000, v4
	v_trunc_f32_e32 v5, v5
	s_delay_alu instid0(VALU_DEP_1) | instskip(SKIP_1) | instid1(VALU_DEP_2)
	v_fmac_f32_e32 v4, 0xcf800000, v5
	v_cvt_u32_f32_e32 v5, v5
	v_cvt_u32_f32_e32 v4, v4
	s_delay_alu instid0(VALU_DEP_2) | instskip(NEXT) | instid1(VALU_DEP_2)
	v_readfirstlane_b32 s8, v5
	v_readfirstlane_b32 s9, v4
	s_delay_alu instid0(VALU_DEP_2) | instskip(NEXT) | instid1(VALU_DEP_1)
	s_mul_i32 s25, s18, s8
	s_mul_hi_u32 s65, s18, s9
	s_mul_i32 s26, s19, s9
	s_add_i32 s25, s65, s25
	s_mul_i32 s66, s18, s9
	s_add_i32 s25, s25, s26
	s_mul_hi_u32 s65, s9, s66
	s_mul_hi_u32 s69, s8, s66
	s_mul_i32 s26, s8, s66
	s_mul_hi_u32 s66, s9, s25
	s_mul_i32 s9, s9, s25
	s_mul_hi_u32 s70, s8, s25
	s_add_u32 s9, s65, s9
	s_addc_u32 s65, 0, s66
	s_add_u32 s9, s9, s26
	s_mul_i32 s25, s8, s25
	s_addc_u32 s9, s65, s69
	s_addc_u32 s26, s70, 0
	s_add_u32 s9, s9, s25
	s_addc_u32 s25, 0, s26
	v_add_co_u32 v4, s9, v4, s9
	s_delay_alu instid0(VALU_DEP_1) | instskip(SKIP_1) | instid1(VALU_DEP_1)
	s_cmp_lg_u32 s9, 0
	s_addc_u32 s8, s8, s25
	v_readfirstlane_b32 s9, v4
	s_mul_i32 s25, s18, s8
	s_delay_alu instid0(VALU_DEP_1)
	s_mul_hi_u32 s26, s18, s9
	s_mul_i32 s19, s19, s9
	s_add_i32 s25, s26, s25
	s_mul_i32 s18, s18, s9
	s_add_i32 s25, s25, s19
	s_mul_hi_u32 s26, s8, s18
	s_mul_i32 s65, s8, s18
	s_mul_hi_u32 s18, s9, s18
	s_mul_hi_u32 s66, s9, s25
	s_mul_i32 s9, s9, s25
	s_mul_hi_u32 s19, s8, s25
	s_add_u32 s9, s18, s9
	s_addc_u32 s18, 0, s66
	s_add_u32 s9, s9, s65
	s_mul_i32 s25, s8, s25
	s_addc_u32 s9, s18, s26
	s_addc_u32 s18, s19, 0
	s_add_u32 s9, s9, s25
	s_addc_u32 s18, 0, s18
	v_add_co_u32 v4, s9, v4, s9
	s_delay_alu instid0(VALU_DEP_1) | instskip(SKIP_1) | instid1(VALU_DEP_1)
	s_cmp_lg_u32 s9, 0
	s_addc_u32 s8, s8, s18
	v_readfirstlane_b32 s9, v4
	s_mul_i32 s19, s76, s8
	s_mul_hi_u32 s18, s76, s8
	s_mul_hi_u32 s25, s27, s8
	s_mul_i32 s8, s27, s8
	s_mul_hi_u32 s26, s76, s9
	s_mul_hi_u32 s65, s27, s9
	s_mul_i32 s9, s27, s9
	s_add_u32 s19, s26, s19
	s_addc_u32 s18, 0, s18
	s_add_u32 s9, s19, s9
	s_addc_u32 s9, s18, s65
	s_addc_u32 s18, s25, 0
	s_add_u32 s8, s9, s8
	s_addc_u32 s9, 0, s18
	s_mul_hi_u32 s18, s49, s8
	s_mul_i32 s8, s49, s8
	s_mul_i32 s9, s49, s9
	v_sub_co_u32 v4, s8, s76, s8
	s_add_i32 s18, s18, s9
	s_cmp_lg_u32 s8, 0
	s_delay_alu instid0(VALU_DEP_1) | instskip(SKIP_2) | instid1(VALU_DEP_1)
	v_sub_co_u32 v5, s8, v4, s49
	s_subb_u32 s9, s27, s18
	s_cmp_lg_u32 s8, 0
	v_cmp_le_u32_e32 vcc_lo, s49, v5
	v_sub_co_u32 v6, s8, v5, s49
	s_subb_u32 s18, s9, 0
	s_cmp_lg_u32 s8, 0
	v_cndmask_b32_e64 v7, 0, -1, vcc_lo
	s_subb_u32 s8, s18, 0
	s_cmp_eq_u32 s18, 0
	v_mov_b32_e32 v18, s8
	s_cselect_b32 vcc_lo, -1, 0
	s_cmp_eq_u32 s9, 0
	v_cndmask_b32_e32 v7, -1, v7, vcc_lo
	v_cmp_le_u32_e32 vcc_lo, s49, v4
	s_cselect_b32 s8, -1, 0
	v_cndmask_b32_e64 v12, 0, -1, vcc_lo
	s_delay_alu instid0(VALU_DEP_3) | instskip(NEXT) | instid1(VALU_DEP_2)
	v_cmp_ne_u32_e32 vcc_lo, 0, v7
	v_cndmask_b32_e64 v7, -1, v12, s8
	v_cndmask_b32_e32 v12, s18, v18, vcc_lo
	v_cndmask_b32_e32 v6, v5, v6, vcc_lo
	s_delay_alu instid0(VALU_DEP_3) | instskip(NEXT) | instid1(VALU_DEP_3)
	v_cmp_ne_u32_e32 vcc_lo, 0, v7
	v_cndmask_b32_e32 v5, s9, v12, vcc_lo
	s_delay_alu instid0(VALU_DEP_3)
	v_cndmask_b32_e32 v4, v4, v6, vcc_lo
	s_cbranch_execnz .LBB219_152
.LBB219_151:                            ;   in Loop: Header=BB219_12 Depth=1
	v_cvt_f32_u32_e32 v4, s49
	s_sub_i32 s8, 0, s49
	s_delay_alu instid0(VALU_DEP_1) | instskip(SKIP_2) | instid1(VALU_DEP_1)
	v_rcp_iflag_f32_e32 v4, v4
	s_waitcnt_depctr 0xfff
	v_mul_f32_e32 v4, 0x4f7ffffe, v4
	v_cvt_u32_f32_e32 v4, v4
	s_delay_alu instid0(VALU_DEP_1) | instskip(NEXT) | instid1(VALU_DEP_1)
	v_mul_lo_u32 v5, s8, v4
	v_mul_hi_u32 v5, v4, v5
	s_delay_alu instid0(VALU_DEP_1) | instskip(NEXT) | instid1(VALU_DEP_1)
	v_add_nc_u32_e32 v4, v4, v5
	v_mul_hi_u32 v4, s76, v4
	s_delay_alu instid0(VALU_DEP_1) | instskip(NEXT) | instid1(VALU_DEP_1)
	v_mul_lo_u32 v4, v4, s49
	v_sub_nc_u32_e32 v4, s76, v4
	s_delay_alu instid0(VALU_DEP_1) | instskip(SKIP_1) | instid1(VALU_DEP_2)
	v_subrev_nc_u32_e32 v5, s49, v4
	v_cmp_le_u32_e32 vcc_lo, s49, v4
	v_cndmask_b32_e32 v4, v4, v5, vcc_lo
	s_delay_alu instid0(VALU_DEP_1) | instskip(SKIP_1) | instid1(VALU_DEP_2)
	v_subrev_nc_u32_e32 v5, s49, v4
	v_cmp_le_u32_e32 vcc_lo, s49, v4
	v_cndmask_b32_e32 v12, v4, v5, vcc_lo
	s_delay_alu instid0(VALU_DEP_1)
	v_dual_mov_b32 v4, v12 :: v_dual_mov_b32 v5, v13
.LBB219_152:                            ;   in Loop: Header=BB219_12 Depth=1
	s_delay_alu instid0(VALU_DEP_1) | instskip(NEXT) | instid1(VALU_DEP_2)
	v_sub_co_u32 v4, vcc_lo, s76, v4
	v_sub_co_ci_u32_e32 v5, vcc_lo, s27, v5, vcc_lo
	s_mov_b32 s8, 0
	s_mov_b32 s9, exec_lo
                                        ; implicit-def: $vgpr6
	s_delay_alu instid0(VALU_DEP_1)
	v_cmpx_gt_u64_e64 v[4:5], v[0:1]
	s_cbranch_execz .LBB219_161
; %bb.153:                              ;   in Loop: Header=BB219_12 Depth=1
	v_dual_mov_b32 v7, v1 :: v_dual_mov_b32 v6, v0
	s_mov_b32 s18, 0
                                        ; implicit-def: $sgpr19
	s_branch .LBB219_155
.LBB219_154:                            ;   in Loop: Header=BB219_155 Depth=2
	s_or_b32 exec_lo, exec_lo, s8
	s_waitcnt vmcnt(0) lgkmcnt(0)
	s_barrier
	buffer_gl0_inv
	ds_load_b32 v12, v13 offset:3072
	v_add_co_u32 v6, vcc_lo, v6, s49
	v_add_co_ci_u32_e32 v7, vcc_lo, 0, v7, vcc_lo
	s_waitcnt lgkmcnt(0)
	s_barrier
	buffer_gl0_inv
	v_cmp_ge_u64_e32 vcc_lo, v[6:7], v[4:5]
	v_and_b32_e32 v18, 0x7fff, v12
	s_delay_alu instid0(VALU_DEP_1) | instskip(NEXT) | instid1(VALU_DEP_1)
	v_cmp_ne_u16_e64 s8, 0, v18
	s_or_b32 s25, vcc_lo, s8
	s_delay_alu instid0(SALU_CYCLE_1) | instskip(NEXT) | instid1(SALU_CYCLE_1)
	s_and_b32 s25, exec_lo, s25
	s_or_b32 s18, s25, s18
	s_and_not1_b32 s19, s19, exec_lo
	s_and_b32 s8, s8, exec_lo
	s_delay_alu instid0(SALU_CYCLE_1)
	s_or_b32 s19, s19, s8
	s_and_not1_b32 exec_lo, exec_lo, s18
	s_cbranch_execz .LBB219_160
.LBB219_155:                            ;   Parent Loop BB219_12 Depth=1
                                        ; =>  This Inner Loop Header: Depth=2
	s_delay_alu instid0(VALU_DEP_1)
	v_cmp_gt_u64_e32 vcc_lo, s[36:37], v[6:7]
	v_mov_b32_e32 v12, 0
	s_and_saveexec_b32 s25, vcc_lo
	s_cbranch_execz .LBB219_157
; %bb.156:                              ;   in Loop: Header=BB219_155 Depth=2
	v_mul_lo_u32 v12, v7, s30
	v_mul_lo_u32 v20, v6, s31
	v_mad_u64_u32 v[18:19], null, v6, s30, 0
	s_delay_alu instid0(VALU_DEP_1) | instskip(NEXT) | instid1(VALU_DEP_1)
	v_add3_u32 v19, v19, v20, v12
	v_lshlrev_b64 v[18:19], 1, v[18:19]
	s_delay_alu instid0(VALU_DEP_1) | instskip(NEXT) | instid1(VALU_DEP_1)
	v_add_co_u32 v18, s8, s33, v18
	v_add_co_ci_u32_e64 v19, s8, s35, v19, s8
	global_load_u16 v12, v[18:19], off
.LBB219_157:                            ;   in Loop: Header=BB219_155 Depth=2
	s_or_b32 exec_lo, exec_lo, s25
	s_and_saveexec_b32 s8, vcc_lo
	s_cbranch_execz .LBB219_154
; %bb.158:                              ;   in Loop: Header=BB219_155 Depth=2
	s_waitcnt vmcnt(0)
	v_cmp_lt_i16_e32 vcc_lo, -1, v12
	v_and_b32_e32 v18, 0xffff, v12
	v_dual_cndmask_b32 v19, 0xffff, v29 :: v_dual_lshlrev_b32 v20, 16, v12
	s_delay_alu instid0(VALU_DEP_1) | instskip(NEXT) | instid1(VALU_DEP_2)
	v_cmp_o_f32_e32 vcc_lo, v20, v20
	v_xor_b32_e32 v18, v19, v18
	s_delay_alu instid0(VALU_DEP_1) | instskip(NEXT) | instid1(VALU_DEP_1)
	v_cndmask_b32_e32 v18, 0xffff, v18, vcc_lo
	v_and_b32_e32 v18, v18, v9
	s_delay_alu instid0(VALU_DEP_1)
	v_cmp_eq_u32_e32 vcc_lo, v18, v8
	s_and_b32 exec_lo, exec_lo, vcc_lo
	s_cbranch_execz .LBB219_154
; %bb.159:                              ;   in Loop: Header=BB219_155 Depth=2
	v_perm_b32 v12, v12, s85, 0x5040100
	ds_store_b32 v13, v12 offset:3072
	s_branch .LBB219_154
.LBB219_160:                            ;   in Loop: Header=BB219_12 Depth=1
	s_or_b32 exec_lo, exec_lo, s18
	v_lshrrev_b32_e32 v6, 16, v12
	s_and_b32 s8, s19, exec_lo
.LBB219_161:                            ;   in Loop: Header=BB219_12 Depth=1
	s_or_b32 exec_lo, exec_lo, s9
	s_mov_b32 s66, -1
	s_mov_b32 s25, 0
	s_mov_b32 s65, 0
.LBB219_162:                            ;   in Loop: Header=BB219_12 Depth=1
	s_or_not1_b32 s8, s8, exec_lo
.LBB219_163:                            ;   in Loop: Header=BB219_12 Depth=1
	s_or_b32 exec_lo, exec_lo, s67
	s_mov_b32 s26, 0
                                        ; implicit-def: $vgpr7
	s_and_saveexec_b32 s67, s8
	s_cbranch_execz .LBB219_276
; %bb.164:                              ;   in Loop: Header=BB219_12 Depth=1
	v_dual_mov_b32 v4, 1 :: v_dual_mov_b32 v7, 1
	v_mov_b32_e32 v5, 0
	s_xor_b32 s9, s68, -1
	s_delay_alu instid0(SALU_CYCLE_1)
	s_and_saveexec_b32 s8, s9
	s_cbranch_execz .LBB219_174
; %bb.165:                              ;   in Loop: Header=BB219_12 Depth=1
	s_mov_b32 s18, exec_lo
                                        ; implicit-def: $sgpr19
                                        ; implicit-def: $sgpr9
	v_cmpx_ge_u64_e64 s[12:13], v[2:3]
	s_xor_b32 s18, exec_lo, s18
	s_cbranch_execz .LBB219_171
; %bb.166:                              ;   in Loop: Header=BB219_12 Depth=1
	ds_load_b64 v[4:5], v13 offset:5120
	s_waitcnt lgkmcnt(0)
	v_cmp_ne_u64_e32 vcc_lo, 0, v[4:5]
	s_cbranch_vccnz .LBB219_170
; %bb.167:                              ;   in Loop: Header=BB219_12 Depth=1
	s_and_saveexec_b32 s9, s5
	s_cbranch_execz .LBB219_169
; %bb.168:                              ;   in Loop: Header=BB219_12 Depth=1
	v_dual_mov_b32 v4, s12 :: v_dual_mov_b32 v5, s13
	ds_store_b64 v13, v[4:5] offset:5128
.LBB219_169:                            ;   in Loop: Header=BB219_12 Depth=1
	s_or_b32 exec_lo, exec_lo, s9
	s_waitcnt lgkmcnt(0)
	s_barrier
	buffer_gl0_inv
.LBB219_170:                            ;   in Loop: Header=BB219_12 Depth=1
	s_lshl_b32 s9, 1, s22
	v_or_b32_e32 v9, s20, v9
	v_and_or_b32 v8, v8, s21, s9
	s_mov_b32 s9, 0
	s_mov_b32 s19, 8
.LBB219_171:                            ;   in Loop: Header=BB219_12 Depth=1
	s_or_saveexec_b32 s18, s18
	v_mov_b32_e32 v7, s19
	s_xor_b32 exec_lo, exec_lo, s18
; %bb.172:                              ;   in Loop: Header=BB219_12 Depth=1
	v_sub_co_u32 v2, vcc_lo, v2, s12
	v_subrev_co_ci_u32_e32 v3, vcc_lo, s13, v3, vcc_lo
	v_mov_b32_e32 v7, 0
	s_or_b32 s9, s9, exec_lo
; %bb.173:                              ;   in Loop: Header=BB219_12 Depth=1
	s_or_b32 exec_lo, exec_lo, s18
	s_delay_alu instid0(VALU_DEP_2)
	v_dual_mov_b32 v5, v3 :: v_dual_mov_b32 v4, v2
	s_and_b32 s26, s9, exec_lo
.LBB219_174:                            ;   in Loop: Header=BB219_12 Depth=1
	s_or_b32 exec_lo, exec_lo, s8
	s_mov_b32 s8, -1
                                        ; implicit-def: $sgpr9
                                        ; implicit-def: $sgpr18
                                        ; implicit-def: $sgpr19
	s_and_saveexec_b32 s68, s26
	s_cbranch_execz .LBB219_275
; %bb.175:                              ;   in Loop: Header=BB219_12 Depth=1
	v_cmp_eq_u64_e32 vcc_lo, 1, v[4:5]
	s_cmp_eq_u64 s[14:15], 1
                                        ; implicit-def: $sgpr69
                                        ; implicit-def: $sgpr71
                                        ; implicit-def: $sgpr70
	s_cselect_b32 s8, -1, 0
	s_delay_alu instid0(SALU_CYCLE_1)
	s_and_b32 s98, s8, vcc_lo
	s_mov_b32 s8, -1
	s_and_saveexec_b32 s97, s98
	s_cbranch_execz .LBB219_209
; %bb.176:                              ;   in Loop: Header=BB219_12 Depth=1
	ds_load_b64 v[2:3], v13 offset:5120
	s_waitcnt lgkmcnt(0)
	s_barrier
	buffer_gl0_inv
	v_readfirstlane_b32 s18, v2
	v_readfirstlane_b32 s19, v3
	s_and_saveexec_b32 s8, s6
	s_cbranch_execz .LBB219_178
; %bb.177:                              ;   in Loop: Header=BB219_12 Depth=1
	ds_store_b16 v26, v13
.LBB219_178:                            ;   in Loop: Header=BB219_12 Depth=1
	s_or_b32 exec_lo, exec_lo, s8
	s_lshl_b32 s8, 2, s22
	v_or_b32_e32 v9, s20, v9
	v_and_or_b32 v8, v8, s21, s8
	s_cmp_eq_u64 s[18:19], 0
	s_waitcnt lgkmcnt(0)
	s_barrier
	buffer_gl0_inv
	s_cbranch_scc1 .LBB219_192
; %bb.179:                              ;   in Loop: Header=BB219_12 Depth=1
	s_add_u32 s26, s74, s18
	s_addc_u32 s9, s75, s19
	s_mov_b32 s8, s59
	s_delay_alu instid0(SALU_CYCLE_1)
	s_cmp_lg_u64 s[8:9], 0
	s_cbranch_scc0 .LBB219_227
; %bb.180:                              ;   in Loop: Header=BB219_12 Depth=1
	v_cvt_f32_u32_e32 v2, s49
	s_sub_u32 s70, 0, s49
	s_subb_u32 s71, 0, 0
	s_delay_alu instid0(VALU_DEP_1) | instskip(NEXT) | instid1(VALU_DEP_1)
	v_fmac_f32_e64 v2, 0, 0x4f800000
	v_rcp_f32_e32 v2, v2
	s_waitcnt_depctr 0xfff
	v_mul_f32_e32 v2, 0x5f7ffffc, v2
	s_delay_alu instid0(VALU_DEP_1) | instskip(NEXT) | instid1(VALU_DEP_1)
	v_mul_f32_e32 v3, 0x2f800000, v2
	v_trunc_f32_e32 v3, v3
	s_delay_alu instid0(VALU_DEP_1) | instskip(SKIP_1) | instid1(VALU_DEP_2)
	v_fmac_f32_e32 v2, 0xcf800000, v3
	v_cvt_u32_f32_e32 v3, v3
	v_cvt_u32_f32_e32 v2, v2
	s_delay_alu instid0(VALU_DEP_2) | instskip(NEXT) | instid1(VALU_DEP_2)
	v_readfirstlane_b32 s8, v3
	v_readfirstlane_b32 s69, v2
	s_delay_alu instid0(VALU_DEP_2) | instskip(NEXT) | instid1(VALU_DEP_1)
	s_mul_i32 s99, s70, s8
	s_mul_hi_u32 s101, s70, s69
	s_mul_i32 s100, s71, s69
	s_add_i32 s99, s101, s99
	s_mul_i32 s102, s70, s69
	s_add_i32 s99, s99, s100
	s_mul_hi_u32 s101, s69, s102
	s_mul_hi_u32 s103, s8, s102
	s_mul_i32 s100, s8, s102
	s_mul_hi_u32 s102, s69, s99
	s_mul_i32 s69, s69, s99
	s_mul_hi_u32 s104, s8, s99
	s_add_u32 s69, s101, s69
	s_addc_u32 s101, 0, s102
	s_add_u32 s69, s69, s100
	s_mul_i32 s99, s8, s99
	s_addc_u32 s69, s101, s103
	s_addc_u32 s100, s104, 0
	s_add_u32 s69, s69, s99
	s_addc_u32 s99, 0, s100
	v_add_co_u32 v2, s69, v2, s69
	s_delay_alu instid0(VALU_DEP_1) | instskip(SKIP_1) | instid1(VALU_DEP_1)
	s_cmp_lg_u32 s69, 0
	s_addc_u32 s8, s8, s99
	v_readfirstlane_b32 s69, v2
	s_mul_i32 s99, s70, s8
	s_delay_alu instid0(VALU_DEP_1)
	s_mul_hi_u32 s100, s70, s69
	s_mul_i32 s71, s71, s69
	s_add_i32 s99, s100, s99
	s_mul_i32 s70, s70, s69
	s_add_i32 s99, s99, s71
	s_mul_hi_u32 s100, s8, s70
	s_mul_i32 s101, s8, s70
	s_mul_hi_u32 s70, s69, s70
	s_mul_hi_u32 s102, s69, s99
	s_mul_i32 s69, s69, s99
	s_mul_hi_u32 s71, s8, s99
	s_add_u32 s69, s70, s69
	s_addc_u32 s70, 0, s102
	s_add_u32 s69, s69, s101
	s_mul_i32 s99, s8, s99
	s_addc_u32 s69, s70, s100
	s_addc_u32 s70, s71, 0
	s_add_u32 s69, s69, s99
	s_addc_u32 s70, 0, s70
	v_add_co_u32 v2, s69, v2, s69
	s_delay_alu instid0(VALU_DEP_1) | instskip(SKIP_1) | instid1(VALU_DEP_1)
	s_cmp_lg_u32 s69, 0
	s_addc_u32 s8, s8, s70
	v_readfirstlane_b32 s69, v2
	s_mul_i32 s71, s26, s8
	s_mul_hi_u32 s70, s26, s8
	s_mul_hi_u32 s99, s9, s8
	s_mul_i32 s8, s9, s8
	s_mul_hi_u32 s100, s26, s69
	s_mul_hi_u32 s101, s9, s69
	s_mul_i32 s69, s9, s69
	s_add_u32 s71, s100, s71
	s_addc_u32 s70, 0, s70
	s_add_u32 s69, s71, s69
	s_addc_u32 s69, s70, s101
	s_addc_u32 s70, s99, 0
	s_add_u32 s8, s69, s8
	s_addc_u32 s69, 0, s70
	s_mul_hi_u32 s70, s49, s8
	s_mul_i32 s8, s49, s8
	s_mul_i32 s69, s49, s69
	v_sub_co_u32 v2, s8, s26, s8
	s_add_i32 s70, s70, s69
	s_cmp_lg_u32 s8, 0
	s_delay_alu instid0(VALU_DEP_1) | instskip(SKIP_2) | instid1(VALU_DEP_1)
	v_sub_co_u32 v3, s8, v2, s49
	s_subb_u32 s69, s9, s70
	s_cmp_lg_u32 s8, 0
	v_cmp_le_u32_e32 vcc_lo, s49, v3
	v_sub_co_u32 v6, s8, v3, s49
	s_subb_u32 s70, s69, 0
	s_cmp_lg_u32 s8, 0
	v_cndmask_b32_e64 v7, 0, -1, vcc_lo
	s_subb_u32 s8, s70, 0
	s_cmp_eq_u32 s70, 0
	v_mov_b32_e32 v18, s8
	s_cselect_b32 vcc_lo, -1, 0
	s_cmp_eq_u32 s69, 0
	v_cndmask_b32_e32 v7, -1, v7, vcc_lo
	v_cmp_le_u32_e32 vcc_lo, s49, v2
	s_cselect_b32 s8, -1, 0
	v_cndmask_b32_e64 v12, 0, -1, vcc_lo
	s_delay_alu instid0(VALU_DEP_3) | instskip(NEXT) | instid1(VALU_DEP_2)
	v_cmp_ne_u32_e32 vcc_lo, 0, v7
	v_cndmask_b32_e64 v7, -1, v12, s8
	v_cndmask_b32_e32 v12, s70, v18, vcc_lo
	v_cndmask_b32_e32 v6, v3, v6, vcc_lo
	s_delay_alu instid0(VALU_DEP_3) | instskip(NEXT) | instid1(VALU_DEP_3)
	v_cmp_ne_u32_e32 vcc_lo, 0, v7
	v_cndmask_b32_e32 v3, s69, v12, vcc_lo
	s_delay_alu instid0(VALU_DEP_3)
	v_cndmask_b32_e32 v2, v2, v6, vcc_lo
	s_cbranch_execnz .LBB219_182
.LBB219_181:                            ;   in Loop: Header=BB219_12 Depth=1
	v_cvt_f32_u32_e32 v2, s49
	s_sub_i32 s8, 0, s49
	s_delay_alu instid0(VALU_DEP_1) | instskip(SKIP_2) | instid1(VALU_DEP_1)
	v_rcp_iflag_f32_e32 v2, v2
	s_waitcnt_depctr 0xfff
	v_mul_f32_e32 v2, 0x4f7ffffe, v2
	v_cvt_u32_f32_e32 v2, v2
	s_delay_alu instid0(VALU_DEP_1) | instskip(NEXT) | instid1(VALU_DEP_1)
	v_mul_lo_u32 v3, s8, v2
	v_mul_hi_u32 v3, v2, v3
	s_delay_alu instid0(VALU_DEP_1) | instskip(NEXT) | instid1(VALU_DEP_1)
	v_add_nc_u32_e32 v2, v2, v3
	v_mul_hi_u32 v2, s26, v2
	s_delay_alu instid0(VALU_DEP_1) | instskip(NEXT) | instid1(VALU_DEP_1)
	v_mul_lo_u32 v2, v2, s49
	v_sub_nc_u32_e32 v2, s26, v2
	s_delay_alu instid0(VALU_DEP_1) | instskip(SKIP_1) | instid1(VALU_DEP_2)
	v_subrev_nc_u32_e32 v3, s49, v2
	v_cmp_le_u32_e32 vcc_lo, s49, v2
	v_cndmask_b32_e32 v2, v2, v3, vcc_lo
	s_delay_alu instid0(VALU_DEP_1) | instskip(SKIP_1) | instid1(VALU_DEP_2)
	v_subrev_nc_u32_e32 v3, s49, v2
	v_cmp_le_u32_e32 vcc_lo, s49, v2
	v_cndmask_b32_e32 v12, v2, v3, vcc_lo
	s_delay_alu instid0(VALU_DEP_1)
	v_dual_mov_b32 v2, v12 :: v_dual_mov_b32 v3, v13
.LBB219_182:                            ;   in Loop: Header=BB219_12 Depth=1
	s_delay_alu instid0(VALU_DEP_1) | instskip(NEXT) | instid1(VALU_DEP_2)
	v_sub_co_u32 v2, vcc_lo, s26, v2
	v_sub_co_ci_u32_e32 v3, vcc_lo, s9, v3, vcc_lo
	s_mov_b32 s8, 0
	s_mov_b32 s9, exec_lo
                                        ; implicit-def: $vgpr6
	s_delay_alu instid0(VALU_DEP_1)
	v_cmpx_gt_u64_e64 v[2:3], v[0:1]
	s_cbranch_execz .LBB219_194
; %bb.183:                              ;   in Loop: Header=BB219_12 Depth=1
	v_mov_b32_e32 v12, v25
	v_dual_mov_b32 v7, v1 :: v_dual_mov_b32 v6, v0
	s_mov_b32 s26, 0
                                        ; implicit-def: $sgpr69
	s_branch .LBB219_185
.LBB219_184:                            ;   in Loop: Header=BB219_185 Depth=2
	s_or_b32 exec_lo, exec_lo, s8
	s_waitcnt lgkmcnt(0)
	s_barrier
	buffer_gl0_inv
	ds_load_b32 v18, v13 offset:3072
	v_add_co_u32 v6, vcc_lo, v6, s49
	v_add_co_ci_u32_e32 v7, vcc_lo, 0, v7, vcc_lo
	v_add_nc_u32_e32 v12, s82, v12
	s_waitcnt lgkmcnt(0)
	s_barrier
	s_delay_alu instid0(VALU_DEP_2) | instskip(SKIP_2) | instid1(VALU_DEP_1)
	v_cmp_ge_u64_e32 vcc_lo, v[6:7], v[2:3]
	buffer_gl0_inv
	v_and_b32_e32 v19, 0x7fff, v18
	v_cmp_ne_u16_e64 s8, 0, v19
	s_delay_alu instid0(VALU_DEP_1) | instskip(NEXT) | instid1(SALU_CYCLE_1)
	s_or_b32 s70, vcc_lo, s8
	s_and_b32 s70, exec_lo, s70
	s_delay_alu instid0(SALU_CYCLE_1) | instskip(SKIP_2) | instid1(SALU_CYCLE_1)
	s_or_b32 s26, s70, s26
	s_and_not1_b32 s69, s69, exec_lo
	s_and_b32 s8, s8, exec_lo
	s_or_b32 s69, s69, s8
	s_and_not1_b32 exec_lo, exec_lo, s26
	s_cbranch_execz .LBB219_193
.LBB219_185:                            ;   Parent Loop BB219_12 Depth=1
                                        ; =>  This Inner Loop Header: Depth=2
	s_delay_alu instid0(VALU_DEP_1)
	v_cmp_gt_u64_e32 vcc_lo, s[18:19], v[6:7]
	v_mov_b32_e32 v18, 0
	s_and_saveexec_b32 s8, vcc_lo
	s_cbranch_execz .LBB219_187
; %bb.186:                              ;   in Loop: Header=BB219_185 Depth=2
	ds_load_u16 v18, v12
.LBB219_187:                            ;   in Loop: Header=BB219_185 Depth=2
	s_or_b32 exec_lo, exec_lo, s8
	s_and_saveexec_b32 s8, vcc_lo
	s_cbranch_execz .LBB219_184
; %bb.188:                              ;   in Loop: Header=BB219_185 Depth=2
	s_waitcnt lgkmcnt(0)
	v_cmp_lt_i16_e32 vcc_lo, -1, v18
	v_and_b32_e32 v19, 0xffff, v18
	v_dual_cndmask_b32 v20, 0xffff, v29 :: v_dual_lshlrev_b32 v21, 16, v18
	s_delay_alu instid0(VALU_DEP_1) | instskip(NEXT) | instid1(VALU_DEP_2)
	v_cmp_o_f32_e32 vcc_lo, v21, v21
	v_xor_b32_e32 v19, v20, v19
	s_delay_alu instid0(VALU_DEP_1) | instskip(NEXT) | instid1(VALU_DEP_1)
	v_cndmask_b32_e32 v19, 0xffff, v19, vcc_lo
	v_and_b32_e32 v19, v19, v9
	s_delay_alu instid0(VALU_DEP_1)
	v_cmp_eq_u32_e32 vcc_lo, v19, v8
	s_and_b32 exec_lo, exec_lo, vcc_lo
	s_cbranch_execz .LBB219_184
; %bb.189:                              ;   in Loop: Header=BB219_185 Depth=2
	v_perm_b32 v18, v18, s85, 0x5040100
	ds_store_b32 v13, v18 offset:3072
	s_branch .LBB219_184
.LBB219_190:                            ;   in Loop: Header=BB219_12 Depth=1
                                        ; implicit-def: $vgpr4_vgpr5
	s_branch .LBB219_135
.LBB219_191:                            ;   in Loop: Header=BB219_12 Depth=1
                                        ; implicit-def: $vgpr4_vgpr5
	s_branch .LBB219_151
.LBB219_192:                            ;   in Loop: Header=BB219_12 Depth=1
	s_mov_b32 s69, -1
	s_mov_b32 s8, 0
                                        ; implicit-def: $sgpr70
                                        ; implicit-def: $vgpr6
	s_mov_b32 s71, s69
	s_cbranch_execnz .LBB219_195
	s_branch .LBB219_208
.LBB219_193:                            ;   in Loop: Header=BB219_12 Depth=1
	s_or_b32 exec_lo, exec_lo, s26
	v_lshrrev_b32_e32 v6, 16, v18
	s_and_b32 s8, s69, exec_lo
.LBB219_194:                            ;   in Loop: Header=BB219_12 Depth=1
	s_or_b32 exec_lo, exec_lo, s9
	s_mov_b32 s70, -1
	s_mov_b32 s69, 0
	s_delay_alu instid0(SALU_CYCLE_1)
	s_mov_b32 s71, s69
	s_branch .LBB219_208
.LBB219_195:                            ;   in Loop: Header=BB219_12 Depth=1
	s_mov_b32 s26, s59
	s_delay_alu instid0(SALU_CYCLE_1)
	s_cmp_lg_u64 s[26:27], 0
	s_cbranch_scc0 .LBB219_228
; %bb.196:                              ;   in Loop: Header=BB219_12 Depth=1
	v_cvt_f32_u32_e32 v2, s49
	s_sub_u32 s18, 0, s49
	s_subb_u32 s19, 0, 0
	s_delay_alu instid0(VALU_DEP_1) | instskip(NEXT) | instid1(VALU_DEP_1)
	v_fmac_f32_e64 v2, 0, 0x4f800000
	v_rcp_f32_e32 v2, v2
	s_waitcnt_depctr 0xfff
	v_mul_f32_e32 v2, 0x5f7ffffc, v2
	s_delay_alu instid0(VALU_DEP_1) | instskip(NEXT) | instid1(VALU_DEP_1)
	v_mul_f32_e32 v3, 0x2f800000, v2
	v_trunc_f32_e32 v3, v3
	s_delay_alu instid0(VALU_DEP_1) | instskip(SKIP_1) | instid1(VALU_DEP_2)
	v_fmac_f32_e32 v2, 0xcf800000, v3
	v_cvt_u32_f32_e32 v3, v3
	v_cvt_u32_f32_e32 v2, v2
	s_delay_alu instid0(VALU_DEP_2) | instskip(NEXT) | instid1(VALU_DEP_2)
	v_readfirstlane_b32 s8, v3
	v_readfirstlane_b32 s9, v2
	s_delay_alu instid0(VALU_DEP_2) | instskip(NEXT) | instid1(VALU_DEP_1)
	s_mul_i32 s26, s18, s8
	s_mul_hi_u32 s70, s18, s9
	s_mul_i32 s69, s19, s9
	s_add_i32 s26, s70, s26
	s_mul_i32 s71, s18, s9
	s_add_i32 s26, s26, s69
	s_mul_hi_u32 s70, s9, s71
	s_mul_hi_u32 s99, s8, s71
	s_mul_i32 s69, s8, s71
	s_mul_hi_u32 s71, s9, s26
	s_mul_i32 s9, s9, s26
	s_mul_hi_u32 s100, s8, s26
	s_add_u32 s9, s70, s9
	s_addc_u32 s70, 0, s71
	s_add_u32 s9, s9, s69
	s_mul_i32 s26, s8, s26
	s_addc_u32 s9, s70, s99
	s_addc_u32 s69, s100, 0
	s_add_u32 s9, s9, s26
	s_addc_u32 s26, 0, s69
	v_add_co_u32 v2, s9, v2, s9
	s_delay_alu instid0(VALU_DEP_1) | instskip(SKIP_1) | instid1(VALU_DEP_1)
	s_cmp_lg_u32 s9, 0
	s_addc_u32 s8, s8, s26
	v_readfirstlane_b32 s9, v2
	s_mul_i32 s26, s18, s8
	s_delay_alu instid0(VALU_DEP_1)
	s_mul_hi_u32 s69, s18, s9
	s_mul_i32 s19, s19, s9
	s_add_i32 s26, s69, s26
	s_mul_i32 s18, s18, s9
	s_add_i32 s26, s26, s19
	s_mul_hi_u32 s69, s8, s18
	s_mul_i32 s70, s8, s18
	s_mul_hi_u32 s18, s9, s18
	s_mul_hi_u32 s71, s9, s26
	s_mul_i32 s9, s9, s26
	s_mul_hi_u32 s19, s8, s26
	s_add_u32 s9, s18, s9
	s_addc_u32 s18, 0, s71
	s_add_u32 s9, s9, s70
	s_mul_i32 s26, s8, s26
	s_addc_u32 s9, s18, s69
	s_addc_u32 s18, s19, 0
	s_add_u32 s9, s9, s26
	s_addc_u32 s18, 0, s18
	v_add_co_u32 v2, s9, v2, s9
	s_delay_alu instid0(VALU_DEP_1) | instskip(SKIP_1) | instid1(VALU_DEP_1)
	s_cmp_lg_u32 s9, 0
	s_addc_u32 s8, s8, s18
	v_readfirstlane_b32 s9, v2
	s_mul_i32 s19, s76, s8
	s_mul_hi_u32 s18, s76, s8
	s_mul_hi_u32 s26, s27, s8
	s_mul_i32 s8, s27, s8
	s_mul_hi_u32 s69, s76, s9
	s_mul_hi_u32 s70, s27, s9
	s_mul_i32 s9, s27, s9
	s_add_u32 s19, s69, s19
	s_addc_u32 s18, 0, s18
	s_add_u32 s9, s19, s9
	s_addc_u32 s9, s18, s70
	s_addc_u32 s18, s26, 0
	s_add_u32 s8, s9, s8
	s_addc_u32 s9, 0, s18
	s_mul_hi_u32 s18, s49, s8
	s_mul_i32 s8, s49, s8
	s_mul_i32 s9, s49, s9
	v_sub_co_u32 v2, s8, s76, s8
	s_add_i32 s18, s18, s9
	s_cmp_lg_u32 s8, 0
	s_delay_alu instid0(VALU_DEP_1) | instskip(SKIP_2) | instid1(VALU_DEP_1)
	v_sub_co_u32 v3, s8, v2, s49
	s_subb_u32 s9, s27, s18
	s_cmp_lg_u32 s8, 0
	v_cmp_le_u32_e32 vcc_lo, s49, v3
	v_sub_co_u32 v6, s8, v3, s49
	s_subb_u32 s18, s9, 0
	s_cmp_lg_u32 s8, 0
	v_cndmask_b32_e64 v7, 0, -1, vcc_lo
	s_subb_u32 s8, s18, 0
	s_cmp_eq_u32 s18, 0
	v_mov_b32_e32 v18, s8
	s_cselect_b32 vcc_lo, -1, 0
	s_cmp_eq_u32 s9, 0
	v_cndmask_b32_e32 v7, -1, v7, vcc_lo
	v_cmp_le_u32_e32 vcc_lo, s49, v2
	s_cselect_b32 s8, -1, 0
	v_cndmask_b32_e64 v12, 0, -1, vcc_lo
	s_delay_alu instid0(VALU_DEP_3) | instskip(NEXT) | instid1(VALU_DEP_2)
	v_cmp_ne_u32_e32 vcc_lo, 0, v7
	v_cndmask_b32_e64 v7, -1, v12, s8
	v_cndmask_b32_e32 v12, s18, v18, vcc_lo
	v_cndmask_b32_e32 v6, v3, v6, vcc_lo
	s_delay_alu instid0(VALU_DEP_3) | instskip(NEXT) | instid1(VALU_DEP_3)
	v_cmp_ne_u32_e32 vcc_lo, 0, v7
	v_cndmask_b32_e32 v3, s9, v12, vcc_lo
	s_delay_alu instid0(VALU_DEP_3)
	v_cndmask_b32_e32 v2, v2, v6, vcc_lo
	s_cbranch_execnz .LBB219_198
.LBB219_197:                            ;   in Loop: Header=BB219_12 Depth=1
	v_cvt_f32_u32_e32 v2, s49
	s_sub_i32 s8, 0, s49
	s_delay_alu instid0(VALU_DEP_1) | instskip(SKIP_2) | instid1(VALU_DEP_1)
	v_rcp_iflag_f32_e32 v2, v2
	s_waitcnt_depctr 0xfff
	v_mul_f32_e32 v2, 0x4f7ffffe, v2
	v_cvt_u32_f32_e32 v2, v2
	s_delay_alu instid0(VALU_DEP_1) | instskip(NEXT) | instid1(VALU_DEP_1)
	v_mul_lo_u32 v3, s8, v2
	v_mul_hi_u32 v3, v2, v3
	s_delay_alu instid0(VALU_DEP_1) | instskip(NEXT) | instid1(VALU_DEP_1)
	v_add_nc_u32_e32 v2, v2, v3
	v_mul_hi_u32 v2, s76, v2
	s_delay_alu instid0(VALU_DEP_1) | instskip(NEXT) | instid1(VALU_DEP_1)
	v_mul_lo_u32 v2, v2, s49
	v_sub_nc_u32_e32 v2, s76, v2
	s_delay_alu instid0(VALU_DEP_1) | instskip(SKIP_1) | instid1(VALU_DEP_2)
	v_subrev_nc_u32_e32 v3, s49, v2
	v_cmp_le_u32_e32 vcc_lo, s49, v2
	v_cndmask_b32_e32 v2, v2, v3, vcc_lo
	s_delay_alu instid0(VALU_DEP_1) | instskip(SKIP_1) | instid1(VALU_DEP_2)
	v_subrev_nc_u32_e32 v3, s49, v2
	v_cmp_le_u32_e32 vcc_lo, s49, v2
	v_cndmask_b32_e32 v12, v2, v3, vcc_lo
	s_delay_alu instid0(VALU_DEP_1)
	v_dual_mov_b32 v2, v12 :: v_dual_mov_b32 v3, v13
.LBB219_198:                            ;   in Loop: Header=BB219_12 Depth=1
	s_delay_alu instid0(VALU_DEP_1) | instskip(NEXT) | instid1(VALU_DEP_2)
	v_sub_co_u32 v2, vcc_lo, s76, v2
	v_sub_co_ci_u32_e32 v3, vcc_lo, s27, v3, vcc_lo
	s_mov_b32 s8, 0
	s_mov_b32 s9, exec_lo
                                        ; implicit-def: $vgpr6
	s_delay_alu instid0(VALU_DEP_1)
	v_cmpx_gt_u64_e64 v[2:3], v[0:1]
	s_cbranch_execz .LBB219_207
; %bb.199:                              ;   in Loop: Header=BB219_12 Depth=1
	v_dual_mov_b32 v7, v1 :: v_dual_mov_b32 v6, v0
	s_mov_b32 s18, 0
                                        ; implicit-def: $sgpr19
	s_branch .LBB219_201
.LBB219_200:                            ;   in Loop: Header=BB219_201 Depth=2
	s_or_b32 exec_lo, exec_lo, s8
	s_waitcnt vmcnt(0) lgkmcnt(0)
	s_barrier
	buffer_gl0_inv
	ds_load_b32 v12, v13 offset:3072
	v_add_co_u32 v6, vcc_lo, v6, s49
	v_add_co_ci_u32_e32 v7, vcc_lo, 0, v7, vcc_lo
	s_waitcnt lgkmcnt(0)
	s_barrier
	buffer_gl0_inv
	v_cmp_ge_u64_e32 vcc_lo, v[6:7], v[2:3]
	v_and_b32_e32 v18, 0x7fff, v12
	s_delay_alu instid0(VALU_DEP_1) | instskip(NEXT) | instid1(VALU_DEP_1)
	v_cmp_ne_u16_e64 s8, 0, v18
	s_or_b32 s26, vcc_lo, s8
	s_delay_alu instid0(SALU_CYCLE_1) | instskip(NEXT) | instid1(SALU_CYCLE_1)
	s_and_b32 s26, exec_lo, s26
	s_or_b32 s18, s26, s18
	s_and_not1_b32 s19, s19, exec_lo
	s_and_b32 s8, s8, exec_lo
	s_delay_alu instid0(SALU_CYCLE_1)
	s_or_b32 s19, s19, s8
	s_and_not1_b32 exec_lo, exec_lo, s18
	s_cbranch_execz .LBB219_206
.LBB219_201:                            ;   Parent Loop BB219_12 Depth=1
                                        ; =>  This Inner Loop Header: Depth=2
	s_delay_alu instid0(VALU_DEP_1)
	v_cmp_gt_u64_e32 vcc_lo, s[36:37], v[6:7]
	v_mov_b32_e32 v12, 0
	s_and_saveexec_b32 s26, vcc_lo
	s_cbranch_execz .LBB219_203
; %bb.202:                              ;   in Loop: Header=BB219_201 Depth=2
	v_mul_lo_u32 v12, v7, s30
	v_mul_lo_u32 v20, v6, s31
	v_mad_u64_u32 v[18:19], null, v6, s30, 0
	s_delay_alu instid0(VALU_DEP_1) | instskip(NEXT) | instid1(VALU_DEP_1)
	v_add3_u32 v19, v19, v20, v12
	v_lshlrev_b64 v[18:19], 1, v[18:19]
	s_delay_alu instid0(VALU_DEP_1) | instskip(NEXT) | instid1(VALU_DEP_1)
	v_add_co_u32 v18, s8, s33, v18
	v_add_co_ci_u32_e64 v19, s8, s35, v19, s8
	global_load_u16 v12, v[18:19], off
.LBB219_203:                            ;   in Loop: Header=BB219_201 Depth=2
	s_or_b32 exec_lo, exec_lo, s26
	s_and_saveexec_b32 s8, vcc_lo
	s_cbranch_execz .LBB219_200
; %bb.204:                              ;   in Loop: Header=BB219_201 Depth=2
	s_waitcnt vmcnt(0)
	v_cmp_lt_i16_e32 vcc_lo, -1, v12
	v_and_b32_e32 v18, 0xffff, v12
	v_dual_cndmask_b32 v19, 0xffff, v29 :: v_dual_lshlrev_b32 v20, 16, v12
	s_delay_alu instid0(VALU_DEP_1) | instskip(NEXT) | instid1(VALU_DEP_2)
	v_cmp_o_f32_e32 vcc_lo, v20, v20
	v_xor_b32_e32 v18, v19, v18
	s_delay_alu instid0(VALU_DEP_1) | instskip(NEXT) | instid1(VALU_DEP_1)
	v_cndmask_b32_e32 v18, 0xffff, v18, vcc_lo
	v_and_b32_e32 v18, v18, v9
	s_delay_alu instid0(VALU_DEP_1)
	v_cmp_eq_u32_e32 vcc_lo, v18, v8
	s_and_b32 exec_lo, exec_lo, vcc_lo
	s_cbranch_execz .LBB219_200
; %bb.205:                              ;   in Loop: Header=BB219_201 Depth=2
	v_perm_b32 v12, v12, s85, 0x5040100
	ds_store_b32 v13, v12 offset:3072
	s_branch .LBB219_200
.LBB219_206:                            ;   in Loop: Header=BB219_12 Depth=1
	s_or_b32 exec_lo, exec_lo, s18
	v_lshrrev_b32_e32 v6, 16, v12
	s_and_b32 s8, s19, exec_lo
.LBB219_207:                            ;   in Loop: Header=BB219_12 Depth=1
	s_or_b32 exec_lo, exec_lo, s9
	s_mov_b32 s71, -1
	s_mov_b32 s69, 0
	s_mov_b32 s70, 0
.LBB219_208:                            ;   in Loop: Header=BB219_12 Depth=1
	s_or_not1_b32 s8, s8, exec_lo
.LBB219_209:                            ;   in Loop: Header=BB219_12 Depth=1
	s_or_b32 exec_lo, exec_lo, s97
	s_mov_b32 s26, 0
                                        ; implicit-def: $vgpr7
	s_and_saveexec_b32 s97, s8
	s_cbranch_execz .LBB219_274
; %bb.210:                              ;   in Loop: Header=BB219_12 Depth=1
	v_dual_mov_b32 v2, 1 :: v_dual_mov_b32 v7, 1
	v_mov_b32_e32 v3, 0
	s_xor_b32 s9, s98, -1
	s_delay_alu instid0(SALU_CYCLE_1)
	s_and_saveexec_b32 s8, s9
	s_cbranch_execz .LBB219_220
; %bb.211:                              ;   in Loop: Header=BB219_12 Depth=1
	s_mov_b32 s18, exec_lo
                                        ; implicit-def: $sgpr19
                                        ; implicit-def: $sgpr9
	v_cmpx_ge_u64_e64 s[14:15], v[4:5]
	s_xor_b32 s18, exec_lo, s18
	s_cbranch_execz .LBB219_217
; %bb.212:                              ;   in Loop: Header=BB219_12 Depth=1
	ds_load_b64 v[2:3], v13 offset:5120
	s_waitcnt lgkmcnt(0)
	v_cmp_ne_u64_e32 vcc_lo, 0, v[2:3]
	s_cbranch_vccnz .LBB219_216
; %bb.213:                              ;   in Loop: Header=BB219_12 Depth=1
	s_and_saveexec_b32 s9, s5
	s_cbranch_execz .LBB219_215
; %bb.214:                              ;   in Loop: Header=BB219_12 Depth=1
	v_dual_mov_b32 v2, s14 :: v_dual_mov_b32 v3, s15
	ds_store_b64 v13, v[2:3] offset:5128
.LBB219_215:                            ;   in Loop: Header=BB219_12 Depth=1
	s_or_b32 exec_lo, exec_lo, s9
	s_waitcnt lgkmcnt(0)
	s_barrier
	buffer_gl0_inv
.LBB219_216:                            ;   in Loop: Header=BB219_12 Depth=1
	s_lshl_b32 s9, 2, s22
	v_or_b32_e32 v9, s20, v9
	v_and_or_b32 v8, v8, s21, s9
	s_mov_b32 s9, 0
	s_mov_b32 s19, 8
.LBB219_217:                            ;   in Loop: Header=BB219_12 Depth=1
	s_or_saveexec_b32 s18, s18
	v_mov_b32_e32 v7, s19
	s_xor_b32 exec_lo, exec_lo, s18
; %bb.218:                              ;   in Loop: Header=BB219_12 Depth=1
	v_sub_co_u32 v4, vcc_lo, v4, s14
	v_subrev_co_ci_u32_e32 v5, vcc_lo, s15, v5, vcc_lo
	v_mov_b32_e32 v7, 0
	s_or_b32 s9, s9, exec_lo
; %bb.219:                              ;   in Loop: Header=BB219_12 Depth=1
	s_or_b32 exec_lo, exec_lo, s18
	s_delay_alu instid0(VALU_DEP_2)
	v_dual_mov_b32 v2, v4 :: v_dual_mov_b32 v3, v5
	s_and_b32 s26, s9, exec_lo
.LBB219_220:                            ;   in Loop: Header=BB219_12 Depth=1
	s_or_b32 exec_lo, exec_lo, s8
	s_mov_b32 s19, -1
                                        ; implicit-def: $sgpr8
                                        ; implicit-def: $sgpr18
                                        ; implicit-def: $sgpr9
	s_and_saveexec_b32 s98, s26
	s_cbranch_execz .LBB219_273
; %bb.221:                              ;   in Loop: Header=BB219_12 Depth=1
	v_cmp_eq_u64_e32 vcc_lo, 1, v[2:3]
	s_cmp_eq_u64 s[16:17], 1
	s_mov_b32 s26, -1
	s_cselect_b32 s8, -1, 0
                                        ; implicit-def: $sgpr18
                                        ; implicit-def: $sgpr9
	s_delay_alu instid0(SALU_CYCLE_1) | instskip(NEXT) | instid1(SALU_CYCLE_1)
	s_and_b32 s99, s8, vcc_lo
                                        ; implicit-def: $sgpr8
	s_and_saveexec_b32 s100, s99
	s_cbranch_execz .LBB219_260
; %bb.222:                              ;   in Loop: Header=BB219_12 Depth=1
	ds_load_b64 v[4:5], v13 offset:5120
	s_waitcnt lgkmcnt(0)
	s_barrier
	buffer_gl0_inv
	v_readfirstlane_b32 s18, v4
	v_readfirstlane_b32 s19, v5
	s_and_saveexec_b32 s8, s6
	s_cbranch_execz .LBB219_224
; %bb.223:                              ;   in Loop: Header=BB219_12 Depth=1
	ds_store_b16 v26, v13
.LBB219_224:                            ;   in Loop: Header=BB219_12 Depth=1
	s_or_b32 exec_lo, exec_lo, s8
	v_or_b32_e32 v8, s20, v8
	v_or_b32_e32 v9, s20, v9
	s_cmp_eq_u64 s[18:19], 0
	s_waitcnt lgkmcnt(0)
	s_barrier
	buffer_gl0_inv
	s_cbranch_scc1 .LBB219_229
; %bb.225:                              ;   in Loop: Header=BB219_12 Depth=1
	s_add_u32 s26, s74, s18
	s_addc_u32 s9, s75, s19
	s_mov_b32 s8, s59
	s_delay_alu instid0(SALU_CYCLE_1)
	s_cmp_lg_u64 s[8:9], 0
	s_cbranch_scc0 .LBB219_230
; %bb.226:                              ;   in Loop: Header=BB219_12 Depth=1
	v_cvt_f32_u32_e32 v4, s49
	s_sub_u32 s102, 0, s49
	s_subb_u32 s103, 0, 0
	s_delay_alu instid0(VALU_DEP_1) | instskip(NEXT) | instid1(VALU_DEP_1)
	v_fmac_f32_e64 v4, 0, 0x4f800000
	v_rcp_f32_e32 v4, v4
	s_waitcnt_depctr 0xfff
	v_mul_f32_e32 v4, 0x5f7ffffc, v4
	s_delay_alu instid0(VALU_DEP_1) | instskip(NEXT) | instid1(VALU_DEP_1)
	v_mul_f32_e32 v5, 0x2f800000, v4
	v_trunc_f32_e32 v5, v5
	s_delay_alu instid0(VALU_DEP_1) | instskip(SKIP_1) | instid1(VALU_DEP_2)
	v_fmac_f32_e32 v4, 0xcf800000, v5
	v_cvt_u32_f32_e32 v5, v5
	v_cvt_u32_f32_e32 v4, v4
	s_delay_alu instid0(VALU_DEP_2) | instskip(NEXT) | instid1(VALU_DEP_2)
	v_readfirstlane_b32 s8, v5
	v_readfirstlane_b32 s101, v4
	s_delay_alu instid0(VALU_DEP_2) | instskip(NEXT) | instid1(VALU_DEP_1)
	s_mul_i32 s104, s102, s8
	s_mul_hi_u32 vcc_hi, s102, s101
	s_mul_i32 vcc_lo, s103, s101
	s_add_i32 s55, vcc_hi, s104
	s_mul_i32 s54, s102, s101
	s_add_i32 s55, s55, vcc_lo
	s_mul_hi_u32 s104, s101, s54
	s_mul_hi_u32 vcc_lo, s101, s55
	s_mul_i32 s101, s101, s55
	s_mul_hi_u32 vcc_hi, s8, s54
	s_mul_i32 s54, s8, s54
	s_add_u32 s57, s104, s101
	s_addc_u32 s101, 0, vcc_lo
	s_mul_hi_u32 s56, s8, s55
	s_add_u32 s54, s57, s54
	s_mul_i32 s55, s8, s55
	s_addc_u32 s54, s101, vcc_hi
	s_addc_u32 s56, s56, 0
	s_add_u32 s54, s54, s55
	s_addc_u32 s55, 0, s56
	v_add_co_u32 v4, s54, v4, s54
	s_delay_alu instid0(VALU_DEP_1) | instskip(SKIP_1) | instid1(VALU_DEP_1)
	s_cmp_lg_u32 s54, 0
	s_addc_u32 s8, s8, s55
	v_readfirstlane_b32 s54, v4
	s_mul_i32 s55, s102, s8
	s_delay_alu instid0(VALU_DEP_1)
	s_mul_hi_u32 s56, s102, s54
	s_mul_i32 s103, s103, s54
	s_add_i32 s55, s56, s55
	s_mul_i32 s102, s102, s54
	s_add_i32 s55, s55, s103
	s_mul_hi_u32 s101, s54, s102
	s_mul_hi_u32 s103, s54, s55
	s_mul_i32 s54, s54, s55
	s_mul_i32 s57, s8, s102
	s_add_u32 s54, s101, s54
	s_mul_hi_u32 s56, s8, s102
	s_addc_u32 s101, 0, s103
	s_mul_hi_u32 s102, s8, s55
	s_add_u32 s54, s54, s57
	s_mul_i32 s55, s8, s55
	s_addc_u32 s54, s101, s56
	s_addc_u32 s56, s102, 0
	s_add_u32 s54, s54, s55
	s_addc_u32 s55, 0, s56
	v_add_co_u32 v4, s54, v4, s54
	s_delay_alu instid0(VALU_DEP_1) | instskip(SKIP_1) | instid1(VALU_DEP_1)
	s_cmp_lg_u32 s54, 0
	s_addc_u32 s8, s8, s55
	v_readfirstlane_b32 s54, v4
	s_mul_i32 s56, s26, s8
	s_mul_hi_u32 s55, s26, s8
	s_mul_hi_u32 s57, s9, s8
	s_mul_i32 s8, s9, s8
	s_mul_hi_u32 s101, s26, s54
	s_mul_hi_u32 s102, s9, s54
	s_mul_i32 s54, s9, s54
	s_add_u32 s56, s101, s56
	s_addc_u32 s55, 0, s55
	s_add_u32 s54, s56, s54
	s_addc_u32 s54, s55, s102
	s_addc_u32 s55, s57, 0
	s_add_u32 s8, s54, s8
	s_addc_u32 s54, 0, s55
	s_mul_hi_u32 s55, s49, s8
	s_mul_i32 s8, s49, s8
	s_mul_i32 s54, s49, s54
	v_sub_co_u32 v4, s8, s26, s8
	s_add_i32 s55, s55, s54
	s_cmp_lg_u32 s8, 0
	s_delay_alu instid0(VALU_DEP_1) | instskip(SKIP_3) | instid1(VALU_DEP_2)
	v_sub_co_u32 v5, s8, v4, s49
	s_subb_u32 s54, s9, s55
	s_cmp_lg_u32 s8, 0
	v_cmp_le_u32_e32 vcc_lo, s49, v4
	v_cmp_le_u32_e64 s8, s49, v5
	v_sub_co_u32 v6, s55, v5, s49
	s_subb_u32 s56, s54, 0
	s_cmp_lg_u32 s55, 0
	s_delay_alu instid0(VALU_DEP_2)
	v_cndmask_b32_e64 v7, 0, -1, s8
	s_subb_u32 s55, s56, 0
	s_cmp_eq_u32 s56, 0
	v_mov_b32_e32 v18, s55
	v_cndmask_b32_e64 v12, 0, -1, vcc_lo
	s_cselect_b32 vcc_lo, -1, 0
	s_cmp_eq_u32 s54, 0
	v_cndmask_b32_e32 v7, -1, v7, vcc_lo
	s_cselect_b32 vcc_lo, -1, 0
	v_cndmask_b32_e32 v12, -1, v12, vcc_lo
	s_delay_alu instid0(VALU_DEP_2) | instskip(NEXT) | instid1(VALU_DEP_2)
	v_cmp_ne_u32_e32 vcc_lo, 0, v7
	v_cmp_ne_u32_e64 s8, 0, v12
	v_cndmask_b32_e32 v7, s56, v18, vcc_lo
	v_cndmask_b32_e32 v6, v5, v6, vcc_lo
	s_delay_alu instid0(VALU_DEP_2) | instskip(NEXT) | instid1(VALU_DEP_2)
	v_cndmask_b32_e64 v5, s54, v7, s8
	v_cndmask_b32_e64 v4, v4, v6, s8
	s_mov_b32 s8, 0
	s_branch .LBB219_231
.LBB219_227:                            ;   in Loop: Header=BB219_12 Depth=1
                                        ; implicit-def: $vgpr2_vgpr3
	s_branch .LBB219_181
.LBB219_228:                            ;   in Loop: Header=BB219_12 Depth=1
                                        ; implicit-def: $vgpr2_vgpr3
	s_branch .LBB219_197
.LBB219_229:                            ;   in Loop: Header=BB219_12 Depth=1
	s_mov_b32 s8, -1
	s_mov_b32 s26, 0
                                        ; implicit-def: $sgpr9
                                        ; implicit-def: $vgpr6
	s_branch .LBB219_243
.LBB219_230:                            ;   in Loop: Header=BB219_12 Depth=1
	s_mov_b32 s8, -1
                                        ; implicit-def: $vgpr4_vgpr5
.LBB219_231:                            ;   in Loop: Header=BB219_12 Depth=1
	s_delay_alu instid0(SALU_CYCLE_1)
	s_and_not1_b32 vcc_lo, exec_lo, s8
	s_cbranch_vccnz .LBB219_233
; %bb.232:                              ;   in Loop: Header=BB219_12 Depth=1
	v_cvt_f32_u32_e32 v4, s49
	s_sub_i32 s8, 0, s49
	s_delay_alu instid0(VALU_DEP_1) | instskip(SKIP_2) | instid1(VALU_DEP_1)
	v_rcp_iflag_f32_e32 v4, v4
	s_waitcnt_depctr 0xfff
	v_mul_f32_e32 v4, 0x4f7ffffe, v4
	v_cvt_u32_f32_e32 v4, v4
	s_delay_alu instid0(VALU_DEP_1) | instskip(NEXT) | instid1(VALU_DEP_1)
	v_mul_lo_u32 v5, s8, v4
	v_mul_hi_u32 v5, v4, v5
	s_delay_alu instid0(VALU_DEP_1) | instskip(NEXT) | instid1(VALU_DEP_1)
	v_add_nc_u32_e32 v4, v4, v5
	v_mul_hi_u32 v4, s26, v4
	s_delay_alu instid0(VALU_DEP_1) | instskip(NEXT) | instid1(VALU_DEP_1)
	v_mul_lo_u32 v4, v4, s49
	v_sub_nc_u32_e32 v4, s26, v4
	s_delay_alu instid0(VALU_DEP_1) | instskip(SKIP_1) | instid1(VALU_DEP_2)
	v_subrev_nc_u32_e32 v5, s49, v4
	v_cmp_le_u32_e32 vcc_lo, s49, v4
	v_cndmask_b32_e32 v4, v4, v5, vcc_lo
	s_delay_alu instid0(VALU_DEP_1) | instskip(SKIP_1) | instid1(VALU_DEP_2)
	v_subrev_nc_u32_e32 v5, s49, v4
	v_cmp_le_u32_e32 vcc_lo, s49, v4
	v_cndmask_b32_e32 v12, v4, v5, vcc_lo
	s_delay_alu instid0(VALU_DEP_1)
	v_dual_mov_b32 v4, v12 :: v_dual_mov_b32 v5, v13
.LBB219_233:                            ;   in Loop: Header=BB219_12 Depth=1
	s_delay_alu instid0(VALU_DEP_1) | instskip(NEXT) | instid1(VALU_DEP_2)
	v_sub_co_u32 v4, vcc_lo, s26, v4
	v_sub_co_ci_u32_e32 v5, vcc_lo, s9, v5, vcc_lo
	s_mov_b32 s26, 0
	s_mov_b32 s9, exec_lo
                                        ; implicit-def: $vgpr6
	s_delay_alu instid0(VALU_DEP_1)
	v_cmpx_gt_u64_e64 v[4:5], v[0:1]
	s_cbranch_execz .LBB219_242
; %bb.234:                              ;   in Loop: Header=BB219_12 Depth=1
	v_mov_b32_e32 v12, v25
	v_dual_mov_b32 v7, v1 :: v_dual_mov_b32 v6, v0
                                        ; implicit-def: $sgpr101
	s_branch .LBB219_236
.LBB219_235:                            ;   in Loop: Header=BB219_236 Depth=2
	s_or_b32 exec_lo, exec_lo, s8
	s_waitcnt lgkmcnt(0)
	s_barrier
	buffer_gl0_inv
	ds_load_b32 v18, v13 offset:3072
	v_add_co_u32 v6, vcc_lo, v6, s49
	v_add_co_ci_u32_e32 v7, vcc_lo, 0, v7, vcc_lo
	v_add_nc_u32_e32 v12, s82, v12
	s_waitcnt lgkmcnt(0)
	s_barrier
	s_delay_alu instid0(VALU_DEP_2) | instskip(SKIP_2) | instid1(VALU_DEP_1)
	v_cmp_ge_u64_e32 vcc_lo, v[6:7], v[4:5]
	buffer_gl0_inv
	v_and_b32_e32 v19, 0x7fff, v18
	v_cmp_ne_u16_e64 s8, 0, v19
	s_delay_alu instid0(VALU_DEP_1) | instskip(NEXT) | instid1(SALU_CYCLE_1)
	s_or_b32 s54, vcc_lo, s8
	s_and_b32 s54, exec_lo, s54
	s_delay_alu instid0(SALU_CYCLE_1) | instskip(SKIP_2) | instid1(SALU_CYCLE_1)
	s_or_b32 s26, s54, s26
	s_and_not1_b32 s54, s101, exec_lo
	s_and_b32 s8, s8, exec_lo
	s_or_b32 s101, s54, s8
	s_and_not1_b32 exec_lo, exec_lo, s26
	s_cbranch_execz .LBB219_241
.LBB219_236:                            ;   Parent Loop BB219_12 Depth=1
                                        ; =>  This Inner Loop Header: Depth=2
	s_delay_alu instid0(VALU_DEP_1)
	v_cmp_gt_u64_e32 vcc_lo, s[18:19], v[6:7]
	v_mov_b32_e32 v18, 0
	s_and_saveexec_b32 s8, vcc_lo
	s_cbranch_execz .LBB219_238
; %bb.237:                              ;   in Loop: Header=BB219_236 Depth=2
	ds_load_u16 v18, v12
.LBB219_238:                            ;   in Loop: Header=BB219_236 Depth=2
	s_or_b32 exec_lo, exec_lo, s8
	s_and_saveexec_b32 s8, vcc_lo
	s_cbranch_execz .LBB219_235
; %bb.239:                              ;   in Loop: Header=BB219_236 Depth=2
	s_waitcnt lgkmcnt(0)
	v_cmp_lt_i16_e32 vcc_lo, -1, v18
	v_and_b32_e32 v19, 0xffff, v18
	v_dual_cndmask_b32 v20, 0xffff, v29 :: v_dual_lshlrev_b32 v21, 16, v18
	s_delay_alu instid0(VALU_DEP_1) | instskip(NEXT) | instid1(VALU_DEP_2)
	v_cmp_o_f32_e32 vcc_lo, v21, v21
	v_xor_b32_e32 v19, v20, v19
	s_delay_alu instid0(VALU_DEP_1) | instskip(NEXT) | instid1(VALU_DEP_1)
	v_cndmask_b32_e32 v19, 0xffff, v19, vcc_lo
	v_and_b32_e32 v19, v19, v9
	s_delay_alu instid0(VALU_DEP_1)
	v_cmp_eq_u32_e32 vcc_lo, v19, v8
	s_and_b32 exec_lo, exec_lo, vcc_lo
	s_cbranch_execz .LBB219_235
; %bb.240:                              ;   in Loop: Header=BB219_236 Depth=2
	v_perm_b32 v18, v18, s85, 0x5040100
	ds_store_b32 v13, v18 offset:3072
	s_branch .LBB219_235
.LBB219_241:                            ;   in Loop: Header=BB219_12 Depth=1
	s_or_b32 exec_lo, exec_lo, s26
	v_lshrrev_b32_e32 v6, 16, v18
	s_and_b32 s26, s101, exec_lo
.LBB219_242:                            ;   in Loop: Header=BB219_12 Depth=1
	s_or_b32 exec_lo, exec_lo, s9
	s_mov_b32 s9, -1
	s_mov_b32 s8, 0
.LBB219_243:                            ;   in Loop: Header=BB219_12 Depth=1
	s_delay_alu instid0(SALU_CYCLE_1)
	s_and_b32 vcc_lo, exec_lo, s8
	s_mov_b32 s18, s8
	s_cbranch_vccz .LBB219_259
; %bb.244:                              ;   in Loop: Header=BB219_12 Depth=1
	s_mov_b32 s26, s59
	s_delay_alu instid0(SALU_CYCLE_1)
	s_cmp_lg_u64 s[26:27], 0
	s_cbranch_scc0 .LBB219_246
; %bb.245:                              ;   in Loop: Header=BB219_12 Depth=1
	v_cvt_f32_u32_e32 v4, s49
	s_sub_u32 s18, 0, s49
	s_subb_u32 s19, 0, 0
	s_delay_alu instid0(VALU_DEP_1) | instskip(NEXT) | instid1(VALU_DEP_1)
	v_fmac_f32_e64 v4, 0, 0x4f800000
	v_rcp_f32_e32 v4, v4
	s_waitcnt_depctr 0xfff
	v_mul_f32_e32 v4, 0x5f7ffffc, v4
	s_delay_alu instid0(VALU_DEP_1) | instskip(NEXT) | instid1(VALU_DEP_1)
	v_mul_f32_e32 v5, 0x2f800000, v4
	v_trunc_f32_e32 v5, v5
	s_delay_alu instid0(VALU_DEP_1) | instskip(SKIP_1) | instid1(VALU_DEP_2)
	v_fmac_f32_e32 v4, 0xcf800000, v5
	v_cvt_u32_f32_e32 v5, v5
	v_cvt_u32_f32_e32 v4, v4
	s_delay_alu instid0(VALU_DEP_2) | instskip(NEXT) | instid1(VALU_DEP_2)
	v_readfirstlane_b32 s8, v5
	v_readfirstlane_b32 s9, v4
	s_delay_alu instid0(VALU_DEP_2) | instskip(NEXT) | instid1(VALU_DEP_1)
	s_mul_i32 s26, s18, s8
	s_mul_hi_u32 s55, s18, s9
	s_mul_i32 s54, s19, s9
	s_add_i32 s26, s55, s26
	s_mul_i32 s56, s18, s9
	s_add_i32 s26, s26, s54
	s_mul_hi_u32 s55, s9, s56
	s_mul_hi_u32 s57, s8, s56
	s_mul_i32 s54, s8, s56
	s_mul_hi_u32 s56, s9, s26
	s_mul_i32 s9, s9, s26
	s_mul_hi_u32 s101, s8, s26
	s_add_u32 s9, s55, s9
	s_addc_u32 s55, 0, s56
	s_add_u32 s9, s9, s54
	s_mul_i32 s26, s8, s26
	s_addc_u32 s9, s55, s57
	s_addc_u32 s54, s101, 0
	s_add_u32 s9, s9, s26
	s_addc_u32 s26, 0, s54
	v_add_co_u32 v4, s9, v4, s9
	s_delay_alu instid0(VALU_DEP_1) | instskip(SKIP_1) | instid1(VALU_DEP_1)
	s_cmp_lg_u32 s9, 0
	s_addc_u32 s8, s8, s26
	v_readfirstlane_b32 s9, v4
	s_mul_i32 s26, s18, s8
	s_delay_alu instid0(VALU_DEP_1)
	s_mul_hi_u32 s54, s18, s9
	s_mul_i32 s19, s19, s9
	s_add_i32 s26, s54, s26
	s_mul_i32 s18, s18, s9
	s_add_i32 s26, s26, s19
	s_mul_hi_u32 s54, s8, s18
	s_mul_i32 s55, s8, s18
	s_mul_hi_u32 s18, s9, s18
	s_mul_hi_u32 s56, s9, s26
	s_mul_i32 s9, s9, s26
	s_mul_hi_u32 s19, s8, s26
	s_add_u32 s9, s18, s9
	s_addc_u32 s18, 0, s56
	s_add_u32 s9, s9, s55
	s_mul_i32 s26, s8, s26
	s_addc_u32 s9, s18, s54
	s_addc_u32 s18, s19, 0
	s_add_u32 s9, s9, s26
	s_addc_u32 s18, 0, s18
	v_add_co_u32 v4, s9, v4, s9
	s_delay_alu instid0(VALU_DEP_1) | instskip(SKIP_1) | instid1(VALU_DEP_1)
	s_cmp_lg_u32 s9, 0
	s_addc_u32 s8, s8, s18
	v_readfirstlane_b32 s9, v4
	s_mul_i32 s19, s76, s8
	s_mul_hi_u32 s18, s76, s8
	s_mul_hi_u32 s26, s27, s8
	s_mul_i32 s8, s27, s8
	s_mul_hi_u32 s54, s76, s9
	s_mul_hi_u32 s55, s27, s9
	s_mul_i32 s9, s27, s9
	s_add_u32 s19, s54, s19
	s_addc_u32 s18, 0, s18
	s_add_u32 s9, s19, s9
	s_addc_u32 s9, s18, s55
	s_addc_u32 s18, s26, 0
	s_add_u32 s8, s9, s8
	s_addc_u32 s9, 0, s18
	s_mul_hi_u32 s18, s49, s8
	s_mul_i32 s8, s49, s8
	s_mul_i32 s9, s49, s9
	v_sub_co_u32 v4, s8, s76, s8
	s_add_i32 s18, s18, s9
	s_cmp_lg_u32 s8, 0
	s_delay_alu instid0(VALU_DEP_1) | instskip(SKIP_2) | instid1(VALU_DEP_1)
	v_sub_co_u32 v5, s8, v4, s49
	s_subb_u32 s9, s27, s18
	s_cmp_lg_u32 s8, 0
	v_cmp_le_u32_e32 vcc_lo, s49, v5
	v_sub_co_u32 v6, s8, v5, s49
	s_subb_u32 s18, s9, 0
	s_cmp_lg_u32 s8, 0
	v_cndmask_b32_e64 v7, 0, -1, vcc_lo
	s_subb_u32 s8, s18, 0
	s_cmp_eq_u32 s18, 0
	v_mov_b32_e32 v18, s8
	s_cselect_b32 vcc_lo, -1, 0
	s_cmp_eq_u32 s9, 0
	v_cndmask_b32_e32 v7, -1, v7, vcc_lo
	v_cmp_le_u32_e32 vcc_lo, s49, v4
	s_cselect_b32 s8, -1, 0
	v_cndmask_b32_e64 v12, 0, -1, vcc_lo
	s_delay_alu instid0(VALU_DEP_3) | instskip(NEXT) | instid1(VALU_DEP_2)
	v_cmp_ne_u32_e32 vcc_lo, 0, v7
	v_cndmask_b32_e64 v7, -1, v12, s8
	v_cndmask_b32_e32 v12, s18, v18, vcc_lo
	v_cndmask_b32_e32 v6, v5, v6, vcc_lo
	s_mov_b32 s8, 0
	s_delay_alu instid0(VALU_DEP_3) | instskip(NEXT) | instid1(VALU_DEP_3)
	v_cmp_ne_u32_e32 vcc_lo, 0, v7
	v_cndmask_b32_e32 v5, s9, v12, vcc_lo
	s_delay_alu instid0(VALU_DEP_3)
	v_cndmask_b32_e32 v4, v4, v6, vcc_lo
	s_branch .LBB219_247
.LBB219_246:                            ;   in Loop: Header=BB219_12 Depth=1
	s_mov_b32 s8, -1
                                        ; implicit-def: $vgpr4_vgpr5
.LBB219_247:                            ;   in Loop: Header=BB219_12 Depth=1
	s_delay_alu instid0(SALU_CYCLE_1)
	s_and_not1_b32 vcc_lo, exec_lo, s8
	s_cbranch_vccnz .LBB219_249
; %bb.248:                              ;   in Loop: Header=BB219_12 Depth=1
	v_cvt_f32_u32_e32 v4, s49
	s_sub_i32 s8, 0, s49
	s_delay_alu instid0(VALU_DEP_1) | instskip(SKIP_2) | instid1(VALU_DEP_1)
	v_rcp_iflag_f32_e32 v4, v4
	s_waitcnt_depctr 0xfff
	v_mul_f32_e32 v4, 0x4f7ffffe, v4
	v_cvt_u32_f32_e32 v4, v4
	s_delay_alu instid0(VALU_DEP_1) | instskip(NEXT) | instid1(VALU_DEP_1)
	v_mul_lo_u32 v5, s8, v4
	v_mul_hi_u32 v5, v4, v5
	s_delay_alu instid0(VALU_DEP_1) | instskip(NEXT) | instid1(VALU_DEP_1)
	v_add_nc_u32_e32 v4, v4, v5
	v_mul_hi_u32 v4, s76, v4
	s_delay_alu instid0(VALU_DEP_1) | instskip(NEXT) | instid1(VALU_DEP_1)
	v_mul_lo_u32 v4, v4, s49
	v_sub_nc_u32_e32 v4, s76, v4
	s_delay_alu instid0(VALU_DEP_1) | instskip(SKIP_1) | instid1(VALU_DEP_2)
	v_subrev_nc_u32_e32 v5, s49, v4
	v_cmp_le_u32_e32 vcc_lo, s49, v4
	v_cndmask_b32_e32 v4, v4, v5, vcc_lo
	s_delay_alu instid0(VALU_DEP_1) | instskip(SKIP_1) | instid1(VALU_DEP_2)
	v_subrev_nc_u32_e32 v5, s49, v4
	v_cmp_le_u32_e32 vcc_lo, s49, v4
	v_cndmask_b32_e32 v12, v4, v5, vcc_lo
	s_delay_alu instid0(VALU_DEP_1)
	v_dual_mov_b32 v4, v12 :: v_dual_mov_b32 v5, v13
.LBB219_249:                            ;   in Loop: Header=BB219_12 Depth=1
	s_delay_alu instid0(VALU_DEP_1) | instskip(NEXT) | instid1(VALU_DEP_2)
	v_sub_co_u32 v4, vcc_lo, s76, v4
	v_sub_co_ci_u32_e32 v5, vcc_lo, s27, v5, vcc_lo
	s_mov_b32 s26, 0
	s_mov_b32 s9, exec_lo
                                        ; implicit-def: $vgpr6
	s_delay_alu instid0(VALU_DEP_1)
	v_cmpx_gt_u64_e64 v[4:5], v[0:1]
	s_cbranch_execz .LBB219_258
; %bb.250:                              ;   in Loop: Header=BB219_12 Depth=1
	v_dual_mov_b32 v7, v1 :: v_dual_mov_b32 v6, v0
	s_mov_b32 s18, 0
                                        ; implicit-def: $sgpr19
	s_branch .LBB219_252
.LBB219_251:                            ;   in Loop: Header=BB219_252 Depth=2
	s_or_b32 exec_lo, exec_lo, s8
	s_waitcnt vmcnt(0) lgkmcnt(0)
	s_barrier
	buffer_gl0_inv
	ds_load_b32 v12, v13 offset:3072
	v_add_co_u32 v6, vcc_lo, v6, s49
	v_add_co_ci_u32_e32 v7, vcc_lo, 0, v7, vcc_lo
	s_waitcnt lgkmcnt(0)
	s_barrier
	buffer_gl0_inv
	v_cmp_ge_u64_e32 vcc_lo, v[6:7], v[4:5]
	v_and_b32_e32 v18, 0x7fff, v12
	s_delay_alu instid0(VALU_DEP_1) | instskip(NEXT) | instid1(VALU_DEP_1)
	v_cmp_ne_u16_e64 s8, 0, v18
	s_or_b32 s26, vcc_lo, s8
	s_delay_alu instid0(SALU_CYCLE_1) | instskip(NEXT) | instid1(SALU_CYCLE_1)
	s_and_b32 s26, exec_lo, s26
	s_or_b32 s18, s26, s18
	s_and_not1_b32 s19, s19, exec_lo
	s_and_b32 s8, s8, exec_lo
	s_delay_alu instid0(SALU_CYCLE_1)
	s_or_b32 s19, s19, s8
	s_and_not1_b32 exec_lo, exec_lo, s18
	s_cbranch_execz .LBB219_257
.LBB219_252:                            ;   Parent Loop BB219_12 Depth=1
                                        ; =>  This Inner Loop Header: Depth=2
	s_delay_alu instid0(VALU_DEP_1)
	v_cmp_gt_u64_e32 vcc_lo, s[36:37], v[6:7]
	v_mov_b32_e32 v12, 0
	s_and_saveexec_b32 s26, vcc_lo
	s_cbranch_execz .LBB219_254
; %bb.253:                              ;   in Loop: Header=BB219_252 Depth=2
	v_mul_lo_u32 v12, v7, s30
	v_mul_lo_u32 v20, v6, s31
	v_mad_u64_u32 v[18:19], null, v6, s30, 0
	s_delay_alu instid0(VALU_DEP_1) | instskip(NEXT) | instid1(VALU_DEP_1)
	v_add3_u32 v19, v19, v20, v12
	v_lshlrev_b64 v[18:19], 1, v[18:19]
	s_delay_alu instid0(VALU_DEP_1) | instskip(NEXT) | instid1(VALU_DEP_1)
	v_add_co_u32 v18, s8, s33, v18
	v_add_co_ci_u32_e64 v19, s8, s35, v19, s8
	global_load_u16 v12, v[18:19], off
.LBB219_254:                            ;   in Loop: Header=BB219_252 Depth=2
	s_or_b32 exec_lo, exec_lo, s26
	s_and_saveexec_b32 s8, vcc_lo
	s_cbranch_execz .LBB219_251
; %bb.255:                              ;   in Loop: Header=BB219_252 Depth=2
	s_waitcnt vmcnt(0)
	v_cmp_lt_i16_e32 vcc_lo, -1, v12
	v_and_b32_e32 v18, 0xffff, v12
	v_dual_cndmask_b32 v19, 0xffff, v29 :: v_dual_lshlrev_b32 v20, 16, v12
	s_delay_alu instid0(VALU_DEP_1) | instskip(NEXT) | instid1(VALU_DEP_2)
	v_cmp_o_f32_e32 vcc_lo, v20, v20
	v_xor_b32_e32 v18, v19, v18
	s_delay_alu instid0(VALU_DEP_1) | instskip(NEXT) | instid1(VALU_DEP_1)
	v_cndmask_b32_e32 v18, 0xffff, v18, vcc_lo
	v_and_b32_e32 v18, v18, v9
	s_delay_alu instid0(VALU_DEP_1)
	v_cmp_eq_u32_e32 vcc_lo, v18, v8
	s_and_b32 exec_lo, exec_lo, vcc_lo
	s_cbranch_execz .LBB219_251
; %bb.256:                              ;   in Loop: Header=BB219_252 Depth=2
	v_perm_b32 v12, v12, s85, 0x5040100
	ds_store_b32 v13, v12 offset:3072
	s_branch .LBB219_251
.LBB219_257:                            ;   in Loop: Header=BB219_12 Depth=1
	s_or_b32 exec_lo, exec_lo, s18
	v_lshrrev_b32_e32 v6, 16, v12
	s_and_b32 s26, s19, exec_lo
.LBB219_258:                            ;   in Loop: Header=BB219_12 Depth=1
	s_or_b32 exec_lo, exec_lo, s9
	s_mov_b32 s18, -1
	s_mov_b32 s8, 0
	s_mov_b32 s9, 0
.LBB219_259:                            ;   in Loop: Header=BB219_12 Depth=1
	s_or_not1_b32 s26, s26, exec_lo
.LBB219_260:                            ;   in Loop: Header=BB219_12 Depth=1
	s_or_b32 exec_lo, exec_lo, s100
	s_mov_b32 s100, 0
                                        ; implicit-def: $vgpr7
                                        ; implicit-def: $vgpr4_vgpr5
	s_and_saveexec_b32 s19, s26
	s_cbranch_execz .LBB219_272
; %bb.261:                              ;   in Loop: Header=BB219_12 Depth=1
	v_dual_mov_b32 v4, 1 :: v_dual_mov_b32 v7, 1
	v_mov_b32_e32 v5, 0
	s_xor_b32 s54, s99, -1
	s_delay_alu instid0(SALU_CYCLE_1)
	s_and_saveexec_b32 s26, s54
	s_cbranch_execz .LBB219_271
; %bb.262:                              ;   in Loop: Header=BB219_12 Depth=1
                                        ; implicit-def: $sgpr100
	s_mov_b32 s54, exec_lo
	v_cmpx_ge_u64_e64 s[16:17], v[2:3]
	s_xor_b32 s99, exec_lo, s54
	s_cbranch_execz .LBB219_268
; %bb.263:                              ;   in Loop: Header=BB219_12 Depth=1
	ds_load_b64 v[4:5], v13 offset:5120
	s_waitcnt lgkmcnt(0)
	v_cmp_ne_u64_e32 vcc_lo, 0, v[4:5]
	s_cbranch_vccnz .LBB219_267
; %bb.264:                              ;   in Loop: Header=BB219_12 Depth=1
	s_and_saveexec_b32 s100, s5
	s_cbranch_execz .LBB219_266
; %bb.265:                              ;   in Loop: Header=BB219_12 Depth=1
	v_dual_mov_b32 v4, s16 :: v_dual_mov_b32 v5, s17
	ds_store_b64 v13, v[4:5] offset:5128
.LBB219_266:                            ;   in Loop: Header=BB219_12 Depth=1
	s_or_b32 exec_lo, exec_lo, s100
	s_waitcnt lgkmcnt(0)
	s_barrier
	buffer_gl0_inv
.LBB219_267:                            ;   in Loop: Header=BB219_12 Depth=1
	v_or_b32_e32 v8, s20, v8
	v_or_b32_e32 v9, s20, v9
	s_mov_b32 s100, 8
.LBB219_268:                            ;   in Loop: Header=BB219_12 Depth=1
	s_or_saveexec_b32 s99, s99
	v_mov_b32_e32 v7, s100
	s_xor_b32 exec_lo, exec_lo, s99
; %bb.269:                              ;   in Loop: Header=BB219_12 Depth=1
	v_sub_co_u32 v2, vcc_lo, v2, s16
	v_subrev_co_ci_u32_e32 v3, vcc_lo, s17, v3, vcc_lo
	v_mov_b32_e32 v7, 8
; %bb.270:                              ;   in Loop: Header=BB219_12 Depth=1
	s_or_b32 exec_lo, exec_lo, s99
	s_delay_alu instid0(VALU_DEP_2)
	v_dual_mov_b32 v5, v3 :: v_dual_mov_b32 v4, v2
.LBB219_271:                            ;   in Loop: Header=BB219_12 Depth=1
	s_or_b32 exec_lo, exec_lo, s26
	s_delay_alu instid0(SALU_CYCLE_1)
	s_mov_b32 s100, exec_lo
.LBB219_272:                            ;   in Loop: Header=BB219_12 Depth=1
	s_or_b32 exec_lo, exec_lo, s19
	s_delay_alu instid0(VALU_DEP_1)
	v_dual_mov_b32 v2, v4 :: v_dual_mov_b32 v3, v5
	s_or_not1_b32 s19, s100, exec_lo
.LBB219_273:                            ;   in Loop: Header=BB219_12 Depth=1
	s_or_b32 exec_lo, exec_lo, s98
	s_delay_alu instid0(SALU_CYCLE_1)
	s_and_not1_b32 s26, s69, exec_lo
	s_and_b32 s8, s8, exec_lo
	v_dual_mov_b32 v5, v3 :: v_dual_mov_b32 v4, v2
	s_or_b32 s69, s26, s8
	s_and_not1_b32 s8, s71, exec_lo
	s_and_b32 s18, s18, exec_lo
	s_and_not1_b32 s26, s70, exec_lo
	s_and_b32 s9, s9, exec_lo
	s_or_b32 s71, s8, s18
	s_or_b32 s70, s26, s9
	s_and_b32 s26, s19, exec_lo
.LBB219_274:                            ;   in Loop: Header=BB219_12 Depth=1
	s_or_b32 exec_lo, exec_lo, s97
	s_delay_alu instid0(SALU_CYCLE_1)
	s_and_b32 s19, s69, exec_lo
	s_and_b32 s18, s71, exec_lo
	;; [unrolled: 1-line block ×3, first 2 shown]
	s_or_not1_b32 s8, s26, exec_lo
.LBB219_275:                            ;   in Loop: Header=BB219_12 Depth=1
	s_or_b32 exec_lo, exec_lo, s68
	s_delay_alu instid0(SALU_CYCLE_1)
	s_and_not1_b32 s25, s25, exec_lo
	s_and_b32 s19, s19, exec_lo
	v_dual_mov_b32 v2, v4 :: v_dual_mov_b32 v3, v5
	s_or_b32 s25, s25, s19
	s_and_not1_b32 s19, s66, exec_lo
	s_and_b32 s18, s18, exec_lo
	s_and_not1_b32 s26, s65, exec_lo
	s_and_b32 s9, s9, exec_lo
	s_or_b32 s66, s19, s18
	s_or_b32 s65, s26, s9
	s_and_b32 s26, s8, exec_lo
.LBB219_276:                            ;   in Loop: Header=BB219_12 Depth=1
	s_or_b32 exec_lo, exec_lo, s67
	s_delay_alu instid0(SALU_CYCLE_1)
	s_and_b32 s19, s25, exec_lo
	s_and_b32 s18, s66, exec_lo
	;; [unrolled: 1-line block ×3, first 2 shown]
	s_or_not1_b32 s25, s26, exec_lo
.LBB219_277:                            ;   in Loop: Header=BB219_12 Depth=1
	s_or_b32 exec_lo, exec_lo, s24
	s_mov_b32 s8, 0
	s_mov_b32 s24, 0
	s_and_saveexec_b32 s26, s25
	s_delay_alu instid0(SALU_CYCLE_1)
	s_xor_b32 s25, exec_lo, s26
; %bb.278:                              ;   in Loop: Header=BB219_12 Depth=1
	v_cmp_ne_u32_e32 vcc_lo, 8, v7
	v_cmp_eq_u32_e64 s8, 8, v7
	s_and_not1_b32 s19, s19, exec_lo
	s_and_not1_b32 s18, s18, exec_lo
	;; [unrolled: 1-line block ×3, first 2 shown]
	s_and_b32 s24, vcc_lo, exec_lo
	s_and_b32 s8, s8, exec_lo
; %bb.279:                              ;   in Loop: Header=BB219_12 Depth=1
	s_or_b32 exec_lo, exec_lo, s25
	s_delay_alu instid0(SALU_CYCLE_1)
	s_and_not1_b32 s23, s23, exec_lo
	s_and_b32 s19, s19, exec_lo
	s_and_b32 s18, s18, exec_lo
	s_or_b32 s23, s23, s19
	s_and_not1_b32 s19, s62, exec_lo
	s_and_not1_b32 s25, s58, exec_lo
	s_and_b32 s9, s9, exec_lo
	s_or_b32 s62, s19, s18
	s_or_b32 s58, s25, s9
	s_and_b32 s24, s24, exec_lo
	s_and_b32 s25, s8, exec_lo
.LBB219_280:                            ;   in Loop: Header=BB219_12 Depth=1
	s_or_b32 exec_lo, exec_lo, s64
	s_delay_alu instid0(SALU_CYCLE_1)
	s_and_b32 vcc_lo, exec_lo, s63
	s_cbranch_vccz .LBB219_99
.LBB219_281:                            ;   in Loop: Header=BB219_12 Depth=1
	s_cmp_eq_u64 s[16:17], 1
                                        ; implicit-def: $sgpr18
                                        ; implicit-def: $sgpr19
                                        ; implicit-def: $sgpr23
	s_cselect_b32 s8, -1, 0
	s_delay_alu instid0(SALU_CYCLE_1)
	s_and_b32 s62, s8, s7
	s_mov_b32 s7, -1
	s_and_saveexec_b32 s58, s62
	s_cbranch_execz .LBB219_313
; %bb.282:                              ;   in Loop: Header=BB219_12 Depth=1
	ds_load_b64 v[2:3], v13 offset:5120
	s_waitcnt lgkmcnt(0)
	s_barrier
	buffer_gl0_inv
	v_readfirstlane_b32 s8, v2
	v_readfirstlane_b32 s9, v3
	s_and_saveexec_b32 s7, s6
	s_cbranch_execz .LBB219_284
; %bb.283:                              ;   in Loop: Header=BB219_12 Depth=1
	ds_store_b16 v26, v13
.LBB219_284:                            ;   in Loop: Header=BB219_12 Depth=1
	s_or_b32 exec_lo, exec_lo, s7
	v_or_b32_e32 v31, s20, v31
	v_or_b32_e32 v30, s20, v30
	s_cmp_eq_u64 s[8:9], 0
	s_waitcnt lgkmcnt(0)
	s_barrier
	buffer_gl0_inv
	s_cbranch_scc1 .LBB219_296
; %bb.285:                              ;   in Loop: Header=BB219_12 Depth=1
	s_add_u32 s23, s74, s8
	s_addc_u32 s19, s75, s9
	s_mov_b32 s18, s59
	s_delay_alu instid0(SALU_CYCLE_1)
	s_cmp_lg_u64 s[18:19], 0
	s_cbranch_scc0 .LBB219_340
; %bb.286:                              ;   in Loop: Header=BB219_12 Depth=1
	v_cvt_f32_u32_e32 v2, s49
	s_sub_u32 s26, 0, s49
	s_subb_u32 s63, 0, 0
	s_delay_alu instid0(VALU_DEP_1) | instskip(NEXT) | instid1(VALU_DEP_1)
	v_fmac_f32_e64 v2, 0, 0x4f800000
	v_rcp_f32_e32 v2, v2
	s_waitcnt_depctr 0xfff
	v_mul_f32_e32 v2, 0x5f7ffffc, v2
	s_delay_alu instid0(VALU_DEP_1) | instskip(NEXT) | instid1(VALU_DEP_1)
	v_mul_f32_e32 v3, 0x2f800000, v2
	v_trunc_f32_e32 v3, v3
	s_delay_alu instid0(VALU_DEP_1) | instskip(SKIP_1) | instid1(VALU_DEP_2)
	v_fmac_f32_e32 v2, 0xcf800000, v3
	v_cvt_u32_f32_e32 v3, v3
	v_cvt_u32_f32_e32 v2, v2
	s_delay_alu instid0(VALU_DEP_2) | instskip(NEXT) | instid1(VALU_DEP_2)
	v_readfirstlane_b32 s7, v3
	v_readfirstlane_b32 s18, v2
	s_delay_alu instid0(VALU_DEP_2) | instskip(NEXT) | instid1(VALU_DEP_1)
	s_mul_i32 s64, s26, s7
	s_mul_hi_u32 s66, s26, s18
	s_mul_i32 s65, s63, s18
	s_add_i32 s64, s66, s64
	s_mul_i32 s67, s26, s18
	s_add_i32 s64, s64, s65
	s_mul_hi_u32 s66, s18, s67
	s_mul_hi_u32 s68, s7, s67
	s_mul_i32 s65, s7, s67
	s_mul_hi_u32 s67, s18, s64
	s_mul_i32 s18, s18, s64
	s_mul_hi_u32 s69, s7, s64
	s_add_u32 s18, s66, s18
	s_addc_u32 s66, 0, s67
	s_add_u32 s18, s18, s65
	s_mul_i32 s64, s7, s64
	s_addc_u32 s18, s66, s68
	s_addc_u32 s65, s69, 0
	s_add_u32 s18, s18, s64
	s_addc_u32 s64, 0, s65
	v_add_co_u32 v2, s18, v2, s18
	s_delay_alu instid0(VALU_DEP_1) | instskip(SKIP_1) | instid1(VALU_DEP_1)
	s_cmp_lg_u32 s18, 0
	s_addc_u32 s7, s7, s64
	v_readfirstlane_b32 s18, v2
	s_mul_i32 s64, s26, s7
	s_delay_alu instid0(VALU_DEP_1)
	s_mul_hi_u32 s65, s26, s18
	s_mul_i32 s63, s63, s18
	s_add_i32 s64, s65, s64
	s_mul_i32 s26, s26, s18
	s_add_i32 s64, s64, s63
	s_mul_hi_u32 s65, s7, s26
	s_mul_i32 s66, s7, s26
	s_mul_hi_u32 s26, s18, s26
	s_mul_hi_u32 s67, s18, s64
	s_mul_i32 s18, s18, s64
	s_mul_hi_u32 s63, s7, s64
	s_add_u32 s18, s26, s18
	s_addc_u32 s26, 0, s67
	s_add_u32 s18, s18, s66
	s_mul_i32 s64, s7, s64
	s_addc_u32 s18, s26, s65
	s_addc_u32 s26, s63, 0
	s_add_u32 s18, s18, s64
	s_addc_u32 s26, 0, s26
	v_add_co_u32 v2, s18, v2, s18
	s_delay_alu instid0(VALU_DEP_1) | instskip(SKIP_1) | instid1(VALU_DEP_1)
	s_cmp_lg_u32 s18, 0
	s_addc_u32 s7, s7, s26
	v_readfirstlane_b32 s18, v2
	s_mul_i32 s63, s23, s7
	s_mul_hi_u32 s26, s23, s7
	s_mul_hi_u32 s64, s19, s7
	s_mul_i32 s7, s19, s7
	s_mul_hi_u32 s65, s23, s18
	s_mul_hi_u32 s66, s19, s18
	s_mul_i32 s18, s19, s18
	s_add_u32 s63, s65, s63
	s_addc_u32 s26, 0, s26
	s_add_u32 s18, s63, s18
	s_addc_u32 s18, s26, s66
	s_addc_u32 s26, s64, 0
	s_add_u32 s7, s18, s7
	s_addc_u32 s18, 0, s26
	s_mul_hi_u32 s26, s49, s7
	s_mul_i32 s7, s49, s7
	s_mul_i32 s18, s49, s18
	v_sub_co_u32 v2, s7, s23, s7
	s_add_i32 s26, s26, s18
	s_cmp_lg_u32 s7, 0
	s_delay_alu instid0(VALU_DEP_1) | instskip(SKIP_2) | instid1(VALU_DEP_1)
	v_sub_co_u32 v3, s7, v2, s49
	s_subb_u32 s18, s19, s26
	s_cmp_lg_u32 s7, 0
	v_cmp_le_u32_e32 vcc_lo, s49, v3
	v_sub_co_u32 v4, s7, v3, s49
	s_subb_u32 s26, s18, 0
	s_cmp_lg_u32 s7, 0
	v_cndmask_b32_e64 v5, 0, -1, vcc_lo
	s_subb_u32 s7, s26, 0
	s_cmp_eq_u32 s26, 0
	v_mov_b32_e32 v7, s7
	s_cselect_b32 vcc_lo, -1, 0
	s_cmp_eq_u32 s18, 0
	v_cndmask_b32_e32 v5, -1, v5, vcc_lo
	v_cmp_le_u32_e32 vcc_lo, s49, v2
	s_cselect_b32 s7, -1, 0
	v_cndmask_b32_e64 v6, 0, -1, vcc_lo
	s_delay_alu instid0(VALU_DEP_3) | instskip(NEXT) | instid1(VALU_DEP_2)
	v_cmp_ne_u32_e32 vcc_lo, 0, v5
	v_cndmask_b32_e64 v5, -1, v6, s7
	v_cndmask_b32_e32 v6, s26, v7, vcc_lo
	v_cndmask_b32_e32 v4, v3, v4, vcc_lo
	s_delay_alu instid0(VALU_DEP_3) | instskip(NEXT) | instid1(VALU_DEP_3)
	v_cmp_ne_u32_e32 vcc_lo, 0, v5
	v_cndmask_b32_e32 v3, s18, v6, vcc_lo
	s_delay_alu instid0(VALU_DEP_3)
	v_cndmask_b32_e32 v2, v2, v4, vcc_lo
	s_cbranch_execnz .LBB219_288
.LBB219_287:                            ;   in Loop: Header=BB219_12 Depth=1
	v_cvt_f32_u32_e32 v2, s49
	s_sub_i32 s7, 0, s49
	s_delay_alu instid0(VALU_DEP_1) | instskip(SKIP_2) | instid1(VALU_DEP_1)
	v_rcp_iflag_f32_e32 v2, v2
	s_waitcnt_depctr 0xfff
	v_mul_f32_e32 v2, 0x4f7ffffe, v2
	v_cvt_u32_f32_e32 v2, v2
	s_delay_alu instid0(VALU_DEP_1) | instskip(NEXT) | instid1(VALU_DEP_1)
	v_mul_lo_u32 v3, s7, v2
	v_mul_hi_u32 v3, v2, v3
	s_delay_alu instid0(VALU_DEP_1) | instskip(NEXT) | instid1(VALU_DEP_1)
	v_add_nc_u32_e32 v2, v2, v3
	v_mul_hi_u32 v2, s23, v2
	s_delay_alu instid0(VALU_DEP_1) | instskip(NEXT) | instid1(VALU_DEP_1)
	v_mul_lo_u32 v2, v2, s49
	v_sub_nc_u32_e32 v2, s23, v2
	s_delay_alu instid0(VALU_DEP_1) | instskip(SKIP_1) | instid1(VALU_DEP_2)
	v_subrev_nc_u32_e32 v3, s49, v2
	v_cmp_le_u32_e32 vcc_lo, s49, v2
	v_cndmask_b32_e32 v2, v2, v3, vcc_lo
	s_delay_alu instid0(VALU_DEP_1) | instskip(SKIP_1) | instid1(VALU_DEP_2)
	v_subrev_nc_u32_e32 v3, s49, v2
	v_cmp_le_u32_e32 vcc_lo, s49, v2
	v_cndmask_b32_e32 v12, v2, v3, vcc_lo
	s_delay_alu instid0(VALU_DEP_1)
	v_dual_mov_b32 v2, v12 :: v_dual_mov_b32 v3, v13
.LBB219_288:                            ;   in Loop: Header=BB219_12 Depth=1
	s_delay_alu instid0(VALU_DEP_1) | instskip(NEXT) | instid1(VALU_DEP_2)
	v_sub_co_u32 v2, vcc_lo, s23, v2
	v_sub_co_ci_u32_e32 v3, vcc_lo, s19, v3, vcc_lo
	s_mov_b32 s7, 0
	s_mov_b32 s18, exec_lo
                                        ; implicit-def: $vgpr32
	s_delay_alu instid0(VALU_DEP_1)
	v_cmpx_gt_u64_e64 v[2:3], v[0:1]
	s_cbranch_execz .LBB219_298
; %bb.289:                              ;   in Loop: Header=BB219_12 Depth=1
	v_mov_b32_e32 v6, v25
	v_dual_mov_b32 v5, v1 :: v_dual_mov_b32 v4, v0
	s_mov_b32 s19, 0
                                        ; implicit-def: $sgpr23
	s_branch .LBB219_291
.LBB219_290:                            ;   in Loop: Header=BB219_291 Depth=2
	s_or_b32 exec_lo, exec_lo, s7
	s_waitcnt lgkmcnt(0)
	s_barrier
	buffer_gl0_inv
	ds_load_b32 v7, v13 offset:3072
	v_add_co_u32 v4, vcc_lo, v4, s49
	v_add_co_ci_u32_e32 v5, vcc_lo, 0, v5, vcc_lo
	v_add_nc_u32_e32 v6, s82, v6
	s_waitcnt lgkmcnt(0)
	s_barrier
	s_delay_alu instid0(VALU_DEP_2) | instskip(SKIP_2) | instid1(VALU_DEP_1)
	v_cmp_ge_u64_e32 vcc_lo, v[4:5], v[2:3]
	buffer_gl0_inv
	v_and_b32_e32 v8, 0x7fff, v7
	v_cmp_ne_u16_e64 s7, 0, v8
	s_delay_alu instid0(VALU_DEP_1) | instskip(NEXT) | instid1(SALU_CYCLE_1)
	s_or_b32 s26, vcc_lo, s7
	s_and_b32 s26, exec_lo, s26
	s_delay_alu instid0(SALU_CYCLE_1) | instskip(SKIP_2) | instid1(SALU_CYCLE_1)
	s_or_b32 s19, s26, s19
	s_and_not1_b32 s23, s23, exec_lo
	s_and_b32 s7, s7, exec_lo
	s_or_b32 s23, s23, s7
	s_and_not1_b32 exec_lo, exec_lo, s19
	s_cbranch_execz .LBB219_297
.LBB219_291:                            ;   Parent Loop BB219_12 Depth=1
                                        ; =>  This Inner Loop Header: Depth=2
	s_delay_alu instid0(VALU_DEP_1)
	v_cmp_gt_u64_e32 vcc_lo, s[8:9], v[4:5]
	v_mov_b32_e32 v7, 0
	s_and_saveexec_b32 s7, vcc_lo
	s_cbranch_execz .LBB219_293
; %bb.292:                              ;   in Loop: Header=BB219_291 Depth=2
	ds_load_u16 v7, v6
.LBB219_293:                            ;   in Loop: Header=BB219_291 Depth=2
	s_or_b32 exec_lo, exec_lo, s7
	s_and_saveexec_b32 s7, vcc_lo
	s_cbranch_execz .LBB219_290
; %bb.294:                              ;   in Loop: Header=BB219_291 Depth=2
	s_waitcnt lgkmcnt(0)
	v_cmp_lt_i16_e32 vcc_lo, -1, v7
	v_and_b32_e32 v8, 0xffff, v7
	v_dual_cndmask_b32 v9, 0xffff, v29 :: v_dual_lshlrev_b32 v12, 16, v7
	s_delay_alu instid0(VALU_DEP_1) | instskip(NEXT) | instid1(VALU_DEP_2)
	v_cmp_o_f32_e32 vcc_lo, v12, v12
	v_xor_b32_e32 v8, v9, v8
	s_delay_alu instid0(VALU_DEP_1) | instskip(NEXT) | instid1(VALU_DEP_1)
	v_cndmask_b32_e32 v8, 0xffff, v8, vcc_lo
	v_and_b32_e32 v8, v8, v30
	s_delay_alu instid0(VALU_DEP_1)
	v_cmp_eq_u32_e32 vcc_lo, v8, v31
	s_and_b32 exec_lo, exec_lo, vcc_lo
	s_cbranch_execz .LBB219_290
; %bb.295:                              ;   in Loop: Header=BB219_291 Depth=2
	v_perm_b32 v7, v7, s85, 0x5040100
	ds_store_b32 v13, v7 offset:3072
	s_branch .LBB219_290
.LBB219_296:                            ;   in Loop: Header=BB219_12 Depth=1
	s_mov_b32 s18, -1
	s_mov_b32 s7, 0
                                        ; implicit-def: $sgpr19
                                        ; implicit-def: $vgpr32
	s_mov_b32 s23, s18
	s_cbranch_execnz .LBB219_299
	s_branch .LBB219_312
.LBB219_297:                            ;   in Loop: Header=BB219_12 Depth=1
	s_or_b32 exec_lo, exec_lo, s19
	v_lshrrev_b32_e32 v32, 16, v7
	s_and_b32 s7, s23, exec_lo
.LBB219_298:                            ;   in Loop: Header=BB219_12 Depth=1
	s_or_b32 exec_lo, exec_lo, s18
	s_mov_b32 s18, 0
	s_mov_b32 s19, -1
	s_mov_b32 s23, s18
	s_branch .LBB219_312
.LBB219_299:                            ;   in Loop: Header=BB219_12 Depth=1
	s_mov_b32 s26, s59
	s_delay_alu instid0(SALU_CYCLE_1)
	s_cmp_lg_u64 s[26:27], 0
	s_cbranch_scc0 .LBB219_341
; %bb.300:                              ;   in Loop: Header=BB219_12 Depth=1
	v_cvt_f32_u32_e32 v2, s49
	s_sub_u32 s9, 0, s49
	s_subb_u32 s18, 0, 0
	s_delay_alu instid0(VALU_DEP_1) | instskip(NEXT) | instid1(VALU_DEP_1)
	v_fmac_f32_e64 v2, 0, 0x4f800000
	v_rcp_f32_e32 v2, v2
	s_waitcnt_depctr 0xfff
	v_mul_f32_e32 v2, 0x5f7ffffc, v2
	s_delay_alu instid0(VALU_DEP_1) | instskip(NEXT) | instid1(VALU_DEP_1)
	v_mul_f32_e32 v3, 0x2f800000, v2
	v_trunc_f32_e32 v3, v3
	s_delay_alu instid0(VALU_DEP_1) | instskip(SKIP_1) | instid1(VALU_DEP_2)
	v_fmac_f32_e32 v2, 0xcf800000, v3
	v_cvt_u32_f32_e32 v3, v3
	v_cvt_u32_f32_e32 v2, v2
	s_delay_alu instid0(VALU_DEP_2) | instskip(NEXT) | instid1(VALU_DEP_2)
	v_readfirstlane_b32 s7, v3
	v_readfirstlane_b32 s8, v2
	s_delay_alu instid0(VALU_DEP_2) | instskip(NEXT) | instid1(VALU_DEP_1)
	s_mul_i32 s19, s9, s7
	s_mul_hi_u32 s26, s9, s8
	s_mul_i32 s23, s18, s8
	s_add_i32 s19, s26, s19
	s_mul_i32 s63, s9, s8
	s_add_i32 s19, s19, s23
	s_mul_hi_u32 s26, s8, s63
	s_mul_hi_u32 s64, s7, s63
	s_mul_i32 s23, s7, s63
	s_mul_hi_u32 s63, s8, s19
	s_mul_i32 s8, s8, s19
	s_mul_hi_u32 s65, s7, s19
	s_add_u32 s8, s26, s8
	s_addc_u32 s26, 0, s63
	s_add_u32 s8, s8, s23
	s_mul_i32 s19, s7, s19
	s_addc_u32 s8, s26, s64
	s_addc_u32 s23, s65, 0
	s_add_u32 s8, s8, s19
	s_addc_u32 s19, 0, s23
	v_add_co_u32 v2, s8, v2, s8
	s_delay_alu instid0(VALU_DEP_1) | instskip(SKIP_1) | instid1(VALU_DEP_1)
	s_cmp_lg_u32 s8, 0
	s_addc_u32 s7, s7, s19
	v_readfirstlane_b32 s8, v2
	s_mul_i32 s19, s9, s7
	s_delay_alu instid0(VALU_DEP_1)
	s_mul_hi_u32 s23, s9, s8
	s_mul_i32 s18, s18, s8
	s_add_i32 s19, s23, s19
	s_mul_i32 s9, s9, s8
	s_add_i32 s19, s19, s18
	s_mul_hi_u32 s23, s7, s9
	s_mul_i32 s26, s7, s9
	s_mul_hi_u32 s9, s8, s9
	s_mul_hi_u32 s63, s8, s19
	s_mul_i32 s8, s8, s19
	s_mul_hi_u32 s18, s7, s19
	s_add_u32 s8, s9, s8
	s_addc_u32 s9, 0, s63
	s_add_u32 s8, s8, s26
	s_mul_i32 s19, s7, s19
	s_addc_u32 s8, s9, s23
	s_addc_u32 s9, s18, 0
	s_add_u32 s8, s8, s19
	s_addc_u32 s9, 0, s9
	v_add_co_u32 v2, s8, v2, s8
	s_delay_alu instid0(VALU_DEP_1) | instskip(SKIP_1) | instid1(VALU_DEP_1)
	s_cmp_lg_u32 s8, 0
	s_addc_u32 s7, s7, s9
	v_readfirstlane_b32 s8, v2
	s_mul_i32 s18, s76, s7
	s_mul_hi_u32 s9, s76, s7
	s_mul_hi_u32 s19, s27, s7
	s_mul_i32 s7, s27, s7
	s_mul_hi_u32 s23, s76, s8
	s_mul_hi_u32 s26, s27, s8
	s_mul_i32 s8, s27, s8
	s_add_u32 s18, s23, s18
	s_addc_u32 s9, 0, s9
	s_add_u32 s8, s18, s8
	s_addc_u32 s8, s9, s26
	s_addc_u32 s9, s19, 0
	s_add_u32 s7, s8, s7
	s_addc_u32 s8, 0, s9
	s_mul_hi_u32 s9, s49, s7
	s_mul_i32 s7, s49, s7
	s_mul_i32 s8, s49, s8
	v_sub_co_u32 v2, s7, s76, s7
	s_add_i32 s9, s9, s8
	s_cmp_lg_u32 s7, 0
	s_delay_alu instid0(VALU_DEP_1) | instskip(SKIP_2) | instid1(VALU_DEP_1)
	v_sub_co_u32 v3, s7, v2, s49
	s_subb_u32 s8, s27, s9
	s_cmp_lg_u32 s7, 0
	v_cmp_le_u32_e32 vcc_lo, s49, v3
	v_sub_co_u32 v4, s7, v3, s49
	s_subb_u32 s9, s8, 0
	s_cmp_lg_u32 s7, 0
	v_cndmask_b32_e64 v5, 0, -1, vcc_lo
	s_subb_u32 s7, s9, 0
	s_cmp_eq_u32 s9, 0
	v_mov_b32_e32 v7, s7
	s_cselect_b32 vcc_lo, -1, 0
	s_cmp_eq_u32 s8, 0
	v_cndmask_b32_e32 v5, -1, v5, vcc_lo
	v_cmp_le_u32_e32 vcc_lo, s49, v2
	s_cselect_b32 s7, -1, 0
	v_cndmask_b32_e64 v6, 0, -1, vcc_lo
	s_delay_alu instid0(VALU_DEP_3) | instskip(NEXT) | instid1(VALU_DEP_2)
	v_cmp_ne_u32_e32 vcc_lo, 0, v5
	v_cndmask_b32_e64 v5, -1, v6, s7
	v_cndmask_b32_e32 v6, s9, v7, vcc_lo
	v_cndmask_b32_e32 v4, v3, v4, vcc_lo
	s_delay_alu instid0(VALU_DEP_3) | instskip(NEXT) | instid1(VALU_DEP_3)
	v_cmp_ne_u32_e32 vcc_lo, 0, v5
	v_cndmask_b32_e32 v3, s8, v6, vcc_lo
	s_delay_alu instid0(VALU_DEP_3)
	v_cndmask_b32_e32 v2, v2, v4, vcc_lo
	s_cbranch_execnz .LBB219_302
.LBB219_301:                            ;   in Loop: Header=BB219_12 Depth=1
	v_cvt_f32_u32_e32 v2, s49
	s_sub_i32 s7, 0, s49
	s_delay_alu instid0(VALU_DEP_1) | instskip(SKIP_2) | instid1(VALU_DEP_1)
	v_rcp_iflag_f32_e32 v2, v2
	s_waitcnt_depctr 0xfff
	v_mul_f32_e32 v2, 0x4f7ffffe, v2
	v_cvt_u32_f32_e32 v2, v2
	s_delay_alu instid0(VALU_DEP_1) | instskip(NEXT) | instid1(VALU_DEP_1)
	v_mul_lo_u32 v3, s7, v2
	v_mul_hi_u32 v3, v2, v3
	s_delay_alu instid0(VALU_DEP_1) | instskip(NEXT) | instid1(VALU_DEP_1)
	v_add_nc_u32_e32 v2, v2, v3
	v_mul_hi_u32 v2, s76, v2
	s_delay_alu instid0(VALU_DEP_1) | instskip(NEXT) | instid1(VALU_DEP_1)
	v_mul_lo_u32 v2, v2, s49
	v_sub_nc_u32_e32 v2, s76, v2
	s_delay_alu instid0(VALU_DEP_1) | instskip(SKIP_1) | instid1(VALU_DEP_2)
	v_subrev_nc_u32_e32 v3, s49, v2
	v_cmp_le_u32_e32 vcc_lo, s49, v2
	v_cndmask_b32_e32 v2, v2, v3, vcc_lo
	s_delay_alu instid0(VALU_DEP_1) | instskip(SKIP_1) | instid1(VALU_DEP_2)
	v_subrev_nc_u32_e32 v3, s49, v2
	v_cmp_le_u32_e32 vcc_lo, s49, v2
	v_cndmask_b32_e32 v12, v2, v3, vcc_lo
	s_delay_alu instid0(VALU_DEP_1)
	v_dual_mov_b32 v2, v12 :: v_dual_mov_b32 v3, v13
.LBB219_302:                            ;   in Loop: Header=BB219_12 Depth=1
	s_delay_alu instid0(VALU_DEP_1) | instskip(NEXT) | instid1(VALU_DEP_2)
	v_sub_co_u32 v2, vcc_lo, s76, v2
	v_sub_co_ci_u32_e32 v3, vcc_lo, s27, v3, vcc_lo
	s_mov_b32 s7, 0
	s_mov_b32 s8, exec_lo
                                        ; implicit-def: $vgpr32
	s_delay_alu instid0(VALU_DEP_1)
	v_cmpx_gt_u64_e64 v[2:3], v[0:1]
	s_cbranch_execz .LBB219_311
; %bb.303:                              ;   in Loop: Header=BB219_12 Depth=1
	v_dual_mov_b32 v5, v1 :: v_dual_mov_b32 v4, v0
	s_mov_b32 s9, 0
                                        ; implicit-def: $sgpr18
	s_branch .LBB219_305
.LBB219_304:                            ;   in Loop: Header=BB219_305 Depth=2
	s_or_b32 exec_lo, exec_lo, s7
	s_waitcnt vmcnt(0) lgkmcnt(0)
	s_barrier
	buffer_gl0_inv
	ds_load_b32 v6, v13 offset:3072
	v_add_co_u32 v4, vcc_lo, v4, s49
	v_add_co_ci_u32_e32 v5, vcc_lo, 0, v5, vcc_lo
	s_waitcnt lgkmcnt(0)
	s_barrier
	buffer_gl0_inv
	v_cmp_ge_u64_e32 vcc_lo, v[4:5], v[2:3]
	v_and_b32_e32 v7, 0x7fff, v6
	s_delay_alu instid0(VALU_DEP_1) | instskip(NEXT) | instid1(VALU_DEP_1)
	v_cmp_ne_u16_e64 s7, 0, v7
	s_or_b32 s19, vcc_lo, s7
	s_delay_alu instid0(SALU_CYCLE_1) | instskip(NEXT) | instid1(SALU_CYCLE_1)
	s_and_b32 s19, exec_lo, s19
	s_or_b32 s9, s19, s9
	s_and_not1_b32 s18, s18, exec_lo
	s_and_b32 s7, s7, exec_lo
	s_delay_alu instid0(SALU_CYCLE_1)
	s_or_b32 s18, s18, s7
	s_and_not1_b32 exec_lo, exec_lo, s9
	s_cbranch_execz .LBB219_310
.LBB219_305:                            ;   Parent Loop BB219_12 Depth=1
                                        ; =>  This Inner Loop Header: Depth=2
	s_delay_alu instid0(VALU_DEP_1)
	v_cmp_gt_u64_e32 vcc_lo, s[36:37], v[4:5]
	v_mov_b32_e32 v6, 0
	s_and_saveexec_b32 s19, vcc_lo
	s_cbranch_execz .LBB219_307
; %bb.306:                              ;   in Loop: Header=BB219_305 Depth=2
	v_mul_lo_u32 v8, v5, s30
	v_mul_lo_u32 v9, v4, s31
	v_mad_u64_u32 v[6:7], null, v4, s30, 0
	s_delay_alu instid0(VALU_DEP_1) | instskip(NEXT) | instid1(VALU_DEP_1)
	v_add3_u32 v7, v7, v9, v8
	v_lshlrev_b64 v[6:7], 1, v[6:7]
	s_delay_alu instid0(VALU_DEP_1) | instskip(NEXT) | instid1(VALU_DEP_1)
	v_add_co_u32 v6, s7, s33, v6
	v_add_co_ci_u32_e64 v7, s7, s35, v7, s7
	global_load_u16 v6, v[6:7], off
.LBB219_307:                            ;   in Loop: Header=BB219_305 Depth=2
	s_or_b32 exec_lo, exec_lo, s19
	s_and_saveexec_b32 s7, vcc_lo
	s_cbranch_execz .LBB219_304
; %bb.308:                              ;   in Loop: Header=BB219_305 Depth=2
	s_waitcnt vmcnt(0)
	v_cmp_lt_i16_e32 vcc_lo, -1, v6
	v_and_b32_e32 v7, 0xffff, v6
	v_dual_cndmask_b32 v8, 0xffff, v29 :: v_dual_lshlrev_b32 v9, 16, v6
	s_delay_alu instid0(VALU_DEP_1) | instskip(NEXT) | instid1(VALU_DEP_2)
	v_cmp_o_f32_e32 vcc_lo, v9, v9
	v_xor_b32_e32 v7, v8, v7
	s_delay_alu instid0(VALU_DEP_1) | instskip(NEXT) | instid1(VALU_DEP_1)
	v_cndmask_b32_e32 v7, 0xffff, v7, vcc_lo
	v_and_b32_e32 v7, v7, v30
	s_delay_alu instid0(VALU_DEP_1)
	v_cmp_eq_u32_e32 vcc_lo, v7, v31
	s_and_b32 exec_lo, exec_lo, vcc_lo
	s_cbranch_execz .LBB219_304
; %bb.309:                              ;   in Loop: Header=BB219_305 Depth=2
	v_perm_b32 v6, v6, s85, 0x5040100
	ds_store_b32 v13, v6 offset:3072
	s_branch .LBB219_304
.LBB219_310:                            ;   in Loop: Header=BB219_12 Depth=1
	s_or_b32 exec_lo, exec_lo, s9
	v_lshrrev_b32_e32 v32, 16, v6
	s_and_b32 s7, s18, exec_lo
.LBB219_311:                            ;   in Loop: Header=BB219_12 Depth=1
	s_or_b32 exec_lo, exec_lo, s8
	s_mov_b32 s19, 0
	s_mov_b32 s18, -1
	s_mov_b32 s23, 0
.LBB219_312:                            ;   in Loop: Header=BB219_12 Depth=1
	s_or_not1_b32 s7, s7, exec_lo
.LBB219_313:                            ;   in Loop: Header=BB219_12 Depth=1
	s_or_b32 exec_lo, exec_lo, s58
                                        ; implicit-def: $vgpr7
                                        ; implicit-def: $vgpr2_vgpr3
                                        ; implicit-def: $vgpr8
                                        ; implicit-def: $vgpr9
                                        ; implicit-def: $vgpr6
	s_and_saveexec_b32 s58, s7
	s_cbranch_execz .LBB219_476
; %bb.314:                              ;   in Loop: Header=BB219_12 Depth=1
	v_dual_mov_b32 v2, 1 :: v_dual_mov_b32 v7, 1
	v_mov_b32_e32 v3, 0
	s_xor_b32 s8, s62, -1
	s_mov_b32 s26, 0
	s_and_saveexec_b32 s7, s8
	s_cbranch_execz .LBB219_324
; %bb.315:                              ;   in Loop: Header=BB219_12 Depth=1
	s_mov_b32 s9, exec_lo
                                        ; implicit-def: $sgpr26
                                        ; implicit-def: $sgpr8
	v_cmpx_ge_u64_e64 s[16:17], v[16:17]
	s_xor_b32 s9, exec_lo, s9
	s_cbranch_execz .LBB219_321
; %bb.316:                              ;   in Loop: Header=BB219_12 Depth=1
	ds_load_b64 v[2:3], v13 offset:5120
	s_waitcnt lgkmcnt(0)
	v_cmp_ne_u64_e32 vcc_lo, 0, v[2:3]
	s_cbranch_vccnz .LBB219_320
; %bb.317:                              ;   in Loop: Header=BB219_12 Depth=1
	s_and_saveexec_b32 s8, s5
	s_cbranch_execz .LBB219_319
; %bb.318:                              ;   in Loop: Header=BB219_12 Depth=1
	v_dual_mov_b32 v2, s16 :: v_dual_mov_b32 v3, s17
	ds_store_b64 v13, v[2:3] offset:5128
.LBB219_319:                            ;   in Loop: Header=BB219_12 Depth=1
	s_or_b32 exec_lo, exec_lo, s8
	s_waitcnt lgkmcnt(0)
	s_barrier
	buffer_gl0_inv
.LBB219_320:                            ;   in Loop: Header=BB219_12 Depth=1
	v_or_b32_e32 v31, s20, v31
	v_or_b32_e32 v30, s20, v30
	s_mov_b32 s8, 0
	s_mov_b32 s26, 5
.LBB219_321:                            ;   in Loop: Header=BB219_12 Depth=1
	s_or_saveexec_b32 s9, s9
	v_mov_b32_e32 v7, s26
	s_xor_b32 exec_lo, exec_lo, s9
; %bb.322:                              ;   in Loop: Header=BB219_12 Depth=1
	v_sub_co_u32 v16, vcc_lo, v16, s16
	v_subrev_co_ci_u32_e32 v17, vcc_lo, s17, v17, vcc_lo
	v_mov_b32_e32 v7, 0
	s_or_b32 s8, s8, exec_lo
; %bb.323:                              ;   in Loop: Header=BB219_12 Depth=1
	s_or_b32 exec_lo, exec_lo, s9
	s_delay_alu instid0(VALU_DEP_2)
	v_dual_mov_b32 v2, v16 :: v_dual_mov_b32 v3, v17
	s_and_b32 s26, s8, exec_lo
.LBB219_324:                            ;   in Loop: Header=BB219_12 Depth=1
	s_or_b32 exec_lo, exec_lo, s7
	s_mov_b32 s17, -1
                                        ; implicit-def: $sgpr8
                                        ; implicit-def: $sgpr9
                                        ; implicit-def: $sgpr16
	s_and_saveexec_b32 s7, s26
	s_delay_alu instid0(SALU_CYCLE_1)
	s_xor_b32 s62, exec_lo, s7
	s_cbranch_execz .LBB219_473
; %bb.325:                              ;   in Loop: Header=BB219_12 Depth=1
	v_cmp_eq_u64_e32 vcc_lo, 1, v[2:3]
	s_cmp_eq_u64 s[14:15], 1
                                        ; implicit-def: $sgpr16
                                        ; implicit-def: $sgpr17
                                        ; implicit-def: $sgpr63
	s_cselect_b32 s7, -1, 0
	s_delay_alu instid0(SALU_CYCLE_1)
	s_and_b32 s65, s7, vcc_lo
	s_mov_b32 s7, -1
	s_and_saveexec_b32 s64, s65
	s_cbranch_execz .LBB219_359
; %bb.326:                              ;   in Loop: Header=BB219_12 Depth=1
	ds_load_b64 v[4:5], v13 offset:5120
	s_waitcnt lgkmcnt(0)
	s_barrier
	buffer_gl0_inv
	v_readfirstlane_b32 s8, v4
	v_readfirstlane_b32 s9, v5
	s_and_saveexec_b32 s7, s6
	s_cbranch_execz .LBB219_328
; %bb.327:                              ;   in Loop: Header=BB219_12 Depth=1
	ds_store_b16 v26, v13
.LBB219_328:                            ;   in Loop: Header=BB219_12 Depth=1
	s_or_b32 exec_lo, exec_lo, s7
	s_lshl_b32 s7, 2, s22
	v_or_b32_e32 v30, s20, v30
	v_and_or_b32 v31, v31, s21, s7
	s_cmp_eq_u64 s[8:9], 0
	s_waitcnt lgkmcnt(0)
	s_barrier
	buffer_gl0_inv
	s_cbranch_scc1 .LBB219_342
; %bb.329:                              ;   in Loop: Header=BB219_12 Depth=1
	s_add_u32 s26, s74, s8
	s_addc_u32 s17, s75, s9
	s_mov_b32 s16, s59
	s_delay_alu instid0(SALU_CYCLE_1)
	s_cmp_lg_u64 s[16:17], 0
	s_cbranch_scc0 .LBB219_386
; %bb.330:                              ;   in Loop: Header=BB219_12 Depth=1
	v_cvt_f32_u32_e32 v4, s49
	s_sub_u32 s63, 0, s49
	s_subb_u32 s66, 0, 0
	s_delay_alu instid0(VALU_DEP_1) | instskip(NEXT) | instid1(VALU_DEP_1)
	v_fmac_f32_e64 v4, 0, 0x4f800000
	v_rcp_f32_e32 v4, v4
	s_waitcnt_depctr 0xfff
	v_mul_f32_e32 v4, 0x5f7ffffc, v4
	s_delay_alu instid0(VALU_DEP_1) | instskip(NEXT) | instid1(VALU_DEP_1)
	v_mul_f32_e32 v5, 0x2f800000, v4
	v_trunc_f32_e32 v5, v5
	s_delay_alu instid0(VALU_DEP_1) | instskip(SKIP_1) | instid1(VALU_DEP_2)
	v_fmac_f32_e32 v4, 0xcf800000, v5
	v_cvt_u32_f32_e32 v5, v5
	v_cvt_u32_f32_e32 v4, v4
	s_delay_alu instid0(VALU_DEP_2) | instskip(NEXT) | instid1(VALU_DEP_2)
	v_readfirstlane_b32 s7, v5
	v_readfirstlane_b32 s16, v4
	s_delay_alu instid0(VALU_DEP_2) | instskip(NEXT) | instid1(VALU_DEP_1)
	s_mul_i32 s67, s63, s7
	s_mul_hi_u32 s69, s63, s16
	s_mul_i32 s68, s66, s16
	s_add_i32 s67, s69, s67
	s_mul_i32 s70, s63, s16
	s_add_i32 s67, s67, s68
	s_mul_hi_u32 s69, s16, s70
	s_mul_hi_u32 s71, s7, s70
	s_mul_i32 s68, s7, s70
	s_mul_hi_u32 s70, s16, s67
	s_mul_i32 s16, s16, s67
	s_mul_hi_u32 s97, s7, s67
	s_add_u32 s16, s69, s16
	s_addc_u32 s69, 0, s70
	s_add_u32 s16, s16, s68
	s_mul_i32 s67, s7, s67
	s_addc_u32 s16, s69, s71
	s_addc_u32 s68, s97, 0
	s_add_u32 s16, s16, s67
	s_addc_u32 s67, 0, s68
	v_add_co_u32 v4, s16, v4, s16
	s_delay_alu instid0(VALU_DEP_1) | instskip(SKIP_1) | instid1(VALU_DEP_1)
	s_cmp_lg_u32 s16, 0
	s_addc_u32 s7, s7, s67
	v_readfirstlane_b32 s16, v4
	s_mul_i32 s67, s63, s7
	s_delay_alu instid0(VALU_DEP_1)
	s_mul_hi_u32 s68, s63, s16
	s_mul_i32 s66, s66, s16
	s_add_i32 s67, s68, s67
	s_mul_i32 s63, s63, s16
	s_add_i32 s67, s67, s66
	s_mul_hi_u32 s68, s7, s63
	s_mul_i32 s69, s7, s63
	s_mul_hi_u32 s63, s16, s63
	s_mul_hi_u32 s70, s16, s67
	s_mul_i32 s16, s16, s67
	s_mul_hi_u32 s66, s7, s67
	s_add_u32 s16, s63, s16
	s_addc_u32 s63, 0, s70
	s_add_u32 s16, s16, s69
	s_mul_i32 s67, s7, s67
	s_addc_u32 s16, s63, s68
	s_addc_u32 s63, s66, 0
	s_add_u32 s16, s16, s67
	s_addc_u32 s63, 0, s63
	v_add_co_u32 v4, s16, v4, s16
	s_delay_alu instid0(VALU_DEP_1) | instskip(SKIP_1) | instid1(VALU_DEP_1)
	s_cmp_lg_u32 s16, 0
	s_addc_u32 s7, s7, s63
	v_readfirstlane_b32 s16, v4
	s_mul_i32 s66, s26, s7
	s_mul_hi_u32 s63, s26, s7
	s_mul_hi_u32 s67, s17, s7
	s_mul_i32 s7, s17, s7
	s_mul_hi_u32 s68, s26, s16
	s_mul_hi_u32 s69, s17, s16
	s_mul_i32 s16, s17, s16
	s_add_u32 s66, s68, s66
	s_addc_u32 s63, 0, s63
	s_add_u32 s16, s66, s16
	s_addc_u32 s16, s63, s69
	s_addc_u32 s63, s67, 0
	s_add_u32 s7, s16, s7
	s_addc_u32 s16, 0, s63
	s_mul_hi_u32 s63, s49, s7
	s_mul_i32 s7, s49, s7
	s_mul_i32 s16, s49, s16
	v_sub_co_u32 v4, s7, s26, s7
	s_add_i32 s63, s63, s16
	s_cmp_lg_u32 s7, 0
	s_delay_alu instid0(VALU_DEP_1) | instskip(SKIP_2) | instid1(VALU_DEP_1)
	v_sub_co_u32 v5, s7, v4, s49
	s_subb_u32 s16, s17, s63
	s_cmp_lg_u32 s7, 0
	v_cmp_le_u32_e32 vcc_lo, s49, v5
	v_sub_co_u32 v6, s7, v5, s49
	s_subb_u32 s63, s16, 0
	s_cmp_lg_u32 s7, 0
	v_cndmask_b32_e64 v7, 0, -1, vcc_lo
	s_subb_u32 s7, s63, 0
	s_cmp_eq_u32 s63, 0
	v_mov_b32_e32 v9, s7
	s_cselect_b32 vcc_lo, -1, 0
	s_cmp_eq_u32 s16, 0
	v_cndmask_b32_e32 v7, -1, v7, vcc_lo
	v_cmp_le_u32_e32 vcc_lo, s49, v4
	s_cselect_b32 s7, -1, 0
	v_cndmask_b32_e64 v8, 0, -1, vcc_lo
	s_delay_alu instid0(VALU_DEP_3) | instskip(NEXT) | instid1(VALU_DEP_2)
	v_cmp_ne_u32_e32 vcc_lo, 0, v7
	v_cndmask_b32_e64 v7, -1, v8, s7
	v_cndmask_b32_e32 v8, s63, v9, vcc_lo
	v_cndmask_b32_e32 v6, v5, v6, vcc_lo
	s_delay_alu instid0(VALU_DEP_3) | instskip(NEXT) | instid1(VALU_DEP_3)
	v_cmp_ne_u32_e32 vcc_lo, 0, v7
	v_cndmask_b32_e32 v5, s16, v8, vcc_lo
	s_delay_alu instid0(VALU_DEP_3)
	v_cndmask_b32_e32 v4, v4, v6, vcc_lo
	s_cbranch_execnz .LBB219_332
.LBB219_331:                            ;   in Loop: Header=BB219_12 Depth=1
	v_cvt_f32_u32_e32 v4, s49
	s_sub_i32 s7, 0, s49
	s_delay_alu instid0(VALU_DEP_1) | instskip(SKIP_2) | instid1(VALU_DEP_1)
	v_rcp_iflag_f32_e32 v4, v4
	s_waitcnt_depctr 0xfff
	v_mul_f32_e32 v4, 0x4f7ffffe, v4
	v_cvt_u32_f32_e32 v4, v4
	s_delay_alu instid0(VALU_DEP_1) | instskip(NEXT) | instid1(VALU_DEP_1)
	v_mul_lo_u32 v5, s7, v4
	v_mul_hi_u32 v5, v4, v5
	s_delay_alu instid0(VALU_DEP_1) | instskip(NEXT) | instid1(VALU_DEP_1)
	v_add_nc_u32_e32 v4, v4, v5
	v_mul_hi_u32 v4, s26, v4
	s_delay_alu instid0(VALU_DEP_1) | instskip(NEXT) | instid1(VALU_DEP_1)
	v_mul_lo_u32 v4, v4, s49
	v_sub_nc_u32_e32 v4, s26, v4
	s_delay_alu instid0(VALU_DEP_1) | instskip(SKIP_1) | instid1(VALU_DEP_2)
	v_subrev_nc_u32_e32 v5, s49, v4
	v_cmp_le_u32_e32 vcc_lo, s49, v4
	v_cndmask_b32_e32 v4, v4, v5, vcc_lo
	s_delay_alu instid0(VALU_DEP_1) | instskip(SKIP_1) | instid1(VALU_DEP_2)
	v_subrev_nc_u32_e32 v5, s49, v4
	v_cmp_le_u32_e32 vcc_lo, s49, v4
	v_cndmask_b32_e32 v12, v4, v5, vcc_lo
	s_delay_alu instid0(VALU_DEP_1)
	v_dual_mov_b32 v4, v12 :: v_dual_mov_b32 v5, v13
.LBB219_332:                            ;   in Loop: Header=BB219_12 Depth=1
	s_delay_alu instid0(VALU_DEP_1) | instskip(NEXT) | instid1(VALU_DEP_2)
	v_sub_co_u32 v4, vcc_lo, s26, v4
	v_sub_co_ci_u32_e32 v5, vcc_lo, s17, v5, vcc_lo
	s_mov_b32 s7, 0
	s_mov_b32 s16, exec_lo
                                        ; implicit-def: $vgpr32
	s_delay_alu instid0(VALU_DEP_1)
	v_cmpx_gt_u64_e64 v[4:5], v[0:1]
	s_cbranch_execz .LBB219_344
; %bb.333:                              ;   in Loop: Header=BB219_12 Depth=1
	v_mov_b32_e32 v8, v25
	v_dual_mov_b32 v7, v1 :: v_dual_mov_b32 v6, v0
	s_mov_b32 s17, 0
                                        ; implicit-def: $sgpr26
	s_branch .LBB219_335
.LBB219_334:                            ;   in Loop: Header=BB219_335 Depth=2
	s_or_b32 exec_lo, exec_lo, s7
	s_waitcnt lgkmcnt(0)
	s_barrier
	buffer_gl0_inv
	ds_load_b32 v9, v13 offset:3072
	v_add_co_u32 v6, vcc_lo, v6, s49
	v_add_co_ci_u32_e32 v7, vcc_lo, 0, v7, vcc_lo
	v_add_nc_u32_e32 v8, s82, v8
	s_waitcnt lgkmcnt(0)
	s_barrier
	s_delay_alu instid0(VALU_DEP_2) | instskip(SKIP_2) | instid1(VALU_DEP_1)
	v_cmp_ge_u64_e32 vcc_lo, v[6:7], v[4:5]
	buffer_gl0_inv
	v_and_b32_e32 v12, 0x7fff, v9
	v_cmp_ne_u16_e64 s7, 0, v12
	s_delay_alu instid0(VALU_DEP_1) | instskip(NEXT) | instid1(SALU_CYCLE_1)
	s_or_b32 s63, vcc_lo, s7
	s_and_b32 s63, exec_lo, s63
	s_delay_alu instid0(SALU_CYCLE_1) | instskip(SKIP_2) | instid1(SALU_CYCLE_1)
	s_or_b32 s17, s63, s17
	s_and_not1_b32 s26, s26, exec_lo
	s_and_b32 s7, s7, exec_lo
	s_or_b32 s26, s26, s7
	s_and_not1_b32 exec_lo, exec_lo, s17
	s_cbranch_execz .LBB219_343
.LBB219_335:                            ;   Parent Loop BB219_12 Depth=1
                                        ; =>  This Inner Loop Header: Depth=2
	s_delay_alu instid0(VALU_DEP_1)
	v_cmp_gt_u64_e32 vcc_lo, s[8:9], v[6:7]
	v_mov_b32_e32 v9, 0
	s_and_saveexec_b32 s7, vcc_lo
	s_cbranch_execz .LBB219_337
; %bb.336:                              ;   in Loop: Header=BB219_335 Depth=2
	ds_load_u16 v9, v8
.LBB219_337:                            ;   in Loop: Header=BB219_335 Depth=2
	s_or_b32 exec_lo, exec_lo, s7
	s_and_saveexec_b32 s7, vcc_lo
	s_cbranch_execz .LBB219_334
; %bb.338:                              ;   in Loop: Header=BB219_335 Depth=2
	s_waitcnt lgkmcnt(0)
	v_cmp_lt_i16_e32 vcc_lo, -1, v9
	v_and_b32_e32 v12, 0xffff, v9
	v_cndmask_b32_e32 v16, 0xffff, v29, vcc_lo
	s_delay_alu instid0(VALU_DEP_1) | instskip(SKIP_1) | instid1(VALU_DEP_1)
	v_xor_b32_e32 v12, v16, v12
	v_lshlrev_b32_e32 v17, 16, v9
	v_cmp_o_f32_e32 vcc_lo, v17, v17
	s_delay_alu instid0(VALU_DEP_3) | instskip(NEXT) | instid1(VALU_DEP_1)
	v_cndmask_b32_e32 v12, 0xffff, v12, vcc_lo
	v_and_b32_e32 v12, v12, v30
	s_delay_alu instid0(VALU_DEP_1)
	v_cmp_eq_u32_e32 vcc_lo, v12, v31
	s_and_b32 exec_lo, exec_lo, vcc_lo
	s_cbranch_execz .LBB219_334
; %bb.339:                              ;   in Loop: Header=BB219_335 Depth=2
	v_perm_b32 v9, v9, s85, 0x5040100
	ds_store_b32 v13, v9 offset:3072
	s_branch .LBB219_334
.LBB219_340:                            ;   in Loop: Header=BB219_12 Depth=1
                                        ; implicit-def: $vgpr2_vgpr3
	s_branch .LBB219_287
.LBB219_341:                            ;   in Loop: Header=BB219_12 Depth=1
                                        ; implicit-def: $vgpr2_vgpr3
	s_branch .LBB219_301
.LBB219_342:                            ;   in Loop: Header=BB219_12 Depth=1
	s_mov_b32 s16, -1
	s_mov_b32 s7, 0
                                        ; implicit-def: $sgpr17
                                        ; implicit-def: $vgpr32
	s_mov_b32 s63, s16
	s_cbranch_execnz .LBB219_345
	s_branch .LBB219_358
.LBB219_343:                            ;   in Loop: Header=BB219_12 Depth=1
	s_or_b32 exec_lo, exec_lo, s17
	v_lshrrev_b32_e32 v32, 16, v9
	s_and_b32 s7, s26, exec_lo
.LBB219_344:                            ;   in Loop: Header=BB219_12 Depth=1
	s_or_b32 exec_lo, exec_lo, s16
	s_mov_b32 s16, 0
	s_mov_b32 s17, -1
	s_mov_b32 s63, s16
	s_branch .LBB219_358
.LBB219_345:                            ;   in Loop: Header=BB219_12 Depth=1
	s_mov_b32 s26, s59
	s_delay_alu instid0(SALU_CYCLE_1)
	s_cmp_lg_u64 s[26:27], 0
	s_cbranch_scc0 .LBB219_387
; %bb.346:                              ;   in Loop: Header=BB219_12 Depth=1
	v_cvt_f32_u32_e32 v4, s49
	s_sub_u32 s9, 0, s49
	s_subb_u32 s16, 0, 0
	s_delay_alu instid0(VALU_DEP_1) | instskip(NEXT) | instid1(VALU_DEP_1)
	v_fmac_f32_e64 v4, 0, 0x4f800000
	v_rcp_f32_e32 v4, v4
	s_waitcnt_depctr 0xfff
	v_mul_f32_e32 v4, 0x5f7ffffc, v4
	s_delay_alu instid0(VALU_DEP_1) | instskip(NEXT) | instid1(VALU_DEP_1)
	v_mul_f32_e32 v5, 0x2f800000, v4
	v_trunc_f32_e32 v5, v5
	s_delay_alu instid0(VALU_DEP_1) | instskip(SKIP_1) | instid1(VALU_DEP_2)
	v_fmac_f32_e32 v4, 0xcf800000, v5
	v_cvt_u32_f32_e32 v5, v5
	v_cvt_u32_f32_e32 v4, v4
	s_delay_alu instid0(VALU_DEP_2) | instskip(NEXT) | instid1(VALU_DEP_2)
	v_readfirstlane_b32 s7, v5
	v_readfirstlane_b32 s8, v4
	s_delay_alu instid0(VALU_DEP_2) | instskip(NEXT) | instid1(VALU_DEP_1)
	s_mul_i32 s17, s9, s7
	s_mul_hi_u32 s63, s9, s8
	s_mul_i32 s26, s16, s8
	s_add_i32 s17, s63, s17
	s_mul_i32 s66, s9, s8
	s_add_i32 s17, s17, s26
	s_mul_hi_u32 s63, s8, s66
	s_mul_hi_u32 s67, s7, s66
	s_mul_i32 s26, s7, s66
	s_mul_hi_u32 s66, s8, s17
	s_mul_i32 s8, s8, s17
	s_mul_hi_u32 s68, s7, s17
	s_add_u32 s8, s63, s8
	s_addc_u32 s63, 0, s66
	s_add_u32 s8, s8, s26
	s_mul_i32 s17, s7, s17
	s_addc_u32 s8, s63, s67
	s_addc_u32 s26, s68, 0
	s_add_u32 s8, s8, s17
	s_addc_u32 s17, 0, s26
	v_add_co_u32 v4, s8, v4, s8
	s_delay_alu instid0(VALU_DEP_1) | instskip(SKIP_1) | instid1(VALU_DEP_1)
	s_cmp_lg_u32 s8, 0
	s_addc_u32 s7, s7, s17
	v_readfirstlane_b32 s8, v4
	s_mul_i32 s17, s9, s7
	s_delay_alu instid0(VALU_DEP_1)
	s_mul_hi_u32 s26, s9, s8
	s_mul_i32 s16, s16, s8
	s_add_i32 s17, s26, s17
	s_mul_i32 s9, s9, s8
	s_add_i32 s17, s17, s16
	s_mul_hi_u32 s26, s7, s9
	s_mul_i32 s63, s7, s9
	s_mul_hi_u32 s9, s8, s9
	s_mul_hi_u32 s66, s8, s17
	s_mul_i32 s8, s8, s17
	s_mul_hi_u32 s16, s7, s17
	s_add_u32 s8, s9, s8
	s_addc_u32 s9, 0, s66
	s_add_u32 s8, s8, s63
	s_mul_i32 s17, s7, s17
	s_addc_u32 s8, s9, s26
	s_addc_u32 s9, s16, 0
	s_add_u32 s8, s8, s17
	s_addc_u32 s9, 0, s9
	v_add_co_u32 v4, s8, v4, s8
	s_delay_alu instid0(VALU_DEP_1) | instskip(SKIP_1) | instid1(VALU_DEP_1)
	s_cmp_lg_u32 s8, 0
	s_addc_u32 s7, s7, s9
	v_readfirstlane_b32 s8, v4
	s_mul_i32 s16, s76, s7
	s_mul_hi_u32 s9, s76, s7
	s_mul_hi_u32 s17, s27, s7
	s_mul_i32 s7, s27, s7
	s_mul_hi_u32 s26, s76, s8
	s_mul_hi_u32 s63, s27, s8
	s_mul_i32 s8, s27, s8
	s_add_u32 s16, s26, s16
	s_addc_u32 s9, 0, s9
	s_add_u32 s8, s16, s8
	s_addc_u32 s8, s9, s63
	s_addc_u32 s9, s17, 0
	s_add_u32 s7, s8, s7
	s_addc_u32 s8, 0, s9
	s_mul_hi_u32 s9, s49, s7
	s_mul_i32 s7, s49, s7
	s_mul_i32 s8, s49, s8
	v_sub_co_u32 v4, s7, s76, s7
	s_add_i32 s9, s9, s8
	s_cmp_lg_u32 s7, 0
	s_delay_alu instid0(VALU_DEP_1) | instskip(SKIP_2) | instid1(VALU_DEP_1)
	v_sub_co_u32 v5, s7, v4, s49
	s_subb_u32 s8, s27, s9
	s_cmp_lg_u32 s7, 0
	v_cmp_le_u32_e32 vcc_lo, s49, v5
	v_sub_co_u32 v6, s7, v5, s49
	s_subb_u32 s9, s8, 0
	s_cmp_lg_u32 s7, 0
	v_cndmask_b32_e64 v7, 0, -1, vcc_lo
	s_subb_u32 s7, s9, 0
	s_cmp_eq_u32 s9, 0
	v_mov_b32_e32 v9, s7
	s_cselect_b32 vcc_lo, -1, 0
	s_cmp_eq_u32 s8, 0
	v_cndmask_b32_e32 v7, -1, v7, vcc_lo
	v_cmp_le_u32_e32 vcc_lo, s49, v4
	s_cselect_b32 s7, -1, 0
	v_cndmask_b32_e64 v8, 0, -1, vcc_lo
	s_delay_alu instid0(VALU_DEP_3) | instskip(NEXT) | instid1(VALU_DEP_2)
	v_cmp_ne_u32_e32 vcc_lo, 0, v7
	v_cndmask_b32_e64 v7, -1, v8, s7
	v_cndmask_b32_e32 v8, s9, v9, vcc_lo
	v_cndmask_b32_e32 v6, v5, v6, vcc_lo
	s_delay_alu instid0(VALU_DEP_3) | instskip(NEXT) | instid1(VALU_DEP_3)
	v_cmp_ne_u32_e32 vcc_lo, 0, v7
	v_cndmask_b32_e32 v5, s8, v8, vcc_lo
	s_delay_alu instid0(VALU_DEP_3)
	v_cndmask_b32_e32 v4, v4, v6, vcc_lo
	s_cbranch_execnz .LBB219_348
.LBB219_347:                            ;   in Loop: Header=BB219_12 Depth=1
	v_cvt_f32_u32_e32 v4, s49
	s_sub_i32 s7, 0, s49
	s_delay_alu instid0(VALU_DEP_1) | instskip(SKIP_2) | instid1(VALU_DEP_1)
	v_rcp_iflag_f32_e32 v4, v4
	s_waitcnt_depctr 0xfff
	v_mul_f32_e32 v4, 0x4f7ffffe, v4
	v_cvt_u32_f32_e32 v4, v4
	s_delay_alu instid0(VALU_DEP_1) | instskip(NEXT) | instid1(VALU_DEP_1)
	v_mul_lo_u32 v5, s7, v4
	v_mul_hi_u32 v5, v4, v5
	s_delay_alu instid0(VALU_DEP_1) | instskip(NEXT) | instid1(VALU_DEP_1)
	v_add_nc_u32_e32 v4, v4, v5
	v_mul_hi_u32 v4, s76, v4
	s_delay_alu instid0(VALU_DEP_1) | instskip(NEXT) | instid1(VALU_DEP_1)
	v_mul_lo_u32 v4, v4, s49
	v_sub_nc_u32_e32 v4, s76, v4
	s_delay_alu instid0(VALU_DEP_1) | instskip(SKIP_1) | instid1(VALU_DEP_2)
	v_subrev_nc_u32_e32 v5, s49, v4
	v_cmp_le_u32_e32 vcc_lo, s49, v4
	v_cndmask_b32_e32 v4, v4, v5, vcc_lo
	s_delay_alu instid0(VALU_DEP_1) | instskip(SKIP_1) | instid1(VALU_DEP_2)
	v_subrev_nc_u32_e32 v5, s49, v4
	v_cmp_le_u32_e32 vcc_lo, s49, v4
	v_cndmask_b32_e32 v12, v4, v5, vcc_lo
	s_delay_alu instid0(VALU_DEP_1)
	v_dual_mov_b32 v4, v12 :: v_dual_mov_b32 v5, v13
.LBB219_348:                            ;   in Loop: Header=BB219_12 Depth=1
	s_delay_alu instid0(VALU_DEP_1) | instskip(NEXT) | instid1(VALU_DEP_2)
	v_sub_co_u32 v4, vcc_lo, s76, v4
	v_sub_co_ci_u32_e32 v5, vcc_lo, s27, v5, vcc_lo
	s_mov_b32 s7, 0
	s_mov_b32 s8, exec_lo
                                        ; implicit-def: $vgpr32
	s_delay_alu instid0(VALU_DEP_1)
	v_cmpx_gt_u64_e64 v[4:5], v[0:1]
	s_cbranch_execz .LBB219_357
; %bb.349:                              ;   in Loop: Header=BB219_12 Depth=1
	v_dual_mov_b32 v7, v1 :: v_dual_mov_b32 v6, v0
	s_mov_b32 s9, 0
                                        ; implicit-def: $sgpr16
	s_branch .LBB219_351
.LBB219_350:                            ;   in Loop: Header=BB219_351 Depth=2
	s_or_b32 exec_lo, exec_lo, s7
	s_waitcnt vmcnt(0) lgkmcnt(0)
	s_barrier
	buffer_gl0_inv
	ds_load_b32 v8, v13 offset:3072
	v_add_co_u32 v6, vcc_lo, v6, s49
	v_add_co_ci_u32_e32 v7, vcc_lo, 0, v7, vcc_lo
	s_waitcnt lgkmcnt(0)
	s_barrier
	buffer_gl0_inv
	v_cmp_ge_u64_e32 vcc_lo, v[6:7], v[4:5]
	v_and_b32_e32 v9, 0x7fff, v8
	s_delay_alu instid0(VALU_DEP_1) | instskip(NEXT) | instid1(VALU_DEP_1)
	v_cmp_ne_u16_e64 s7, 0, v9
	s_or_b32 s17, vcc_lo, s7
	s_delay_alu instid0(SALU_CYCLE_1) | instskip(NEXT) | instid1(SALU_CYCLE_1)
	s_and_b32 s17, exec_lo, s17
	s_or_b32 s9, s17, s9
	s_and_not1_b32 s16, s16, exec_lo
	s_and_b32 s7, s7, exec_lo
	s_delay_alu instid0(SALU_CYCLE_1)
	s_or_b32 s16, s16, s7
	s_and_not1_b32 exec_lo, exec_lo, s9
	s_cbranch_execz .LBB219_356
.LBB219_351:                            ;   Parent Loop BB219_12 Depth=1
                                        ; =>  This Inner Loop Header: Depth=2
	s_delay_alu instid0(VALU_DEP_1)
	v_cmp_gt_u64_e32 vcc_lo, s[36:37], v[6:7]
	v_mov_b32_e32 v8, 0
	s_and_saveexec_b32 s17, vcc_lo
	s_cbranch_execz .LBB219_353
; %bb.352:                              ;   in Loop: Header=BB219_351 Depth=2
	v_mul_lo_u32 v12, v7, s30
	v_mul_lo_u32 v16, v6, s31
	v_mad_u64_u32 v[8:9], null, v6, s30, 0
	s_delay_alu instid0(VALU_DEP_1) | instskip(NEXT) | instid1(VALU_DEP_1)
	v_add3_u32 v9, v9, v16, v12
	v_lshlrev_b64 v[8:9], 1, v[8:9]
	s_delay_alu instid0(VALU_DEP_1) | instskip(NEXT) | instid1(VALU_DEP_1)
	v_add_co_u32 v8, s7, s33, v8
	v_add_co_ci_u32_e64 v9, s7, s35, v9, s7
	global_load_u16 v8, v[8:9], off
.LBB219_353:                            ;   in Loop: Header=BB219_351 Depth=2
	s_or_b32 exec_lo, exec_lo, s17
	s_and_saveexec_b32 s7, vcc_lo
	s_cbranch_execz .LBB219_350
; %bb.354:                              ;   in Loop: Header=BB219_351 Depth=2
	s_waitcnt vmcnt(0)
	v_cmp_lt_i16_e32 vcc_lo, -1, v8
	v_dual_cndmask_b32 v12, 0xffff, v29 :: v_dual_and_b32 v9, 0xffff, v8
	s_delay_alu instid0(VALU_DEP_1) | instskip(SKIP_1) | instid1(VALU_DEP_1)
	v_xor_b32_e32 v9, v12, v9
	v_lshlrev_b32_e32 v16, 16, v8
	v_cmp_o_f32_e32 vcc_lo, v16, v16
	s_delay_alu instid0(VALU_DEP_3) | instskip(NEXT) | instid1(VALU_DEP_1)
	v_cndmask_b32_e32 v9, 0xffff, v9, vcc_lo
	v_and_b32_e32 v9, v9, v30
	s_delay_alu instid0(VALU_DEP_1)
	v_cmp_eq_u32_e32 vcc_lo, v9, v31
	s_and_b32 exec_lo, exec_lo, vcc_lo
	s_cbranch_execz .LBB219_350
; %bb.355:                              ;   in Loop: Header=BB219_351 Depth=2
	v_perm_b32 v8, v8, s85, 0x5040100
	ds_store_b32 v13, v8 offset:3072
	s_branch .LBB219_350
.LBB219_356:                            ;   in Loop: Header=BB219_12 Depth=1
	s_or_b32 exec_lo, exec_lo, s9
	v_lshrrev_b32_e32 v32, 16, v8
	s_and_b32 s7, s16, exec_lo
.LBB219_357:                            ;   in Loop: Header=BB219_12 Depth=1
	s_or_b32 exec_lo, exec_lo, s8
	s_mov_b32 s17, 0
	s_mov_b32 s16, -1
	s_mov_b32 s63, 0
.LBB219_358:                            ;   in Loop: Header=BB219_12 Depth=1
	s_or_not1_b32 s7, s7, exec_lo
.LBB219_359:                            ;   in Loop: Header=BB219_12 Depth=1
	s_or_b32 exec_lo, exec_lo, s64
	s_mov_b32 s26, 0
                                        ; implicit-def: $vgpr7
	s_and_saveexec_b32 s64, s7
	s_cbranch_execz .LBB219_472
; %bb.360:                              ;   in Loop: Header=BB219_12 Depth=1
	v_dual_mov_b32 v4, 1 :: v_dual_mov_b32 v7, 1
	v_mov_b32_e32 v5, 0
	s_xor_b32 s8, s65, -1
	s_delay_alu instid0(SALU_CYCLE_1)
	s_and_saveexec_b32 s7, s8
	s_cbranch_execz .LBB219_370
; %bb.361:                              ;   in Loop: Header=BB219_12 Depth=1
	s_mov_b32 s9, exec_lo
                                        ; implicit-def: $sgpr26
                                        ; implicit-def: $sgpr8
	v_cmpx_ge_u64_e64 s[14:15], v[2:3]
	s_xor_b32 s9, exec_lo, s9
	s_cbranch_execz .LBB219_367
; %bb.362:                              ;   in Loop: Header=BB219_12 Depth=1
	ds_load_b64 v[4:5], v13 offset:5120
	s_waitcnt lgkmcnt(0)
	v_cmp_ne_u64_e32 vcc_lo, 0, v[4:5]
	s_cbranch_vccnz .LBB219_366
; %bb.363:                              ;   in Loop: Header=BB219_12 Depth=1
	s_and_saveexec_b32 s8, s5
	s_cbranch_execz .LBB219_365
; %bb.364:                              ;   in Loop: Header=BB219_12 Depth=1
	v_dual_mov_b32 v4, s14 :: v_dual_mov_b32 v5, s15
	ds_store_b64 v13, v[4:5] offset:5128
.LBB219_365:                            ;   in Loop: Header=BB219_12 Depth=1
	s_or_b32 exec_lo, exec_lo, s8
	s_waitcnt lgkmcnt(0)
	s_barrier
	buffer_gl0_inv
.LBB219_366:                            ;   in Loop: Header=BB219_12 Depth=1
	s_lshl_b32 s8, 2, s22
	v_or_b32_e32 v30, s20, v30
	v_and_or_b32 v31, v31, s21, s8
	s_mov_b32 s8, 0
	s_mov_b32 s26, 5
.LBB219_367:                            ;   in Loop: Header=BB219_12 Depth=1
	s_or_saveexec_b32 s9, s9
	v_mov_b32_e32 v7, s26
	s_xor_b32 exec_lo, exec_lo, s9
; %bb.368:                              ;   in Loop: Header=BB219_12 Depth=1
	v_sub_co_u32 v2, vcc_lo, v2, s14
	v_subrev_co_ci_u32_e32 v3, vcc_lo, s15, v3, vcc_lo
	v_mov_b32_e32 v7, 0
	s_or_b32 s8, s8, exec_lo
; %bb.369:                              ;   in Loop: Header=BB219_12 Depth=1
	s_or_b32 exec_lo, exec_lo, s9
	s_delay_alu instid0(VALU_DEP_2)
	v_dual_mov_b32 v5, v3 :: v_dual_mov_b32 v4, v2
	s_and_b32 s26, s8, exec_lo
.LBB219_370:                            ;   in Loop: Header=BB219_12 Depth=1
	s_or_b32 exec_lo, exec_lo, s7
	s_mov_b32 s7, -1
                                        ; implicit-def: $sgpr8
                                        ; implicit-def: $sgpr9
                                        ; implicit-def: $sgpr14
	s_and_saveexec_b32 s65, s26
	s_cbranch_execz .LBB219_471
; %bb.371:                              ;   in Loop: Header=BB219_12 Depth=1
	v_cmp_eq_u64_e32 vcc_lo, 1, v[4:5]
	s_cmp_eq_u64 s[12:13], 1
                                        ; implicit-def: $sgpr14
                                        ; implicit-def: $sgpr15
                                        ; implicit-def: $sgpr66
	s_cselect_b32 s7, -1, 0
	s_delay_alu instid0(SALU_CYCLE_1)
	s_and_b32 s68, s7, vcc_lo
	s_mov_b32 s7, -1
	s_and_saveexec_b32 s67, s68
	s_cbranch_execz .LBB219_405
; %bb.372:                              ;   in Loop: Header=BB219_12 Depth=1
	ds_load_b64 v[2:3], v13 offset:5120
	s_waitcnt lgkmcnt(0)
	s_barrier
	buffer_gl0_inv
	v_readfirstlane_b32 s8, v2
	v_readfirstlane_b32 s9, v3
	s_and_saveexec_b32 s7, s6
	s_cbranch_execz .LBB219_374
; %bb.373:                              ;   in Loop: Header=BB219_12 Depth=1
	ds_store_b16 v26, v13
.LBB219_374:                            ;   in Loop: Header=BB219_12 Depth=1
	s_or_b32 exec_lo, exec_lo, s7
	s_lshl_b32 s7, 1, s22
	v_or_b32_e32 v30, s20, v30
	v_and_or_b32 v31, v31, s21, s7
	s_cmp_eq_u64 s[8:9], 0
	s_waitcnt lgkmcnt(0)
	s_barrier
	buffer_gl0_inv
	s_cbranch_scc1 .LBB219_388
; %bb.375:                              ;   in Loop: Header=BB219_12 Depth=1
	s_add_u32 s26, s74, s8
	s_addc_u32 s15, s75, s9
	s_mov_b32 s14, s59
	s_delay_alu instid0(SALU_CYCLE_1)
	s_cmp_lg_u64 s[14:15], 0
	s_cbranch_scc0 .LBB219_423
; %bb.376:                              ;   in Loop: Header=BB219_12 Depth=1
	v_cvt_f32_u32_e32 v2, s49
	s_sub_u32 s66, 0, s49
	s_subb_u32 s69, 0, 0
	s_delay_alu instid0(VALU_DEP_1) | instskip(NEXT) | instid1(VALU_DEP_1)
	v_fmac_f32_e64 v2, 0, 0x4f800000
	v_rcp_f32_e32 v2, v2
	s_waitcnt_depctr 0xfff
	v_mul_f32_e32 v2, 0x5f7ffffc, v2
	s_delay_alu instid0(VALU_DEP_1) | instskip(NEXT) | instid1(VALU_DEP_1)
	v_mul_f32_e32 v3, 0x2f800000, v2
	v_trunc_f32_e32 v3, v3
	s_delay_alu instid0(VALU_DEP_1) | instskip(SKIP_1) | instid1(VALU_DEP_2)
	v_fmac_f32_e32 v2, 0xcf800000, v3
	v_cvt_u32_f32_e32 v3, v3
	v_cvt_u32_f32_e32 v2, v2
	s_delay_alu instid0(VALU_DEP_2) | instskip(NEXT) | instid1(VALU_DEP_2)
	v_readfirstlane_b32 s7, v3
	v_readfirstlane_b32 s14, v2
	s_delay_alu instid0(VALU_DEP_2) | instskip(NEXT) | instid1(VALU_DEP_1)
	s_mul_i32 s70, s66, s7
	s_mul_hi_u32 s97, s66, s14
	s_mul_i32 s71, s69, s14
	s_add_i32 s70, s97, s70
	s_mul_i32 s98, s66, s14
	s_add_i32 s70, s70, s71
	s_mul_hi_u32 s97, s14, s98
	s_mul_hi_u32 s99, s7, s98
	s_mul_i32 s71, s7, s98
	s_mul_hi_u32 s98, s14, s70
	s_mul_i32 s14, s14, s70
	s_mul_hi_u32 s100, s7, s70
	s_add_u32 s14, s97, s14
	s_addc_u32 s97, 0, s98
	s_add_u32 s14, s14, s71
	s_mul_i32 s70, s7, s70
	s_addc_u32 s14, s97, s99
	s_addc_u32 s71, s100, 0
	s_add_u32 s14, s14, s70
	s_addc_u32 s70, 0, s71
	v_add_co_u32 v2, s14, v2, s14
	s_delay_alu instid0(VALU_DEP_1) | instskip(SKIP_1) | instid1(VALU_DEP_1)
	s_cmp_lg_u32 s14, 0
	s_addc_u32 s7, s7, s70
	v_readfirstlane_b32 s14, v2
	s_mul_i32 s70, s66, s7
	s_delay_alu instid0(VALU_DEP_1)
	s_mul_hi_u32 s71, s66, s14
	s_mul_i32 s69, s69, s14
	s_add_i32 s70, s71, s70
	s_mul_i32 s66, s66, s14
	s_add_i32 s70, s70, s69
	s_mul_hi_u32 s71, s7, s66
	s_mul_i32 s97, s7, s66
	s_mul_hi_u32 s66, s14, s66
	s_mul_hi_u32 s98, s14, s70
	s_mul_i32 s14, s14, s70
	s_mul_hi_u32 s69, s7, s70
	s_add_u32 s14, s66, s14
	s_addc_u32 s66, 0, s98
	s_add_u32 s14, s14, s97
	s_mul_i32 s70, s7, s70
	s_addc_u32 s14, s66, s71
	s_addc_u32 s66, s69, 0
	s_add_u32 s14, s14, s70
	s_addc_u32 s66, 0, s66
	v_add_co_u32 v2, s14, v2, s14
	s_delay_alu instid0(VALU_DEP_1) | instskip(SKIP_1) | instid1(VALU_DEP_1)
	s_cmp_lg_u32 s14, 0
	s_addc_u32 s7, s7, s66
	v_readfirstlane_b32 s14, v2
	s_mul_i32 s69, s26, s7
	s_mul_hi_u32 s66, s26, s7
	s_mul_hi_u32 s70, s15, s7
	s_mul_i32 s7, s15, s7
	s_mul_hi_u32 s71, s26, s14
	s_mul_hi_u32 s97, s15, s14
	s_mul_i32 s14, s15, s14
	s_add_u32 s69, s71, s69
	s_addc_u32 s66, 0, s66
	s_add_u32 s14, s69, s14
	s_addc_u32 s14, s66, s97
	s_addc_u32 s66, s70, 0
	s_add_u32 s7, s14, s7
	s_addc_u32 s14, 0, s66
	s_mul_hi_u32 s66, s49, s7
	s_mul_i32 s7, s49, s7
	s_mul_i32 s14, s49, s14
	v_sub_co_u32 v2, s7, s26, s7
	s_add_i32 s66, s66, s14
	s_cmp_lg_u32 s7, 0
	s_delay_alu instid0(VALU_DEP_1) | instskip(SKIP_2) | instid1(VALU_DEP_1)
	v_sub_co_u32 v3, s7, v2, s49
	s_subb_u32 s14, s15, s66
	s_cmp_lg_u32 s7, 0
	v_cmp_le_u32_e32 vcc_lo, s49, v3
	v_sub_co_u32 v6, s7, v3, s49
	s_subb_u32 s66, s14, 0
	s_cmp_lg_u32 s7, 0
	v_cndmask_b32_e64 v7, 0, -1, vcc_lo
	s_subb_u32 s7, s66, 0
	s_cmp_eq_u32 s66, 0
	v_mov_b32_e32 v9, s7
	s_cselect_b32 vcc_lo, -1, 0
	s_cmp_eq_u32 s14, 0
	v_cndmask_b32_e32 v7, -1, v7, vcc_lo
	v_cmp_le_u32_e32 vcc_lo, s49, v2
	s_cselect_b32 s7, -1, 0
	v_cndmask_b32_e64 v8, 0, -1, vcc_lo
	s_delay_alu instid0(VALU_DEP_3) | instskip(NEXT) | instid1(VALU_DEP_2)
	v_cmp_ne_u32_e32 vcc_lo, 0, v7
	v_cndmask_b32_e64 v7, -1, v8, s7
	v_cndmask_b32_e32 v8, s66, v9, vcc_lo
	v_cndmask_b32_e32 v6, v3, v6, vcc_lo
	s_delay_alu instid0(VALU_DEP_3) | instskip(NEXT) | instid1(VALU_DEP_3)
	v_cmp_ne_u32_e32 vcc_lo, 0, v7
	v_cndmask_b32_e32 v3, s14, v8, vcc_lo
	s_delay_alu instid0(VALU_DEP_3)
	v_cndmask_b32_e32 v2, v2, v6, vcc_lo
	s_cbranch_execnz .LBB219_378
.LBB219_377:                            ;   in Loop: Header=BB219_12 Depth=1
	v_cvt_f32_u32_e32 v2, s49
	s_sub_i32 s7, 0, s49
	s_delay_alu instid0(VALU_DEP_1) | instskip(SKIP_2) | instid1(VALU_DEP_1)
	v_rcp_iflag_f32_e32 v2, v2
	s_waitcnt_depctr 0xfff
	v_mul_f32_e32 v2, 0x4f7ffffe, v2
	v_cvt_u32_f32_e32 v2, v2
	s_delay_alu instid0(VALU_DEP_1) | instskip(NEXT) | instid1(VALU_DEP_1)
	v_mul_lo_u32 v3, s7, v2
	v_mul_hi_u32 v3, v2, v3
	s_delay_alu instid0(VALU_DEP_1) | instskip(NEXT) | instid1(VALU_DEP_1)
	v_add_nc_u32_e32 v2, v2, v3
	v_mul_hi_u32 v2, s26, v2
	s_delay_alu instid0(VALU_DEP_1) | instskip(NEXT) | instid1(VALU_DEP_1)
	v_mul_lo_u32 v2, v2, s49
	v_sub_nc_u32_e32 v2, s26, v2
	s_delay_alu instid0(VALU_DEP_1) | instskip(SKIP_1) | instid1(VALU_DEP_2)
	v_subrev_nc_u32_e32 v3, s49, v2
	v_cmp_le_u32_e32 vcc_lo, s49, v2
	v_cndmask_b32_e32 v2, v2, v3, vcc_lo
	s_delay_alu instid0(VALU_DEP_1) | instskip(SKIP_1) | instid1(VALU_DEP_2)
	v_subrev_nc_u32_e32 v3, s49, v2
	v_cmp_le_u32_e32 vcc_lo, s49, v2
	v_cndmask_b32_e32 v12, v2, v3, vcc_lo
	s_delay_alu instid0(VALU_DEP_1)
	v_dual_mov_b32 v2, v12 :: v_dual_mov_b32 v3, v13
.LBB219_378:                            ;   in Loop: Header=BB219_12 Depth=1
	s_delay_alu instid0(VALU_DEP_1) | instskip(NEXT) | instid1(VALU_DEP_2)
	v_sub_co_u32 v2, vcc_lo, s26, v2
	v_sub_co_ci_u32_e32 v3, vcc_lo, s15, v3, vcc_lo
	s_mov_b32 s7, 0
	s_mov_b32 s14, exec_lo
                                        ; implicit-def: $vgpr32
	s_delay_alu instid0(VALU_DEP_1)
	v_cmpx_gt_u64_e64 v[2:3], v[0:1]
	s_cbranch_execz .LBB219_390
; %bb.379:                              ;   in Loop: Header=BB219_12 Depth=1
	v_mov_b32_e32 v8, v25
	v_dual_mov_b32 v7, v1 :: v_dual_mov_b32 v6, v0
	s_mov_b32 s15, 0
                                        ; implicit-def: $sgpr26
	s_branch .LBB219_381
.LBB219_380:                            ;   in Loop: Header=BB219_381 Depth=2
	s_or_b32 exec_lo, exec_lo, s7
	s_waitcnt lgkmcnt(0)
	s_barrier
	buffer_gl0_inv
	ds_load_b32 v9, v13 offset:3072
	v_add_co_u32 v6, vcc_lo, v6, s49
	v_add_co_ci_u32_e32 v7, vcc_lo, 0, v7, vcc_lo
	v_add_nc_u32_e32 v8, s82, v8
	s_waitcnt lgkmcnt(0)
	s_barrier
	s_delay_alu instid0(VALU_DEP_2) | instskip(SKIP_2) | instid1(VALU_DEP_1)
	v_cmp_ge_u64_e32 vcc_lo, v[6:7], v[2:3]
	buffer_gl0_inv
	v_and_b32_e32 v12, 0x7fff, v9
	v_cmp_ne_u16_e64 s7, 0, v12
	s_delay_alu instid0(VALU_DEP_1) | instskip(NEXT) | instid1(SALU_CYCLE_1)
	s_or_b32 s66, vcc_lo, s7
	s_and_b32 s66, exec_lo, s66
	s_delay_alu instid0(SALU_CYCLE_1) | instskip(SKIP_2) | instid1(SALU_CYCLE_1)
	s_or_b32 s15, s66, s15
	s_and_not1_b32 s26, s26, exec_lo
	s_and_b32 s7, s7, exec_lo
	s_or_b32 s26, s26, s7
	s_and_not1_b32 exec_lo, exec_lo, s15
	s_cbranch_execz .LBB219_389
.LBB219_381:                            ;   Parent Loop BB219_12 Depth=1
                                        ; =>  This Inner Loop Header: Depth=2
	s_delay_alu instid0(VALU_DEP_1)
	v_cmp_gt_u64_e32 vcc_lo, s[8:9], v[6:7]
	v_mov_b32_e32 v9, 0
	s_and_saveexec_b32 s7, vcc_lo
	s_cbranch_execz .LBB219_383
; %bb.382:                              ;   in Loop: Header=BB219_381 Depth=2
	ds_load_u16 v9, v8
.LBB219_383:                            ;   in Loop: Header=BB219_381 Depth=2
	s_or_b32 exec_lo, exec_lo, s7
	s_and_saveexec_b32 s7, vcc_lo
	s_cbranch_execz .LBB219_380
; %bb.384:                              ;   in Loop: Header=BB219_381 Depth=2
	s_waitcnt lgkmcnt(0)
	v_cmp_lt_i16_e32 vcc_lo, -1, v9
	v_and_b32_e32 v12, 0xffff, v9
	v_cndmask_b32_e32 v16, 0xffff, v29, vcc_lo
	s_delay_alu instid0(VALU_DEP_1) | instskip(SKIP_1) | instid1(VALU_DEP_1)
	v_xor_b32_e32 v12, v16, v12
	v_lshlrev_b32_e32 v17, 16, v9
	v_cmp_o_f32_e32 vcc_lo, v17, v17
	s_delay_alu instid0(VALU_DEP_3) | instskip(NEXT) | instid1(VALU_DEP_1)
	v_cndmask_b32_e32 v12, 0xffff, v12, vcc_lo
	v_and_b32_e32 v12, v12, v30
	s_delay_alu instid0(VALU_DEP_1)
	v_cmp_eq_u32_e32 vcc_lo, v12, v31
	s_and_b32 exec_lo, exec_lo, vcc_lo
	s_cbranch_execz .LBB219_380
; %bb.385:                              ;   in Loop: Header=BB219_381 Depth=2
	v_perm_b32 v9, v9, s85, 0x5040100
	ds_store_b32 v13, v9 offset:3072
	s_branch .LBB219_380
.LBB219_386:                            ;   in Loop: Header=BB219_12 Depth=1
                                        ; implicit-def: $vgpr4_vgpr5
	s_branch .LBB219_331
.LBB219_387:                            ;   in Loop: Header=BB219_12 Depth=1
                                        ; implicit-def: $vgpr4_vgpr5
	s_branch .LBB219_347
.LBB219_388:                            ;   in Loop: Header=BB219_12 Depth=1
	s_mov_b32 s14, -1
	s_mov_b32 s7, 0
                                        ; implicit-def: $sgpr15
                                        ; implicit-def: $vgpr32
	s_mov_b32 s66, s14
	s_cbranch_execnz .LBB219_391
	s_branch .LBB219_404
.LBB219_389:                            ;   in Loop: Header=BB219_12 Depth=1
	s_or_b32 exec_lo, exec_lo, s15
	v_lshrrev_b32_e32 v32, 16, v9
	s_and_b32 s7, s26, exec_lo
.LBB219_390:                            ;   in Loop: Header=BB219_12 Depth=1
	s_or_b32 exec_lo, exec_lo, s14
	s_mov_b32 s14, 0
	s_mov_b32 s15, -1
	s_mov_b32 s66, s14
	s_branch .LBB219_404
.LBB219_391:                            ;   in Loop: Header=BB219_12 Depth=1
	s_mov_b32 s26, s59
	s_delay_alu instid0(SALU_CYCLE_1)
	s_cmp_lg_u64 s[26:27], 0
	s_cbranch_scc0 .LBB219_424
; %bb.392:                              ;   in Loop: Header=BB219_12 Depth=1
	v_cvt_f32_u32_e32 v2, s49
	s_sub_u32 s9, 0, s49
	s_subb_u32 s14, 0, 0
	s_delay_alu instid0(VALU_DEP_1) | instskip(NEXT) | instid1(VALU_DEP_1)
	v_fmac_f32_e64 v2, 0, 0x4f800000
	v_rcp_f32_e32 v2, v2
	s_waitcnt_depctr 0xfff
	v_mul_f32_e32 v2, 0x5f7ffffc, v2
	s_delay_alu instid0(VALU_DEP_1) | instskip(NEXT) | instid1(VALU_DEP_1)
	v_mul_f32_e32 v3, 0x2f800000, v2
	v_trunc_f32_e32 v3, v3
	s_delay_alu instid0(VALU_DEP_1) | instskip(SKIP_1) | instid1(VALU_DEP_2)
	v_fmac_f32_e32 v2, 0xcf800000, v3
	v_cvt_u32_f32_e32 v3, v3
	v_cvt_u32_f32_e32 v2, v2
	s_delay_alu instid0(VALU_DEP_2) | instskip(NEXT) | instid1(VALU_DEP_2)
	v_readfirstlane_b32 s7, v3
	v_readfirstlane_b32 s8, v2
	s_delay_alu instid0(VALU_DEP_2) | instskip(NEXT) | instid1(VALU_DEP_1)
	s_mul_i32 s15, s9, s7
	s_mul_hi_u32 s66, s9, s8
	s_mul_i32 s26, s14, s8
	s_add_i32 s15, s66, s15
	s_mul_i32 s69, s9, s8
	s_add_i32 s15, s15, s26
	s_mul_hi_u32 s66, s8, s69
	s_mul_hi_u32 s70, s7, s69
	s_mul_i32 s26, s7, s69
	s_mul_hi_u32 s69, s8, s15
	s_mul_i32 s8, s8, s15
	s_mul_hi_u32 s71, s7, s15
	s_add_u32 s8, s66, s8
	s_addc_u32 s66, 0, s69
	s_add_u32 s8, s8, s26
	s_mul_i32 s15, s7, s15
	s_addc_u32 s8, s66, s70
	s_addc_u32 s26, s71, 0
	s_add_u32 s8, s8, s15
	s_addc_u32 s15, 0, s26
	v_add_co_u32 v2, s8, v2, s8
	s_delay_alu instid0(VALU_DEP_1) | instskip(SKIP_1) | instid1(VALU_DEP_1)
	s_cmp_lg_u32 s8, 0
	s_addc_u32 s7, s7, s15
	v_readfirstlane_b32 s8, v2
	s_mul_i32 s15, s9, s7
	s_delay_alu instid0(VALU_DEP_1)
	s_mul_hi_u32 s26, s9, s8
	s_mul_i32 s14, s14, s8
	s_add_i32 s15, s26, s15
	s_mul_i32 s9, s9, s8
	s_add_i32 s15, s15, s14
	s_mul_hi_u32 s26, s7, s9
	s_mul_i32 s66, s7, s9
	s_mul_hi_u32 s9, s8, s9
	s_mul_hi_u32 s69, s8, s15
	s_mul_i32 s8, s8, s15
	s_mul_hi_u32 s14, s7, s15
	s_add_u32 s8, s9, s8
	s_addc_u32 s9, 0, s69
	s_add_u32 s8, s8, s66
	s_mul_i32 s15, s7, s15
	s_addc_u32 s8, s9, s26
	s_addc_u32 s9, s14, 0
	s_add_u32 s8, s8, s15
	s_addc_u32 s9, 0, s9
	v_add_co_u32 v2, s8, v2, s8
	s_delay_alu instid0(VALU_DEP_1) | instskip(SKIP_1) | instid1(VALU_DEP_1)
	s_cmp_lg_u32 s8, 0
	s_addc_u32 s7, s7, s9
	v_readfirstlane_b32 s8, v2
	s_mul_i32 s14, s76, s7
	s_mul_hi_u32 s9, s76, s7
	s_mul_hi_u32 s15, s27, s7
	s_mul_i32 s7, s27, s7
	s_mul_hi_u32 s26, s76, s8
	s_mul_hi_u32 s66, s27, s8
	s_mul_i32 s8, s27, s8
	s_add_u32 s14, s26, s14
	s_addc_u32 s9, 0, s9
	s_add_u32 s8, s14, s8
	s_addc_u32 s8, s9, s66
	s_addc_u32 s9, s15, 0
	s_add_u32 s7, s8, s7
	s_addc_u32 s8, 0, s9
	s_mul_hi_u32 s9, s49, s7
	s_mul_i32 s7, s49, s7
	s_mul_i32 s8, s49, s8
	v_sub_co_u32 v2, s7, s76, s7
	s_add_i32 s9, s9, s8
	s_cmp_lg_u32 s7, 0
	s_delay_alu instid0(VALU_DEP_1) | instskip(SKIP_2) | instid1(VALU_DEP_1)
	v_sub_co_u32 v3, s7, v2, s49
	s_subb_u32 s8, s27, s9
	s_cmp_lg_u32 s7, 0
	v_cmp_le_u32_e32 vcc_lo, s49, v3
	v_sub_co_u32 v6, s7, v3, s49
	s_subb_u32 s9, s8, 0
	s_cmp_lg_u32 s7, 0
	v_cndmask_b32_e64 v7, 0, -1, vcc_lo
	s_subb_u32 s7, s9, 0
	s_cmp_eq_u32 s9, 0
	v_mov_b32_e32 v9, s7
	s_cselect_b32 vcc_lo, -1, 0
	s_cmp_eq_u32 s8, 0
	v_cndmask_b32_e32 v7, -1, v7, vcc_lo
	v_cmp_le_u32_e32 vcc_lo, s49, v2
	s_cselect_b32 s7, -1, 0
	v_cndmask_b32_e64 v8, 0, -1, vcc_lo
	s_delay_alu instid0(VALU_DEP_3) | instskip(NEXT) | instid1(VALU_DEP_2)
	v_cmp_ne_u32_e32 vcc_lo, 0, v7
	v_cndmask_b32_e64 v7, -1, v8, s7
	v_cndmask_b32_e32 v8, s9, v9, vcc_lo
	v_cndmask_b32_e32 v6, v3, v6, vcc_lo
	s_delay_alu instid0(VALU_DEP_3) | instskip(NEXT) | instid1(VALU_DEP_3)
	v_cmp_ne_u32_e32 vcc_lo, 0, v7
	v_cndmask_b32_e32 v3, s8, v8, vcc_lo
	s_delay_alu instid0(VALU_DEP_3)
	v_cndmask_b32_e32 v2, v2, v6, vcc_lo
	s_cbranch_execnz .LBB219_394
.LBB219_393:                            ;   in Loop: Header=BB219_12 Depth=1
	v_cvt_f32_u32_e32 v2, s49
	s_sub_i32 s7, 0, s49
	s_delay_alu instid0(VALU_DEP_1) | instskip(SKIP_2) | instid1(VALU_DEP_1)
	v_rcp_iflag_f32_e32 v2, v2
	s_waitcnt_depctr 0xfff
	v_mul_f32_e32 v2, 0x4f7ffffe, v2
	v_cvt_u32_f32_e32 v2, v2
	s_delay_alu instid0(VALU_DEP_1) | instskip(NEXT) | instid1(VALU_DEP_1)
	v_mul_lo_u32 v3, s7, v2
	v_mul_hi_u32 v3, v2, v3
	s_delay_alu instid0(VALU_DEP_1) | instskip(NEXT) | instid1(VALU_DEP_1)
	v_add_nc_u32_e32 v2, v2, v3
	v_mul_hi_u32 v2, s76, v2
	s_delay_alu instid0(VALU_DEP_1) | instskip(NEXT) | instid1(VALU_DEP_1)
	v_mul_lo_u32 v2, v2, s49
	v_sub_nc_u32_e32 v2, s76, v2
	s_delay_alu instid0(VALU_DEP_1) | instskip(SKIP_1) | instid1(VALU_DEP_2)
	v_subrev_nc_u32_e32 v3, s49, v2
	v_cmp_le_u32_e32 vcc_lo, s49, v2
	v_cndmask_b32_e32 v2, v2, v3, vcc_lo
	s_delay_alu instid0(VALU_DEP_1) | instskip(SKIP_1) | instid1(VALU_DEP_2)
	v_subrev_nc_u32_e32 v3, s49, v2
	v_cmp_le_u32_e32 vcc_lo, s49, v2
	v_cndmask_b32_e32 v12, v2, v3, vcc_lo
	s_delay_alu instid0(VALU_DEP_1)
	v_dual_mov_b32 v2, v12 :: v_dual_mov_b32 v3, v13
.LBB219_394:                            ;   in Loop: Header=BB219_12 Depth=1
	s_delay_alu instid0(VALU_DEP_1) | instskip(NEXT) | instid1(VALU_DEP_2)
	v_sub_co_u32 v2, vcc_lo, s76, v2
	v_sub_co_ci_u32_e32 v3, vcc_lo, s27, v3, vcc_lo
	s_mov_b32 s7, 0
	s_mov_b32 s8, exec_lo
                                        ; implicit-def: $vgpr32
	s_delay_alu instid0(VALU_DEP_1)
	v_cmpx_gt_u64_e64 v[2:3], v[0:1]
	s_cbranch_execz .LBB219_403
; %bb.395:                              ;   in Loop: Header=BB219_12 Depth=1
	v_dual_mov_b32 v7, v1 :: v_dual_mov_b32 v6, v0
	s_mov_b32 s9, 0
                                        ; implicit-def: $sgpr14
	s_branch .LBB219_397
.LBB219_396:                            ;   in Loop: Header=BB219_397 Depth=2
	s_or_b32 exec_lo, exec_lo, s7
	s_waitcnt vmcnt(0) lgkmcnt(0)
	s_barrier
	buffer_gl0_inv
	ds_load_b32 v8, v13 offset:3072
	v_add_co_u32 v6, vcc_lo, v6, s49
	v_add_co_ci_u32_e32 v7, vcc_lo, 0, v7, vcc_lo
	s_waitcnt lgkmcnt(0)
	s_barrier
	buffer_gl0_inv
	v_cmp_ge_u64_e32 vcc_lo, v[6:7], v[2:3]
	v_and_b32_e32 v9, 0x7fff, v8
	s_delay_alu instid0(VALU_DEP_1) | instskip(NEXT) | instid1(VALU_DEP_1)
	v_cmp_ne_u16_e64 s7, 0, v9
	s_or_b32 s15, vcc_lo, s7
	s_delay_alu instid0(SALU_CYCLE_1) | instskip(NEXT) | instid1(SALU_CYCLE_1)
	s_and_b32 s15, exec_lo, s15
	s_or_b32 s9, s15, s9
	s_and_not1_b32 s14, s14, exec_lo
	s_and_b32 s7, s7, exec_lo
	s_delay_alu instid0(SALU_CYCLE_1)
	s_or_b32 s14, s14, s7
	s_and_not1_b32 exec_lo, exec_lo, s9
	s_cbranch_execz .LBB219_402
.LBB219_397:                            ;   Parent Loop BB219_12 Depth=1
                                        ; =>  This Inner Loop Header: Depth=2
	s_delay_alu instid0(VALU_DEP_1)
	v_cmp_gt_u64_e32 vcc_lo, s[36:37], v[6:7]
	v_mov_b32_e32 v8, 0
	s_and_saveexec_b32 s15, vcc_lo
	s_cbranch_execz .LBB219_399
; %bb.398:                              ;   in Loop: Header=BB219_397 Depth=2
	v_mul_lo_u32 v12, v7, s30
	v_mul_lo_u32 v16, v6, s31
	v_mad_u64_u32 v[8:9], null, v6, s30, 0
	s_delay_alu instid0(VALU_DEP_1) | instskip(NEXT) | instid1(VALU_DEP_1)
	v_add3_u32 v9, v9, v16, v12
	v_lshlrev_b64 v[8:9], 1, v[8:9]
	s_delay_alu instid0(VALU_DEP_1) | instskip(NEXT) | instid1(VALU_DEP_1)
	v_add_co_u32 v8, s7, s33, v8
	v_add_co_ci_u32_e64 v9, s7, s35, v9, s7
	global_load_u16 v8, v[8:9], off
.LBB219_399:                            ;   in Loop: Header=BB219_397 Depth=2
	s_or_b32 exec_lo, exec_lo, s15
	s_and_saveexec_b32 s7, vcc_lo
	s_cbranch_execz .LBB219_396
; %bb.400:                              ;   in Loop: Header=BB219_397 Depth=2
	s_waitcnt vmcnt(0)
	v_cmp_lt_i16_e32 vcc_lo, -1, v8
	v_dual_cndmask_b32 v12, 0xffff, v29 :: v_dual_and_b32 v9, 0xffff, v8
	s_delay_alu instid0(VALU_DEP_1) | instskip(SKIP_1) | instid1(VALU_DEP_1)
	v_xor_b32_e32 v9, v12, v9
	v_lshlrev_b32_e32 v16, 16, v8
	v_cmp_o_f32_e32 vcc_lo, v16, v16
	s_delay_alu instid0(VALU_DEP_3) | instskip(NEXT) | instid1(VALU_DEP_1)
	v_cndmask_b32_e32 v9, 0xffff, v9, vcc_lo
	v_and_b32_e32 v9, v9, v30
	s_delay_alu instid0(VALU_DEP_1)
	v_cmp_eq_u32_e32 vcc_lo, v9, v31
	s_and_b32 exec_lo, exec_lo, vcc_lo
	s_cbranch_execz .LBB219_396
; %bb.401:                              ;   in Loop: Header=BB219_397 Depth=2
	v_perm_b32 v8, v8, s85, 0x5040100
	ds_store_b32 v13, v8 offset:3072
	s_branch .LBB219_396
.LBB219_402:                            ;   in Loop: Header=BB219_12 Depth=1
	s_or_b32 exec_lo, exec_lo, s9
	v_lshrrev_b32_e32 v32, 16, v8
	s_and_b32 s7, s14, exec_lo
.LBB219_403:                            ;   in Loop: Header=BB219_12 Depth=1
	s_or_b32 exec_lo, exec_lo, s8
	s_mov_b32 s15, 0
	s_mov_b32 s14, -1
	s_mov_b32 s66, 0
.LBB219_404:                            ;   in Loop: Header=BB219_12 Depth=1
	s_or_not1_b32 s7, s7, exec_lo
.LBB219_405:                            ;   in Loop: Header=BB219_12 Depth=1
	s_or_b32 exec_lo, exec_lo, s67
	s_mov_b32 s26, 0
                                        ; implicit-def: $vgpr7
	s_and_saveexec_b32 s67, s7
	s_cbranch_execz .LBB219_470
; %bb.406:                              ;   in Loop: Header=BB219_12 Depth=1
	v_dual_mov_b32 v2, 1 :: v_dual_mov_b32 v7, 1
	v_mov_b32_e32 v3, 0
	s_xor_b32 s8, s68, -1
	s_delay_alu instid0(SALU_CYCLE_1)
	s_and_saveexec_b32 s7, s8
	s_cbranch_execz .LBB219_416
; %bb.407:                              ;   in Loop: Header=BB219_12 Depth=1
	s_mov_b32 s9, exec_lo
                                        ; implicit-def: $sgpr26
                                        ; implicit-def: $sgpr8
	v_cmpx_ge_u64_e64 s[12:13], v[4:5]
	s_xor_b32 s9, exec_lo, s9
	s_cbranch_execz .LBB219_413
; %bb.408:                              ;   in Loop: Header=BB219_12 Depth=1
	ds_load_b64 v[2:3], v13 offset:5120
	s_waitcnt lgkmcnt(0)
	v_cmp_ne_u64_e32 vcc_lo, 0, v[2:3]
	s_cbranch_vccnz .LBB219_412
; %bb.409:                              ;   in Loop: Header=BB219_12 Depth=1
	s_and_saveexec_b32 s8, s5
	s_cbranch_execz .LBB219_411
; %bb.410:                              ;   in Loop: Header=BB219_12 Depth=1
	v_dual_mov_b32 v2, s12 :: v_dual_mov_b32 v3, s13
	ds_store_b64 v13, v[2:3] offset:5128
.LBB219_411:                            ;   in Loop: Header=BB219_12 Depth=1
	s_or_b32 exec_lo, exec_lo, s8
	s_waitcnt lgkmcnt(0)
	s_barrier
	buffer_gl0_inv
.LBB219_412:                            ;   in Loop: Header=BB219_12 Depth=1
	s_lshl_b32 s8, 1, s22
	v_or_b32_e32 v30, s20, v30
	v_and_or_b32 v31, v31, s21, s8
	s_mov_b32 s8, 0
	s_mov_b32 s26, 5
.LBB219_413:                            ;   in Loop: Header=BB219_12 Depth=1
	s_or_saveexec_b32 s9, s9
	v_mov_b32_e32 v7, s26
	s_xor_b32 exec_lo, exec_lo, s9
; %bb.414:                              ;   in Loop: Header=BB219_12 Depth=1
	v_sub_co_u32 v4, vcc_lo, v4, s12
	v_subrev_co_ci_u32_e32 v5, vcc_lo, s13, v5, vcc_lo
	v_mov_b32_e32 v7, 0
	s_or_b32 s8, s8, exec_lo
; %bb.415:                              ;   in Loop: Header=BB219_12 Depth=1
	s_or_b32 exec_lo, exec_lo, s9
	s_delay_alu instid0(VALU_DEP_2)
	v_dual_mov_b32 v2, v4 :: v_dual_mov_b32 v3, v5
	s_and_b32 s26, s8, exec_lo
.LBB219_416:                            ;   in Loop: Header=BB219_12 Depth=1
	s_or_b32 exec_lo, exec_lo, s7
	s_mov_b32 s12, -1
                                        ; implicit-def: $sgpr7
                                        ; implicit-def: $sgpr8
                                        ; implicit-def: $sgpr9
	s_and_saveexec_b32 s22, s26
	s_cbranch_execz .LBB219_469
; %bb.417:                              ;   in Loop: Header=BB219_12 Depth=1
	v_cmp_eq_u64_e32 vcc_lo, 1, v[2:3]
	s_cmp_eq_u64 s[10:11], 1
	s_mov_b32 s13, -1
	s_cselect_b32 s7, -1, 0
                                        ; implicit-def: $sgpr8
                                        ; implicit-def: $sgpr9
	s_delay_alu instid0(SALU_CYCLE_1) | instskip(NEXT) | instid1(SALU_CYCLE_1)
	s_and_b32 s68, s7, vcc_lo
                                        ; implicit-def: $sgpr7
	s_and_saveexec_b32 s69, s68
	s_cbranch_execz .LBB219_456
; %bb.418:                              ;   in Loop: Header=BB219_12 Depth=1
	ds_load_b64 v[4:5], v13 offset:5120
	s_waitcnt lgkmcnt(0)
	s_barrier
	buffer_gl0_inv
	v_readfirstlane_b32 s8, v4
	v_readfirstlane_b32 s9, v5
	s_and_saveexec_b32 s7, s6
	s_cbranch_execz .LBB219_420
; %bb.419:                              ;   in Loop: Header=BB219_12 Depth=1
	ds_store_b16 v26, v13
.LBB219_420:                            ;   in Loop: Header=BB219_12 Depth=1
	s_or_b32 exec_lo, exec_lo, s7
	v_and_b32_e32 v31, s21, v31
	v_or_b32_e32 v30, s20, v30
	s_cmp_eq_u64 s[8:9], 0
	s_waitcnt lgkmcnt(0)
	s_barrier
	buffer_gl0_inv
	s_cbranch_scc1 .LBB219_425
; %bb.421:                              ;   in Loop: Header=BB219_12 Depth=1
	s_add_u32 s26, s74, s8
	s_addc_u32 s13, s75, s9
	s_mov_b32 s12, s59
	s_delay_alu instid0(SALU_CYCLE_1)
	s_cmp_lg_u64 s[12:13], 0
	s_cbranch_scc0 .LBB219_426
; %bb.422:                              ;   in Loop: Header=BB219_12 Depth=1
	v_cvt_f32_u32_e32 v4, s49
	s_sub_u32 s70, 0, s49
	s_subb_u32 s71, 0, 0
	s_delay_alu instid0(VALU_DEP_1) | instskip(NEXT) | instid1(VALU_DEP_1)
	v_fmac_f32_e64 v4, 0, 0x4f800000
	v_rcp_f32_e32 v4, v4
	s_waitcnt_depctr 0xfff
	v_mul_f32_e32 v4, 0x5f7ffffc, v4
	s_delay_alu instid0(VALU_DEP_1) | instskip(NEXT) | instid1(VALU_DEP_1)
	v_mul_f32_e32 v5, 0x2f800000, v4
	v_trunc_f32_e32 v5, v5
	s_delay_alu instid0(VALU_DEP_1) | instskip(SKIP_1) | instid1(VALU_DEP_2)
	v_fmac_f32_e32 v4, 0xcf800000, v5
	v_cvt_u32_f32_e32 v5, v5
	v_cvt_u32_f32_e32 v4, v4
	s_delay_alu instid0(VALU_DEP_2) | instskip(NEXT) | instid1(VALU_DEP_2)
	v_readfirstlane_b32 s7, v5
	v_readfirstlane_b32 s12, v4
	s_delay_alu instid0(VALU_DEP_2) | instskip(NEXT) | instid1(VALU_DEP_1)
	s_mul_i32 s97, s70, s7
	s_mul_hi_u32 s99, s70, s12
	s_mul_i32 s98, s71, s12
	s_add_i32 s97, s99, s97
	s_mul_i32 s100, s70, s12
	s_add_i32 s97, s97, s98
	s_mul_hi_u32 s99, s12, s100
	s_mul_hi_u32 s101, s7, s100
	s_mul_i32 s98, s7, s100
	s_mul_hi_u32 s100, s12, s97
	s_mul_i32 s12, s12, s97
	s_mul_hi_u32 s102, s7, s97
	s_add_u32 s12, s99, s12
	s_addc_u32 s99, 0, s100
	s_add_u32 s12, s12, s98
	s_mul_i32 s97, s7, s97
	s_addc_u32 s12, s99, s101
	s_addc_u32 s98, s102, 0
	s_add_u32 s12, s12, s97
	s_addc_u32 s97, 0, s98
	v_add_co_u32 v4, s12, v4, s12
	s_delay_alu instid0(VALU_DEP_1) | instskip(SKIP_1) | instid1(VALU_DEP_1)
	s_cmp_lg_u32 s12, 0
	s_addc_u32 s7, s7, s97
	v_readfirstlane_b32 s12, v4
	s_mul_i32 s97, s70, s7
	s_delay_alu instid0(VALU_DEP_1)
	s_mul_hi_u32 s98, s70, s12
	s_mul_i32 s71, s71, s12
	s_add_i32 s97, s98, s97
	s_mul_i32 s70, s70, s12
	s_add_i32 s97, s97, s71
	s_mul_hi_u32 s98, s7, s70
	s_mul_i32 s99, s7, s70
	s_mul_hi_u32 s70, s12, s70
	s_mul_hi_u32 s100, s12, s97
	s_mul_i32 s12, s12, s97
	s_mul_hi_u32 s71, s7, s97
	s_add_u32 s12, s70, s12
	s_addc_u32 s70, 0, s100
	s_add_u32 s12, s12, s99
	s_mul_i32 s97, s7, s97
	s_addc_u32 s12, s70, s98
	s_addc_u32 s70, s71, 0
	s_add_u32 s12, s12, s97
	s_addc_u32 s70, 0, s70
	v_add_co_u32 v4, s12, v4, s12
	s_delay_alu instid0(VALU_DEP_1) | instskip(SKIP_1) | instid1(VALU_DEP_1)
	s_cmp_lg_u32 s12, 0
	s_addc_u32 s7, s7, s70
	v_readfirstlane_b32 s12, v4
	s_mul_i32 s71, s26, s7
	s_mul_hi_u32 s70, s26, s7
	s_mul_hi_u32 s97, s13, s7
	s_mul_i32 s7, s13, s7
	s_mul_hi_u32 s98, s26, s12
	s_mul_hi_u32 s99, s13, s12
	s_mul_i32 s12, s13, s12
	s_add_u32 s71, s98, s71
	s_addc_u32 s70, 0, s70
	s_add_u32 s12, s71, s12
	s_addc_u32 s12, s70, s99
	s_addc_u32 s70, s97, 0
	s_add_u32 s7, s12, s7
	s_addc_u32 s12, 0, s70
	s_mul_hi_u32 s70, s49, s7
	s_mul_i32 s7, s49, s7
	s_mul_i32 s12, s49, s12
	v_sub_co_u32 v4, s7, s26, s7
	s_add_i32 s70, s70, s12
	s_cmp_lg_u32 s7, 0
	s_delay_alu instid0(VALU_DEP_1) | instskip(SKIP_2) | instid1(VALU_DEP_1)
	v_sub_co_u32 v5, s7, v4, s49
	s_subb_u32 s12, s13, s70
	s_cmp_lg_u32 s7, 0
	v_cmp_le_u32_e32 vcc_lo, s49, v5
	v_sub_co_u32 v6, s7, v5, s49
	s_subb_u32 s70, s12, 0
	s_cmp_lg_u32 s7, 0
	v_cndmask_b32_e64 v7, 0, -1, vcc_lo
	s_subb_u32 s7, s70, 0
	s_cmp_eq_u32 s70, 0
	v_mov_b32_e32 v9, s7
	s_cselect_b32 vcc_lo, -1, 0
	s_cmp_eq_u32 s12, 0
	v_cndmask_b32_e32 v7, -1, v7, vcc_lo
	v_cmp_le_u32_e32 vcc_lo, s49, v4
	s_cselect_b32 s7, -1, 0
	v_cndmask_b32_e64 v8, 0, -1, vcc_lo
	s_delay_alu instid0(VALU_DEP_3) | instskip(NEXT) | instid1(VALU_DEP_2)
	v_cmp_ne_u32_e32 vcc_lo, 0, v7
	v_cndmask_b32_e64 v7, -1, v8, s7
	v_cndmask_b32_e32 v8, s70, v9, vcc_lo
	v_cndmask_b32_e32 v6, v5, v6, vcc_lo
	s_mov_b32 s7, 0
	s_delay_alu instid0(VALU_DEP_3) | instskip(NEXT) | instid1(VALU_DEP_3)
	v_cmp_ne_u32_e32 vcc_lo, 0, v7
	v_cndmask_b32_e32 v5, s12, v8, vcc_lo
	s_delay_alu instid0(VALU_DEP_3)
	v_cndmask_b32_e32 v4, v4, v6, vcc_lo
	s_branch .LBB219_427
.LBB219_423:                            ;   in Loop: Header=BB219_12 Depth=1
                                        ; implicit-def: $vgpr2_vgpr3
	s_branch .LBB219_377
.LBB219_424:                            ;   in Loop: Header=BB219_12 Depth=1
                                        ; implicit-def: $vgpr2_vgpr3
	s_branch .LBB219_393
.LBB219_425:                            ;   in Loop: Header=BB219_12 Depth=1
	s_mov_b32 s7, -1
	s_mov_b32 s13, 0
                                        ; implicit-def: $sgpr8
                                        ; implicit-def: $vgpr32
	s_branch .LBB219_439
.LBB219_426:                            ;   in Loop: Header=BB219_12 Depth=1
	s_mov_b32 s7, -1
                                        ; implicit-def: $vgpr4_vgpr5
.LBB219_427:                            ;   in Loop: Header=BB219_12 Depth=1
	s_delay_alu instid0(SALU_CYCLE_1)
	s_and_not1_b32 vcc_lo, exec_lo, s7
	s_cbranch_vccnz .LBB219_429
; %bb.428:                              ;   in Loop: Header=BB219_12 Depth=1
	v_cvt_f32_u32_e32 v4, s49
	s_sub_i32 s7, 0, s49
	s_delay_alu instid0(VALU_DEP_1) | instskip(SKIP_2) | instid1(VALU_DEP_1)
	v_rcp_iflag_f32_e32 v4, v4
	s_waitcnt_depctr 0xfff
	v_mul_f32_e32 v4, 0x4f7ffffe, v4
	v_cvt_u32_f32_e32 v4, v4
	s_delay_alu instid0(VALU_DEP_1) | instskip(NEXT) | instid1(VALU_DEP_1)
	v_mul_lo_u32 v5, s7, v4
	v_mul_hi_u32 v5, v4, v5
	s_delay_alu instid0(VALU_DEP_1) | instskip(NEXT) | instid1(VALU_DEP_1)
	v_add_nc_u32_e32 v4, v4, v5
	v_mul_hi_u32 v4, s26, v4
	s_delay_alu instid0(VALU_DEP_1) | instskip(NEXT) | instid1(VALU_DEP_1)
	v_mul_lo_u32 v4, v4, s49
	v_sub_nc_u32_e32 v4, s26, v4
	s_delay_alu instid0(VALU_DEP_1) | instskip(SKIP_1) | instid1(VALU_DEP_2)
	v_subrev_nc_u32_e32 v5, s49, v4
	v_cmp_le_u32_e32 vcc_lo, s49, v4
	v_cndmask_b32_e32 v4, v4, v5, vcc_lo
	s_delay_alu instid0(VALU_DEP_1) | instskip(SKIP_1) | instid1(VALU_DEP_2)
	v_subrev_nc_u32_e32 v5, s49, v4
	v_cmp_le_u32_e32 vcc_lo, s49, v4
	v_cndmask_b32_e32 v12, v4, v5, vcc_lo
	s_delay_alu instid0(VALU_DEP_1)
	v_dual_mov_b32 v4, v12 :: v_dual_mov_b32 v5, v13
.LBB219_429:                            ;   in Loop: Header=BB219_12 Depth=1
	s_delay_alu instid0(VALU_DEP_1) | instskip(NEXT) | instid1(VALU_DEP_2)
	v_sub_co_u32 v4, vcc_lo, s26, v4
	v_sub_co_ci_u32_e32 v5, vcc_lo, s13, v5, vcc_lo
	s_mov_b32 s13, 0
	s_mov_b32 s12, exec_lo
                                        ; implicit-def: $vgpr32
	s_delay_alu instid0(VALU_DEP_1)
	v_cmpx_gt_u64_e64 v[4:5], v[0:1]
	s_cbranch_execz .LBB219_438
; %bb.430:                              ;   in Loop: Header=BB219_12 Depth=1
	v_mov_b32_e32 v8, v25
	v_dual_mov_b32 v7, v1 :: v_dual_mov_b32 v6, v0
                                        ; implicit-def: $sgpr26
	s_branch .LBB219_432
.LBB219_431:                            ;   in Loop: Header=BB219_432 Depth=2
	s_or_b32 exec_lo, exec_lo, s7
	s_waitcnt lgkmcnt(0)
	s_barrier
	buffer_gl0_inv
	ds_load_b32 v9, v13 offset:3072
	v_add_co_u32 v6, vcc_lo, v6, s49
	v_add_co_ci_u32_e32 v7, vcc_lo, 0, v7, vcc_lo
	v_add_nc_u32_e32 v8, s82, v8
	s_waitcnt lgkmcnt(0)
	s_barrier
	s_delay_alu instid0(VALU_DEP_2) | instskip(SKIP_2) | instid1(VALU_DEP_1)
	v_cmp_ge_u64_e32 vcc_lo, v[6:7], v[4:5]
	buffer_gl0_inv
	v_and_b32_e32 v12, 0x7fff, v9
	v_cmp_ne_u16_e64 s7, 0, v12
	s_delay_alu instid0(VALU_DEP_1) | instskip(NEXT) | instid1(SALU_CYCLE_1)
	s_or_b32 s70, vcc_lo, s7
	s_and_b32 s70, exec_lo, s70
	s_delay_alu instid0(SALU_CYCLE_1) | instskip(SKIP_2) | instid1(SALU_CYCLE_1)
	s_or_b32 s13, s70, s13
	s_and_not1_b32 s26, s26, exec_lo
	s_and_b32 s7, s7, exec_lo
	s_or_b32 s26, s26, s7
	s_and_not1_b32 exec_lo, exec_lo, s13
	s_cbranch_execz .LBB219_437
.LBB219_432:                            ;   Parent Loop BB219_12 Depth=1
                                        ; =>  This Inner Loop Header: Depth=2
	s_delay_alu instid0(VALU_DEP_1)
	v_cmp_gt_u64_e32 vcc_lo, s[8:9], v[6:7]
	v_mov_b32_e32 v9, 0
	s_and_saveexec_b32 s7, vcc_lo
	s_cbranch_execz .LBB219_434
; %bb.433:                              ;   in Loop: Header=BB219_432 Depth=2
	ds_load_u16 v9, v8
.LBB219_434:                            ;   in Loop: Header=BB219_432 Depth=2
	s_or_b32 exec_lo, exec_lo, s7
	s_and_saveexec_b32 s7, vcc_lo
	s_cbranch_execz .LBB219_431
; %bb.435:                              ;   in Loop: Header=BB219_432 Depth=2
	s_waitcnt lgkmcnt(0)
	v_cmp_lt_i16_e32 vcc_lo, -1, v9
	v_and_b32_e32 v12, 0xffff, v9
	v_cndmask_b32_e32 v16, 0xffff, v29, vcc_lo
	s_delay_alu instid0(VALU_DEP_1) | instskip(SKIP_1) | instid1(VALU_DEP_1)
	v_xor_b32_e32 v12, v16, v12
	v_lshlrev_b32_e32 v17, 16, v9
	v_cmp_o_f32_e32 vcc_lo, v17, v17
	s_delay_alu instid0(VALU_DEP_3) | instskip(NEXT) | instid1(VALU_DEP_1)
	v_cndmask_b32_e32 v12, 0xffff, v12, vcc_lo
	v_and_b32_e32 v12, v12, v30
	s_delay_alu instid0(VALU_DEP_1)
	v_cmp_eq_u32_e32 vcc_lo, v12, v31
	s_and_b32 exec_lo, exec_lo, vcc_lo
	s_cbranch_execz .LBB219_431
; %bb.436:                              ;   in Loop: Header=BB219_432 Depth=2
	v_perm_b32 v9, v9, s85, 0x5040100
	ds_store_b32 v13, v9 offset:3072
	s_branch .LBB219_431
.LBB219_437:                            ;   in Loop: Header=BB219_12 Depth=1
	s_or_b32 exec_lo, exec_lo, s13
	v_lshrrev_b32_e32 v32, 16, v9
	s_and_b32 s13, s26, exec_lo
.LBB219_438:                            ;   in Loop: Header=BB219_12 Depth=1
	s_or_b32 exec_lo, exec_lo, s12
	s_mov_b32 s7, 0
	s_mov_b32 s8, -1
.LBB219_439:                            ;   in Loop: Header=BB219_12 Depth=1
	s_and_b32 vcc_lo, exec_lo, s7
	s_mov_b32 s9, s7
	s_cbranch_vccz .LBB219_455
; %bb.440:                              ;   in Loop: Header=BB219_12 Depth=1
	s_mov_b32 s26, s59
	s_delay_alu instid0(SALU_CYCLE_1)
	s_cmp_lg_u64 s[26:27], 0
	s_cbranch_scc0 .LBB219_442
; %bb.441:                              ;   in Loop: Header=BB219_12 Depth=1
	v_cvt_f32_u32_e32 v4, s49
	s_sub_u32 s9, 0, s49
	s_subb_u32 s12, 0, 0
	s_delay_alu instid0(VALU_DEP_1) | instskip(NEXT) | instid1(VALU_DEP_1)
	v_fmac_f32_e64 v4, 0, 0x4f800000
	v_rcp_f32_e32 v4, v4
	s_waitcnt_depctr 0xfff
	v_mul_f32_e32 v4, 0x5f7ffffc, v4
	s_delay_alu instid0(VALU_DEP_1) | instskip(NEXT) | instid1(VALU_DEP_1)
	v_mul_f32_e32 v5, 0x2f800000, v4
	v_trunc_f32_e32 v5, v5
	s_delay_alu instid0(VALU_DEP_1) | instskip(SKIP_1) | instid1(VALU_DEP_2)
	v_fmac_f32_e32 v4, 0xcf800000, v5
	v_cvt_u32_f32_e32 v5, v5
	v_cvt_u32_f32_e32 v4, v4
	s_delay_alu instid0(VALU_DEP_2) | instskip(NEXT) | instid1(VALU_DEP_2)
	v_readfirstlane_b32 s7, v5
	v_readfirstlane_b32 s8, v4
	s_delay_alu instid0(VALU_DEP_2) | instskip(NEXT) | instid1(VALU_DEP_1)
	s_mul_i32 s13, s9, s7
	s_mul_hi_u32 s70, s9, s8
	s_mul_i32 s26, s12, s8
	s_add_i32 s13, s70, s13
	s_mul_i32 s71, s9, s8
	s_add_i32 s13, s13, s26
	s_mul_hi_u32 s70, s8, s71
	s_mul_hi_u32 s97, s7, s71
	s_mul_i32 s26, s7, s71
	s_mul_hi_u32 s71, s8, s13
	s_mul_i32 s8, s8, s13
	s_mul_hi_u32 s98, s7, s13
	s_add_u32 s8, s70, s8
	s_addc_u32 s70, 0, s71
	s_add_u32 s8, s8, s26
	s_mul_i32 s13, s7, s13
	s_addc_u32 s8, s70, s97
	s_addc_u32 s26, s98, 0
	s_add_u32 s8, s8, s13
	s_addc_u32 s13, 0, s26
	v_add_co_u32 v4, s8, v4, s8
	s_delay_alu instid0(VALU_DEP_1) | instskip(SKIP_1) | instid1(VALU_DEP_1)
	s_cmp_lg_u32 s8, 0
	s_addc_u32 s7, s7, s13
	v_readfirstlane_b32 s8, v4
	s_mul_i32 s13, s9, s7
	s_delay_alu instid0(VALU_DEP_1)
	s_mul_hi_u32 s26, s9, s8
	s_mul_i32 s12, s12, s8
	s_add_i32 s13, s26, s13
	s_mul_i32 s9, s9, s8
	s_add_i32 s13, s13, s12
	s_mul_hi_u32 s26, s7, s9
	s_mul_i32 s70, s7, s9
	s_mul_hi_u32 s9, s8, s9
	s_mul_hi_u32 s71, s8, s13
	s_mul_i32 s8, s8, s13
	s_mul_hi_u32 s12, s7, s13
	s_add_u32 s8, s9, s8
	s_addc_u32 s9, 0, s71
	s_add_u32 s8, s8, s70
	s_mul_i32 s13, s7, s13
	s_addc_u32 s8, s9, s26
	s_addc_u32 s9, s12, 0
	s_add_u32 s8, s8, s13
	s_addc_u32 s9, 0, s9
	v_add_co_u32 v4, s8, v4, s8
	s_delay_alu instid0(VALU_DEP_1) | instskip(SKIP_1) | instid1(VALU_DEP_1)
	s_cmp_lg_u32 s8, 0
	s_addc_u32 s7, s7, s9
	v_readfirstlane_b32 s8, v4
	s_mul_i32 s12, s76, s7
	s_mul_hi_u32 s9, s76, s7
	s_mul_hi_u32 s13, s27, s7
	s_mul_i32 s7, s27, s7
	s_mul_hi_u32 s26, s76, s8
	s_mul_hi_u32 s70, s27, s8
	s_mul_i32 s8, s27, s8
	s_add_u32 s12, s26, s12
	s_addc_u32 s9, 0, s9
	s_add_u32 s8, s12, s8
	s_addc_u32 s8, s9, s70
	s_addc_u32 s9, s13, 0
	s_add_u32 s7, s8, s7
	s_addc_u32 s8, 0, s9
	s_mul_hi_u32 s9, s49, s7
	s_mul_i32 s7, s49, s7
	s_mul_i32 s8, s49, s8
	v_sub_co_u32 v4, s7, s76, s7
	s_add_i32 s9, s9, s8
	s_cmp_lg_u32 s7, 0
	s_delay_alu instid0(VALU_DEP_1) | instskip(SKIP_2) | instid1(VALU_DEP_1)
	v_sub_co_u32 v5, s7, v4, s49
	s_subb_u32 s8, s27, s9
	s_cmp_lg_u32 s7, 0
	v_cmp_le_u32_e32 vcc_lo, s49, v5
	v_sub_co_u32 v6, s7, v5, s49
	s_subb_u32 s9, s8, 0
	s_cmp_lg_u32 s7, 0
	v_cndmask_b32_e64 v7, 0, -1, vcc_lo
	s_subb_u32 s7, s9, 0
	s_cmp_eq_u32 s9, 0
	v_mov_b32_e32 v9, s7
	s_cselect_b32 vcc_lo, -1, 0
	s_cmp_eq_u32 s8, 0
	v_cndmask_b32_e32 v7, -1, v7, vcc_lo
	v_cmp_le_u32_e32 vcc_lo, s49, v4
	s_cselect_b32 s7, -1, 0
	v_cndmask_b32_e64 v8, 0, -1, vcc_lo
	s_delay_alu instid0(VALU_DEP_3) | instskip(NEXT) | instid1(VALU_DEP_2)
	v_cmp_ne_u32_e32 vcc_lo, 0, v7
	v_cndmask_b32_e64 v7, -1, v8, s7
	v_cndmask_b32_e32 v8, s9, v9, vcc_lo
	v_cndmask_b32_e32 v6, v5, v6, vcc_lo
	s_mov_b32 s7, 0
	s_delay_alu instid0(VALU_DEP_3) | instskip(NEXT) | instid1(VALU_DEP_3)
	v_cmp_ne_u32_e32 vcc_lo, 0, v7
	v_cndmask_b32_e32 v5, s8, v8, vcc_lo
	s_delay_alu instid0(VALU_DEP_3)
	v_cndmask_b32_e32 v4, v4, v6, vcc_lo
	s_branch .LBB219_443
.LBB219_442:                            ;   in Loop: Header=BB219_12 Depth=1
	s_mov_b32 s7, -1
                                        ; implicit-def: $vgpr4_vgpr5
.LBB219_443:                            ;   in Loop: Header=BB219_12 Depth=1
	s_delay_alu instid0(SALU_CYCLE_1)
	s_and_not1_b32 vcc_lo, exec_lo, s7
	s_cbranch_vccnz .LBB219_445
; %bb.444:                              ;   in Loop: Header=BB219_12 Depth=1
	v_cvt_f32_u32_e32 v4, s49
	s_sub_i32 s7, 0, s49
	s_delay_alu instid0(VALU_DEP_1) | instskip(SKIP_2) | instid1(VALU_DEP_1)
	v_rcp_iflag_f32_e32 v4, v4
	s_waitcnt_depctr 0xfff
	v_mul_f32_e32 v4, 0x4f7ffffe, v4
	v_cvt_u32_f32_e32 v4, v4
	s_delay_alu instid0(VALU_DEP_1) | instskip(NEXT) | instid1(VALU_DEP_1)
	v_mul_lo_u32 v5, s7, v4
	v_mul_hi_u32 v5, v4, v5
	s_delay_alu instid0(VALU_DEP_1) | instskip(NEXT) | instid1(VALU_DEP_1)
	v_add_nc_u32_e32 v4, v4, v5
	v_mul_hi_u32 v4, s76, v4
	s_delay_alu instid0(VALU_DEP_1) | instskip(NEXT) | instid1(VALU_DEP_1)
	v_mul_lo_u32 v4, v4, s49
	v_sub_nc_u32_e32 v4, s76, v4
	s_delay_alu instid0(VALU_DEP_1) | instskip(SKIP_1) | instid1(VALU_DEP_2)
	v_subrev_nc_u32_e32 v5, s49, v4
	v_cmp_le_u32_e32 vcc_lo, s49, v4
	v_cndmask_b32_e32 v4, v4, v5, vcc_lo
	s_delay_alu instid0(VALU_DEP_1) | instskip(SKIP_1) | instid1(VALU_DEP_2)
	v_subrev_nc_u32_e32 v5, s49, v4
	v_cmp_le_u32_e32 vcc_lo, s49, v4
	v_cndmask_b32_e32 v12, v4, v5, vcc_lo
	s_delay_alu instid0(VALU_DEP_1)
	v_dual_mov_b32 v4, v12 :: v_dual_mov_b32 v5, v13
.LBB219_445:                            ;   in Loop: Header=BB219_12 Depth=1
	s_delay_alu instid0(VALU_DEP_1) | instskip(NEXT) | instid1(VALU_DEP_2)
	v_sub_co_u32 v4, vcc_lo, s76, v4
	v_sub_co_ci_u32_e32 v5, vcc_lo, s27, v5, vcc_lo
	s_mov_b32 s13, 0
	s_mov_b32 s8, exec_lo
                                        ; implicit-def: $vgpr32
	s_delay_alu instid0(VALU_DEP_1)
	v_cmpx_gt_u64_e64 v[4:5], v[0:1]
	s_cbranch_execz .LBB219_454
; %bb.446:                              ;   in Loop: Header=BB219_12 Depth=1
	v_dual_mov_b32 v7, v1 :: v_dual_mov_b32 v6, v0
	s_mov_b32 s9, 0
                                        ; implicit-def: $sgpr12
	s_branch .LBB219_448
.LBB219_447:                            ;   in Loop: Header=BB219_448 Depth=2
	s_or_b32 exec_lo, exec_lo, s7
	s_waitcnt vmcnt(0) lgkmcnt(0)
	s_barrier
	buffer_gl0_inv
	ds_load_b32 v8, v13 offset:3072
	v_add_co_u32 v6, vcc_lo, v6, s49
	v_add_co_ci_u32_e32 v7, vcc_lo, 0, v7, vcc_lo
	s_waitcnt lgkmcnt(0)
	s_barrier
	buffer_gl0_inv
	v_cmp_ge_u64_e32 vcc_lo, v[6:7], v[4:5]
	v_and_b32_e32 v9, 0x7fff, v8
	s_delay_alu instid0(VALU_DEP_1) | instskip(NEXT) | instid1(VALU_DEP_1)
	v_cmp_ne_u16_e64 s7, 0, v9
	s_or_b32 s13, vcc_lo, s7
	s_delay_alu instid0(SALU_CYCLE_1) | instskip(NEXT) | instid1(SALU_CYCLE_1)
	s_and_b32 s13, exec_lo, s13
	s_or_b32 s9, s13, s9
	s_and_not1_b32 s12, s12, exec_lo
	s_and_b32 s7, s7, exec_lo
	s_delay_alu instid0(SALU_CYCLE_1)
	s_or_b32 s12, s12, s7
	s_and_not1_b32 exec_lo, exec_lo, s9
	s_cbranch_execz .LBB219_453
.LBB219_448:                            ;   Parent Loop BB219_12 Depth=1
                                        ; =>  This Inner Loop Header: Depth=2
	s_delay_alu instid0(VALU_DEP_1)
	v_cmp_gt_u64_e32 vcc_lo, s[36:37], v[6:7]
	v_mov_b32_e32 v8, 0
	s_and_saveexec_b32 s13, vcc_lo
	s_cbranch_execz .LBB219_450
; %bb.449:                              ;   in Loop: Header=BB219_448 Depth=2
	v_mul_lo_u32 v12, v7, s30
	v_mul_lo_u32 v16, v6, s31
	v_mad_u64_u32 v[8:9], null, v6, s30, 0
	s_delay_alu instid0(VALU_DEP_1) | instskip(NEXT) | instid1(VALU_DEP_1)
	v_add3_u32 v9, v9, v16, v12
	v_lshlrev_b64 v[8:9], 1, v[8:9]
	s_delay_alu instid0(VALU_DEP_1) | instskip(NEXT) | instid1(VALU_DEP_1)
	v_add_co_u32 v8, s7, s33, v8
	v_add_co_ci_u32_e64 v9, s7, s35, v9, s7
	global_load_u16 v8, v[8:9], off
.LBB219_450:                            ;   in Loop: Header=BB219_448 Depth=2
	s_or_b32 exec_lo, exec_lo, s13
	s_and_saveexec_b32 s7, vcc_lo
	s_cbranch_execz .LBB219_447
; %bb.451:                              ;   in Loop: Header=BB219_448 Depth=2
	s_waitcnt vmcnt(0)
	v_cmp_lt_i16_e32 vcc_lo, -1, v8
	v_dual_cndmask_b32 v12, 0xffff, v29 :: v_dual_and_b32 v9, 0xffff, v8
	s_delay_alu instid0(VALU_DEP_1) | instskip(SKIP_1) | instid1(VALU_DEP_1)
	v_xor_b32_e32 v9, v12, v9
	v_lshlrev_b32_e32 v16, 16, v8
	v_cmp_o_f32_e32 vcc_lo, v16, v16
	s_delay_alu instid0(VALU_DEP_3) | instskip(NEXT) | instid1(VALU_DEP_1)
	v_cndmask_b32_e32 v9, 0xffff, v9, vcc_lo
	v_and_b32_e32 v9, v9, v30
	s_delay_alu instid0(VALU_DEP_1)
	v_cmp_eq_u32_e32 vcc_lo, v9, v31
	s_and_b32 exec_lo, exec_lo, vcc_lo
	s_cbranch_execz .LBB219_447
; %bb.452:                              ;   in Loop: Header=BB219_448 Depth=2
	v_perm_b32 v8, v8, s85, 0x5040100
	ds_store_b32 v13, v8 offset:3072
	s_branch .LBB219_447
.LBB219_453:                            ;   in Loop: Header=BB219_12 Depth=1
	s_or_b32 exec_lo, exec_lo, s9
	v_lshrrev_b32_e32 v32, 16, v8
	s_and_b32 s13, s12, exec_lo
.LBB219_454:                            ;   in Loop: Header=BB219_12 Depth=1
	s_or_b32 exec_lo, exec_lo, s8
	s_mov_b32 s8, 0
	s_mov_b32 s7, -1
	s_mov_b32 s9, 0
.LBB219_455:                            ;   in Loop: Header=BB219_12 Depth=1
	s_or_not1_b32 s13, s13, exec_lo
.LBB219_456:                            ;   in Loop: Header=BB219_12 Depth=1
	s_or_b32 exec_lo, exec_lo, s69
	s_mov_b32 s26, 0
                                        ; implicit-def: $vgpr7
                                        ; implicit-def: $vgpr4_vgpr5
	s_and_saveexec_b32 s12, s13
	s_cbranch_execz .LBB219_468
; %bb.457:                              ;   in Loop: Header=BB219_12 Depth=1
	v_dual_mov_b32 v4, 1 :: v_dual_mov_b32 v7, 1
	v_mov_b32_e32 v5, 0
	s_xor_b32 s26, s68, -1
	s_delay_alu instid0(SALU_CYCLE_1)
	s_and_saveexec_b32 s13, s26
	s_cbranch_execz .LBB219_467
; %bb.458:                              ;   in Loop: Header=BB219_12 Depth=1
	s_mov_b32 s26, exec_lo
                                        ; implicit-def: $sgpr68
	v_cmpx_ge_u64_e64 s[10:11], v[2:3]
	s_xor_b32 s26, exec_lo, s26
	s_cbranch_execz .LBB219_464
; %bb.459:                              ;   in Loop: Header=BB219_12 Depth=1
	ds_load_b64 v[4:5], v13 offset:5120
	s_waitcnt lgkmcnt(0)
	v_cmp_ne_u64_e32 vcc_lo, 0, v[4:5]
	s_cbranch_vccnz .LBB219_463
; %bb.460:                              ;   in Loop: Header=BB219_12 Depth=1
	s_and_saveexec_b32 s68, s5
	s_cbranch_execz .LBB219_462
; %bb.461:                              ;   in Loop: Header=BB219_12 Depth=1
	v_dual_mov_b32 v4, s10 :: v_dual_mov_b32 v5, s11
	ds_store_b64 v13, v[4:5] offset:5128
.LBB219_462:                            ;   in Loop: Header=BB219_12 Depth=1
	s_or_b32 exec_lo, exec_lo, s68
	s_waitcnt lgkmcnt(0)
	s_barrier
	buffer_gl0_inv
.LBB219_463:                            ;   in Loop: Header=BB219_12 Depth=1
	v_and_b32_e32 v31, s21, v31
	v_or_b32_e32 v30, s20, v30
	s_mov_b32 s68, 5
.LBB219_464:                            ;   in Loop: Header=BB219_12 Depth=1
	s_or_saveexec_b32 s20, s26
	v_mov_b32_e32 v7, s68
	s_xor_b32 exec_lo, exec_lo, s20
; %bb.465:                              ;   in Loop: Header=BB219_12 Depth=1
	v_sub_co_u32 v2, vcc_lo, v2, s10
	v_subrev_co_ci_u32_e32 v3, vcc_lo, s11, v3, vcc_lo
	v_mov_b32_e32 v7, 5
; %bb.466:                              ;   in Loop: Header=BB219_12 Depth=1
	s_or_b32 exec_lo, exec_lo, s20
	s_delay_alu instid0(VALU_DEP_2)
	v_dual_mov_b32 v5, v3 :: v_dual_mov_b32 v4, v2
.LBB219_467:                            ;   in Loop: Header=BB219_12 Depth=1
	s_or_b32 exec_lo, exec_lo, s13
	s_delay_alu instid0(SALU_CYCLE_1)
	s_mov_b32 s26, exec_lo
.LBB219_468:                            ;   in Loop: Header=BB219_12 Depth=1
	s_or_b32 exec_lo, exec_lo, s12
	s_delay_alu instid0(VALU_DEP_1)
	v_dual_mov_b32 v2, v4 :: v_dual_mov_b32 v3, v5
	s_or_not1_b32 s12, s26, exec_lo
.LBB219_469:                            ;   in Loop: Header=BB219_12 Depth=1
	s_or_b32 exec_lo, exec_lo, s22
	s_delay_alu instid0(SALU_CYCLE_1)
	s_and_not1_b32 s10, s14, exec_lo
	s_and_b32 s7, s7, exec_lo
	s_and_b32 s8, s8, exec_lo
	s_or_b32 s14, s10, s7
	s_and_not1_b32 s7, s15, exec_lo
	s_and_not1_b32 s10, s66, exec_lo
	s_and_b32 s9, s9, exec_lo
	v_dual_mov_b32 v5, v3 :: v_dual_mov_b32 v4, v2
	s_or_b32 s15, s7, s8
	s_or_b32 s66, s10, s9
	s_and_b32 s26, s12, exec_lo
.LBB219_470:                            ;   in Loop: Header=BB219_12 Depth=1
	s_or_b32 exec_lo, exec_lo, s67
	s_delay_alu instid0(SALU_CYCLE_1)
	s_and_b32 s14, s14, exec_lo
	s_and_b32 s9, s15, exec_lo
	;; [unrolled: 1-line block ×3, first 2 shown]
	s_or_not1_b32 s7, s26, exec_lo
.LBB219_471:                            ;   in Loop: Header=BB219_12 Depth=1
	s_or_b32 exec_lo, exec_lo, s65
	s_delay_alu instid0(SALU_CYCLE_1)
	s_and_not1_b32 s10, s16, exec_lo
	s_and_b32 s11, s14, exec_lo
	s_and_b32 s9, s9, exec_lo
	s_or_b32 s16, s10, s11
	s_and_not1_b32 s10, s17, exec_lo
	s_and_not1_b32 s11, s63, exec_lo
	s_and_b32 s8, s8, exec_lo
	v_dual_mov_b32 v2, v4 :: v_dual_mov_b32 v3, v5
	s_or_b32 s17, s10, s9
	s_or_b32 s63, s11, s8
	s_and_b32 s26, s7, exec_lo
.LBB219_472:                            ;   in Loop: Header=BB219_12 Depth=1
	s_or_b32 exec_lo, exec_lo, s64
	s_delay_alu instid0(SALU_CYCLE_1)
	s_and_b32 s16, s16, exec_lo
	s_and_b32 s9, s17, exec_lo
	;; [unrolled: 1-line block ×3, first 2 shown]
	s_or_not1_b32 s17, s26, exec_lo
.LBB219_473:                            ;   in Loop: Header=BB219_12 Depth=1
	s_or_b32 exec_lo, exec_lo, s62
	s_mov_b32 s7, s25
	s_mov_b32 s10, s24
	s_and_saveexec_b32 s11, s17
; %bb.474:                              ;   in Loop: Header=BB219_12 Depth=1
	v_cmp_eq_u32_e32 vcc_lo, 5, v7
	v_cmp_ne_u32_e64 s7, 5, v7
	s_and_not1_b32 s10, s24, exec_lo
	s_and_not1_b32 s12, s25, exec_lo
	;; [unrolled: 1-line block ×3, first 2 shown]
	s_and_b32 s13, vcc_lo, exec_lo
	s_and_b32 s7, s7, exec_lo
	s_and_not1_b32 s9, s9, exec_lo
	s_and_not1_b32 s8, s8, exec_lo
	s_or_b32 s10, s10, s7
	s_or_b32 s7, s12, s13
; %bb.475:                              ;   in Loop: Header=BB219_12 Depth=1
	s_or_b32 exec_lo, exec_lo, s11
	s_delay_alu instid0(SALU_CYCLE_1)
	s_and_not1_b32 s11, s18, exec_lo
	s_and_b32 s12, s16, exec_lo
	s_and_b32 s9, s9, exec_lo
	s_or_b32 s18, s11, s12
	s_and_not1_b32 s11, s19, exec_lo
	s_and_not1_b32 s12, s23, exec_lo
	s_and_b32 s8, s8, exec_lo
	v_dual_mov_b32 v8, v31 :: v_dual_mov_b32 v9, v30
	v_mov_b32_e32 v6, v32
	s_or_b32 s19, s11, s9
	s_or_b32 s23, s12, s8
	s_and_not1_b32 s8, s24, exec_lo
	s_and_b32 s9, s10, exec_lo
	s_and_not1_b32 s10, s25, exec_lo
	s_and_b32 s7, s7, exec_lo
	s_or_b32 s24, s8, s9
	s_or_b32 s25, s10, s7
.LBB219_476:                            ;   in Loop: Header=BB219_12 Depth=1
	s_or_b32 exec_lo, exec_lo, s58
	s_mov_b32 s62, s23
	s_mov_b32 s58, s23
	s_and_saveexec_b32 s7, s25
.LBB219_477:                            ;   in Loop: Header=BB219_12 Depth=1
	v_mov_b32_e32 v7, 0
	s_and_not1_b32 s23, s23, exec_lo
	s_and_not1_b32 s18, s18, exec_lo
	;; [unrolled: 1-line block ×5, first 2 shown]
	s_or_b32 s24, s24, exec_lo
.LBB219_478:                            ;   in Loop: Header=BB219_12 Depth=1
	s_or_b32 exec_lo, exec_lo, s7
	s_delay_alu instid0(SALU_CYCLE_1)
	s_and_not1_b32 s7, s96, exec_lo
	s_and_b32 s9, s23, exec_lo
	s_and_not1_b32 s10, s93, exec_lo
	s_or_b32 s96, s7, s9
	s_and_not1_b32 s7, s95, exec_lo
	s_and_b32 s9, s18, exec_lo
	s_and_b32 s11, s19, exec_lo
	s_or_b32 s95, s7, s9
	s_or_b32 s93, s10, s11
	s_and_not1_b32 s7, s94, exec_lo
	s_and_b32 s9, s62, exec_lo
	s_and_not1_b32 s10, s92, exec_lo
	s_and_b32 s11, s58, exec_lo
	s_mov_b32 s8, -1
	s_or_b32 s94, s7, s9
	s_or_b32 s92, s10, s11
                                        ; implicit-def: $vgpr30
                                        ; implicit-def: $vgpr31
                                        ; implicit-def: $vgpr16_vgpr17
                                        ; implicit-def: $vgpr32
	s_and_saveexec_b32 s7, s24
	s_delay_alu instid0(SALU_CYCLE_1)
	s_xor_b32 s7, exec_lo, s7
	s_cbranch_execz .LBB219_11
; %bb.479:                              ;   in Loop: Header=BB219_12 Depth=1
	s_mov_b32 s9, -1
	s_mov_b32 s10, exec_lo
	v_cmpx_eq_u32_e32 0, v7
	s_cbranch_execz .LBB219_10
; %bb.480:                              ;   in Loop: Header=BB219_12 Depth=1
	s_xor_b32 s87, s87, 1
	s_add_i32 s11, s83, -2
	s_cmp_eq_u32 s83, 0
	s_mov_b32 s83, s11
	s_cselect_b32 s8, -1, 0
	s_xor_b32 s9, exec_lo, -1
	s_or_not1_b32 s8, s8, exec_lo
	s_branch .LBB219_10
.LBB219_481:
	s_or_b32 exec_lo, exec_lo, s84
	s_xor_b32 s7, s91, -1
	s_xor_b32 s9, s89, -1
	;; [unrolled: 1-line block ×5, first 2 shown]
	s_mov_b32 s8, 0
	s_and_saveexec_b32 s12, s11
	s_delay_alu instid0(SALU_CYCLE_1)
	s_xor_b32 s12, exec_lo, s12
	s_cbranch_execz .LBB219_542
; %bb.482:
	s_and_saveexec_b32 s11, s10
	s_delay_alu instid0(SALU_CYCLE_1)
	s_xor_b32 s13, exec_lo, s11
	s_cbranch_execz .LBB219_540
; %bb.483:
	s_and_saveexec_b32 s10, s9
	s_delay_alu instid0(SALU_CYCLE_1)
	s_xor_b32 s14, exec_lo, s10
	s_cbranch_execz .LBB219_538
; %bb.484:
	s_and_saveexec_b32 s9, s7
	s_delay_alu instid0(SALU_CYCLE_1)
	s_xor_b32 s15, exec_lo, s9
	s_cbranch_execz .LBB219_536
; %bb.485:
	s_and_saveexec_b32 s7, s6
	s_delay_alu instid0(SALU_CYCLE_1)
	s_xor_b32 s6, exec_lo, s7
; %bb.486:
	v_and_b32_e32 v2, 0x8000, v8
	v_mov_b32_e32 v3, 0xffff
	s_delay_alu instid0(VALU_DEP_2) | instskip(NEXT) | instid1(VALU_DEP_2)
	v_cmp_eq_u32_e32 vcc_lo, 0, v2
	v_cndmask_b32_e32 v2, 0x8000, v3, vcc_lo
	s_delay_alu instid0(VALU_DEP_1)
	v_xor_b32_e32 v6, v2, v8
; %bb.487:
	s_or_b32 exec_lo, exec_lo, s6
	s_and_saveexec_b32 s6, s5
	s_cbranch_execz .LBB219_489
; %bb.488:
	v_mov_b32_e32 v2, 0
	s_delay_alu instid0(VALU_DEP_1)
	v_mov_b32_e32 v3, v2
	ds_store_b64 v2, v[2:3] offset:5136
.LBB219_489:
	s_or_b32 exec_lo, exec_lo, s6
	v_mov_b32_e32 v16, 0
	s_waitcnt lgkmcnt(0)
	s_barrier
	buffer_gl0_inv
	s_and_saveexec_b32 s5, s4
	s_cbranch_execz .LBB219_491
; %bb.490:
	global_load_u16 v16, v[10:11], off
.LBB219_491:
	s_or_b32 exec_lo, exec_lo, s5
	s_load_b128 s[24:27], s[0:1], 0x298
	s_add_u32 s5, s36, 31
	s_mul_i32 s8, s48, s51
	s_addc_u32 s7, s37, 0
	s_and_b32 s6, s5, 0xffffffe0
	s_mul_hi_u32 s5, s48, s50
	s_mul_i32 s9, s48, s50
	s_add_i32 s5, s5, s8
	s_sub_u32 s8, s34, s9
	s_subb_u32 s5, 0, s5
	v_dual_mov_b32 v15, 0x8000 :: v_dual_lshlrev_b32 v4, 16, v6
	v_cmp_lt_i16_e32 vcc_lo, -1, v6
	v_and_b32_e32 v2, 0xffff, v6
	s_mul_hi_u32 s22, s52, s44
	s_mov_b32 s21, -1
	v_cndmask_b32_e32 v3, 0xffff, v15, vcc_lo
	v_cmp_o_f32_e32 vcc_lo, v4, v4
	s_waitcnt lgkmcnt(0)
	s_mul_i32 s9, s8, s27
	s_mul_hi_u32 s10, s8, s26
	s_mul_i32 s5, s5, s26
	s_add_i32 s9, s10, s9
	s_mul_i32 s10, s48, s25
	s_mul_hi_u32 s11, s48, s24
	s_add_i32 s17, s9, s5
	s_mul_i32 s5, s52, s29
	s_mul_hi_u32 s9, s52, s28
	s_add_i32 s19, s11, s10
	s_mul_i32 s10, s52, s28
	s_add_i32 s9, s9, s5
	s_sub_u32 s20, s34, s10
	s_mul_i32 s16, s8, s26
	s_mul_i32 s5, s20, s47
	s_mul_hi_u32 s8, s20, s46
	s_subb_u32 s9, 0, s9
	s_add_i32 s5, s8, s5
	s_mul_i32 s9, s9, s46
	s_mul_i32 s18, s48, s24
	s_add_i32 s23, s5, s9
	s_clause 0x1
	s_load_b64 s[8:9], s[0:1], 0x368
	s_load_b64 s[10:11], s[0:1], 0x510
	s_mul_i32 s5, s52, s45
	s_lshl_b64 s[0:1], s[18:19], 1
	s_add_i32 s19, s22, s5
	s_add_u32 s5, s42, s0
	v_xor_b32_e32 v2, v3, v2
	s_addc_u32 s22, s43, s1
	s_lshl_b64 s[0:1], s[16:17], 1
	s_mul_i32 s18, s52, s44
	s_add_u32 s5, s5, s0
	s_addc_u32 s16, s22, s1
	s_lshl_b64 s[0:1], s[18:19], 3
	s_mul_i32 s22, s20, s46
	v_cndmask_b32_e32 v14, 0xffff, v2, vcc_lo
	s_add_u32 s17, s40, s0
	v_cmp_gt_u64_e32 vcc_lo, s[6:7], v[0:1]
	s_addc_u32 s18, s41, s1
	s_lshl_b64 s[0:1], s[22:23], 3
	s_mov_b32 s19, 0
	s_add_u32 s17, s17, s0
	s_addc_u32 s18, s18, s1
	s_mov_b32 s1, 0
	s_and_saveexec_b32 s20, vcc_lo
	s_cbranch_execz .LBB219_509
; %bb.492:
	v_mov_b32_e32 v9, v1
	v_dual_mov_b32 v3, 0 :: v_dual_mov_b32 v8, v0
	s_mov_b32 s21, 0
                                        ; implicit-def: $sgpr22
                                        ; implicit-def: $vgpr6_vgpr7
	s_branch .LBB219_494
.LBB219_493:                            ;   in Loop: Header=BB219_494 Depth=1
	s_or_b32 exec_lo, exec_lo, s23
	s_xor_b32 s0, s25, -1
	s_and_b32 s1, exec_lo, s1
	v_dual_mov_b32 v9, v5 :: v_dual_mov_b32 v8, v4
	s_or_b32 s21, s1, s21
	s_waitcnt vmcnt(0)
	v_mov_b32_e32 v16, v17
	s_and_not1_b32 s1, s22, exec_lo
	s_and_b32 s0, s0, exec_lo
	s_delay_alu instid0(SALU_CYCLE_1)
	s_or_b32 s22, s1, s0
	s_and_not1_b32 exec_lo, exec_lo, s21
	s_cbranch_execz .LBB219_508
.LBB219_494:                            ; =>This Inner Loop Header: Depth=1
	s_delay_alu instid0(VALU_DEP_1) | instskip(NEXT) | instid1(VALU_DEP_1)
	v_add_co_u32 v4, s0, v8, s49
	v_add_co_ci_u32_e64 v5, s0, 0, v9, s0
	v_mov_b32_e32 v17, 0
	s_mov_b32 s1, exec_lo
	s_delay_alu instid0(VALU_DEP_2)
	v_cmpx_gt_u64_e64 s[36:37], v[4:5]
	s_cbranch_execz .LBB219_496
; %bb.495:                              ;   in Loop: Header=BB219_494 Depth=1
	v_mul_lo_u32 v2, v5, s30
	v_mul_lo_u32 v17, v4, s31
	v_mad_u64_u32 v[12:13], null, v4, s30, 0
	s_delay_alu instid0(VALU_DEP_1) | instskip(NEXT) | instid1(VALU_DEP_1)
	v_add3_u32 v13, v13, v17, v2
	v_lshlrev_b64 v[12:13], 1, v[12:13]
	s_delay_alu instid0(VALU_DEP_1) | instskip(NEXT) | instid1(VALU_DEP_1)
	v_add_co_u32 v12, s0, s33, v12
	v_add_co_ci_u32_e64 v13, s0, s35, v13, s0
	global_load_u16 v17, v[12:13], off
.LBB219_496:                            ;   in Loop: Header=BB219_494 Depth=1
	s_or_b32 exec_lo, exec_lo, s1
	s_mov_b32 s23, 0
	s_mov_b32 s1, exec_lo
	v_cmpx_gt_u64_e64 s[36:37], v[8:9]
	s_cbranch_execz .LBB219_498
; %bb.497:                              ;   in Loop: Header=BB219_494 Depth=1
	s_waitcnt vmcnt(0)
	v_cmp_lt_i16_e64 s0, -1, v16
	v_and_b32_e32 v2, 0xffff, v16
	v_lshlrev_b32_e32 v13, 16, v16
	s_delay_alu instid0(VALU_DEP_3) | instskip(NEXT) | instid1(VALU_DEP_2)
	v_cndmask_b32_e64 v12, 0xffff, v15, s0
	v_cmp_o_f32_e64 s0, v13, v13
	s_delay_alu instid0(VALU_DEP_2) | instskip(NEXT) | instid1(VALU_DEP_1)
	v_xor_b32_e32 v2, v12, v2
	v_cndmask_b32_e64 v2, 0xffff, v2, s0
	s_delay_alu instid0(VALU_DEP_1) | instskip(NEXT) | instid1(VALU_DEP_1)
	v_cmp_gt_u32_e64 s0, v2, v14
	v_cndmask_b32_e64 v12, 0, 1, s0
	v_cmp_lt_u32_e64 s0, v2, v14
	s_delay_alu instid0(VALU_DEP_1) | instskip(NEXT) | instid1(VALU_DEP_1)
	v_cndmask_b32_e64 v2, 0, 1, s0
	v_cndmask_b32_e64 v2, v2, v12, s3
	s_delay_alu instid0(VALU_DEP_1) | instskip(NEXT) | instid1(VALU_DEP_1)
	v_and_b32_e32 v2, 1, v2
	v_cmp_eq_u32_e64 s0, 1, v2
	s_delay_alu instid0(VALU_DEP_1)
	s_and_b32 s23, s0, exec_lo
.LBB219_498:                            ;   in Loop: Header=BB219_494 Depth=1
	s_or_b32 exec_lo, exec_lo, s1
	v_cndmask_b32_e64 v2, 0, 1, s23
	s_delay_alu instid0(VALU_DEP_1) | instskip(NEXT) | instid1(VALU_DEP_1)
	v_cmp_ne_u32_e64 s0, 0, v2
	s_cmp_lg_u32 s0, 0
	s_cselect_b32 s1, -1, 0
	s_delay_alu instid0(SALU_CYCLE_1) | instskip(NEXT) | instid1(SALU_CYCLE_1)
	s_and_b32 s1, s2, s1
	s_and_saveexec_b32 s24, s1
	s_cbranch_execz .LBB219_502
; %bb.499:                              ;   in Loop: Header=BB219_494 Depth=1
	s_mov_b32 s27, exec_lo
	s_bcnt1_i32_b32 s25, s0
	v_mbcnt_lo_u32_b32 v12, s27, 0
	s_mov_b32 s26, exec_lo
                                        ; implicit-def: $vgpr6_vgpr7
	s_delay_alu instid0(VALU_DEP_1)
	v_cmpx_eq_u32_e32 0, v12
	s_cbranch_execz .LBB219_501
; %bb.500:                              ;   in Loop: Header=BB219_494 Depth=1
	s_bcnt1_i32_b32 s1, s27
	s_delay_alu instid0(SALU_CYCLE_1) | instskip(NEXT) | instid1(SALU_CYCLE_1)
	s_mul_i32 s1, s25, s1
	v_mov_b32_e32 v2, s1
	s_waitcnt lgkmcnt(0)
	ds_add_rtn_u64 v[6:7], v3, v[2:3] offset:5136
.LBB219_501:                            ;   in Loop: Header=BB219_494 Depth=1
	s_or_b32 exec_lo, exec_lo, s26
	s_waitcnt lgkmcnt(0)
	v_readfirstlane_b32 s27, v7
	v_readfirstlane_b32 s26, v6
	s_delay_alu instid0(VALU_DEP_1)
	v_mad_u64_u32 v[6:7], null, s25, v12, s[26:27]
.LBB219_502:                            ;   in Loop: Header=BB219_494 Depth=1
	s_or_b32 exec_lo, exec_lo, s24
	s_waitcnt lgkmcnt(0)
	ds_bpermute_b32 v6, v3, v6
	ds_bpermute_b32 v7, v3, v7
	s_mov_b32 s1, -1
	s_mov_b32 s26, -1
                                        ; implicit-def: $sgpr25
	s_and_saveexec_b32 s24, s23
	s_cbranch_execz .LBB219_506
; %bb.503:                              ;   in Loop: Header=BB219_494 Depth=1
	v_and_b32_e32 v2, s0, v22
	s_mov_b32 s23, 0
	s_mov_b32 s25, exec_lo
	s_delay_alu instid0(VALU_DEP_1) | instskip(SKIP_1) | instid1(VALU_DEP_1)
	v_bcnt_u32_b32 v2, v2, 0
	s_waitcnt lgkmcnt(0)
	v_add_co_u32 v12, s0, v6, v2
	s_delay_alu instid0(VALU_DEP_1) | instskip(NEXT) | instid1(VALU_DEP_1)
	v_add_co_ci_u32_e64 v13, s0, 0, v7, s0
	v_cmpx_gt_u64_e64 s[38:39], v[12:13]
	s_cbranch_execz .LBB219_505
; %bb.504:                              ;   in Loop: Header=BB219_494 Depth=1
	v_mul_lo_u32 v2, v13, s8
	v_mul_lo_u32 v23, v12, s9
	v_mad_u64_u32 v[18:19], null, v12, s8, 0
	v_mul_lo_u32 v13, v13, s10
	v_mul_lo_u32 v24, v12, s11
	v_mad_u64_u32 v[20:21], null, v12, s10, 0
	s_mov_b32 s23, exec_lo
	s_delay_alu instid0(VALU_DEP_4) | instskip(NEXT) | instid1(VALU_DEP_2)
	v_add3_u32 v19, v19, v23, v2
	v_add3_u32 v21, v21, v24, v13
	s_delay_alu instid0(VALU_DEP_2) | instskip(NEXT) | instid1(VALU_DEP_2)
	v_lshlrev_b64 v[12:13], 1, v[18:19]
	v_lshlrev_b64 v[18:19], 3, v[20:21]
	s_delay_alu instid0(VALU_DEP_2) | instskip(NEXT) | instid1(VALU_DEP_1)
	v_add_co_u32 v12, s0, s5, v12
	v_add_co_ci_u32_e64 v13, s0, s16, v13, s0
	s_delay_alu instid0(VALU_DEP_3) | instskip(NEXT) | instid1(VALU_DEP_1)
	v_add_co_u32 v18, s0, s17, v18
	v_add_co_ci_u32_e64 v19, s0, s18, v19, s0
	s_waitcnt vmcnt(0)
	global_store_b16 v[12:13], v16, off
	global_store_b64 v[18:19], v[8:9], off
.LBB219_505:                            ;   in Loop: Header=BB219_494 Depth=1
	s_or_b32 exec_lo, exec_lo, s25
	s_mov_b32 s25, -1
	s_or_not1_b32 s26, s23, exec_lo
.LBB219_506:                            ;   in Loop: Header=BB219_494 Depth=1
	s_or_b32 exec_lo, exec_lo, s24
	s_and_saveexec_b32 s23, s26
	s_cbranch_execz .LBB219_493
; %bb.507:                              ;   in Loop: Header=BB219_494 Depth=1
	v_cmp_le_u64_e64 s0, s[6:7], v[4:5]
	s_and_not1_b32 s25, s25, exec_lo
	s_delay_alu instid0(VALU_DEP_1)
	s_or_not1_b32 s1, s0, exec_lo
	s_branch .LBB219_493
.LBB219_508:
	s_or_b32 exec_lo, exec_lo, s21
	s_delay_alu instid0(SALU_CYCLE_1)
	s_mov_b32 s1, exec_lo
	s_or_not1_b32 s21, s22, exec_lo
.LBB219_509:
	s_or_b32 exec_lo, exec_lo, s20
	s_and_saveexec_b32 s3, s21
	s_cbranch_execz .LBB219_534
; %bb.510:
	v_mov_b32_e32 v12, 0
	s_waitcnt vmcnt(0) lgkmcnt(0)
	s_waitcnt_vscnt null, 0x0
	s_barrier
	buffer_gl0_inv
	s_and_saveexec_b32 s0, s4
	s_cbranch_execz .LBB219_512
; %bb.511:
	global_load_u16 v12, v[10:11], off
.LBB219_512:
	s_or_b32 exec_lo, exec_lo, s0
	s_mov_b32 s0, 0
	s_and_saveexec_b32 s4, vcc_lo
	s_cbranch_execz .LBB219_533
; %bb.513:
	v_dual_mov_b32 v3, 0 :: v_dual_mov_b32 v10, 0x8000
	s_mov_b32 s20, 0
                                        ; implicit-def: $sgpr19
                                        ; implicit-def: $vgpr4_vgpr5
	s_branch .LBB219_516
.LBB219_514:                            ;   in Loop: Header=BB219_516 Depth=1
	s_or_b32 exec_lo, exec_lo, s21
	s_waitcnt vmcnt(0)
	v_mov_b32_e32 v12, v11
	v_dual_mov_b32 v0, v6 :: v_dual_mov_b32 v1, v7
	s_or_not1_b32 s23, s23, exec_lo
	s_or_not1_b32 s22, s22, exec_lo
.LBB219_515:                            ;   in Loop: Header=BB219_516 Depth=1
	s_or_b32 exec_lo, exec_lo, s0
	s_xor_b32 s0, s23, -1
	s_and_b32 s21, exec_lo, s22
	s_delay_alu instid0(SALU_CYCLE_1) | instskip(SKIP_2) | instid1(SALU_CYCLE_1)
	s_or_b32 s20, s21, s20
	s_and_not1_b32 s19, s19, exec_lo
	s_and_b32 s0, s0, exec_lo
	s_or_b32 s19, s19, s0
	s_and_not1_b32 exec_lo, exec_lo, s20
	s_cbranch_execz .LBB219_531
.LBB219_516:                            ; =>This Inner Loop Header: Depth=1
	v_add_co_u32 v6, vcc_lo, v0, s49
	v_add_co_ci_u32_e32 v7, vcc_lo, 0, v1, vcc_lo
	s_waitcnt vmcnt(0)
	v_mov_b32_e32 v11, 0
	s_mov_b32 s0, exec_lo
	s_delay_alu instid0(VALU_DEP_2)
	v_cmpx_gt_u64_e64 s[36:37], v[6:7]
	s_cbranch_execz .LBB219_518
; %bb.517:                              ;   in Loop: Header=BB219_516 Depth=1
	v_mul_lo_u32 v2, v7, s30
	v_mul_lo_u32 v11, v6, s31
	v_mad_u64_u32 v[8:9], null, v6, s30, 0
	s_delay_alu instid0(VALU_DEP_1) | instskip(NEXT) | instid1(VALU_DEP_1)
	v_add3_u32 v9, v9, v11, v2
	v_lshlrev_b64 v[8:9], 1, v[8:9]
	s_delay_alu instid0(VALU_DEP_1) | instskip(NEXT) | instid1(VALU_DEP_2)
	v_add_co_u32 v8, vcc_lo, s33, v8
	v_add_co_ci_u32_e32 v9, vcc_lo, s35, v9, vcc_lo
	global_load_u16 v11, v[8:9], off
.LBB219_518:                            ;   in Loop: Header=BB219_516 Depth=1
	s_or_b32 exec_lo, exec_lo, s0
	s_mov_b32 s21, 0
	s_mov_b32 s0, exec_lo
	v_cmpx_gt_u64_e64 s[36:37], v[0:1]
	s_cbranch_execz .LBB219_520
; %bb.519:                              ;   in Loop: Header=BB219_516 Depth=1
	s_waitcnt vmcnt(0)
	v_cmp_lt_i16_e32 vcc_lo, -1, v12
	v_and_b32_e32 v2, 0xffff, v12
	v_dual_cndmask_b32 v8, 0xffff, v10 :: v_dual_lshlrev_b32 v9, 16, v12
	s_delay_alu instid0(VALU_DEP_1) | instskip(NEXT) | instid1(VALU_DEP_2)
	v_cmp_o_f32_e32 vcc_lo, v9, v9
	v_xor_b32_e32 v2, v8, v2
	s_delay_alu instid0(VALU_DEP_1) | instskip(NEXT) | instid1(VALU_DEP_1)
	v_cndmask_b32_e32 v2, 0xffff, v2, vcc_lo
	v_cmp_eq_u32_e32 vcc_lo, v2, v14
	s_and_b32 s21, vcc_lo, exec_lo
.LBB219_520:                            ;   in Loop: Header=BB219_516 Depth=1
	s_or_b32 exec_lo, exec_lo, s0
	v_cndmask_b32_e64 v2, 0, 1, s21
	s_delay_alu instid0(VALU_DEP_1) | instskip(SKIP_2) | instid1(SALU_CYCLE_1)
	v_cmp_ne_u32_e32 vcc_lo, 0, v2
	s_cmp_lg_u32 vcc_lo, 0
	s_cselect_b32 s0, -1, 0
	s_and_b32 s0, s2, s0
	s_delay_alu instid0(SALU_CYCLE_1)
	s_and_saveexec_b32 s22, s0
	s_cbranch_execz .LBB219_524
; %bb.521:                              ;   in Loop: Header=BB219_516 Depth=1
	s_mov_b32 s25, exec_lo
	s_bcnt1_i32_b32 s23, vcc_lo
	v_mbcnt_lo_u32_b32 v8, s25, 0
	s_mov_b32 s24, exec_lo
                                        ; implicit-def: $vgpr4_vgpr5
	s_delay_alu instid0(VALU_DEP_1)
	v_cmpx_eq_u32_e32 0, v8
	s_cbranch_execz .LBB219_523
; %bb.522:                              ;   in Loop: Header=BB219_516 Depth=1
	s_bcnt1_i32_b32 s0, s25
	s_delay_alu instid0(SALU_CYCLE_1) | instskip(NEXT) | instid1(SALU_CYCLE_1)
	s_mul_i32 s0, s23, s0
	v_mov_b32_e32 v2, s0
	ds_add_rtn_u64 v[4:5], v3, v[2:3] offset:5136
.LBB219_523:                            ;   in Loop: Header=BB219_516 Depth=1
	s_or_b32 exec_lo, exec_lo, s24
	s_waitcnt lgkmcnt(0)
	v_readfirstlane_b32 s25, v5
	v_readfirstlane_b32 s24, v4
	s_delay_alu instid0(VALU_DEP_1)
	v_mad_u64_u32 v[4:5], null, s23, v8, s[24:25]
.LBB219_524:                            ;   in Loop: Header=BB219_516 Depth=1
	s_or_b32 exec_lo, exec_lo, s22
	ds_bpermute_b32 v4, v3, v4
	ds_bpermute_b32 v5, v3, v5
	s_cmp_eq_u32 vcc_lo, 0
	s_mov_b32 s22, -1
	s_cselect_b32 s23, -1, 0
	s_waitcnt lgkmcnt(0)
	v_cmp_gt_u64_e64 s0, s[38:39], v[4:5]
	s_delay_alu instid0(VALU_DEP_1)
	s_or_b32 s24, s23, s0
	s_mov_b32 s23, -1
	s_and_saveexec_b32 s0, s24
	s_cbranch_execz .LBB219_515
; %bb.525:                              ;   in Loop: Header=BB219_516 Depth=1
	v_and_b32_e32 v2, vcc_lo, v22
	v_sub_co_u32 v8, vcc_lo, s38, v4
	v_sub_co_ci_u32_e32 v9, vcc_lo, s39, v5, vcc_lo
	s_delay_alu instid0(VALU_DEP_3) | instskip(SKIP_1) | instid1(VALU_DEP_1)
	v_bcnt_u32_b32 v2, v2, 0
	s_mov_b32 s24, -1
	v_bcnt_u32_b32 v2, 0, v2
	s_delay_alu instid0(VALU_DEP_1) | instskip(SKIP_1) | instid1(SALU_CYCLE_1)
	v_cmp_gt_u64_e32 vcc_lo, v[8:9], v[2:3]
	s_and_b32 s25, s21, vcc_lo
	s_and_saveexec_b32 s21, s25
	s_cbranch_execz .LBB219_529
; %bb.526:                              ;   in Loop: Header=BB219_516 Depth=1
	v_add_co_u32 v8, vcc_lo, v4, v2
	v_add_co_ci_u32_e32 v9, vcc_lo, 0, v5, vcc_lo
	s_mov_b32 s24, 0
	s_mov_b32 s23, exec_lo
	s_delay_alu instid0(VALU_DEP_1)
	v_cmpx_gt_u64_e64 s[38:39], v[8:9]
	s_cbranch_execz .LBB219_528
; %bb.527:                              ;   in Loop: Header=BB219_516 Depth=1
	v_mul_lo_u32 v2, v9, s8
	v_mul_lo_u32 v13, v8, s9
	v_mad_u64_u32 v[15:16], null, v8, s8, 0
	v_mul_lo_u32 v9, v9, s10
	v_mul_lo_u32 v19, v8, s11
	v_mad_u64_u32 v[17:18], null, v8, s10, 0
	s_mov_b32 s24, exec_lo
	s_delay_alu instid0(VALU_DEP_4) | instskip(NEXT) | instid1(VALU_DEP_2)
	v_add3_u32 v16, v16, v13, v2
	v_add3_u32 v18, v18, v19, v9
	s_delay_alu instid0(VALU_DEP_2) | instskip(NEXT) | instid1(VALU_DEP_2)
	v_lshlrev_b64 v[8:9], 1, v[15:16]
	v_lshlrev_b64 v[15:16], 3, v[17:18]
	s_delay_alu instid0(VALU_DEP_2) | instskip(NEXT) | instid1(VALU_DEP_3)
	v_add_co_u32 v8, vcc_lo, s5, v8
	v_add_co_ci_u32_e32 v9, vcc_lo, s16, v9, vcc_lo
	s_delay_alu instid0(VALU_DEP_3) | instskip(NEXT) | instid1(VALU_DEP_4)
	v_add_co_u32 v15, vcc_lo, s17, v15
	v_add_co_ci_u32_e32 v16, vcc_lo, s18, v16, vcc_lo
	s_waitcnt vmcnt(0)
	global_store_b16 v[8:9], v12, off
	global_store_b64 v[15:16], v[0:1], off
.LBB219_528:                            ;   in Loop: Header=BB219_516 Depth=1
	s_or_b32 exec_lo, exec_lo, s23
	s_delay_alu instid0(SALU_CYCLE_1)
	s_xor_b32 s23, exec_lo, -1
	s_or_not1_b32 s24, s24, exec_lo
.LBB219_529:                            ;   in Loop: Header=BB219_516 Depth=1
	s_or_b32 exec_lo, exec_lo, s21
	s_and_saveexec_b32 s21, s24
	s_cbranch_execz .LBB219_514
; %bb.530:                              ;   in Loop: Header=BB219_516 Depth=1
	v_cmp_le_u64_e32 vcc_lo, s[6:7], v[6:7]
	s_or_b32 s23, s23, exec_lo
	s_or_not1_b32 s22, vcc_lo, exec_lo
	s_branch .LBB219_514
.LBB219_531:
	s_or_b32 exec_lo, exec_lo, s20
	s_mov_b32 s0, 0
	s_and_saveexec_b32 s2, s19
	s_delay_alu instid0(SALU_CYCLE_1)
	s_xor_b32 s2, exec_lo, s2
	s_cbranch_execnz .LBB219_566
.LBB219_532:
	s_or_b32 exec_lo, exec_lo, s2
	s_delay_alu instid0(SALU_CYCLE_1)
	s_and_b32 s0, s0, exec_lo
.LBB219_533:
	s_or_b32 exec_lo, exec_lo, s4
	s_delay_alu instid0(SALU_CYCLE_1)
	s_and_b32 s19, s0, exec_lo
	s_and_not1_b32 s1, s1, exec_lo
.LBB219_534:
	s_or_b32 exec_lo, exec_lo, s3
	s_and_saveexec_b32 s0, s1
	s_delay_alu instid0(SALU_CYCLE_1)
	s_xor_b32 s0, exec_lo, s0
	s_cbranch_execnz .LBB219_560
.LBB219_535:
	s_or_b32 exec_lo, exec_lo, s0
	s_waitcnt lgkmcnt(0)
	s_and_b32 s8, s19, exec_lo
.LBB219_536:
	s_and_not1_saveexec_b32 s0, s15
	s_cbranch_execnz .LBB219_556
.LBB219_537:
	s_or_b32 exec_lo, exec_lo, s0
	s_delay_alu instid0(SALU_CYCLE_1)
	s_and_b32 s8, s8, exec_lo
.LBB219_538:
	s_and_not1_saveexec_b32 s0, s14
	s_cbranch_execnz .LBB219_552
.LBB219_539:
	s_or_b32 exec_lo, exec_lo, s0
	s_delay_alu instid0(SALU_CYCLE_1)
	s_and_b32 s8, s8, exec_lo
.LBB219_540:
	s_and_not1_saveexec_b32 s0, s13
	s_cbranch_execnz .LBB219_548
.LBB219_541:
	s_or_b32 exec_lo, exec_lo, s0
	s_delay_alu instid0(SALU_CYCLE_1)
	s_and_b32 s8, s8, exec_lo
.LBB219_542:
	s_and_not1_saveexec_b32 s0, s12
	s_cbranch_execnz .LBB219_546
; %bb.543:
	s_or_b32 exec_lo, exec_lo, s0
	s_and_saveexec_b32 s0, s8
.LBB219_544:
	; divergent unreachable
.LBB219_545:
	s_nop 0
	s_sendmsg sendmsg(MSG_DEALLOC_VGPRS)
	s_endpgm
.LBB219_546:
	s_cbranch_execnz .LBB219_550
; %bb.547:
	s_or_b32 s8, s8, exec_lo
	s_or_b32 exec_lo, exec_lo, s0
	s_and_saveexec_b32 s0, s8
	s_cbranch_execnz .LBB219_544
	s_branch .LBB219_545
.LBB219_548:
	s_cbranch_execnz .LBB219_554
; %bb.549:
	s_or_b32 s8, s8, exec_lo
	s_branch .LBB219_541
.LBB219_550:
	s_trap 2
	s_sendmsg_rtn_b32 s0, sendmsg(MSG_RTN_GET_DOORBELL)
	s_mov_b32 ttmp2, m0
	s_waitcnt lgkmcnt(0)
	s_and_b32 s0, s0, 0x3ff
	s_delay_alu instid0(SALU_CYCLE_1) | instskip(NEXT) | instid1(SALU_CYCLE_1)
	s_bitset1_b32 s0, 10
	s_mov_b32 m0, s0
	s_sendmsg sendmsg(MSG_INTERRUPT)
	s_mov_b32 m0, ttmp2
.LBB219_551:                            ; =>This Inner Loop Header: Depth=1
	s_sethalt 5
	s_branch .LBB219_551
.LBB219_552:
	s_cbranch_execnz .LBB219_558
; %bb.553:
	s_or_b32 s8, s8, exec_lo
	s_branch .LBB219_539
.LBB219_554:
	s_trap 2
	s_sendmsg_rtn_b32 s0, sendmsg(MSG_RTN_GET_DOORBELL)
	s_mov_b32 ttmp2, m0
	s_waitcnt lgkmcnt(0)
	s_and_b32 s0, s0, 0x3ff
	s_delay_alu instid0(SALU_CYCLE_1) | instskip(NEXT) | instid1(SALU_CYCLE_1)
	s_bitset1_b32 s0, 10
	s_mov_b32 m0, s0
	s_sendmsg sendmsg(MSG_INTERRUPT)
	s_mov_b32 m0, ttmp2
.LBB219_555:                            ; =>This Inner Loop Header: Depth=1
	s_sethalt 5
	s_branch .LBB219_555
.LBB219_556:
	s_cbranch_execnz .LBB219_562
; %bb.557:
	s_or_b32 s8, s8, exec_lo
	s_branch .LBB219_537
.LBB219_558:
	s_trap 2
	s_sendmsg_rtn_b32 s0, sendmsg(MSG_RTN_GET_DOORBELL)
	s_mov_b32 ttmp2, m0
	s_waitcnt lgkmcnt(0)
	s_and_b32 s0, s0, 0x3ff
	s_delay_alu instid0(SALU_CYCLE_1) | instskip(NEXT) | instid1(SALU_CYCLE_1)
	s_bitset1_b32 s0, 10
	s_mov_b32 m0, s0
	s_sendmsg sendmsg(MSG_INTERRUPT)
	s_mov_b32 m0, ttmp2
.LBB219_559:                            ; =>This Inner Loop Header: Depth=1
	s_sethalt 5
	s_branch .LBB219_559
.LBB219_560:
	s_cbranch_execnz .LBB219_564
; %bb.561:
	s_or_b32 s19, s19, exec_lo
	s_branch .LBB219_535
.LBB219_562:
	s_trap 2
	s_sendmsg_rtn_b32 s0, sendmsg(MSG_RTN_GET_DOORBELL)
	s_mov_b32 ttmp2, m0
	s_waitcnt lgkmcnt(0)
	s_and_b32 s0, s0, 0x3ff
	s_delay_alu instid0(SALU_CYCLE_1) | instskip(NEXT) | instid1(SALU_CYCLE_1)
	s_bitset1_b32 s0, 10
	s_mov_b32 m0, s0
	s_sendmsg sendmsg(MSG_INTERRUPT)
	s_mov_b32 m0, ttmp2
.LBB219_563:                            ; =>This Inner Loop Header: Depth=1
	s_sethalt 5
	s_branch .LBB219_563
.LBB219_564:
	s_trap 2
	s_sendmsg_rtn_b32 s0, sendmsg(MSG_RTN_GET_DOORBELL)
	s_mov_b32 ttmp2, m0
	s_waitcnt lgkmcnt(0)
	s_and_b32 s0, s0, 0x3ff
	s_delay_alu instid0(SALU_CYCLE_1) | instskip(NEXT) | instid1(SALU_CYCLE_1)
	s_bitset1_b32 s0, 10
	s_mov_b32 m0, s0
	s_sendmsg sendmsg(MSG_INTERRUPT)
	s_mov_b32 m0, ttmp2
.LBB219_565:                            ; =>This Inner Loop Header: Depth=1
	s_sethalt 5
	s_branch .LBB219_565
.LBB219_566:
	s_cbranch_execnz .LBB219_568
; %bb.567:
	s_mov_b32 s0, exec_lo
	s_branch .LBB219_532
.LBB219_568:
	s_trap 2
	s_sendmsg_rtn_b32 s0, sendmsg(MSG_RTN_GET_DOORBELL)
	s_mov_b32 ttmp2, m0
	s_waitcnt lgkmcnt(0)
	s_and_b32 s0, s0, 0x3ff
	s_delay_alu instid0(SALU_CYCLE_1) | instskip(NEXT) | instid1(SALU_CYCLE_1)
	s_bitset1_b32 s0, 10
	s_mov_b32 m0, s0
	s_sendmsg sendmsg(MSG_INTERRUPT)
	s_mov_b32 m0, ttmp2
.LBB219_569:                            ; =>This Inner Loop Header: Depth=1
	s_sethalt 5
	s_branch .LBB219_569
	.section	.rodata,"a",@progbits
	.p2align	6, 0x0
	.amdhsa_kernel _ZN2at6native6sbtopk10gatherTopKIN3c108BFloat16EmLi2ELb0EEEvNS_4cuda6detail10TensorInfoIKT_T0_EESA_SA_bSA_SA_NS7_IS8_SA_EESA_NS7_IlSA_EESA_PS8_
		.amdhsa_group_segment_fixed_size 5152
		.amdhsa_private_segment_fixed_size 0
		.amdhsa_kernarg_size 1568
		.amdhsa_user_sgpr_count 13
		.amdhsa_user_sgpr_dispatch_ptr 0
		.amdhsa_user_sgpr_queue_ptr 0
		.amdhsa_user_sgpr_kernarg_segment_ptr 1
		.amdhsa_user_sgpr_dispatch_id 0
		.amdhsa_user_sgpr_private_segment_size 0
		.amdhsa_wavefront_size32 1
		.amdhsa_uses_dynamic_stack 0
		.amdhsa_enable_private_segment 0
		.amdhsa_system_sgpr_workgroup_id_x 1
		.amdhsa_system_sgpr_workgroup_id_y 1
		.amdhsa_system_sgpr_workgroup_id_z 1
		.amdhsa_system_sgpr_workgroup_info 0
		.amdhsa_system_vgpr_workitem_id 0
		.amdhsa_next_free_vgpr 37
		.amdhsa_next_free_sgpr 105
		.amdhsa_reserve_vcc 1
		.amdhsa_float_round_mode_32 0
		.amdhsa_float_round_mode_16_64 0
		.amdhsa_float_denorm_mode_32 3
		.amdhsa_float_denorm_mode_16_64 3
		.amdhsa_dx10_clamp 1
		.amdhsa_ieee_mode 1
		.amdhsa_fp16_overflow 0
		.amdhsa_workgroup_processor_mode 1
		.amdhsa_memory_ordered 1
		.amdhsa_forward_progress 0
		.amdhsa_shared_vgpr_count 0
		.amdhsa_exception_fp_ieee_invalid_op 0
		.amdhsa_exception_fp_denorm_src 0
		.amdhsa_exception_fp_ieee_div_zero 0
		.amdhsa_exception_fp_ieee_overflow 0
		.amdhsa_exception_fp_ieee_underflow 0
		.amdhsa_exception_fp_ieee_inexact 0
		.amdhsa_exception_int_div_zero 0
	.end_amdhsa_kernel
	.section	.text._ZN2at6native6sbtopk10gatherTopKIN3c108BFloat16EmLi2ELb0EEEvNS_4cuda6detail10TensorInfoIKT_T0_EESA_SA_bSA_SA_NS7_IS8_SA_EESA_NS7_IlSA_EESA_PS8_,"axG",@progbits,_ZN2at6native6sbtopk10gatherTopKIN3c108BFloat16EmLi2ELb0EEEvNS_4cuda6detail10TensorInfoIKT_T0_EESA_SA_bSA_SA_NS7_IS8_SA_EESA_NS7_IlSA_EESA_PS8_,comdat
.Lfunc_end219:
	.size	_ZN2at6native6sbtopk10gatherTopKIN3c108BFloat16EmLi2ELb0EEEvNS_4cuda6detail10TensorInfoIKT_T0_EESA_SA_bSA_SA_NS7_IS8_SA_EESA_NS7_IlSA_EESA_PS8_, .Lfunc_end219-_ZN2at6native6sbtopk10gatherTopKIN3c108BFloat16EmLi2ELb0EEEvNS_4cuda6detail10TensorInfoIKT_T0_EESA_SA_bSA_SA_NS7_IS8_SA_EESA_NS7_IlSA_EESA_PS8_
                                        ; -- End function
	.section	.AMDGPU.csdata,"",@progbits
; Kernel info:
; codeLenInByte = 30452
; NumSgprs: 107
; NumVgprs: 37
; ScratchSize: 0
; MemoryBound: 0
; FloatMode: 240
; IeeeMode: 1
; LDSByteSize: 5152 bytes/workgroup (compile time only)
; SGPRBlocks: 13
; VGPRBlocks: 4
; NumSGPRsForWavesPerEU: 107
; NumVGPRsForWavesPerEU: 37
; Occupancy: 16
; WaveLimiterHint : 1
; COMPUTE_PGM_RSRC2:SCRATCH_EN: 0
; COMPUTE_PGM_RSRC2:USER_SGPR: 13
; COMPUTE_PGM_RSRC2:TRAP_HANDLER: 0
; COMPUTE_PGM_RSRC2:TGID_X_EN: 1
; COMPUTE_PGM_RSRC2:TGID_Y_EN: 1
; COMPUTE_PGM_RSRC2:TGID_Z_EN: 1
; COMPUTE_PGM_RSRC2:TIDIG_COMP_CNT: 0
	.section	.text._ZN2at6native6mbtopk23computeBlockDigitCountsIN3c108BFloat16EmjLi3EEEvNS_4cuda6detail10TensorInfoIKT_T0_EEjPjjSA_iijT1_PSD_Ps,"axG",@progbits,_ZN2at6native6mbtopk23computeBlockDigitCountsIN3c108BFloat16EmjLi3EEEvNS_4cuda6detail10TensorInfoIKT_T0_EEjPjjSA_iijT1_PSD_Ps,comdat
	.protected	_ZN2at6native6mbtopk23computeBlockDigitCountsIN3c108BFloat16EmjLi3EEEvNS_4cuda6detail10TensorInfoIKT_T0_EEjPjjSA_iijT1_PSD_Ps ; -- Begin function _ZN2at6native6mbtopk23computeBlockDigitCountsIN3c108BFloat16EmjLi3EEEvNS_4cuda6detail10TensorInfoIKT_T0_EEjPjjSA_iijT1_PSD_Ps
	.globl	_ZN2at6native6mbtopk23computeBlockDigitCountsIN3c108BFloat16EmjLi3EEEvNS_4cuda6detail10TensorInfoIKT_T0_EEjPjjSA_iijT1_PSD_Ps
	.p2align	8
	.type	_ZN2at6native6mbtopk23computeBlockDigitCountsIN3c108BFloat16EmjLi3EEEvNS_4cuda6detail10TensorInfoIKT_T0_EEjPjjSA_iijT1_PSD_Ps,@function
_ZN2at6native6mbtopk23computeBlockDigitCountsIN3c108BFloat16EmjLi3EEEvNS_4cuda6detail10TensorInfoIKT_T0_EEjPjjSA_iijT1_PSD_Ps: ; @_ZN2at6native6mbtopk23computeBlockDigitCountsIN3c108BFloat16EmjLi3EEEvNS_4cuda6detail10TensorInfoIKT_T0_EEjPjjSA_iijT1_PSD_Ps
; %bb.0:
	s_clause 0x2
	s_load_b128 s[8:11], s[0:1], 0x1c0
	s_load_b32 s5, s[0:1], 0x1b0
	s_load_b64 s[2:3], s[0:1], 0x1e0
	s_waitcnt lgkmcnt(0)
	v_cvt_f32_u32_e32 v1, s10
	s_sub_i32 s6, 0, s10
	s_mul_i32 s3, s3, s15
	s_delay_alu instid0(SALU_CYCLE_1) | instskip(NEXT) | instid1(VALU_DEP_1)
	s_add_i32 s3, s3, s14
	v_rcp_iflag_f32_e32 v1, v1
	s_mul_i32 s24, s3, s2
	s_delay_alu instid0(SALU_CYCLE_1) | instskip(SKIP_2) | instid1(VALU_DEP_1)
	s_add_i32 s24, s24, s13
	s_waitcnt_depctr 0xfff
	v_mul_f32_e32 v1, 0x4f7ffffe, v1
	v_cvt_u32_f32_e32 v1, v1
	s_delay_alu instid0(VALU_DEP_1) | instskip(NEXT) | instid1(VALU_DEP_1)
	v_readfirstlane_b32 s4, v1
	s_mul_i32 s6, s6, s4
	s_delay_alu instid0(SALU_CYCLE_1) | instskip(NEXT) | instid1(SALU_CYCLE_1)
	s_mul_hi_u32 s2, s4, s6
	s_add_i32 s4, s4, s2
	s_delay_alu instid0(SALU_CYCLE_1) | instskip(NEXT) | instid1(SALU_CYCLE_1)
	s_mul_hi_u32 s2, s24, s4
	s_mul_i32 s3, s2, s10
	s_add_i32 s4, s2, 1
	s_sub_i32 s3, s24, s3
	s_delay_alu instid0(SALU_CYCLE_1)
	s_sub_i32 s6, s3, s10
	s_cmp_ge_u32 s3, s10
	s_cselect_b32 s2, s4, s2
	s_cselect_b32 s3, s6, s3
	s_add_i32 s4, s2, 1
	s_cmp_ge_u32 s3, s10
	s_mov_b32 s3, 0
	s_cselect_b32 s2, s4, s2
	s_delay_alu instid0(SALU_CYCLE_1)
	s_cmp_ge_u32 s2, s5
	s_cbranch_scc1 .LBB220_27
; %bb.1:
	s_clause 0x1
	s_load_b128 s[12:15], s[0:1], 0x10
	s_load_b128 s[4:7], s[0:1], 0x1d0
	s_lshl_b64 s[16:17], s[2:3], 2
	s_mov_b64 s[20:21], 0
	s_mov_b64 s[22:23], 0
	s_waitcnt lgkmcnt(0)
	v_cmp_lt_u64_e64 s18, s[2:3], s[14:15]
	s_add_u32 s4, s4, s16
	s_addc_u32 s5, s5, s17
	s_delay_alu instid0(VALU_DEP_1)
	s_and_b32 vcc_lo, exec_lo, s18
	s_cbranch_vccz .LBB220_15
; %bb.2:
	v_cmp_lt_u64_e64 s3, s[22:23], s[12:13]
	s_delay_alu instid0(VALU_DEP_1)
	s_and_b32 vcc_lo, exec_lo, s3
	s_cbranch_vccz .LBB220_16
.LBB220_3:
	v_cmp_gt_u32_e32 vcc_lo, 0x100, v0
	v_lshlrev_b32_e32 v1, 2, v0
	s_and_saveexec_b32 s3, vcc_lo
	s_cbranch_execz .LBB220_5
.LBB220_4:
	v_mov_b32_e32 v2, 0
	ds_store_b32 v1, v2
.LBB220_5:
	s_or_b32 exec_lo, exec_lo, s3
	s_load_b32 s3, s[0:1], 0x1a0
	s_mul_i32 s16, s2, s10
	s_mov_b32 s21, 0
	s_sub_i32 s16, s24, s16
	s_waitcnt lgkmcnt(0)
	s_mul_i32 s17, s9, s16
	s_add_i32 s16, s16, 1
	s_lshl_b32 s25, s17, 8
	s_barrier
	buffer_gl0_inv
	s_sub_i32 s17, s3, s25
	s_delay_alu instid0(SALU_CYCLE_1) | instskip(SKIP_3) | instid1(VALU_DEP_1)
	s_add_u32 s17, s17, 0xff
	s_addc_u32 s18, 0, 0
	s_cmp_lt_u32 s16, s10
	v_alignbit_b32 v2, s18, s17, 8
	v_readfirstlane_b32 s17, v2
	s_delay_alu instid0(VALU_DEP_1) | instskip(NEXT) | instid1(SALU_CYCLE_1)
	s_cselect_b32 s10, s9, s17
	s_cmp_lt_i32 s10, 1
	s_cbranch_scc1 .LBB220_23
; %bb.6:
	s_clause 0x2
	s_load_b64 s[26:27], s[0:1], 0xe0
	s_load_b128 s[16:19], s[0:1], 0xd0
	s_load_b64 s[28:29], s[0:1], 0x0
	s_load_b32 s9, s[4:5], 0x0
	s_mul_i32 s15, s22, s15
	s_mul_hi_u32 s30, s22, s14
	s_mul_i32 s14, s22, s14
	s_add_i32 s30, s30, s15
	s_mul_i32 s13, s20, s13
	s_mul_hi_u32 s31, s20, s12
	s_sub_u32 s2, s2, s14
	s_load_b64 s[4:5], s[0:1], 0x1b8
	s_subb_u32 s0, 0, s30
	s_add_i32 s31, s31, s13
	s_mul_i32 s12, s20, s12
	v_add_nc_u32_e32 v2, s25, v0
	s_waitcnt lgkmcnt(0)
	s_mul_i32 s1, s2, s27
	s_mul_hi_u32 s13, s2, s26
	s_mul_i32 s14, s0, s26
	s_add_i32 s1, s13, s1
	s_mul_i32 s15, s20, s17
	s_add_i32 s13, s1, s14
	s_mul_hi_u32 s17, s20, s16
	s_sub_u32 s12, s22, s12
	s_mul_i32 s0, s20, s16
	s_subb_u32 s14, s23, s31
	s_add_i32 s1, s17, s15
	s_mul_i32 s15, s12, s19
	s_mul_hi_u32 s16, s12, s18
	s_mul_i32 s14, s14, s18
	s_add_i32 s15, s16, s15
	s_lshl_b64 s[0:1], s[0:1], 1
	s_add_i32 s15, s15, s14
	s_mul_i32 s14, s12, s18
	s_add_u32 s16, s28, s0
	s_addc_u32 s17, s29, s1
	s_lshl_b64 s[0:1], s[14:15], 1
	s_mul_i32 s12, s2, s26
	s_add_u32 s2, s16, s0
	s_addc_u32 s14, s17, s1
	s_lshl_b64 s[0:1], s[12:13], 1
	s_delay_alu instid0(SALU_CYCLE_1)
	s_add_u32 s2, s2, s0
	s_addc_u32 s12, s14, s1
	s_and_b32 s1, s8, 0xff
	s_cmp_eq_u32 s10, 1
	s_cbranch_scc1 .LBB220_18
; %bb.7:
	v_dual_mov_b32 v3, 1 :: v_dual_mov_b32 v4, 0x8000
	v_mov_b32_e32 v5, v2
	s_and_b32 s8, s10, 0x7ffffffe
	s_mov_b32 s13, 0
	s_branch .LBB220_9
.LBB220_8:                              ;   in Loop: Header=BB220_9 Depth=1
	s_or_b32 exec_lo, exec_lo, s14
	v_add_nc_u32_e32 v5, 0x200, v5
	s_add_i32 s13, s13, 2
	s_delay_alu instid0(SALU_CYCLE_1)
	s_cmp_eq_u32 s8, s13
	s_cbranch_scc1 .LBB220_17
.LBB220_9:                              ; =>This Inner Loop Header: Depth=1
	s_mov_b32 s14, exec_lo
	v_cmpx_gt_u32_e64 s3, v5
	s_cbranch_execz .LBB220_12
; %bb.10:                               ;   in Loop: Header=BB220_9 Depth=1
	v_mad_u64_u32 v[6:7], null, v5, s4, 0
	s_delay_alu instid0(VALU_DEP_1) | instskip(NEXT) | instid1(VALU_DEP_1)
	v_mad_u64_u32 v[8:9], null, v5, s5, v[7:8]
	v_mov_b32_e32 v7, v8
	s_delay_alu instid0(VALU_DEP_1) | instskip(NEXT) | instid1(VALU_DEP_1)
	v_lshlrev_b64 v[6:7], 1, v[6:7]
	v_add_co_u32 v6, s0, s2, v6
	s_delay_alu instid0(VALU_DEP_1)
	v_add_co_ci_u32_e64 v7, s0, s12, v7, s0
	global_load_u16 v6, v[6:7], off
	s_waitcnt vmcnt(0)
	v_cmp_lt_i16_e64 s0, -1, v6
	v_and_b32_e32 v7, 0xffff, v6
	v_lshlrev_b32_e32 v6, 16, v6
	s_delay_alu instid0(VALU_DEP_3) | instskip(NEXT) | instid1(VALU_DEP_2)
	v_cndmask_b32_e64 v8, 0xffff, v4, s0
	v_cmp_o_f32_e64 s0, v6, v6
	s_delay_alu instid0(VALU_DEP_2) | instskip(NEXT) | instid1(VALU_DEP_1)
	v_xor_b32_e32 v7, v8, v7
	v_cndmask_b32_e64 v6, 0xffff, v7, s0
	s_delay_alu instid0(VALU_DEP_1) | instskip(NEXT) | instid1(VALU_DEP_1)
	v_xor_b32_e32 v7, s9, v6
	v_and_b32_e32 v7, s11, v7
	s_delay_alu instid0(VALU_DEP_1) | instskip(NEXT) | instid1(VALU_DEP_1)
	v_cmp_eq_u32_e64 s0, 0, v7
	s_and_b32 exec_lo, exec_lo, s0
	s_cbranch_execz .LBB220_12
; %bb.11:                               ;   in Loop: Header=BB220_9 Depth=1
	v_bfe_u32 v6, v6, s1, 8
	s_delay_alu instid0(VALU_DEP_1)
	v_lshlrev_b32_e32 v6, 2, v6
	ds_add_u32 v6, v3
.LBB220_12:                             ;   in Loop: Header=BB220_9 Depth=1
	s_or_b32 exec_lo, exec_lo, s14
	v_add_nc_u32_e32 v6, 0x100, v5
	s_mov_b32 s14, exec_lo
	s_delay_alu instid0(VALU_DEP_1)
	v_cmpx_gt_u32_e64 s3, v6
	s_cbranch_execz .LBB220_8
; %bb.13:                               ;   in Loop: Header=BB220_9 Depth=1
	v_mad_u64_u32 v[7:8], null, v6, s4, 0
	s_delay_alu instid0(VALU_DEP_1) | instskip(NEXT) | instid1(VALU_DEP_1)
	v_mad_u64_u32 v[9:10], null, v6, s5, v[8:9]
	v_mov_b32_e32 v8, v9
	s_delay_alu instid0(VALU_DEP_1) | instskip(NEXT) | instid1(VALU_DEP_1)
	v_lshlrev_b64 v[6:7], 1, v[7:8]
	v_add_co_u32 v6, s0, s2, v6
	s_delay_alu instid0(VALU_DEP_1)
	v_add_co_ci_u32_e64 v7, s0, s12, v7, s0
	global_load_u16 v6, v[6:7], off
	s_waitcnt vmcnt(0)
	v_and_b32_e32 v7, 0xffff, v6
	v_cmp_lt_i16_e64 s0, -1, v6
	v_lshlrev_b32_e32 v6, 16, v6
	s_delay_alu instid0(VALU_DEP_2) | instskip(NEXT) | instid1(VALU_DEP_2)
	v_cndmask_b32_e64 v8, 0xffff, v4, s0
	v_cmp_o_f32_e64 s0, v6, v6
	s_delay_alu instid0(VALU_DEP_2) | instskip(NEXT) | instid1(VALU_DEP_1)
	v_xor_b32_e32 v7, v8, v7
	v_cndmask_b32_e64 v6, 0xffff, v7, s0
	s_delay_alu instid0(VALU_DEP_1) | instskip(NEXT) | instid1(VALU_DEP_1)
	v_xor_b32_e32 v7, s9, v6
	v_and_b32_e32 v7, s11, v7
	s_delay_alu instid0(VALU_DEP_1) | instskip(NEXT) | instid1(VALU_DEP_1)
	v_cmp_eq_u32_e64 s0, 0, v7
	s_and_b32 exec_lo, exec_lo, s0
	s_cbranch_execz .LBB220_8
; %bb.14:                               ;   in Loop: Header=BB220_9 Depth=1
	v_bfe_u32 v6, v6, s1, 8
	s_delay_alu instid0(VALU_DEP_1)
	v_lshlrev_b32_e32 v6, 2, v6
	ds_add_u32 v6, v3
	s_branch .LBB220_8
.LBB220_15:
	v_cvt_f32_u32_e32 v1, s14
	s_sub_i32 s16, 0, s14
	s_mov_b32 s23, 0
	s_delay_alu instid0(VALU_DEP_1) | instskip(SKIP_2) | instid1(VALU_DEP_1)
	v_rcp_iflag_f32_e32 v1, v1
	s_waitcnt_depctr 0xfff
	v_mul_f32_e32 v1, 0x4f7ffffe, v1
	v_cvt_u32_f32_e32 v1, v1
	s_delay_alu instid0(VALU_DEP_1) | instskip(NEXT) | instid1(VALU_DEP_1)
	v_readfirstlane_b32 s3, v1
	s_mul_i32 s16, s16, s3
	s_delay_alu instid0(SALU_CYCLE_1) | instskip(NEXT) | instid1(SALU_CYCLE_1)
	s_mul_hi_u32 s16, s3, s16
	s_add_i32 s3, s3, s16
	s_delay_alu instid0(SALU_CYCLE_1) | instskip(NEXT) | instid1(SALU_CYCLE_1)
	s_mul_hi_u32 s3, s2, s3
	s_mul_i32 s16, s3, s14
	s_add_i32 s17, s3, 1
	s_sub_i32 s16, s2, s16
	s_delay_alu instid0(SALU_CYCLE_1)
	s_sub_i32 s18, s16, s14
	s_cmp_ge_u32 s16, s14
	s_cselect_b32 s3, s17, s3
	s_cselect_b32 s16, s18, s16
	s_add_i32 s17, s3, 1
	s_cmp_ge_u32 s16, s14
	s_cselect_b32 s22, s17, s3
	s_delay_alu instid0(SALU_CYCLE_1) | instskip(NEXT) | instid1(VALU_DEP_1)
	v_cmp_lt_u64_e64 s3, s[22:23], s[12:13]
	s_and_b32 vcc_lo, exec_lo, s3
	s_cbranch_vccnz .LBB220_3
.LBB220_16:
	v_cvt_f32_u32_e32 v1, s12
	s_sub_i32 s16, 0, s12
	s_delay_alu instid0(VALU_DEP_1) | instskip(SKIP_2) | instid1(VALU_DEP_1)
	v_rcp_iflag_f32_e32 v1, v1
	s_waitcnt_depctr 0xfff
	v_mul_f32_e32 v1, 0x4f7ffffe, v1
	v_cvt_u32_f32_e32 v1, v1
	s_delay_alu instid0(VALU_DEP_1) | instskip(NEXT) | instid1(VALU_DEP_1)
	v_readfirstlane_b32 s3, v1
	s_mul_i32 s16, s16, s3
	s_delay_alu instid0(SALU_CYCLE_1) | instskip(NEXT) | instid1(SALU_CYCLE_1)
	s_mul_hi_u32 s16, s3, s16
	s_add_i32 s3, s3, s16
	s_delay_alu instid0(SALU_CYCLE_1) | instskip(NEXT) | instid1(SALU_CYCLE_1)
	s_mul_hi_u32 s3, s22, s3
	s_mul_i32 s16, s3, s12
	s_add_i32 s17, s3, 1
	s_sub_i32 s16, s22, s16
	s_delay_alu instid0(SALU_CYCLE_1)
	s_sub_i32 s18, s16, s12
	s_cmp_ge_u32 s16, s12
	s_cselect_b32 s3, s17, s3
	s_cselect_b32 s16, s18, s16
	s_add_i32 s17, s3, 1
	s_cmp_ge_u32 s16, s12
	s_cselect_b32 s20, s17, s3
	v_cmp_gt_u32_e32 vcc_lo, 0x100, v0
	v_lshlrev_b32_e32 v1, 2, v0
	s_and_saveexec_b32 s3, vcc_lo
	s_cbranch_execnz .LBB220_4
	s_branch .LBB220_5
.LBB220_17:
	s_lshl_b32 s21, s8, 8
.LBB220_18:
	s_bitcmp0_b32 s10, 0
	s_cbranch_scc1 .LBB220_23
; %bb.19:
	v_add_nc_u32_e32 v2, s21, v2
	s_delay_alu instid0(VALU_DEP_1) | instskip(NEXT) | instid1(VALU_DEP_1)
	v_cmp_gt_u32_e64 s0, s3, v2
	s_and_saveexec_b32 s3, s0
	s_cbranch_execz .LBB220_22
; %bb.20:
	v_mad_u64_u32 v[3:4], null, v2, s4, 0
	s_delay_alu instid0(VALU_DEP_1) | instskip(NEXT) | instid1(VALU_DEP_1)
	v_mad_u64_u32 v[5:6], null, v2, s5, v[4:5]
	v_mov_b32_e32 v4, v5
	s_delay_alu instid0(VALU_DEP_1) | instskip(NEXT) | instid1(VALU_DEP_1)
	v_lshlrev_b64 v[2:3], 1, v[3:4]
	v_add_co_u32 v2, s0, s2, v2
	s_delay_alu instid0(VALU_DEP_1)
	v_add_co_ci_u32_e64 v3, s0, s12, v3, s0
	global_load_u16 v2, v[2:3], off
	v_mov_b32_e32 v3, 0x8000
	s_waitcnt vmcnt(0)
	v_cmp_lt_i16_e64 s0, -1, v2
	v_and_b32_e32 v4, 0xffff, v2
	v_lshlrev_b32_e32 v2, 16, v2
	s_delay_alu instid0(VALU_DEP_3) | instskip(NEXT) | instid1(VALU_DEP_2)
	v_cndmask_b32_e64 v3, 0xffff, v3, s0
	v_cmp_o_f32_e64 s0, v2, v2
	s_delay_alu instid0(VALU_DEP_2) | instskip(NEXT) | instid1(VALU_DEP_1)
	v_xor_b32_e32 v3, v3, v4
	v_cndmask_b32_e64 v2, 0xffff, v3, s0
	s_delay_alu instid0(VALU_DEP_1) | instskip(NEXT) | instid1(VALU_DEP_1)
	v_xor_b32_e32 v3, s9, v2
	v_and_b32_e32 v3, s11, v3
	s_delay_alu instid0(VALU_DEP_1) | instskip(NEXT) | instid1(VALU_DEP_1)
	v_cmp_eq_u32_e64 s0, 0, v3
	s_and_b32 exec_lo, exec_lo, s0
	s_cbranch_execz .LBB220_22
; %bb.21:
	v_bfe_u32 v2, v2, s1, 8
	s_delay_alu instid0(VALU_DEP_1)
	v_dual_mov_b32 v3, 1 :: v_dual_lshlrev_b32 v2, 2, v2
	ds_add_u32 v2, v3
.LBB220_22:
	s_or_b32 exec_lo, exec_lo, s3
.LBB220_23:
	v_mov_b32_e32 v2, 0
	s_waitcnt lgkmcnt(0)
	s_barrier
	buffer_gl0_inv
	s_and_saveexec_b32 s0, vcc_lo
	s_cbranch_execz .LBB220_25
; %bb.24:
	ds_load_b32 v2, v1
.LBB220_25:
	s_or_b32 exec_lo, exec_lo, s0
	s_and_saveexec_b32 s0, vcc_lo
	s_cbranch_execz .LBB220_27
; %bb.26:
	v_lshl_or_b32 v0, s24, 8, v0
	v_mov_b32_e32 v1, 0
	s_delay_alu instid0(VALU_DEP_1) | instskip(NEXT) | instid1(VALU_DEP_1)
	v_lshlrev_b64 v[0:1], 1, v[0:1]
	v_add_co_u32 v0, vcc_lo, s6, v0
	s_delay_alu instid0(VALU_DEP_2)
	v_add_co_ci_u32_e32 v1, vcc_lo, s7, v1, vcc_lo
	s_waitcnt lgkmcnt(0)
	global_store_b16 v[0:1], v2, off
.LBB220_27:
	s_nop 0
	s_sendmsg sendmsg(MSG_DEALLOC_VGPRS)
	s_endpgm
	.section	.rodata,"a",@progbits
	.p2align	6, 0x0
	.amdhsa_kernel _ZN2at6native6mbtopk23computeBlockDigitCountsIN3c108BFloat16EmjLi3EEEvNS_4cuda6detail10TensorInfoIKT_T0_EEjPjjSA_iijT1_PSD_Ps
		.amdhsa_group_segment_fixed_size 1024
		.amdhsa_private_segment_fixed_size 0
		.amdhsa_kernarg_size 736
		.amdhsa_user_sgpr_count 13
		.amdhsa_user_sgpr_dispatch_ptr 0
		.amdhsa_user_sgpr_queue_ptr 0
		.amdhsa_user_sgpr_kernarg_segment_ptr 1
		.amdhsa_user_sgpr_dispatch_id 0
		.amdhsa_user_sgpr_private_segment_size 0
		.amdhsa_wavefront_size32 1
		.amdhsa_uses_dynamic_stack 0
		.amdhsa_enable_private_segment 0
		.amdhsa_system_sgpr_workgroup_id_x 1
		.amdhsa_system_sgpr_workgroup_id_y 1
		.amdhsa_system_sgpr_workgroup_id_z 1
		.amdhsa_system_sgpr_workgroup_info 0
		.amdhsa_system_vgpr_workitem_id 0
		.amdhsa_next_free_vgpr 11
		.amdhsa_next_free_sgpr 32
		.amdhsa_reserve_vcc 1
		.amdhsa_float_round_mode_32 0
		.amdhsa_float_round_mode_16_64 0
		.amdhsa_float_denorm_mode_32 3
		.amdhsa_float_denorm_mode_16_64 3
		.amdhsa_dx10_clamp 1
		.amdhsa_ieee_mode 1
		.amdhsa_fp16_overflow 0
		.amdhsa_workgroup_processor_mode 1
		.amdhsa_memory_ordered 1
		.amdhsa_forward_progress 0
		.amdhsa_shared_vgpr_count 0
		.amdhsa_exception_fp_ieee_invalid_op 0
		.amdhsa_exception_fp_denorm_src 0
		.amdhsa_exception_fp_ieee_div_zero 0
		.amdhsa_exception_fp_ieee_overflow 0
		.amdhsa_exception_fp_ieee_underflow 0
		.amdhsa_exception_fp_ieee_inexact 0
		.amdhsa_exception_int_div_zero 0
	.end_amdhsa_kernel
	.section	.text._ZN2at6native6mbtopk23computeBlockDigitCountsIN3c108BFloat16EmjLi3EEEvNS_4cuda6detail10TensorInfoIKT_T0_EEjPjjSA_iijT1_PSD_Ps,"axG",@progbits,_ZN2at6native6mbtopk23computeBlockDigitCountsIN3c108BFloat16EmjLi3EEEvNS_4cuda6detail10TensorInfoIKT_T0_EEjPjjSA_iijT1_PSD_Ps,comdat
.Lfunc_end220:
	.size	_ZN2at6native6mbtopk23computeBlockDigitCountsIN3c108BFloat16EmjLi3EEEvNS_4cuda6detail10TensorInfoIKT_T0_EEjPjjSA_iijT1_PSD_Ps, .Lfunc_end220-_ZN2at6native6mbtopk23computeBlockDigitCountsIN3c108BFloat16EmjLi3EEEvNS_4cuda6detail10TensorInfoIKT_T0_EEjPjjSA_iijT1_PSD_Ps
                                        ; -- End function
	.section	.AMDGPU.csdata,"",@progbits
; Kernel info:
; codeLenInByte = 1720
; NumSgprs: 34
; NumVgprs: 11
; ScratchSize: 0
; MemoryBound: 0
; FloatMode: 240
; IeeeMode: 1
; LDSByteSize: 1024 bytes/workgroup (compile time only)
; SGPRBlocks: 4
; VGPRBlocks: 1
; NumSGPRsForWavesPerEU: 34
; NumVGPRsForWavesPerEU: 11
; Occupancy: 16
; WaveLimiterHint : 1
; COMPUTE_PGM_RSRC2:SCRATCH_EN: 0
; COMPUTE_PGM_RSRC2:USER_SGPR: 13
; COMPUTE_PGM_RSRC2:TRAP_HANDLER: 0
; COMPUTE_PGM_RSRC2:TGID_X_EN: 1
; COMPUTE_PGM_RSRC2:TGID_Y_EN: 1
; COMPUTE_PGM_RSRC2:TGID_Z_EN: 1
; COMPUTE_PGM_RSRC2:TIDIG_COMP_CNT: 0
	.section	.text._ZN2at6native6mbtopk10gatherTopKIN3c108BFloat16EmLi3EEEvNS_4cuda6detail10TensorInfoIKT_T0_EESA_SA_bjSA_NS7_IS8_SA_EESA_NS7_IlSA_EESA_jjPS8_PjSF_j,"axG",@progbits,_ZN2at6native6mbtopk10gatherTopKIN3c108BFloat16EmLi3EEEvNS_4cuda6detail10TensorInfoIKT_T0_EESA_SA_bjSA_NS7_IS8_SA_EESA_NS7_IlSA_EESA_jjPS8_PjSF_j,comdat
	.protected	_ZN2at6native6mbtopk10gatherTopKIN3c108BFloat16EmLi3EEEvNS_4cuda6detail10TensorInfoIKT_T0_EESA_SA_bjSA_NS7_IS8_SA_EESA_NS7_IlSA_EESA_jjPS8_PjSF_j ; -- Begin function _ZN2at6native6mbtopk10gatherTopKIN3c108BFloat16EmLi3EEEvNS_4cuda6detail10TensorInfoIKT_T0_EESA_SA_bjSA_NS7_IS8_SA_EESA_NS7_IlSA_EESA_jjPS8_PjSF_j
	.globl	_ZN2at6native6mbtopk10gatherTopKIN3c108BFloat16EmLi3EEEvNS_4cuda6detail10TensorInfoIKT_T0_EESA_SA_bjSA_NS7_IS8_SA_EESA_NS7_IlSA_EESA_jjPS8_PjSF_j
	.p2align	8
	.type	_ZN2at6native6mbtopk10gatherTopKIN3c108BFloat16EmLi3EEEvNS_4cuda6detail10TensorInfoIKT_T0_EESA_SA_bjSA_NS7_IS8_SA_EESA_NS7_IlSA_EESA_jjPS8_PjSF_j,@function
_ZN2at6native6mbtopk10gatherTopKIN3c108BFloat16EmLi3EEEvNS_4cuda6detail10TensorInfoIKT_T0_EESA_SA_bjSA_NS7_IS8_SA_EESA_NS7_IlSA_EESA_jjPS8_PjSF_j: ; @_ZN2at6native6mbtopk10gatherTopKIN3c108BFloat16EmLi3EEEvNS_4cuda6detail10TensorInfoIKT_T0_EESA_SA_bjSA_NS7_IS8_SA_EESA_NS7_IlSA_EESA_jjPS8_PjSF_j
; %bb.0:
	s_clause 0x1
	s_load_b64 s[2:3], s[0:1], 0x538
	s_load_b32 s4, s[0:1], 0x530
	s_waitcnt lgkmcnt(0)
	s_mul_i32 s3, s3, s15
	s_delay_alu instid0(SALU_CYCLE_1) | instskip(NEXT) | instid1(SALU_CYCLE_1)
	s_add_i32 s3, s3, s14
	s_mul_i32 s2, s3, s2
	s_delay_alu instid0(SALU_CYCLE_1) | instskip(NEXT) | instid1(SALU_CYCLE_1)
	s_add_i32 s2, s2, s13
	s_cmp_ge_u32 s2, s4
	s_cbranch_scc1 .LBB221_54
; %bb.1:
	s_load_b64 s[34:35], s[0:1], 0x510
	s_mov_b32 s45, 0
	s_waitcnt lgkmcnt(0)
	v_cvt_f32_u32_e32 v1, s35
	s_sub_i32 s4, 0, s35
	s_lshl_b32 s33, s34, 8
	s_delay_alu instid0(VALU_DEP_1) | instskip(SKIP_2) | instid1(VALU_DEP_1)
	v_rcp_iflag_f32_e32 v1, v1
	s_waitcnt_depctr 0xfff
	v_mul_f32_e32 v1, 0x4f7ffffe, v1
	v_cvt_u32_f32_e32 v1, v1
	s_delay_alu instid0(VALU_DEP_1) | instskip(NEXT) | instid1(VALU_DEP_1)
	v_readfirstlane_b32 s3, v1
	s_mul_i32 s4, s4, s3
	s_delay_alu instid0(SALU_CYCLE_1) | instskip(NEXT) | instid1(SALU_CYCLE_1)
	s_mul_hi_u32 s4, s3, s4
	s_add_i32 s3, s3, s4
	s_clause 0x1
	s_load_b128 s[4:7], s[0:1], 0x1a0
	s_load_b128 s[8:11], s[0:1], 0x10
	s_mul_hi_u32 s3, s2, s3
	s_delay_alu instid0(SALU_CYCLE_1) | instskip(SKIP_2) | instid1(SALU_CYCLE_1)
	s_mul_i32 s12, s3, s35
	s_add_i32 s13, s3, 1
	s_sub_i32 s12, s2, s12
	s_sub_i32 s14, s12, s35
	s_cmp_ge_u32 s12, s35
	s_cselect_b32 s3, s13, s3
	s_cselect_b32 s12, s14, s12
	s_add_i32 s13, s3, 1
	s_cmp_ge_u32 s12, s35
	s_cselect_b32 s44, s13, s3
	s_delay_alu instid0(SALU_CYCLE_1) | instskip(NEXT) | instid1(SALU_CYCLE_1)
	s_mul_i32 s52, s44, s35
	s_sub_i32 s72, s2, s52
	s_delay_alu instid0(SALU_CYCLE_1) | instskip(NEXT) | instid1(SALU_CYCLE_1)
	s_add_i32 s2, s72, 1
	s_cmp_lt_u32 s2, s35
	s_cbranch_scc1 .LBB221_3
; %bb.2:
	s_mul_i32 s2, s72, s33
	s_waitcnt lgkmcnt(0)
	s_sub_u32 s2, s4, s2
	s_subb_u32 s3, s5, 0
	s_add_u32 s2, s2, 0xff
	s_addc_u32 s3, s3, 0
	s_delay_alu instid0(SALU_CYCLE_1) | instskip(NEXT) | instid1(SALU_CYCLE_1)
	s_ashr_i32 s12, s3, 31
	s_lshr_b32 s12, s12, 24
	s_delay_alu instid0(SALU_CYCLE_1) | instskip(SKIP_1) | instid1(SALU_CYCLE_1)
	s_add_u32 s2, s2, s12
	s_addc_u32 s3, s3, 0
	v_alignbit_b32 v1, s3, s2, 8
	s_delay_alu instid0(VALU_DEP_1)
	v_readfirstlane_b32 s34, v1
.LBB221_3:
	s_waitcnt lgkmcnt(0)
	v_cmp_lt_u64_e64 s2, s[44:45], s[10:11]
	s_mov_b64 s[46:47], 0
	s_mov_b64 s[48:49], 0
	s_delay_alu instid0(VALU_DEP_1)
	s_and_b32 vcc_lo, exec_lo, s2
	s_cbranch_vccnz .LBB221_5
; %bb.4:
	v_cvt_f32_u32_e32 v1, s10
	s_sub_i32 s3, 0, s10
	s_mov_b32 s49, 0
	s_delay_alu instid0(VALU_DEP_1) | instskip(SKIP_2) | instid1(VALU_DEP_1)
	v_rcp_iflag_f32_e32 v1, v1
	s_waitcnt_depctr 0xfff
	v_mul_f32_e32 v1, 0x4f7ffffe, v1
	v_cvt_u32_f32_e32 v1, v1
	s_delay_alu instid0(VALU_DEP_1) | instskip(NEXT) | instid1(VALU_DEP_1)
	v_readfirstlane_b32 s2, v1
	s_mul_i32 s3, s3, s2
	s_delay_alu instid0(SALU_CYCLE_1) | instskip(NEXT) | instid1(SALU_CYCLE_1)
	s_mul_hi_u32 s3, s2, s3
	s_add_i32 s2, s2, s3
	s_delay_alu instid0(SALU_CYCLE_1) | instskip(NEXT) | instid1(SALU_CYCLE_1)
	s_mul_hi_u32 s2, s44, s2
	s_mul_i32 s3, s2, s10
	s_add_i32 s12, s2, 1
	s_sub_i32 s3, s44, s3
	s_delay_alu instid0(SALU_CYCLE_1)
	s_sub_i32 s13, s3, s10
	s_cmp_ge_u32 s3, s10
	s_cselect_b32 s2, s12, s2
	s_cselect_b32 s3, s13, s3
	s_add_i32 s12, s2, 1
	s_cmp_ge_u32 s3, s10
	s_cselect_b32 s48, s12, s2
.LBB221_5:
	s_load_b128 s[20:23], s[0:1], 0x1d0
	v_cmp_lt_u64_e64 s2, s[48:49], s[8:9]
	s_delay_alu instid0(VALU_DEP_1)
	s_and_b32 vcc_lo, exec_lo, s2
	s_cbranch_vccnz .LBB221_7
; %bb.6:
	v_cvt_f32_u32_e32 v1, s8
	s_sub_i32 s3, 0, s8
	s_delay_alu instid0(VALU_DEP_1) | instskip(SKIP_2) | instid1(VALU_DEP_1)
	v_rcp_iflag_f32_e32 v1, v1
	s_waitcnt_depctr 0xfff
	v_mul_f32_e32 v1, 0x4f7ffffe, v1
	v_cvt_u32_f32_e32 v1, v1
	s_delay_alu instid0(VALU_DEP_1) | instskip(NEXT) | instid1(VALU_DEP_1)
	v_readfirstlane_b32 s2, v1
	s_mul_i32 s3, s3, s2
	s_delay_alu instid0(SALU_CYCLE_1) | instskip(NEXT) | instid1(SALU_CYCLE_1)
	s_mul_hi_u32 s3, s2, s3
	s_add_i32 s2, s2, s3
	s_delay_alu instid0(SALU_CYCLE_1) | instskip(NEXT) | instid1(SALU_CYCLE_1)
	s_mul_hi_u32 s2, s48, s2
	s_mul_i32 s3, s2, s8
	s_add_i32 s12, s2, 1
	s_sub_i32 s3, s48, s3
	s_delay_alu instid0(SALU_CYCLE_1)
	s_sub_i32 s13, s3, s8
	s_cmp_ge_u32 s3, s8
	s_cselect_b32 s2, s12, s2
	s_cselect_b32 s3, s13, s3
	s_add_i32 s12, s2, 1
	s_cmp_ge_u32 s3, s8
	s_cselect_b32 s46, s12, s2
.LBB221_7:
	s_waitcnt lgkmcnt(0)
	v_cmp_lt_u64_e64 s2, s[44:45], s[22:23]
	s_mov_b64 s[50:51], 0
	s_mov_b64 s[58:59], 0
	s_delay_alu instid0(VALU_DEP_1)
	s_and_b32 vcc_lo, exec_lo, s2
	s_cbranch_vccnz .LBB221_9
; %bb.8:
	v_cvt_f32_u32_e32 v1, s22
	s_sub_i32 s3, 0, s22
	s_mov_b32 s59, 0
	s_delay_alu instid0(VALU_DEP_1) | instskip(SKIP_2) | instid1(VALU_DEP_1)
	v_rcp_iflag_f32_e32 v1, v1
	s_waitcnt_depctr 0xfff
	v_mul_f32_e32 v1, 0x4f7ffffe, v1
	v_cvt_u32_f32_e32 v1, v1
	s_delay_alu instid0(VALU_DEP_1) | instskip(NEXT) | instid1(VALU_DEP_1)
	v_readfirstlane_b32 s2, v1
	s_mul_i32 s3, s3, s2
	s_delay_alu instid0(SALU_CYCLE_1) | instskip(NEXT) | instid1(SALU_CYCLE_1)
	s_mul_hi_u32 s3, s2, s3
	s_add_i32 s2, s2, s3
	s_delay_alu instid0(SALU_CYCLE_1) | instskip(NEXT) | instid1(SALU_CYCLE_1)
	s_mul_hi_u32 s2, s44, s2
	s_mul_i32 s3, s2, s22
	s_add_i32 s12, s2, 1
	s_sub_i32 s3, s44, s3
	s_delay_alu instid0(SALU_CYCLE_1)
	s_sub_i32 s13, s3, s22
	s_cmp_ge_u32 s3, s22
	s_cselect_b32 s2, s12, s2
	s_cselect_b32 s3, s13, s3
	s_add_i32 s12, s2, 1
	s_cmp_ge_u32 s3, s22
	s_cselect_b32 s58, s12, s2
.LBB221_9:
	s_load_b128 s[24:27], s[0:1], 0x378
	v_cmp_lt_u64_e64 s2, s[58:59], s[20:21]
	s_delay_alu instid0(VALU_DEP_1)
	s_and_b32 vcc_lo, exec_lo, s2
	s_cbranch_vccnz .LBB221_11
; %bb.10:
	v_cvt_f32_u32_e32 v1, s20
	s_sub_i32 s3, 0, s20
	s_delay_alu instid0(VALU_DEP_1) | instskip(SKIP_2) | instid1(VALU_DEP_1)
	v_rcp_iflag_f32_e32 v1, v1
	s_waitcnt_depctr 0xfff
	v_mul_f32_e32 v1, 0x4f7ffffe, v1
	v_cvt_u32_f32_e32 v1, v1
	s_delay_alu instid0(VALU_DEP_1) | instskip(NEXT) | instid1(VALU_DEP_1)
	v_readfirstlane_b32 s2, v1
	s_mul_i32 s3, s3, s2
	s_delay_alu instid0(SALU_CYCLE_1) | instskip(NEXT) | instid1(SALU_CYCLE_1)
	s_mul_hi_u32 s3, s2, s3
	s_add_i32 s2, s2, s3
	s_delay_alu instid0(SALU_CYCLE_1) | instskip(NEXT) | instid1(SALU_CYCLE_1)
	s_mul_hi_u32 s2, s58, s2
	s_mul_i32 s3, s2, s20
	s_add_i32 s12, s2, 1
	s_sub_i32 s3, s58, s3
	s_delay_alu instid0(SALU_CYCLE_1)
	s_sub_i32 s13, s3, s20
	s_cmp_ge_u32 s3, s20
	s_cselect_b32 s2, s12, s2
	s_cselect_b32 s3, s13, s3
	s_add_i32 s12, s2, 1
	s_cmp_ge_u32 s3, s20
	s_cselect_b32 s50, s12, s2
.LBB221_11:
	s_waitcnt lgkmcnt(0)
	v_cmp_lt_u64_e64 s2, s[44:45], s[26:27]
	s_mov_b64 s[54:55], 0
	s_mov_b64 s[64:65], 0
	s_delay_alu instid0(VALU_DEP_1)
	s_and_b32 vcc_lo, exec_lo, s2
	s_cbranch_vccnz .LBB221_13
; %bb.12:
	v_cvt_f32_u32_e32 v1, s26
	s_sub_i32 s3, 0, s26
	s_mov_b32 s65, 0
	s_delay_alu instid0(VALU_DEP_1) | instskip(SKIP_2) | instid1(VALU_DEP_1)
	v_rcp_iflag_f32_e32 v1, v1
	s_waitcnt_depctr 0xfff
	v_mul_f32_e32 v1, 0x4f7ffffe, v1
	v_cvt_u32_f32_e32 v1, v1
	s_delay_alu instid0(VALU_DEP_1) | instskip(NEXT) | instid1(VALU_DEP_1)
	v_readfirstlane_b32 s2, v1
	s_mul_i32 s3, s3, s2
	s_delay_alu instid0(SALU_CYCLE_1) | instskip(NEXT) | instid1(SALU_CYCLE_1)
	s_mul_hi_u32 s3, s2, s3
	s_add_i32 s2, s2, s3
	s_delay_alu instid0(SALU_CYCLE_1) | instskip(NEXT) | instid1(SALU_CYCLE_1)
	s_mul_hi_u32 s2, s44, s2
	s_mul_i32 s3, s2, s26
	s_add_i32 s12, s2, 1
	s_sub_i32 s3, s44, s3
	s_delay_alu instid0(SALU_CYCLE_1)
	s_sub_i32 s13, s3, s26
	s_cmp_ge_u32 s3, s26
	s_cselect_b32 s2, s12, s2
	s_cselect_b32 s3, s13, s3
	s_add_i32 s12, s2, 1
	s_cmp_ge_u32 s3, s26
	s_cselect_b32 s64, s12, s2
.LBB221_13:
	s_clause 0x5
	s_load_b64 s[62:63], s[0:1], 0xe0
	s_load_b128 s[40:43], s[0:1], 0xd0
	s_load_b64 s[60:61], s[0:1], 0x2a0
	s_load_b128 s[36:39], s[0:1], 0x290
	;; [unrolled: 2-line block ×3, first 2 shown]
	v_cmp_lt_u64_e64 s2, s[64:65], s[24:25]
	s_delay_alu instid0(VALU_DEP_1)
	s_and_b32 vcc_lo, exec_lo, s2
	s_cbranch_vccnz .LBB221_15
; %bb.14:
	v_cvt_f32_u32_e32 v1, s24
	s_sub_i32 s3, 0, s24
	s_delay_alu instid0(VALU_DEP_1) | instskip(SKIP_2) | instid1(VALU_DEP_1)
	v_rcp_iflag_f32_e32 v1, v1
	s_waitcnt_depctr 0xfff
	v_mul_f32_e32 v1, 0x4f7ffffe, v1
	v_cvt_u32_f32_e32 v1, v1
	s_delay_alu instid0(VALU_DEP_1) | instskip(NEXT) | instid1(VALU_DEP_1)
	v_readfirstlane_b32 s2, v1
	s_mul_i32 s3, s3, s2
	s_delay_alu instid0(SALU_CYCLE_1) | instskip(NEXT) | instid1(SALU_CYCLE_1)
	s_mul_hi_u32 s3, s2, s3
	s_add_i32 s2, s2, s3
	s_delay_alu instid0(SALU_CYCLE_1) | instskip(NEXT) | instid1(SALU_CYCLE_1)
	s_mul_hi_u32 s2, s64, s2
	s_mul_i32 s3, s2, s24
	s_add_i32 s12, s2, 1
	s_sub_i32 s3, s64, s3
	s_delay_alu instid0(SALU_CYCLE_1)
	s_sub_i32 s13, s3, s24
	s_cmp_ge_u32 s3, s24
	s_cselect_b32 s2, s12, s2
	s_cselect_b32 s3, s13, s3
	s_add_i32 s12, s2, 1
	s_cmp_ge_u32 s3, s24
	s_cselect_b32 s54, s12, s2
.LBB221_15:
	s_clause 0x1
	s_load_b128 s[12:15], s[0:1], 0x518
	s_load_b64 s[66:67], s[0:1], 0x0
	s_lshl_b64 s[2:3], s[44:45], 1
	v_mov_b32_e32 v1, 0
	s_mov_b32 s53, 0
	s_waitcnt lgkmcnt(0)
	s_add_u32 s2, s12, s2
	s_addc_u32 s3, s13, s3
	global_load_u16 v1, v1, s[2:3]
	v_cmp_ne_u32_e64 s2, 0, v0
	v_cmp_eq_u32_e64 s3, 0, v0
	s_waitcnt vmcnt(0)
	v_readfirstlane_b32 s45, v1
	s_delay_alu instid0(VALU_DEP_2)
	s_and_saveexec_b32 s47, s3
	s_cbranch_execz .LBB221_31
; %bb.16:
	s_load_b64 s[12:13], s[0:1], 0x528
	s_lshl_b64 s[68:69], s[52:53], 2
	s_mov_b32 s51, 0
	s_add_u32 s16, s14, s68
	s_addc_u32 s17, s15, s69
	s_mov_b32 s52, 0
	s_waitcnt lgkmcnt(0)
	s_add_u32 s18, s12, s68
	s_addc_u32 s19, s13, s69
	s_cmp_lt_u32 s35, 4
	s_cbranch_scc1 .LBB221_28
; %bb.17:
	s_mov_b32 s55, 0
.LBB221_18:                             ; =>This Inner Loop Header: Depth=1
	s_add_u32 s16, s14, s68
	s_addc_u32 s17, s15, s69
	s_add_u32 s70, s12, s68
	s_load_b128 s[16:19], s[16:17], 0x0
	s_addc_u32 s71, s13, s69
	s_cmp_ge_u32 s55, s72
	s_cbranch_scc0 .LBB221_25
; %bb.19:                               ;   in Loop: Header=BB221_18 Depth=1
	s_add_i32 s73, s55, 1
	s_delay_alu instid0(SALU_CYCLE_1)
	s_cmp_ge_u32 s73, s72
	s_cbranch_scc0 .LBB221_26
.LBB221_20:                             ;   in Loop: Header=BB221_18 Depth=1
	s_add_i32 s73, s73, 1
	s_delay_alu instid0(SALU_CYCLE_1)
	s_cmp_ge_u32 s73, s72
	s_cbranch_scc0 .LBB221_27
.LBB221_21:                             ;   in Loop: Header=BB221_18 Depth=1
	s_add_i32 s73, s73, 1
	s_delay_alu instid0(SALU_CYCLE_1)
	s_cmp_ge_u32 s73, s72
	s_cbranch_scc1 .LBB221_23
.LBB221_22:                             ;   in Loop: Header=BB221_18 Depth=1
	s_load_b32 s70, s[70:71], 0xc
	s_waitcnt lgkmcnt(0)
	s_add_i32 s53, s53, s19
	s_add_i32 s51, s70, s51
.LBB221_23:                             ;   in Loop: Header=BB221_18 Depth=1
	s_waitcnt lgkmcnt(0)
	s_add_i32 s16, s16, s52
	s_delay_alu instid0(SALU_CYCLE_1) | instskip(NEXT) | instid1(SALU_CYCLE_1)
	s_add_i32 s16, s16, s17
	s_add_i32 s16, s16, s18
	s_delay_alu instid0(SALU_CYCLE_1)
	s_add_i32 s52, s16, s19
	s_add_u32 s14, s14, 16
	s_addc_u32 s15, s15, 0
	s_add_u32 s12, s12, 16
	s_addc_u32 s13, s13, 0
	s_add_i32 s71, s73, 4
	s_add_u32 s18, s12, s68
	s_addc_u32 s19, s13, s69
	s_add_u32 s16, s14, s68
	s_addc_u32 s17, s15, s69
	s_add_i32 s70, s73, 1
	s_cmp_ge_u32 s71, s35
	s_cbranch_scc1 .LBB221_29
; %bb.24:                               ;   in Loop: Header=BB221_18 Depth=1
	s_mov_b32 s55, s70
	s_branch .LBB221_18
.LBB221_25:                             ;   in Loop: Header=BB221_18 Depth=1
	s_load_b32 s73, s[70:71], 0x0
	s_waitcnt lgkmcnt(0)
	s_add_i32 s53, s16, s53
	s_add_i32 s51, s73, s51
	s_add_i32 s73, s55, 1
	s_delay_alu instid0(SALU_CYCLE_1)
	s_cmp_ge_u32 s73, s72
	s_cbranch_scc1 .LBB221_20
.LBB221_26:                             ;   in Loop: Header=BB221_18 Depth=1
	s_load_b32 s74, s[70:71], 0x4
	s_waitcnt lgkmcnt(0)
	s_add_i32 s53, s53, s17
	s_add_i32 s51, s74, s51
	s_add_i32 s73, s73, 1
	s_delay_alu instid0(SALU_CYCLE_1)
	s_cmp_ge_u32 s73, s72
	s_cbranch_scc1 .LBB221_21
.LBB221_27:                             ;   in Loop: Header=BB221_18 Depth=1
	s_load_b32 s74, s[70:71], 0x8
	s_waitcnt lgkmcnt(0)
	s_add_i32 s53, s53, s18
	s_add_i32 s51, s74, s51
	;; [unrolled: 1-line block ×3, first 2 shown]
	s_delay_alu instid0(SALU_CYCLE_1)
	s_cmp_ge_u32 s73, s72
	s_cbranch_scc0 .LBB221_22
	s_branch .LBB221_23
.LBB221_28:
	s_mov_b32 s12, 0
	s_delay_alu instid0(SALU_CYCLE_1)
	s_cmp_ge_u32 s12, s35
	s_cbranch_scc0 .LBB221_52
	s_branch .LBB221_30
.LBB221_29:
	s_add_i32 s12, s55, 4
	s_delay_alu instid0(SALU_CYCLE_1)
	s_cmp_ge_u32 s12, s35
	s_cbranch_scc0 .LBB221_52
.LBB221_30:
	v_dual_mov_b32 v1, s51 :: v_dual_mov_b32 v2, s52
	v_dual_mov_b32 v3, s53 :: v_dual_mov_b32 v4, 0
	ds_store_b96 v4, v[1:3] offset:1056
.LBB221_31:
	s_or_b32 exec_lo, exec_lo, s47
	s_clause 0x1
	s_load_b128 s[12:15], s[0:1], 0x1b8
	s_load_b128 s[16:19], s[0:1], 0x360
	s_cmp_eq_u32 s34, 0
	s_waitcnt lgkmcnt(0)
	s_barrier
	buffer_gl0_inv
	s_cbranch_scc1 .LBB221_54
; %bb.32:
	s_mul_i32 s27, s64, s27
	s_mul_hi_u32 s35, s64, s26
	s_mul_i32 s26, s64, s26
	s_add_i32 s35, s35, s27
	s_sub_u32 s26, s44, s26
	s_subb_u32 s35, 0, s35
	s_mul_i32 s27, s26, s57
	s_mul_hi_u32 s47, s26, s56
	s_mul_i32 s35, s35, s56
	s_add_i32 s27, s47, s27
	s_mul_i32 s21, s50, s21
	s_add_i32 s27, s27, s35
	s_mul_hi_u32 s35, s50, s20
	s_mul_i32 s20, s50, s20
	s_add_i32 s35, s35, s21
	s_sub_u32 s20, s58, s20
	s_subb_u32 s35, s59, s35
	s_mul_i32 s21, s20, s39
	s_mul_hi_u32 s39, s20, s38
	s_mul_i32 s35, s35, s38
	s_add_i32 s21, s39, s21
	s_mul_i32 s37, s50, s37
	s_mul_hi_u32 s39, s50, s36
	s_add_i32 s21, s21, s35
	s_mul_i32 s23, s58, s23
	s_mul_hi_u32 s35, s58, s22
	s_mul_i32 s22, s58, s22
	s_add_i32 s37, s39, s37
	s_add_i32 s35, s35, s23
	s_sub_u32 s22, s44, s22
	s_subb_u32 s35, 0, s35
	s_mul_i32 s23, s22, s61
	s_mul_hi_u32 s39, s22, s60
	s_mul_i32 s35, s35, s60
	s_add_i32 s23, s39, s23
	s_mul_i32 s9, s46, s9
	s_add_i32 s23, s23, s35
	s_mul_hi_u32 s35, s46, s8
	s_mul_i32 s8, s46, s8
	s_add_i32 s35, s35, s9
	s_sub_u32 s8, s48, s8
	s_subb_u32 s35, s49, s35
	s_mul_i32 s9, s8, s43
	s_mul_hi_u32 s39, s8, s42
	s_mul_i32 s35, s35, s42
	s_add_i32 s9, s39, s9
	s_mul_i32 s39, s46, s41
	s_mul_hi_u32 s41, s46, s40
	s_add_i32 s9, s9, s35
	s_mul_i32 s11, s48, s11
	s_mul_hi_u32 s35, s48, s10
	s_mul_i32 s10, s48, s10
	s_add_i32 s41, s41, s39
	s_add_i32 s35, s35, s11
	s_sub_u32 s10, s44, s10
	s_subb_u32 s35, 0, s35
	s_mul_i32 s11, s10, s63
	s_mul_hi_u32 s39, s10, s62
	s_mul_i32 s35, s35, s62
	s_add_i32 s11, s39, s11
	s_mul_i32 s25, s54, s25
	s_add_i32 s11, s11, s35
	s_mul_hi_u32 s35, s54, s24
	s_mul_i32 s24, s54, s24
	s_add_i32 s35, s35, s25
	s_sub_u32 s24, s64, s24
	s_subb_u32 s35, s65, s35
	s_mul_i32 s25, s24, s31
	s_mul_hi_u32 s31, s24, s30
	s_mul_i32 s40, s46, s40
	s_add_i32 s25, s31, s25
	s_mul_i32 s35, s35, s30
	s_mul_i32 s29, s54, s29
	s_mul_hi_u32 s31, s54, s28
	s_lshl_b64 s[40:41], s[40:41], 1
	s_mul_i32 s8, s8, s42
	s_add_i32 s25, s25, s35
	s_add_i32 s29, s31, s29
	s_add_u32 s31, s66, s40
	s_addc_u32 s35, s67, s41
	s_lshl_b64 s[8:9], s[8:9], 1
	s_mul_i32 s10, s10, s62
	s_add_u32 s31, s31, s8
	s_addc_u32 s35, s35, s9
	s_lshl_b64 s[8:9], s[10:11], 1
	s_mul_i32 s36, s50, s36
	;; [unrolled: 4-line block ×4, first 2 shown]
	s_add_u32 s14, s14, s8
	s_addc_u32 s15, s15, s9
	s_lshl_b64 s[8:9], s[22:23], 1
	v_dual_mov_b32 v5, 0 :: v_dual_add_nc_u32 v10, -1, v0
	s_mul_i32 s28, s54, s28
	s_add_u32 s14, s14, s8
	s_addc_u32 s15, s15, s9
	s_lshl_b64 s[8:9], s[28:29], 3
	s_mul_i32 s24, s24, s30
	s_add_u32 s18, s18, s8
	ds_load_b96 v[1:3], v5 offset:1056
	s_addc_u32 s19, s19, s9
	s_lshl_b64 s[8:9], s[24:25], 3
	s_mul_i32 s26, s26, s56
	s_add_u32 s18, s18, s8
	s_addc_u32 s19, s19, s9
	s_lshl_b64 s[8:9], s[26:27], 3
	s_load_b32 s21, s[0:1], 0x1b0
	s_add_u32 s18, s18, s8
	s_sext_i32_i16 s8, s45
	s_addc_u32 s19, s19, s9
	s_and_b32 s9, 0xffff, s45
	s_cmp_gt_i32 s8, -1
	s_mov_b32 s8, 0x8000
	v_lshrrev_b32_e32 v4, 5, v0
	s_cselect_b32 s8, s8, 0xffff
	s_lshl_b32 s20, s45, 16
	s_xor_b32 s8, s8, s9
	v_cmp_o_f32_e64 s20, s20, s20
	s_waitcnt lgkmcnt(0)
	v_dual_mov_b32 v14, 0x8000 :: v_dual_add_nc_u32 v1, v1, v2
	v_add_lshl_u32 v8, v4, v0, 2
	v_lshlrev_b32_e32 v2, 3, v0
	s_and_b32 s9, s20, exec_lo
	s_cselect_b32 s20, s8, 0xffff
	s_load_b64 s[8:9], s[0:1], 0x508
	v_mad_u64_u32 v[6:7], null, s72, s33, v[0:1]
	v_lshrrev_b32_e32 v4, 2, v0
	v_lshrrev_b32_e32 v11, 5, v10
	v_mbcnt_lo_u32_b32 v9, -1, 0
	v_cmp_gt_u32_e64 s0, 32, v0
	s_bitcmp1_b32 s21, 0
	v_add_lshl_u32 v0, v4, v2, 2
	v_add_lshl_u32 v10, v11, v10, 2
	v_dual_mov_b32 v4, v6 :: v_dual_and_b32 v11, 15, v9
	v_bfe_i32 v12, v9, 4, 1
	v_add_nc_u32_e32 v13, -1, v9
	s_cselect_b32 s1, -1, 0
                                        ; implicit-def: $vgpr15
	s_branch .LBB221_35
.LBB221_33:                             ;   in Loop: Header=BB221_35 Depth=1
	s_or_b32 exec_lo, exec_lo, s21
	v_add_nc_u32_e32 v1, v2, v1
.LBB221_34:                             ;   in Loop: Header=BB221_35 Depth=1
	v_add_nc_u32_e32 v3, v16, v3
	v_add_nc_u32_e32 v4, 0x100, v4
	s_add_i32 s34, s34, -1
	s_delay_alu instid0(SALU_CYCLE_1)
	s_cmp_lg_u32 s34, 0
	s_cbranch_scc0 .LBB221_54
.LBB221_35:                             ; =>This Inner Loop Header: Depth=1
	v_mov_b32_e32 v2, v5
	v_mov_b32_e32 v6, v5
	s_mov_b32 s21, exec_lo
	v_cmpx_gt_u64_e64 s[4:5], v[4:5]
	s_cbranch_execz .LBB221_37
; %bb.36:                               ;   in Loop: Header=BB221_35 Depth=1
	v_mad_u64_u32 v[6:7], null, v4, s12, 0
	s_delay_alu instid0(VALU_DEP_1) | instskip(NEXT) | instid1(VALU_DEP_1)
	v_mov_b32_e32 v2, v7
	v_mad_u64_u32 v[15:16], null, v4, s13, v[2:3]
	s_delay_alu instid0(VALU_DEP_1) | instskip(NEXT) | instid1(VALU_DEP_1)
	v_mov_b32_e32 v7, v15
	v_lshlrev_b64 v[6:7], 1, v[6:7]
	s_delay_alu instid0(VALU_DEP_1) | instskip(NEXT) | instid1(VALU_DEP_2)
	v_add_co_u32 v6, vcc_lo, s10, v6
	v_add_co_ci_u32_e32 v7, vcc_lo, s11, v7, vcc_lo
	global_load_u16 v15, v[6:7], off
	s_waitcnt vmcnt(0)
	v_and_b32_e32 v2, 0xffff, v15
	v_cmp_lt_i16_e32 vcc_lo, -1, v15
	v_dual_cndmask_b32 v6, 0xffff, v14 :: v_dual_lshlrev_b32 v7, 16, v15
	s_delay_alu instid0(VALU_DEP_1) | instskip(NEXT) | instid1(VALU_DEP_2)
	v_cmp_o_f32_e32 vcc_lo, v7, v7
	v_xor_b32_e32 v2, v6, v2
	s_delay_alu instid0(VALU_DEP_1) | instskip(NEXT) | instid1(VALU_DEP_1)
	v_cndmask_b32_e32 v6, 0xffff, v2, vcc_lo
	v_cmp_lt_u32_e32 vcc_lo, s20, v6
	v_cndmask_b32_e64 v2, 0, 1, vcc_lo
	v_cmp_gt_u32_e32 vcc_lo, s20, v6
	v_cndmask_b32_e64 v7, 0, 1, vcc_lo
	v_cmp_eq_u32_e32 vcc_lo, s20, v6
	s_delay_alu instid0(VALU_DEP_2) | instskip(SKIP_1) | instid1(VALU_DEP_2)
	v_cndmask_b32_e64 v2, v7, v2, s1
	v_cndmask_b32_e64 v6, 0, 1, vcc_lo
	v_and_b32_e32 v2, 1, v2
.LBB221_37:                             ;   in Loop: Header=BB221_35 Depth=1
	s_or_b32 exec_lo, exec_lo, s21
	ds_store_b32 v8, v2
	s_waitcnt lgkmcnt(0)
	s_waitcnt_vscnt null, 0x0
	s_barrier
	buffer_gl0_inv
	s_and_saveexec_b32 s21, s0
	s_cbranch_execz .LBB221_39
; %bb.38:                               ;   in Loop: Header=BB221_35 Depth=1
	ds_load_2addr_b32 v[16:17], v0 offset1:1
	ds_load_2addr_b32 v[18:19], v0 offset0:2 offset1:3
	ds_load_2addr_b32 v[20:21], v0 offset0:4 offset1:5
	;; [unrolled: 1-line block ×3, first 2 shown]
	v_cmp_ne_u32_e32 vcc_lo, 0, v11
	; wave barrier
	s_waitcnt lgkmcnt(3)
	v_add_nc_u32_e32 v7, v17, v16
	s_waitcnt lgkmcnt(2)
	s_delay_alu instid0(VALU_DEP_1) | instskip(SKIP_1) | instid1(VALU_DEP_1)
	v_add3_u32 v7, v7, v18, v19
	s_waitcnt lgkmcnt(1)
	v_add3_u32 v7, v7, v20, v21
	s_waitcnt lgkmcnt(0)
	s_delay_alu instid0(VALU_DEP_1) | instskip(NEXT) | instid1(VALU_DEP_1)
	v_add3_u32 v7, v7, v22, v23
	v_mov_b32_dpp v17, v7 row_shr:1 row_mask:0xf bank_mask:0xf
	s_delay_alu instid0(VALU_DEP_1) | instskip(SKIP_1) | instid1(VALU_DEP_2)
	v_cndmask_b32_e32 v17, 0, v17, vcc_lo
	v_cmp_lt_u32_e32 vcc_lo, 1, v11
	v_add_nc_u32_e32 v7, v17, v7
	s_delay_alu instid0(VALU_DEP_1) | instskip(NEXT) | instid1(VALU_DEP_1)
	v_mov_b32_dpp v17, v7 row_shr:2 row_mask:0xf bank_mask:0xf
	v_cndmask_b32_e32 v17, 0, v17, vcc_lo
	v_cmp_lt_u32_e32 vcc_lo, 3, v11
	s_delay_alu instid0(VALU_DEP_2) | instskip(NEXT) | instid1(VALU_DEP_1)
	v_add_nc_u32_e32 v7, v7, v17
	v_mov_b32_dpp v17, v7 row_shr:4 row_mask:0xf bank_mask:0xf
	s_delay_alu instid0(VALU_DEP_1) | instskip(SKIP_1) | instid1(VALU_DEP_2)
	v_cndmask_b32_e32 v17, 0, v17, vcc_lo
	v_cmp_lt_u32_e32 vcc_lo, 7, v11
	v_add_nc_u32_e32 v7, v7, v17
	s_delay_alu instid0(VALU_DEP_1) | instskip(NEXT) | instid1(VALU_DEP_1)
	v_mov_b32_dpp v17, v7 row_shr:8 row_mask:0xf bank_mask:0xf
	v_cndmask_b32_e32 v17, 0, v17, vcc_lo
	v_cmp_gt_i32_e32 vcc_lo, 0, v13
	s_delay_alu instid0(VALU_DEP_2)
	v_add_nc_u32_e32 v7, v7, v17
	v_cndmask_b32_e32 v18, v13, v9, vcc_lo
	ds_swizzle_b32 v17, v7 offset:swizzle(BROADCAST,32,15)
	v_lshlrev_b32_e32 v18, 2, v18
	s_waitcnt lgkmcnt(0)
	v_and_b32_e32 v17, v12, v17
	s_delay_alu instid0(VALU_DEP_1) | instskip(SKIP_3) | instid1(VALU_DEP_1)
	v_add_nc_u32_e32 v7, v7, v17
	ds_bpermute_b32 v7, v18, v7
	s_waitcnt lgkmcnt(0)
	v_add_nc_u32_e32 v7, v7, v16
	v_cndmask_b32_e64 v7, v7, v2, s3
	ds_store_b32 v0, v7
	; wave barrier
	ds_load_2addr_b32 v[16:17], v0 offset0:1 offset1:2
	ds_load_2addr_b32 v[18:19], v0 offset0:3 offset1:4
	;; [unrolled: 1-line block ×3, first 2 shown]
	ds_load_b32 v22, v0 offset:28
	s_waitcnt lgkmcnt(3)
	v_add_nc_u32_e32 v7, v16, v7
	s_delay_alu instid0(VALU_DEP_1) | instskip(SKIP_1) | instid1(VALU_DEP_1)
	v_add_nc_u32_e32 v16, v17, v7
	s_waitcnt lgkmcnt(2)
	v_add_nc_u32_e32 v17, v18, v16
	s_delay_alu instid0(VALU_DEP_1) | instskip(SKIP_1) | instid1(VALU_DEP_1)
	v_add_nc_u32_e32 v18, v19, v17
	;; [unrolled: 4-line block ×3, first 2 shown]
	s_waitcnt lgkmcnt(0)
	v_add_nc_u32_e32 v21, v22, v20
	ds_store_2addr_b32 v0, v7, v16 offset0:1 offset1:2
	ds_store_2addr_b32 v0, v17, v18 offset0:3 offset1:4
	;; [unrolled: 1-line block ×3, first 2 shown]
	ds_store_b32 v0, v21 offset:28
.LBB221_39:                             ;   in Loop: Header=BB221_35 Depth=1
	s_or_b32 exec_lo, exec_lo, s21
	v_mov_b32_e32 v7, 0
	s_waitcnt lgkmcnt(0)
	s_barrier
	buffer_gl0_inv
	s_and_saveexec_b32 s21, s2
	s_cbranch_execz .LBB221_41
; %bb.40:                               ;   in Loop: Header=BB221_35 Depth=1
	ds_load_b32 v7, v10
.LBB221_41:                             ;   in Loop: Header=BB221_35 Depth=1
	s_or_b32 exec_lo, exec_lo, s21
	ds_load_b32 v16, v5 offset:1048
	s_mov_b32 s21, exec_lo
	s_waitcnt lgkmcnt(0)
	s_barrier
	buffer_gl0_inv
	v_cmpx_ne_u32_e32 0, v2
	s_cbranch_execz .LBB221_43
; %bb.42:                               ;   in Loop: Header=BB221_35 Depth=1
	v_add_nc_u32_e32 v23, v7, v3
	s_delay_alu instid0(VALU_DEP_1) | instskip(NEXT) | instid1(VALU_DEP_1)
	v_mad_u64_u32 v[17:18], null, v23, s16, 0
	v_mov_b32_e32 v2, v18
	v_mad_u64_u32 v[19:20], null, v23, s8, 0
	s_delay_alu instid0(VALU_DEP_1) | instskip(NEXT) | instid1(VALU_DEP_3)
	v_mov_b32_e32 v7, v20
	v_mad_u64_u32 v[20:21], null, v23, s17, v[2:3]
	s_delay_alu instid0(VALU_DEP_2) | instskip(NEXT) | instid1(VALU_DEP_2)
	v_mad_u64_u32 v[21:22], null, v23, s9, v[7:8]
	v_mov_b32_e32 v18, v20
	s_delay_alu instid0(VALU_DEP_2) | instskip(NEXT) | instid1(VALU_DEP_2)
	v_mov_b32_e32 v20, v21
	v_lshlrev_b64 v[17:18], 1, v[17:18]
	s_delay_alu instid0(VALU_DEP_2) | instskip(NEXT) | instid1(VALU_DEP_2)
	v_lshlrev_b64 v[19:20], 3, v[19:20]
	v_add_co_u32 v17, vcc_lo, s14, v17
	s_delay_alu instid0(VALU_DEP_3) | instskip(NEXT) | instid1(VALU_DEP_3)
	v_add_co_ci_u32_e32 v18, vcc_lo, s15, v18, vcc_lo
	v_add_co_u32 v19, vcc_lo, s18, v19
	s_delay_alu instid0(VALU_DEP_4)
	v_add_co_ci_u32_e32 v20, vcc_lo, s19, v20, vcc_lo
	global_store_b16 v[17:18], v15, off
	global_store_b64 v[19:20], v[4:5], off
.LBB221_43:                             ;   in Loop: Header=BB221_35 Depth=1
	s_or_b32 exec_lo, exec_lo, s21
	v_mov_b32_e32 v2, v5
	s_delay_alu instid0(VALU_DEP_1)
	v_cmp_le_u64_e32 vcc_lo, s[6:7], v[1:2]
	s_cbranch_vccnz .LBB221_34
; %bb.44:                               ;   in Loop: Header=BB221_35 Depth=1
	ds_store_b32 v8, v6
	s_waitcnt lgkmcnt(0)
	s_waitcnt_vscnt null, 0x0
	s_barrier
	buffer_gl0_inv
	s_and_saveexec_b32 s21, s0
	s_cbranch_execz .LBB221_46
; %bb.45:                               ;   in Loop: Header=BB221_35 Depth=1
	ds_load_2addr_b32 v[17:18], v0 offset1:1
	ds_load_2addr_b32 v[19:20], v0 offset0:2 offset1:3
	ds_load_2addr_b32 v[21:22], v0 offset0:4 offset1:5
	;; [unrolled: 1-line block ×3, first 2 shown]
	v_cmp_ne_u32_e32 vcc_lo, 0, v11
	; wave barrier
	s_waitcnt lgkmcnt(3)
	v_add_nc_u32_e32 v2, v18, v17
	s_waitcnt lgkmcnt(2)
	s_delay_alu instid0(VALU_DEP_1) | instskip(SKIP_1) | instid1(VALU_DEP_1)
	v_add3_u32 v2, v2, v19, v20
	s_waitcnt lgkmcnt(1)
	v_add3_u32 v2, v2, v21, v22
	s_waitcnt lgkmcnt(0)
	s_delay_alu instid0(VALU_DEP_1) | instskip(NEXT) | instid1(VALU_DEP_1)
	v_add3_u32 v2, v2, v23, v24
	v_mov_b32_dpp v7, v2 row_shr:1 row_mask:0xf bank_mask:0xf
	s_delay_alu instid0(VALU_DEP_1) | instskip(SKIP_1) | instid1(VALU_DEP_2)
	v_cndmask_b32_e32 v7, 0, v7, vcc_lo
	v_cmp_lt_u32_e32 vcc_lo, 1, v11
	v_add_nc_u32_e32 v2, v7, v2
	s_delay_alu instid0(VALU_DEP_1) | instskip(NEXT) | instid1(VALU_DEP_1)
	v_mov_b32_dpp v7, v2 row_shr:2 row_mask:0xf bank_mask:0xf
	v_cndmask_b32_e32 v7, 0, v7, vcc_lo
	v_cmp_lt_u32_e32 vcc_lo, 3, v11
	s_delay_alu instid0(VALU_DEP_2) | instskip(NEXT) | instid1(VALU_DEP_1)
	v_add_nc_u32_e32 v2, v2, v7
	v_mov_b32_dpp v7, v2 row_shr:4 row_mask:0xf bank_mask:0xf
	s_delay_alu instid0(VALU_DEP_1) | instskip(SKIP_1) | instid1(VALU_DEP_2)
	v_cndmask_b32_e32 v7, 0, v7, vcc_lo
	v_cmp_lt_u32_e32 vcc_lo, 7, v11
	v_add_nc_u32_e32 v2, v2, v7
	s_delay_alu instid0(VALU_DEP_1) | instskip(NEXT) | instid1(VALU_DEP_1)
	v_mov_b32_dpp v7, v2 row_shr:8 row_mask:0xf bank_mask:0xf
	v_cndmask_b32_e32 v7, 0, v7, vcc_lo
	v_cmp_gt_i32_e32 vcc_lo, 0, v13
	v_cndmask_b32_e32 v18, v13, v9, vcc_lo
	s_delay_alu instid0(VALU_DEP_1) | instskip(NEXT) | instid1(VALU_DEP_4)
	v_lshlrev_b32_e32 v18, 2, v18
	v_add_nc_u32_e32 v2, v2, v7
	ds_swizzle_b32 v7, v2 offset:swizzle(BROADCAST,32,15)
	s_waitcnt lgkmcnt(0)
	v_and_b32_e32 v7, v12, v7
	s_delay_alu instid0(VALU_DEP_1) | instskip(SKIP_3) | instid1(VALU_DEP_1)
	v_add_nc_u32_e32 v2, v2, v7
	ds_bpermute_b32 v2, v18, v2
	s_waitcnt lgkmcnt(0)
	v_add_nc_u32_e32 v2, v2, v17
	v_cndmask_b32_e64 v2, v2, v6, s3
	ds_store_b32 v0, v2
	; wave barrier
	ds_load_2addr_b32 v[17:18], v0 offset0:1 offset1:2
	ds_load_2addr_b32 v[19:20], v0 offset0:3 offset1:4
	;; [unrolled: 1-line block ×3, first 2 shown]
	ds_load_b32 v7, v0 offset:28
	s_waitcnt lgkmcnt(3)
	v_add_nc_u32_e32 v2, v17, v2
	s_delay_alu instid0(VALU_DEP_1) | instskip(SKIP_1) | instid1(VALU_DEP_1)
	v_add_nc_u32_e32 v17, v18, v2
	s_waitcnt lgkmcnt(2)
	v_add_nc_u32_e32 v18, v19, v17
	s_delay_alu instid0(VALU_DEP_1) | instskip(SKIP_1) | instid1(VALU_DEP_1)
	v_add_nc_u32_e32 v19, v20, v18
	;; [unrolled: 4-line block ×3, first 2 shown]
	s_waitcnt lgkmcnt(0)
	v_add_nc_u32_e32 v7, v7, v21
	ds_store_2addr_b32 v0, v2, v17 offset0:1 offset1:2
	ds_store_2addr_b32 v0, v18, v19 offset0:3 offset1:4
	;; [unrolled: 1-line block ×3, first 2 shown]
	ds_store_b32 v0, v7 offset:28
.LBB221_46:                             ;   in Loop: Header=BB221_35 Depth=1
	s_or_b32 exec_lo, exec_lo, s21
	v_mov_b32_e32 v7, 0
	s_waitcnt lgkmcnt(0)
	s_barrier
	buffer_gl0_inv
	s_and_saveexec_b32 s21, s2
	s_cbranch_execz .LBB221_48
; %bb.47:                               ;   in Loop: Header=BB221_35 Depth=1
	ds_load_b32 v7, v10
.LBB221_48:                             ;   in Loop: Header=BB221_35 Depth=1
	s_or_b32 exec_lo, exec_lo, s21
	ds_load_b32 v2, v5 offset:1048
	s_mov_b32 s21, exec_lo
	s_waitcnt lgkmcnt(0)
	s_barrier
	buffer_gl0_inv
	v_cmpx_ne_u32_e32 0, v6
	s_cbranch_execz .LBB221_33
; %bb.49:                               ;   in Loop: Header=BB221_35 Depth=1
	v_dual_mov_b32 v7, v5 :: v_dual_add_nc_u32 v6, v7, v1
	s_delay_alu instid0(VALU_DEP_1)
	v_cmp_gt_u64_e32 vcc_lo, s[6:7], v[6:7]
	s_and_b32 exec_lo, exec_lo, vcc_lo
	s_cbranch_execz .LBB221_33
; %bb.50:                               ;   in Loop: Header=BB221_35 Depth=1
	v_mad_u64_u32 v[17:18], null, v6, s16, 0
	v_mad_u64_u32 v[19:20], null, v6, s8, 0
	s_delay_alu instid0(VALU_DEP_1) | instskip(NEXT) | instid1(VALU_DEP_1)
	v_dual_mov_b32 v7, v18 :: v_dual_mov_b32 v18, v20
	v_mad_u64_u32 v[20:21], null, v6, s17, v[7:8]
	s_delay_alu instid0(VALU_DEP_2) | instskip(NEXT) | instid1(VALU_DEP_2)
	v_mad_u64_u32 v[21:22], null, v6, s9, v[18:19]
	v_mov_b32_e32 v18, v20
	s_delay_alu instid0(VALU_DEP_2) | instskip(NEXT) | instid1(VALU_DEP_2)
	v_mov_b32_e32 v20, v21
	v_lshlrev_b64 v[6:7], 1, v[17:18]
	s_delay_alu instid0(VALU_DEP_2) | instskip(NEXT) | instid1(VALU_DEP_2)
	v_lshlrev_b64 v[17:18], 3, v[19:20]
	v_add_co_u32 v6, vcc_lo, s14, v6
	s_delay_alu instid0(VALU_DEP_3) | instskip(NEXT) | instid1(VALU_DEP_3)
	v_add_co_ci_u32_e32 v7, vcc_lo, s15, v7, vcc_lo
	v_add_co_u32 v17, vcc_lo, s18, v17
	s_delay_alu instid0(VALU_DEP_4)
	v_add_co_ci_u32_e32 v18, vcc_lo, s19, v18, vcc_lo
	global_store_b16 v[6:7], v15, off
	global_store_b64 v[17:18], v[4:5], off
	s_branch .LBB221_33
	.p2align	6
.LBB221_51:                             ;   in Loop: Header=BB221_52 Depth=1
	s_add_u32 s16, s16, 4
	s_addc_u32 s17, s17, 0
	s_waitcnt lgkmcnt(0)
	s_add_i32 s52, s13, s52
	s_add_u32 s18, s18, 4
	s_addc_u32 s19, s19, 0
	s_add_i32 s12, s12, 1
	s_delay_alu instid0(SALU_CYCLE_1)
	s_cmp_lt_u32 s12, s35
	s_cbranch_scc0 .LBB221_30
.LBB221_52:                             ; =>This Inner Loop Header: Depth=1
	s_load_b32 s13, s[16:17], 0x0
	s_cmp_ge_u32 s12, s72
	s_cbranch_scc1 .LBB221_51
; %bb.53:                               ;   in Loop: Header=BB221_52 Depth=1
	s_load_b32 s14, s[18:19], 0x0
	s_waitcnt lgkmcnt(0)
	s_add_i32 s53, s13, s53
	s_add_i32 s51, s14, s51
	s_branch .LBB221_51
.LBB221_54:
	s_nop 0
	s_sendmsg sendmsg(MSG_DEALLOC_VGPRS)
	s_endpgm
	.section	.rodata,"a",@progbits
	.p2align	6, 0x0
	.amdhsa_kernel _ZN2at6native6mbtopk10gatherTopKIN3c108BFloat16EmLi3EEEvNS_4cuda6detail10TensorInfoIKT_T0_EESA_SA_bjSA_NS7_IS8_SA_EESA_NS7_IlSA_EESA_jjPS8_PjSF_j
		.amdhsa_group_segment_fixed_size 1068
		.amdhsa_private_segment_fixed_size 0
		.amdhsa_kernarg_size 1592
		.amdhsa_user_sgpr_count 13
		.amdhsa_user_sgpr_dispatch_ptr 0
		.amdhsa_user_sgpr_queue_ptr 0
		.amdhsa_user_sgpr_kernarg_segment_ptr 1
		.amdhsa_user_sgpr_dispatch_id 0
		.amdhsa_user_sgpr_private_segment_size 0
		.amdhsa_wavefront_size32 1
		.amdhsa_uses_dynamic_stack 0
		.amdhsa_enable_private_segment 0
		.amdhsa_system_sgpr_workgroup_id_x 1
		.amdhsa_system_sgpr_workgroup_id_y 1
		.amdhsa_system_sgpr_workgroup_id_z 1
		.amdhsa_system_sgpr_workgroup_info 0
		.amdhsa_system_vgpr_workitem_id 0
		.amdhsa_next_free_vgpr 25
		.amdhsa_next_free_sgpr 75
		.amdhsa_reserve_vcc 1
		.amdhsa_float_round_mode_32 0
		.amdhsa_float_round_mode_16_64 0
		.amdhsa_float_denorm_mode_32 3
		.amdhsa_float_denorm_mode_16_64 3
		.amdhsa_dx10_clamp 1
		.amdhsa_ieee_mode 1
		.amdhsa_fp16_overflow 0
		.amdhsa_workgroup_processor_mode 1
		.amdhsa_memory_ordered 1
		.amdhsa_forward_progress 0
		.amdhsa_shared_vgpr_count 0
		.amdhsa_exception_fp_ieee_invalid_op 0
		.amdhsa_exception_fp_denorm_src 0
		.amdhsa_exception_fp_ieee_div_zero 0
		.amdhsa_exception_fp_ieee_overflow 0
		.amdhsa_exception_fp_ieee_underflow 0
		.amdhsa_exception_fp_ieee_inexact 0
		.amdhsa_exception_int_div_zero 0
	.end_amdhsa_kernel
	.section	.text._ZN2at6native6mbtopk10gatherTopKIN3c108BFloat16EmLi3EEEvNS_4cuda6detail10TensorInfoIKT_T0_EESA_SA_bjSA_NS7_IS8_SA_EESA_NS7_IlSA_EESA_jjPS8_PjSF_j,"axG",@progbits,_ZN2at6native6mbtopk10gatherTopKIN3c108BFloat16EmLi3EEEvNS_4cuda6detail10TensorInfoIKT_T0_EESA_SA_bjSA_NS7_IS8_SA_EESA_NS7_IlSA_EESA_jjPS8_PjSF_j,comdat
.Lfunc_end221:
	.size	_ZN2at6native6mbtopk10gatherTopKIN3c108BFloat16EmLi3EEEvNS_4cuda6detail10TensorInfoIKT_T0_EESA_SA_bjSA_NS7_IS8_SA_EESA_NS7_IlSA_EESA_jjPS8_PjSF_j, .Lfunc_end221-_ZN2at6native6mbtopk10gatherTopKIN3c108BFloat16EmLi3EEEvNS_4cuda6detail10TensorInfoIKT_T0_EESA_SA_bjSA_NS7_IS8_SA_EESA_NS7_IlSA_EESA_jjPS8_PjSF_j
                                        ; -- End function
	.section	.AMDGPU.csdata,"",@progbits
; Kernel info:
; codeLenInByte = 3992
; NumSgprs: 77
; NumVgprs: 25
; ScratchSize: 0
; MemoryBound: 0
; FloatMode: 240
; IeeeMode: 1
; LDSByteSize: 1068 bytes/workgroup (compile time only)
; SGPRBlocks: 9
; VGPRBlocks: 3
; NumSGPRsForWavesPerEU: 77
; NumVGPRsForWavesPerEU: 25
; Occupancy: 16
; WaveLimiterHint : 1
; COMPUTE_PGM_RSRC2:SCRATCH_EN: 0
; COMPUTE_PGM_RSRC2:USER_SGPR: 13
; COMPUTE_PGM_RSRC2:TRAP_HANDLER: 0
; COMPUTE_PGM_RSRC2:TGID_X_EN: 1
; COMPUTE_PGM_RSRC2:TGID_Y_EN: 1
; COMPUTE_PGM_RSRC2:TGID_Z_EN: 1
; COMPUTE_PGM_RSRC2:TIDIG_COMP_CNT: 0
	.section	.text._ZN2at6native6sbtopk10gatherTopKIN3c108BFloat16EmLi3ELb0EEEvNS_4cuda6detail10TensorInfoIKT_T0_EESA_SA_bSA_SA_NS7_IS8_SA_EESA_NS7_IlSA_EESA_PS8_,"axG",@progbits,_ZN2at6native6sbtopk10gatherTopKIN3c108BFloat16EmLi3ELb0EEEvNS_4cuda6detail10TensorInfoIKT_T0_EESA_SA_bSA_SA_NS7_IS8_SA_EESA_NS7_IlSA_EESA_PS8_,comdat
	.protected	_ZN2at6native6sbtopk10gatherTopKIN3c108BFloat16EmLi3ELb0EEEvNS_4cuda6detail10TensorInfoIKT_T0_EESA_SA_bSA_SA_NS7_IS8_SA_EESA_NS7_IlSA_EESA_PS8_ ; -- Begin function _ZN2at6native6sbtopk10gatherTopKIN3c108BFloat16EmLi3ELb0EEEvNS_4cuda6detail10TensorInfoIKT_T0_EESA_SA_bSA_SA_NS7_IS8_SA_EESA_NS7_IlSA_EESA_PS8_
	.globl	_ZN2at6native6sbtopk10gatherTopKIN3c108BFloat16EmLi3ELb0EEEvNS_4cuda6detail10TensorInfoIKT_T0_EESA_SA_bSA_SA_NS7_IS8_SA_EESA_NS7_IlSA_EESA_PS8_
	.p2align	8
	.type	_ZN2at6native6sbtopk10gatherTopKIN3c108BFloat16EmLi3ELb0EEEvNS_4cuda6detail10TensorInfoIKT_T0_EESA_SA_bSA_SA_NS7_IS8_SA_EESA_NS7_IlSA_EESA_PS8_,@function
_ZN2at6native6sbtopk10gatherTopKIN3c108BFloat16EmLi3ELb0EEEvNS_4cuda6detail10TensorInfoIKT_T0_EESA_SA_bSA_SA_NS7_IS8_SA_EESA_NS7_IlSA_EESA_PS8_: ; @_ZN2at6native6sbtopk10gatherTopKIN3c108BFloat16EmLi3ELb0EEEvNS_4cuda6detail10TensorInfoIKT_T0_EESA_SA_bSA_SA_NS7_IS8_SA_EESA_NS7_IlSA_EESA_PS8_
; %bb.0:
	s_clause 0x1
	s_load_b64 s[22:23], s[0:1], 0x520
	s_load_b128 s[28:31], s[0:1], 0x1b8
	s_add_u32 s20, s0, 0x520
	s_addc_u32 s21, s1, 0
	s_mov_b32 s35, 0
	s_waitcnt lgkmcnt(0)
	s_mul_i32 s2, s23, s15
	s_delay_alu instid0(SALU_CYCLE_1) | instskip(NEXT) | instid1(SALU_CYCLE_1)
	s_add_i32 s2, s2, s14
	s_mul_i32 s2, s2, s22
	s_delay_alu instid0(SALU_CYCLE_1) | instskip(NEXT) | instid1(SALU_CYCLE_1)
	s_add_i32 s34, s2, s13
	v_cmp_ge_u64_e64 s2, s[34:35], s[28:29]
	s_delay_alu instid0(VALU_DEP_1)
	s_and_b32 vcc_lo, exec_lo, s2
	s_cbranch_vccnz .LBB222_551
; %bb.1:
	s_load_b128 s[8:11], s[0:1], 0x10
	s_mov_b64 s[2:3], 0
	s_mov_b64 s[6:7], 0
	s_waitcnt lgkmcnt(0)
	v_cmp_lt_u64_e64 s4, s[34:35], s[10:11]
	s_delay_alu instid0(VALU_DEP_1)
	s_and_b32 vcc_lo, exec_lo, s4
	s_cbranch_vccnz .LBB222_3
; %bb.2:
	v_cvt_f32_u32_e32 v1, s10
	s_sub_i32 s4, 0, s10
	s_mov_b32 s7, 0
	s_delay_alu instid0(VALU_DEP_1) | instskip(SKIP_2) | instid1(VALU_DEP_1)
	v_rcp_iflag_f32_e32 v1, v1
	s_waitcnt_depctr 0xfff
	v_mul_f32_e32 v1, 0x4f7ffffe, v1
	v_cvt_u32_f32_e32 v1, v1
	s_delay_alu instid0(VALU_DEP_1) | instskip(NEXT) | instid1(VALU_DEP_1)
	v_readfirstlane_b32 s3, v1
	s_mul_i32 s4, s4, s3
	s_delay_alu instid0(SALU_CYCLE_1) | instskip(NEXT) | instid1(SALU_CYCLE_1)
	s_mul_hi_u32 s4, s3, s4
	s_add_i32 s3, s3, s4
	s_delay_alu instid0(SALU_CYCLE_1) | instskip(NEXT) | instid1(SALU_CYCLE_1)
	s_mul_hi_u32 s3, s34, s3
	s_mul_i32 s4, s3, s10
	s_add_i32 s5, s3, 1
	s_sub_i32 s4, s34, s4
	s_delay_alu instid0(SALU_CYCLE_1)
	s_sub_i32 s6, s4, s10
	s_cmp_ge_u32 s4, s10
	s_cselect_b32 s3, s5, s3
	s_cselect_b32 s4, s6, s4
	s_add_i32 s5, s3, 1
	s_cmp_ge_u32 s4, s10
	s_cselect_b32 s6, s5, s3
.LBB222_3:
	s_load_b128 s[40:43], s[0:1], 0x1d8
	v_cmp_lt_u64_e64 s3, s[6:7], s[8:9]
	s_delay_alu instid0(VALU_DEP_1)
	s_and_b32 vcc_lo, exec_lo, s3
	s_cbranch_vccnz .LBB222_5
; %bb.4:
	v_cvt_f32_u32_e32 v1, s8
	s_sub_i32 s3, 0, s8
	s_delay_alu instid0(VALU_DEP_1) | instskip(SKIP_2) | instid1(VALU_DEP_1)
	v_rcp_iflag_f32_e32 v1, v1
	s_waitcnt_depctr 0xfff
	v_mul_f32_e32 v1, 0x4f7ffffe, v1
	v_cvt_u32_f32_e32 v1, v1
	s_delay_alu instid0(VALU_DEP_1) | instskip(NEXT) | instid1(VALU_DEP_1)
	v_readfirstlane_b32 s2, v1
	s_mul_i32 s3, s3, s2
	s_delay_alu instid0(SALU_CYCLE_1) | instskip(NEXT) | instid1(SALU_CYCLE_1)
	s_mul_hi_u32 s3, s2, s3
	s_add_i32 s2, s2, s3
	s_delay_alu instid0(SALU_CYCLE_1) | instskip(NEXT) | instid1(SALU_CYCLE_1)
	s_mul_hi_u32 s2, s6, s2
	s_mul_i32 s3, s2, s8
	s_add_i32 s4, s2, 1
	s_sub_i32 s3, s6, s3
	s_delay_alu instid0(SALU_CYCLE_1)
	s_sub_i32 s5, s3, s8
	s_cmp_ge_u32 s3, s8
	s_cselect_b32 s2, s4, s2
	s_cselect_b32 s3, s5, s3
	s_add_i32 s4, s2, 1
	s_cmp_ge_u32 s3, s8
	s_cselect_b32 s2, s4, s2
.LBB222_5:
	s_waitcnt lgkmcnt(0)
	v_cmp_lt_u64_e64 s3, s[34:35], s[42:43]
	s_mov_b64 s[28:29], 0
	s_mov_b64 s[56:57], 0
	s_delay_alu instid0(VALU_DEP_1)
	s_and_b32 vcc_lo, exec_lo, s3
	s_cbranch_vccnz .LBB222_7
; %bb.6:
	v_cvt_f32_u32_e32 v1, s42
	s_sub_i32 s4, 0, s42
	s_mov_b32 s57, 0
	s_delay_alu instid0(VALU_DEP_1) | instskip(SKIP_2) | instid1(VALU_DEP_1)
	v_rcp_iflag_f32_e32 v1, v1
	s_waitcnt_depctr 0xfff
	v_mul_f32_e32 v1, 0x4f7ffffe, v1
	v_cvt_u32_f32_e32 v1, v1
	s_delay_alu instid0(VALU_DEP_1) | instskip(NEXT) | instid1(VALU_DEP_1)
	v_readfirstlane_b32 s3, v1
	s_mul_i32 s4, s4, s3
	s_delay_alu instid0(SALU_CYCLE_1) | instskip(NEXT) | instid1(SALU_CYCLE_1)
	s_mul_hi_u32 s4, s3, s4
	s_add_i32 s3, s3, s4
	s_delay_alu instid0(SALU_CYCLE_1) | instskip(NEXT) | instid1(SALU_CYCLE_1)
	s_mul_hi_u32 s3, s34, s3
	s_mul_i32 s4, s3, s42
	s_add_i32 s5, s3, 1
	s_sub_i32 s4, s34, s4
	s_delay_alu instid0(SALU_CYCLE_1)
	s_sub_i32 s12, s4, s42
	s_cmp_ge_u32 s4, s42
	s_cselect_b32 s3, s5, s3
	s_cselect_b32 s4, s12, s4
	s_add_i32 s5, s3, 1
	s_cmp_ge_u32 s4, s42
	s_cselect_b32 s56, s5, s3
.LBB222_7:
	s_load_b128 s[44:47], s[0:1], 0x380
	v_cmp_lt_u64_e64 s3, s[56:57], s[40:41]
	s_delay_alu instid0(VALU_DEP_1)
	s_and_b32 vcc_lo, exec_lo, s3
	s_cbranch_vccnz .LBB222_9
; %bb.8:
	v_cvt_f32_u32_e32 v1, s40
	s_sub_i32 s4, 0, s40
	s_delay_alu instid0(VALU_DEP_1) | instskip(SKIP_2) | instid1(VALU_DEP_1)
	v_rcp_iflag_f32_e32 v1, v1
	s_waitcnt_depctr 0xfff
	v_mul_f32_e32 v1, 0x4f7ffffe, v1
	v_cvt_u32_f32_e32 v1, v1
	s_delay_alu instid0(VALU_DEP_1) | instskip(NEXT) | instid1(VALU_DEP_1)
	v_readfirstlane_b32 s3, v1
	s_mul_i32 s4, s4, s3
	s_delay_alu instid0(SALU_CYCLE_1) | instskip(NEXT) | instid1(SALU_CYCLE_1)
	s_mul_hi_u32 s4, s3, s4
	s_add_i32 s3, s3, s4
	s_delay_alu instid0(SALU_CYCLE_1) | instskip(NEXT) | instid1(SALU_CYCLE_1)
	s_mul_hi_u32 s3, s56, s3
	s_mul_i32 s4, s3, s40
	s_add_i32 s5, s3, 1
	s_sub_i32 s4, s56, s4
	s_delay_alu instid0(SALU_CYCLE_1)
	s_sub_i32 s12, s4, s40
	s_cmp_ge_u32 s4, s40
	s_cselect_b32 s3, s5, s3
	s_cselect_b32 s4, s12, s4
	s_add_i32 s5, s3, 1
	s_cmp_ge_u32 s4, s40
	s_cselect_b32 s28, s5, s3
.LBB222_9:
	s_clause 0x1
	s_load_b64 s[14:15], s[0:1], 0xe0
	s_load_b128 s[16:19], s[0:1], 0xd0
	s_waitcnt lgkmcnt(0)
	v_cmp_lt_u64_e64 s3, s[34:35], s[46:47]
	s_mov_b64 s[58:59], 0
	s_mov_b64 s[64:65], 0
	s_delay_alu instid0(VALU_DEP_1)
	s_and_b32 vcc_lo, exec_lo, s3
	s_cbranch_vccnz .LBB222_11
; %bb.10:
	v_cvt_f32_u32_e32 v1, s46
	s_sub_i32 s4, 0, s46
	s_mov_b32 s65, 0
	s_delay_alu instid0(VALU_DEP_1) | instskip(SKIP_2) | instid1(VALU_DEP_1)
	v_rcp_iflag_f32_e32 v1, v1
	s_waitcnt_depctr 0xfff
	v_mul_f32_e32 v1, 0x4f7ffffe, v1
	v_cvt_u32_f32_e32 v1, v1
	s_delay_alu instid0(VALU_DEP_1) | instskip(NEXT) | instid1(VALU_DEP_1)
	v_readfirstlane_b32 s3, v1
	s_mul_i32 s4, s4, s3
	s_delay_alu instid0(SALU_CYCLE_1) | instskip(NEXT) | instid1(SALU_CYCLE_1)
	s_mul_hi_u32 s4, s3, s4
	s_add_i32 s3, s3, s4
	s_delay_alu instid0(SALU_CYCLE_1) | instskip(NEXT) | instid1(SALU_CYCLE_1)
	s_mul_hi_u32 s3, s34, s3
	s_mul_i32 s4, s3, s46
	s_add_i32 s5, s3, 1
	s_sub_i32 s4, s34, s4
	s_delay_alu instid0(SALU_CYCLE_1)
	s_sub_i32 s12, s4, s46
	s_cmp_ge_u32 s4, s46
	s_cselect_b32 s3, s5, s3
	s_cselect_b32 s4, s12, s4
	s_add_i32 s5, s3, 1
	s_cmp_ge_u32 s4, s46
	s_cselect_b32 s64, s5, s3
.LBB222_11:
	s_load_b64 s[24:25], s[0:1], 0x0
	v_cmp_lt_u64_e64 s3, s[64:65], s[44:45]
	s_delay_alu instid0(VALU_DEP_1)
	s_and_b32 vcc_lo, exec_lo, s3
	s_cbranch_vccnz .LBB222_13
; %bb.12:
	v_cvt_f32_u32_e32 v1, s44
	s_sub_i32 s4, 0, s44
	s_delay_alu instid0(VALU_DEP_1) | instskip(SKIP_2) | instid1(VALU_DEP_1)
	v_rcp_iflag_f32_e32 v1, v1
	s_waitcnt_depctr 0xfff
	v_mul_f32_e32 v1, 0x4f7ffffe, v1
	v_cvt_u32_f32_e32 v1, v1
	s_delay_alu instid0(VALU_DEP_1) | instskip(NEXT) | instid1(VALU_DEP_1)
	v_readfirstlane_b32 s3, v1
	s_mul_i32 s4, s4, s3
	s_delay_alu instid0(SALU_CYCLE_1) | instskip(NEXT) | instid1(SALU_CYCLE_1)
	s_mul_hi_u32 s4, s3, s4
	s_add_i32 s3, s3, s4
	s_delay_alu instid0(SALU_CYCLE_1) | instskip(NEXT) | instid1(SALU_CYCLE_1)
	s_mul_hi_u32 s3, s64, s3
	s_mul_i32 s4, s3, s44
	s_add_i32 s5, s3, 1
	s_sub_i32 s4, s64, s4
	s_delay_alu instid0(SALU_CYCLE_1)
	s_sub_i32 s12, s4, s44
	s_cmp_ge_u32 s4, s44
	s_cselect_b32 s3, s5, s3
	s_cselect_b32 s4, s12, s4
	s_add_i32 s5, s3, 1
	s_cmp_ge_u32 s4, s44
	s_cselect_b32 s58, s5, s3
.LBB222_13:
	s_clause 0x1
	s_load_b64 s[4:5], s[0:1], 0x370
	s_load_b128 s[36:39], s[0:1], 0x1a0
                                        ; implicit-def: $vgpr37 : SGPR spill to VGPR lane
	s_mov_b32 s71, 0
	s_waitcnt lgkmcnt(0)
	v_writelane_b32 v37, s4, 0
	v_writelane_b32 v37, s5, 1
	v_cmp_eq_u32_e64 s5, 0, v0
	s_delay_alu instid0(VALU_DEP_1)
	s_and_saveexec_b32 s3, s5
	s_cbranch_execz .LBB222_15
; %bb.14:
	v_dual_mov_b32 v1, 0 :: v_dual_mov_b32 v4, s37
	s_delay_alu instid0(VALU_DEP_1)
	v_dual_mov_b32 v3, s36 :: v_dual_mov_b32 v2, v1
	ds_store_b32 v1, v1 offset:5144
	ds_store_b128 v1, v[1:4] offset:5120
.LBB222_15:
	s_or_b32 exec_lo, exec_lo, s3
	s_mul_i32 s3, s2, s9
	s_mul_hi_u32 s4, s2, s8
	s_mul_i32 s8, s2, s8
	s_add_i32 s4, s4, s3
	s_sub_u32 s8, s6, s8
	s_subb_u32 s4, s7, s4
	s_mul_i32 s3, s8, s19
	s_mul_hi_u32 s9, s8, s18
	s_mul_i32 s4, s4, s18
	s_add_i32 s3, s9, s3
	s_mul_i32 s9, s2, s17
	s_mul_hi_u32 s12, s2, s16
	s_add_i32 s7, s3, s4
	s_add_i32 s3, s12, s9
	s_mul_i32 s4, s6, s11
	s_mul_hi_u32 s9, s6, s10
	s_mul_i32 s6, s6, s10
	s_add_i32 s9, s9, s4
	s_sub_u32 s4, s34, s6
	s_mul_i32 s6, s8, s18
	s_mul_i32 s8, s4, s15
	s_mul_hi_u32 s11, s4, s14
	s_subb_u32 s9, 0, s9
	s_mul_i32 s2, s2, s16
	s_add_i32 s8, s11, s8
	s_mul_i32 s9, s9, s14
	s_load_b32 s10, s[0:1], 0x1b0
	s_lshl_b64 s[2:3], s[2:3], 1
	s_add_i32 s9, s8, s9
	s_add_u32 s11, s24, s2
	v_mad_u64_u32 v[1:2], null, v0, s30, 0
	s_addc_u32 s12, s25, s3
	s_lshl_b64 s[2:3], s[6:7], 1
	s_waitcnt lgkmcnt(0)
	s_barrier
	buffer_gl0_inv
	s_load_b32 s7, s[20:21], 0xc
	v_mad_u64_u32 v[3:4], null, v0, s31, v[2:3]
	s_mul_i32 s8, s4, s14
	v_mbcnt_lo_u32_b32 v23, -1, 0
	s_add_u32 s4, s11, s2
	s_addc_u32 s6, s12, s3
	s_lshl_b64 s[2:3], s[8:9], 1
	v_cmp_gt_u32_e32 vcc_lo, 32, v0
	s_add_u32 s29, s4, s2
	s_addc_u32 s33, s6, s3
	v_dual_mov_b32 v2, v3 :: v_dual_mov_b32 v13, 0
	v_cmp_gt_i32_e64 s4, 4, v23
	s_bitcmp1_b32 s10, 0
	v_lshrrev_b32_e32 v4, 3, v0
	s_cselect_b32 s3, -1, 0
	v_lshlrev_b64 v[2:3], 1, v[1:2]
	s_xor_b32 s59, s3, -1
	s_and_b32 s84, vcc_lo, s4
	s_waitcnt lgkmcnt(0)
	s_and_b32 s35, s7, 0xffff
	s_bfe_u32 s8, s7, 0xb0005
	s_add_u32 s86, s35, -1
	s_addc_u32 s87, 0, -1
	s_add_u32 s88, s86, s36
	s_addc_u32 s27, s87, s37
	s_cmp_lt_u32 s13, s22
	v_add_co_u32 v10, vcc_lo, s29, v2
	s_cselect_b32 s9, 12, 18
	v_dual_mov_b32 v1, v13 :: v_dual_lshlrev_b32 v14, 2, v0
	v_add_co_ci_u32_e32 v11, vcc_lo, s33, v3, vcc_lo
	v_lshlrev_b64 v[2:3], v23, -1
	v_dual_mov_b32 v16, s38 :: v_dual_lshlrev_b32 v25, 1, v0
	s_add_u32 s72, s20, s9
	s_addc_u32 s73, s21, 0
	s_add_i32 s9, s8, -1
	s_bfe_u32 s89, s35, 0x30005
	s_cmp_gt_u32 s9, 6
	v_cmp_lt_u64_e64 s85, 0x600, s[36:37]
	v_cmp_gt_u64_e64 s4, s[36:37], v[0:1]
	v_cmp_eq_u32_e64 s2, 0, v23
	v_dual_mov_b32 v15, v13 :: v_dual_and_b32 v24, 0x7c, v4
	v_cmp_gt_u32_e64 s6, 2, v0
	v_dual_mov_b32 v17, s39 :: v_dual_add_nc_u32 v26, 0xc00, v25
	v_not_b32_e32 v22, v2
	s_cselect_b32 s90, -1, 0
	s_and_b32 s91, s8, 0x7f8
	v_cmp_gt_u16_e64 s92, s7, 31
	v_dual_mov_b32 v32, 0 :: v_dual_lshlrev_b32 v27, 3, v0
	v_lshl_or_b32 v28, v23, 3, 0xc00
	v_dual_mov_b32 v29, 0x8000 :: v_dual_mov_b32 v30, 0
	v_mov_b32_e32 v31, 0
	s_cmp_lg_u32 s89, 0
	s_mov_b32 s95, 14
	s_cselect_b32 s93, -1, 0
	s_lshl_b32 s94, s35, 1
	s_movk_i32 s97, 0x3f80
	s_mov_b32 s96, 0
	s_mov_b32 s99, 0
                                        ; implicit-def: $sgpr98
                                        ; implicit-def: $sgpr102
                                        ; implicit-def: $sgpr101
                                        ; implicit-def: $sgpr103
                                        ; implicit-def: $sgpr100
                                        ; implicit-def: $sgpr104
                                        ; implicit-def: $sgpr66
                                        ; implicit-def: $vcc_hi
                                        ; implicit-def: $sgpr67
                                        ; implicit-def: $sgpr68
	s_branch .LBB222_18
.LBB222_16:                             ;   in Loop: Header=BB222_18 Depth=1
	s_or_b32 exec_lo, exec_lo, s10
	v_dual_mov_b32 v30, v9 :: v_dual_mov_b32 v31, v8
	v_dual_mov_b32 v17, v3 :: v_dual_mov_b32 v16, v2
	v_mov_b32_e32 v32, v6
	s_and_not1_b32 s10, s68, exec_lo
	s_and_b32 s9, s9, exec_lo
	s_and_not1_b32 s67, s67, exec_lo
	s_or_b32 s68, s10, s9
	s_and_not1_b32 vcc_hi, vcc_hi, exec_lo
	s_and_not1_b32 s66, s66, exec_lo
	s_and_not1_b32 s104, s104, exec_lo
	s_or_not1_b32 s8, s8, exec_lo
.LBB222_17:                             ;   in Loop: Header=BB222_18 Depth=1
	s_or_b32 exec_lo, exec_lo, s7
	s_delay_alu instid0(SALU_CYCLE_1) | instskip(NEXT) | instid1(SALU_CYCLE_1)
	s_and_b32 s7, exec_lo, s8
	s_or_b32 s96, s7, s96
	s_and_not1_b32 s7, s100, exec_lo
	s_and_b32 s8, s68, exec_lo
	s_and_not1_b32 s9, s103, exec_lo
	s_or_b32 s100, s7, s8
	s_and_b32 s7, s67, exec_lo
	s_and_not1_b32 s8, s101, exec_lo
	s_and_b32 s10, vcc_hi, exec_lo
	s_or_b32 s103, s9, s7
	s_or_b32 s101, s8, s10
	s_and_not1_b32 s7, s102, exec_lo
	s_and_b32 s8, s66, exec_lo
	s_and_not1_b32 s9, s98, exec_lo
	s_and_b32 s10, s104, exec_lo
	s_or_b32 s102, s7, s8
	s_or_b32 s98, s9, s10
	s_and_not1_b32 exec_lo, exec_lo, s96
	s_cbranch_execz .LBB222_487
.LBB222_18:                             ; =>This Loop Header: Depth=1
                                        ;     Child Loop BB222_23 Depth 2
                                        ;     Child Loop BB222_41 Depth 2
	;; [unrolled: 1-line block ×24, first 2 shown]
	ds_load_b128 v[2:5], v13 offset:5120
	s_waitcnt lgkmcnt(0)
	v_readfirstlane_b32 s75, v3
	v_readfirstlane_b32 s74, v2
	s_delay_alu instid0(VALU_DEP_1)
	s_cmp_lg_u64 s[74:75], 0
	s_cbranch_scc1 .LBB222_48
; %bb.19:                               ;   in Loop: Header=BB222_18 Depth=1
	s_and_b32 vcc_lo, exec_lo, s85
	s_cbranch_vccz .LBB222_31
; %bb.20:                               ;   in Loop: Header=BB222_18 Depth=1
	v_cmp_gt_u64_e32 vcc_lo, 0x601, v[4:5]
	s_mov_b32 s9, 0
	s_mov_b32 s7, 0
	s_cbranch_vccz .LBB222_32
; %bb.21:                               ;   in Loop: Header=BB222_18 Depth=1
	global_load_u16 v2, v13, s[72:73]
	global_load_u16 v5, v[10:11], off
	s_mov_b32 s10, 0
	s_waitcnt vmcnt(1)
	v_dual_mov_b32 v3, v1 :: v_dual_and_b32 v4, 0xffff, v2
	v_mov_b32_e32 v2, v0
	s_branch .LBB222_23
.LBB222_22:                             ;   in Loop: Header=BB222_23 Depth=2
	s_or_b32 exec_lo, exec_lo, s8
	v_mov_b32_e32 v5, v6
	s_and_not1_b32 exec_lo, exec_lo, s10
	s_cbranch_execz .LBB222_33
.LBB222_23:                             ;   Parent Loop BB222_18 Depth=1
                                        ; =>  This Inner Loop Header: Depth=2
	s_delay_alu instid0(VALU_DEP_1) | instskip(NEXT) | instid1(VALU_DEP_3)
	v_add_co_u32 v2, vcc_lo, v2, v4
	v_add_co_ci_u32_e32 v3, vcc_lo, 0, v3, vcc_lo
	s_waitcnt lgkmcnt(0)
	v_dual_mov_b32 v7, 0 :: v_dual_mov_b32 v6, 0
	s_mov_b32 s8, exec_lo
	s_delay_alu instid0(VALU_DEP_2)
	v_cmp_le_u64_e32 vcc_lo, s[36:37], v[2:3]
	v_cmpx_gt_u64_e64 s[36:37], v[2:3]
	s_cbranch_execz .LBB222_25
; %bb.24:                               ;   in Loop: Header=BB222_23 Depth=2
	v_mul_lo_u32 v6, v3, s30
	v_mul_lo_u32 v12, v2, s31
	v_mad_u64_u32 v[8:9], null, v2, s30, 0
	s_delay_alu instid0(VALU_DEP_1) | instskip(NEXT) | instid1(VALU_DEP_1)
	v_add3_u32 v9, v9, v12, v6
	v_lshlrev_b64 v[8:9], 1, v[8:9]
	s_delay_alu instid0(VALU_DEP_1) | instskip(NEXT) | instid1(VALU_DEP_1)
	v_add_co_u32 v8, s7, s29, v8
	v_add_co_ci_u32_e64 v9, s7, s33, v9, s7
	global_load_u16 v6, v[8:9], off
.LBB222_25:                             ;   in Loop: Header=BB222_23 Depth=2
	s_or_b32 exec_lo, exec_lo, s8
	s_waitcnt vmcnt(0)
	v_cmp_lt_i16_e64 s7, -1, v5
	v_and_b32_e32 v8, 0xffff, v5
	v_lshlrev_b32_e32 v12, 16, v5
	s_delay_alu instid0(VALU_DEP_3) | instskip(NEXT) | instid1(VALU_DEP_2)
	v_cndmask_b32_e64 v9, 0xffff, v29, s7
	v_cmp_o_f32_e64 s7, v12, v12
	s_delay_alu instid0(VALU_DEP_2) | instskip(NEXT) | instid1(VALU_DEP_1)
	v_xor_b32_e32 v8, v9, v8
	v_cndmask_b32_e64 v8, 0xffff, v8, s7
	s_delay_alu instid0(VALU_DEP_1) | instskip(NEXT) | instid1(VALU_DEP_1)
	v_and_b32_e32 v8, v8, v30
	v_cmp_eq_u32_e64 s7, v8, v31
	s_delay_alu instid0(VALU_DEP_1) | instskip(SKIP_1) | instid1(SALU_CYCLE_1)
	s_cmp_lg_u32 s7, 0
	s_cselect_b32 s8, -1, 0
	s_and_b32 s8, s2, s8
	s_delay_alu instid0(SALU_CYCLE_1)
	s_and_saveexec_b32 s11, s8
	s_cbranch_execz .LBB222_29
; %bb.26:                               ;   in Loop: Header=BB222_23 Depth=2
	s_mov_b32 s14, exec_lo
	s_bcnt1_i32_b32 s12, s7
	v_mbcnt_lo_u32_b32 v7, s14, 0
	s_mov_b32 s13, exec_lo
                                        ; implicit-def: $vgpr8
	s_delay_alu instid0(VALU_DEP_1)
	v_cmpx_eq_u32_e32 0, v7
	s_cbranch_execz .LBB222_28
; %bb.27:                               ;   in Loop: Header=BB222_23 Depth=2
	s_bcnt1_i32_b32 s8, s14
	s_delay_alu instid0(SALU_CYCLE_1) | instskip(NEXT) | instid1(SALU_CYCLE_1)
	s_mul_i32 s8, s12, s8
	v_mov_b32_e32 v8, s8
	ds_add_rtn_u32 v8, v13, v8 offset:5144
.LBB222_28:                             ;   in Loop: Header=BB222_23 Depth=2
	s_or_b32 exec_lo, exec_lo, s13
	s_waitcnt lgkmcnt(0)
	v_readfirstlane_b32 s8, v8
	s_delay_alu instid0(VALU_DEP_1)
	v_mad_u32_u24 v7, s12, v7, s8
.LBB222_29:                             ;   in Loop: Header=BB222_23 Depth=2
	s_or_b32 exec_lo, exec_lo, s11
	ds_bpermute_b32 v7, v13, v7
	s_and_b32 s8, exec_lo, vcc_lo
	s_delay_alu instid0(SALU_CYCLE_1)
	s_or_b32 s10, s8, s10
	s_and_saveexec_b32 s8, s7
	s_cbranch_execz .LBB222_22
; %bb.30:                               ;   in Loop: Header=BB222_23 Depth=2
	v_and_b32_e32 v8, s7, v22
	s_delay_alu instid0(VALU_DEP_1) | instskip(NEXT) | instid1(VALU_DEP_1)
	v_bcnt_u32_b32 v8, v8, 0
	v_lshlrev_b32_e32 v8, 1, v8
	s_waitcnt lgkmcnt(0)
	s_delay_alu instid0(VALU_DEP_1)
	v_lshl_add_u32 v7, v7, 1, v8
	ds_store_b16 v7, v5
	s_branch .LBB222_22
.LBB222_31:                             ;   in Loop: Header=BB222_18 Depth=1
	s_mov_b32 s7, 0
                                        ; implicit-def: $sgpr74_sgpr75
	s_cbranch_execnz .LBB222_36
	s_branch .LBB222_46
.LBB222_32:                             ;   in Loop: Header=BB222_18 Depth=1
	s_mov_b64 s[74:75], 0
	s_and_b32 vcc_lo, exec_lo, s9
	s_cbranch_vccnz .LBB222_36
	s_branch .LBB222_46
.LBB222_33:                             ;   in Loop: Header=BB222_18 Depth=1
	s_or_b32 exec_lo, exec_lo, s10
	s_waitcnt lgkmcnt(0)
	s_barrier
	buffer_gl0_inv
	s_and_saveexec_b32 s7, s5
	s_cbranch_execz .LBB222_35
; %bb.34:                               ;   in Loop: Header=BB222_18 Depth=1
	ds_load_b32 v2, v13 offset:5144
	s_waitcnt lgkmcnt(0)
	v_ashrrev_i32_e32 v3, 31, v2
	ds_store_b64 v13, v[2:3] offset:5120
.LBB222_35:                             ;   in Loop: Header=BB222_18 Depth=1
	s_or_b32 exec_lo, exec_lo, s7
	s_waitcnt lgkmcnt(0)
	s_mov_b32 s7, -1
	s_barrier
	s_mov_b64 s[74:75], 0
	s_and_b32 vcc_lo, exec_lo, s9
	s_cbranch_vccz .LBB222_46
.LBB222_36:                             ;   in Loop: Header=BB222_18 Depth=1
	v_mov_b32_e32 v4, 0
	s_and_saveexec_b32 s7, s4
	s_cbranch_execz .LBB222_38
; %bb.37:                               ;   in Loop: Header=BB222_18 Depth=1
	global_load_u16 v4, v[10:11], off
.LBB222_38:                             ;   in Loop: Header=BB222_18 Depth=1
	s_or_b32 exec_lo, exec_lo, s7
	s_and_saveexec_b32 s8, s4
	s_cbranch_execz .LBB222_43
; %bb.39:                               ;   in Loop: Header=BB222_18 Depth=1
	global_load_u16 v2, v13, s[72:73]
	s_mov_b32 s9, 0
	s_waitcnt vmcnt(0)
	v_dual_mov_b32 v6, v25 :: v_dual_and_b32 v5, 0xffff, v2
	v_dual_mov_b32 v3, v1 :: v_dual_mov_b32 v2, v0
	s_delay_alu instid0(VALU_DEP_2)
	v_lshlrev_b32_e32 v7, 1, v5
	s_set_inst_prefetch_distance 0x1
	s_branch .LBB222_41
	.p2align	6
.LBB222_40:                             ;   in Loop: Header=BB222_41 Depth=2
	s_or_b32 exec_lo, exec_lo, s10
	ds_store_b16 v6, v4
	v_add_nc_u32_e32 v6, v6, v7
	s_waitcnt vmcnt(0)
	v_mov_b32_e32 v4, v8
	s_and_b32 s7, exec_lo, vcc_lo
	s_delay_alu instid0(SALU_CYCLE_1) | instskip(NEXT) | instid1(SALU_CYCLE_1)
	s_or_b32 s9, s7, s9
	s_and_not1_b32 exec_lo, exec_lo, s9
	s_cbranch_execz .LBB222_43
.LBB222_41:                             ;   Parent Loop BB222_18 Depth=1
                                        ; =>  This Inner Loop Header: Depth=2
	s_delay_alu instid0(VALU_DEP_2) | instskip(SKIP_3) | instid1(VALU_DEP_2)
	v_add_co_u32 v2, vcc_lo, v2, v5
	v_add_co_ci_u32_e32 v3, vcc_lo, 0, v3, vcc_lo
	v_mov_b32_e32 v8, 0
	s_mov_b32 s10, exec_lo
	v_cmp_le_u64_e32 vcc_lo, s[36:37], v[2:3]
	v_cmpx_gt_u64_e64 s[36:37], v[2:3]
	s_cbranch_execz .LBB222_40
; %bb.42:                               ;   in Loop: Header=BB222_41 Depth=2
	v_mul_lo_u32 v12, v3, s30
	v_mul_lo_u32 v18, v2, s31
	v_mad_u64_u32 v[8:9], null, v2, s30, 0
	s_delay_alu instid0(VALU_DEP_1) | instskip(NEXT) | instid1(VALU_DEP_1)
	v_add3_u32 v9, v9, v18, v12
	v_lshlrev_b64 v[8:9], 1, v[8:9]
	s_delay_alu instid0(VALU_DEP_1) | instskip(NEXT) | instid1(VALU_DEP_1)
	v_add_co_u32 v8, s7, s29, v8
	v_add_co_ci_u32_e64 v9, s7, s33, v9, s7
	global_load_u16 v8, v[8:9], off
	s_branch .LBB222_40
.LBB222_43:                             ;   in Loop: Header=BB222_18 Depth=1
	s_set_inst_prefetch_distance 0x2
	s_or_b32 exec_lo, exec_lo, s8
	s_waitcnt vmcnt(0) lgkmcnt(0)
	s_barrier
	buffer_gl0_inv
	s_and_saveexec_b32 s7, s5
	s_cbranch_execz .LBB222_45
; %bb.44:                               ;   in Loop: Header=BB222_18 Depth=1
	v_dual_mov_b32 v2, s36 :: v_dual_mov_b32 v3, s37
	ds_store_b64 v13, v[2:3] offset:5120
.LBB222_45:                             ;   in Loop: Header=BB222_18 Depth=1
	s_or_b32 exec_lo, exec_lo, s7
	s_mov_b32 s7, -1
	s_waitcnt lgkmcnt(0)
	s_barrier
                                        ; implicit-def: $sgpr74_sgpr75
.LBB222_46:                             ;   in Loop: Header=BB222_18 Depth=1
	s_and_b32 vcc_lo, exec_lo, s7
	s_cbranch_vccz .LBB222_48
; %bb.47:                               ;   in Loop: Header=BB222_18 Depth=1
	buffer_gl0_inv
	ds_load_b64 v[2:3], v13 offset:5120
	s_waitcnt lgkmcnt(0)
	v_readfirstlane_b32 s74, v2
.LBB222_48:                             ;   in Loop: Header=BB222_18 Depth=1
	s_delay_alu instid0(VALU_DEP_1)
	s_cmp_lt_i32 s74, 1
	s_cbranch_scc0 .LBB222_63
; %bb.49:                               ;   in Loop: Header=BB222_18 Depth=1
	global_load_u16 v33, v13, s[72:73]
	s_mov_b32 s8, s71
	s_mov_b32 s9, s37
	s_waitcnt vmcnt(0)
	v_readfirstlane_b32 s7, v33
	s_delay_alu instid0(VALU_DEP_1) | instskip(NEXT) | instid1(SALU_CYCLE_1)
	s_and_b32 s7, 0xffff, s7
	s_lshl_b32 s25, s7, 2
	s_cmp_lg_u64 s[8:9], 0
	s_cbranch_scc0 .LBB222_83
; %bb.50:                               ;   in Loop: Header=BB222_18 Depth=1
	v_cvt_f32_u32_e32 v2, s25
	s_sub_u32 s9, 0, s25
	s_subb_u32 s10, 0, 0
	s_delay_alu instid0(VALU_DEP_1) | instskip(NEXT) | instid1(VALU_DEP_1)
	v_fmac_f32_e64 v2, 0, 0x4f800000
	v_rcp_f32_e32 v2, v2
	s_waitcnt_depctr 0xfff
	v_mul_f32_e32 v2, 0x5f7ffffc, v2
	s_delay_alu instid0(VALU_DEP_1) | instskip(NEXT) | instid1(VALU_DEP_1)
	v_mul_f32_e32 v3, 0x2f800000, v2
	v_trunc_f32_e32 v3, v3
	s_delay_alu instid0(VALU_DEP_1) | instskip(SKIP_1) | instid1(VALU_DEP_2)
	v_fmac_f32_e32 v2, 0xcf800000, v3
	v_cvt_u32_f32_e32 v3, v3
	v_cvt_u32_f32_e32 v2, v2
	s_delay_alu instid0(VALU_DEP_2) | instskip(NEXT) | instid1(VALU_DEP_2)
	v_readfirstlane_b32 s7, v3
	v_readfirstlane_b32 s8, v2
	s_delay_alu instid0(VALU_DEP_2) | instskip(NEXT) | instid1(VALU_DEP_1)
	s_mul_i32 s11, s9, s7
	s_mul_hi_u32 s13, s9, s8
	s_mul_i32 s12, s10, s8
	s_add_i32 s11, s13, s11
	s_mul_i32 s14, s9, s8
	s_add_i32 s11, s11, s12
	s_mul_hi_u32 s13, s8, s14
	s_mul_hi_u32 s15, s7, s14
	s_mul_i32 s12, s7, s14
	s_mul_hi_u32 s14, s8, s11
	s_mul_i32 s8, s8, s11
	s_mul_hi_u32 s16, s7, s11
	s_add_u32 s8, s13, s8
	s_addc_u32 s13, 0, s14
	s_add_u32 s8, s8, s12
	s_mul_i32 s11, s7, s11
	s_addc_u32 s8, s13, s15
	s_addc_u32 s12, s16, 0
	s_add_u32 s8, s8, s11
	s_addc_u32 s11, 0, s12
	v_add_co_u32 v2, s8, v2, s8
	s_delay_alu instid0(VALU_DEP_1) | instskip(SKIP_1) | instid1(VALU_DEP_1)
	s_cmp_lg_u32 s8, 0
	s_addc_u32 s7, s7, s11
	v_readfirstlane_b32 s8, v2
	s_mul_i32 s11, s9, s7
	s_delay_alu instid0(VALU_DEP_1)
	s_mul_hi_u32 s12, s9, s8
	s_mul_i32 s10, s10, s8
	s_add_i32 s11, s12, s11
	s_mul_i32 s9, s9, s8
	s_add_i32 s11, s11, s10
	s_mul_hi_u32 s12, s7, s9
	s_mul_i32 s13, s7, s9
	s_mul_hi_u32 s9, s8, s9
	s_mul_hi_u32 s14, s8, s11
	s_mul_i32 s8, s8, s11
	s_mul_hi_u32 s10, s7, s11
	s_add_u32 s8, s9, s8
	s_addc_u32 s9, 0, s14
	s_add_u32 s8, s8, s13
	s_mul_i32 s11, s7, s11
	s_addc_u32 s8, s9, s12
	s_addc_u32 s9, s10, 0
	s_add_u32 s8, s8, s11
	s_addc_u32 s9, 0, s9
	v_add_co_u32 v2, s8, v2, s8
	s_delay_alu instid0(VALU_DEP_1) | instskip(SKIP_1) | instid1(VALU_DEP_1)
	s_cmp_lg_u32 s8, 0
	s_addc_u32 s7, s7, s9
	v_readfirstlane_b32 s8, v2
	s_mul_i32 s10, s36, s7
	s_mul_hi_u32 s9, s36, s7
	s_mul_hi_u32 s11, s37, s7
	s_mul_i32 s7, s37, s7
	s_mul_hi_u32 s12, s36, s8
	s_mul_hi_u32 s13, s37, s8
	s_mul_i32 s8, s37, s8
	s_add_u32 s10, s12, s10
	s_addc_u32 s9, 0, s9
	s_add_u32 s8, s10, s8
	s_addc_u32 s8, s9, s13
	s_addc_u32 s9, s11, 0
	s_add_u32 s7, s8, s7
	s_addc_u32 s8, 0, s9
	s_mul_hi_u32 s9, s25, s7
	s_mul_i32 s7, s25, s7
	s_mul_i32 s8, s25, s8
	v_sub_co_u32 v2, s7, s36, s7
	s_add_i32 s9, s9, s8
	s_cmp_lg_u32 s7, 0
	s_delay_alu instid0(VALU_DEP_1) | instskip(SKIP_2) | instid1(VALU_DEP_1)
	v_sub_co_u32 v3, s7, v2, s25
	s_subb_u32 s8, s37, s9
	s_cmp_lg_u32 s7, 0
	v_cmp_le_u32_e32 vcc_lo, s25, v3
	v_sub_co_u32 v4, s7, v3, s25
	s_subb_u32 s9, s8, 0
	s_cmp_lg_u32 s7, 0
	v_cndmask_b32_e64 v5, 0, -1, vcc_lo
	s_subb_u32 s7, s9, 0
	s_cmp_eq_u32 s9, 0
	v_mov_b32_e32 v7, s7
	s_cselect_b32 vcc_lo, -1, 0
	s_cmp_eq_u32 s8, 0
	v_cndmask_b32_e32 v5, -1, v5, vcc_lo
	v_cmp_le_u32_e32 vcc_lo, s25, v2
	s_cselect_b32 s7, -1, 0
	v_cndmask_b32_e64 v6, 0, -1, vcc_lo
	s_delay_alu instid0(VALU_DEP_3) | instskip(NEXT) | instid1(VALU_DEP_2)
	v_cmp_ne_u32_e32 vcc_lo, 0, v5
	v_cndmask_b32_e64 v5, -1, v6, s7
	v_cndmask_b32_e32 v6, s9, v7, vcc_lo
	v_cndmask_b32_e32 v4, v3, v4, vcc_lo
	s_delay_alu instid0(VALU_DEP_3) | instskip(NEXT) | instid1(VALU_DEP_3)
	v_cmp_ne_u32_e32 vcc_lo, 0, v5
	v_cndmask_b32_e32 v3, s8, v6, vcc_lo
	s_delay_alu instid0(VALU_DEP_3)
	v_cndmask_b32_e32 v2, v2, v4, vcc_lo
	s_cbranch_execnz .LBB222_52
.LBB222_51:                             ;   in Loop: Header=BB222_18 Depth=1
	v_cvt_f32_u32_e32 v2, s25
	s_sub_i32 s7, 0, s25
	s_delay_alu instid0(VALU_DEP_1) | instskip(SKIP_2) | instid1(VALU_DEP_1)
	v_rcp_iflag_f32_e32 v2, v2
	s_waitcnt_depctr 0xfff
	v_mul_f32_e32 v2, 0x4f7ffffe, v2
	v_cvt_u32_f32_e32 v2, v2
	s_delay_alu instid0(VALU_DEP_1) | instskip(NEXT) | instid1(VALU_DEP_1)
	v_mul_lo_u32 v3, s7, v2
	v_mul_hi_u32 v3, v2, v3
	s_delay_alu instid0(VALU_DEP_1) | instskip(NEXT) | instid1(VALU_DEP_1)
	v_add_nc_u32_e32 v2, v2, v3
	v_mul_hi_u32 v2, s36, v2
	s_delay_alu instid0(VALU_DEP_1) | instskip(NEXT) | instid1(VALU_DEP_1)
	v_mul_lo_u32 v2, v2, s25
	v_sub_nc_u32_e32 v2, s36, v2
	s_delay_alu instid0(VALU_DEP_1) | instskip(SKIP_1) | instid1(VALU_DEP_2)
	v_subrev_nc_u32_e32 v3, s25, v2
	v_cmp_le_u32_e32 vcc_lo, s25, v2
	v_cndmask_b32_e32 v2, v2, v3, vcc_lo
	s_delay_alu instid0(VALU_DEP_1) | instskip(SKIP_1) | instid1(VALU_DEP_2)
	v_subrev_nc_u32_e32 v3, s25, v2
	v_cmp_le_u32_e32 vcc_lo, s25, v2
	v_cndmask_b32_e32 v12, v2, v3, vcc_lo
	s_delay_alu instid0(VALU_DEP_1)
	v_dual_mov_b32 v2, v12 :: v_dual_mov_b32 v3, v13
.LBB222_52:                             ;   in Loop: Header=BB222_18 Depth=1
	s_delay_alu instid0(VALU_DEP_1) | instskip(NEXT) | instid1(VALU_DEP_2)
	v_sub_co_u32 v18, vcc_lo, s36, v2
	v_sub_co_ci_u32_e32 v19, vcc_lo, s37, v3, vcc_lo
	v_mov_b32_e32 v2, 0
	v_mov_b32_e32 v3, 0
	s_mov_b64 s[76:77], 0
	s_mov_b32 s26, exec_lo
	s_delay_alu instid0(VALU_DEP_1)
	v_dual_mov_b32 v5, v3 :: v_dual_mov_b32 v4, v2
	v_dual_mov_b32 v7, v3 :: v_dual_mov_b32 v6, v2
	;; [unrolled: 1-line block ×3, first 2 shown]
	v_cmpx_gt_u64_e64 v[18:19], v[14:15]
	s_cbranch_execz .LBB222_56
; %bb.53:                               ;   in Loop: Header=BB222_18 Depth=1
	v_dual_mov_b32 v21, v15 :: v_dual_mov_b32 v20, v14
	s_and_b32 s61, s95, 0xfe
	s_mov_b32 s60, 0
	s_mov_b64 s[78:79], 0
	s_mov_b64 s[80:81], 0
	;; [unrolled: 1-line block ×3, first 2 shown]
.LBB222_54:                             ;   Parent Loop BB222_18 Depth=1
                                        ; =>  This Inner Loop Header: Depth=2
	v_mul_lo_u32 v4, v21, s30
	v_mul_lo_u32 v5, v20, s31
	v_mad_u64_u32 v[2:3], null, v20, s30, 0
	s_lshl_b64 s[8:9], s[30:31], 1
	s_delay_alu instid0(VALU_DEP_1) | instskip(NEXT) | instid1(VALU_DEP_1)
	v_add3_u32 v3, v3, v5, v4
	v_lshlrev_b64 v[2:3], 1, v[2:3]
	s_delay_alu instid0(VALU_DEP_1) | instskip(NEXT) | instid1(VALU_DEP_2)
	v_add_co_u32 v2, vcc_lo, s29, v2
	v_add_co_ci_u32_e32 v3, vcc_lo, s33, v3, vcc_lo
	s_delay_alu instid0(VALU_DEP_2) | instskip(NEXT) | instid1(VALU_DEP_2)
	v_add_co_u32 v4, vcc_lo, v2, s8
	v_add_co_ci_u32_e32 v5, vcc_lo, s9, v3, vcc_lo
	s_clause 0x1
	global_load_u16 v6, v[2:3], off
	global_load_u16 v7, v[4:5], off
	v_add_co_u32 v2, vcc_lo, v4, s8
	v_add_co_ci_u32_e32 v3, vcc_lo, s9, v5, vcc_lo
	s_delay_alu instid0(VALU_DEP_2) | instskip(NEXT) | instid1(VALU_DEP_2)
	v_add_co_u32 v4, vcc_lo, v2, s8
	v_add_co_ci_u32_e32 v5, vcc_lo, s9, v3, vcc_lo
	global_load_u16 v2, v[2:3], off
	global_load_u16 v3, v[4:5], off
	v_add_co_u32 v20, vcc_lo, v20, s25
	v_add_co_ci_u32_e32 v21, vcc_lo, 0, v21, vcc_lo
	s_delay_alu instid0(VALU_DEP_1) | instskip(SKIP_4) | instid1(VALU_DEP_3)
	v_cmp_ge_u64_e32 vcc_lo, v[20:21], v[18:19]
	s_waitcnt vmcnt(3)
	v_cmp_lt_i16_e64 s7, -1, v6
	v_lshlrev_b32_e32 v4, 16, v6
	v_and_b32_e32 v5, 0xffff, v6
	v_cndmask_b32_e64 v6, 0xffff, v29, s7
	s_waitcnt vmcnt(2)
	v_cmp_lt_i16_e64 s7, -1, v7
	v_cmp_o_f32_e64 s8, v4, v4
	v_lshlrev_b32_e32 v4, 16, v7
	v_and_b32_e32 v7, 0xffff, v7
	v_xor_b32_e32 v5, v6, v5
	v_cndmask_b32_e64 v6, 0xffff, v29, s7
	s_delay_alu instid0(VALU_DEP_4)
	v_cmp_o_f32_e64 s9, v4, v4
	s_waitcnt vmcnt(1)
	v_cmp_lt_i16_e64 s7, -1, v2
	v_lshlrev_b32_e32 v4, 16, v2
	v_and_b32_e32 v2, 0xffff, v2
	v_xor_b32_e32 v6, v6, v7
	v_cndmask_b32_e64 v5, 0xffff, v5, s8
	v_cndmask_b32_e64 v7, 0xffff, v29, s7
	s_waitcnt vmcnt(0)
	v_cmp_lt_i16_e64 s7, -1, v3
	v_cmp_o_f32_e64 s10, v4, v4
	v_lshlrev_b32_e32 v4, 16, v3
	v_and_b32_e32 v3, 0xffff, v3
	v_xor_b32_e32 v2, v7, v2
	v_cndmask_b32_e64 v7, 0xffff, v29, s7
	v_cndmask_b32_e64 v6, 0xffff, v6, s9
	v_cmp_o_f32_e64 s7, v4, v4
	v_and_b32_e32 v4, v5, v30
	v_bfe_u32 v5, v5, s61, 2
	v_cndmask_b32_e64 v2, 0xffff, v2, s10
	v_xor_b32_e32 v3, v7, v3
	s_delay_alu instid0(VALU_DEP_4)
	v_cmp_eq_u32_e64 s8, v4, v31
	v_and_b32_e32 v4, v6, v30
	v_bfe_u32 v6, v6, s61, 2
	v_cmp_eq_u32_e64 s9, 0, v5
	v_cndmask_b32_e64 v3, 0xffff, v3, s7
	v_cmp_eq_u32_e64 s10, 1, v5
	v_cmp_eq_u32_e64 s7, v4, v31
	v_and_b32_e32 v4, v2, v30
	v_bfe_u32 v2, v2, s61, 2
	v_cmp_eq_u32_e64 s13, 0, v6
	s_and_b32 s16, s8, s9
	v_cmp_eq_u32_e64 s11, 2, v5
	v_cmp_eq_u32_e64 s12, 3, v5
	v_cndmask_b32_e64 v5, 0, 1, s16
	v_cmp_eq_u32_e64 s16, v4, v31
	v_and_b32_e32 v4, v3, v30
	v_bfe_u32 v3, v3, s61, 2
	v_cmp_eq_u32_e64 s17, 0, v2
	s_and_b32 s21, s7, s13
	v_cmp_eq_u32_e64 s13, 1, v2
	v_cmp_eq_u32_e64 s18, 2, v2
	;; [unrolled: 1-line block ×3, first 2 shown]
	v_cmp_ne_u32_e64 s20, 0, v5
	v_cndmask_b32_e64 v2, 0, 1, s21
	v_cmp_eq_u32_e64 s21, v4, v31
	v_cmp_eq_u32_e64 s22, 0, v3
	s_and_b32 s62, s16, s17
	s_bcnt1_i32_b32 s63, s20
	v_cmp_ne_u32_e64 s20, 0, v2
	v_cndmask_b32_e64 v2, 0, 1, s62
	s_and_b32 s22, s21, s22
	v_cmp_eq_u32_e64 s17, 1, v3
	v_cmp_eq_u32_e64 s23, 2, v3
	;; [unrolled: 1-line block ×3, first 2 shown]
	v_cndmask_b32_e64 v3, 0, 1, s22
	s_bcnt1_i32_b32 s22, s20
	v_cmp_ne_u32_e64 s20, 0, v2
	s_add_i32 s62, s22, s63
	v_cmp_eq_u32_e64 s9, 1, v6
	v_cmp_ne_u32_e64 s22, 0, v3
	v_cmp_eq_u32_e64 s14, 2, v6
	s_bcnt1_i32_b32 s20, s20
	v_cmp_eq_u32_e64 s15, 3, v6
	s_add_i32 s20, s62, s20
	s_bcnt1_i32_b32 s22, s22
	s_delay_alu instid0(SALU_CYCLE_1) | instskip(NEXT) | instid1(SALU_CYCLE_1)
	s_add_i32 s20, s20, s22
	s_add_u32 s82, s82, s20
	s_addc_u32 s83, s83, 0
	s_and_b32 s10, s8, s10
	s_and_b32 s9, s7, s9
	;; [unrolled: 1-line block ×3, first 2 shown]
	v_cndmask_b32_e64 v2, 0, 1, s10
	v_cndmask_b32_e64 v3, 0, 1, s9
	s_and_b32 s17, s21, s17
	v_cndmask_b32_e64 v4, 0, 1, s13
	v_cndmask_b32_e64 v5, 0, 1, s17
	v_cmp_ne_u32_e64 s9, 0, v2
	v_cmp_ne_u32_e64 s10, 0, v3
	s_delay_alu instid0(VALU_DEP_4) | instskip(NEXT) | instid1(VALU_DEP_4)
	v_cmp_ne_u32_e64 s13, 0, v4
	v_cmp_ne_u32_e64 s17, 0, v5
	s_delay_alu instid0(VALU_DEP_4) | instskip(NEXT) | instid1(VALU_DEP_3)
	s_bcnt1_i32_b32 s9, s9
	s_bcnt1_i32_b32 s10, s10
	s_delay_alu instid0(VALU_DEP_2) | instskip(SKIP_3) | instid1(SALU_CYCLE_1)
	s_bcnt1_i32_b32 s13, s13
	s_add_i32 s9, s10, s9
	s_bcnt1_i32_b32 s17, s17
	s_add_i32 s9, s9, s13
	s_add_i32 s9, s9, s17
	s_delay_alu instid0(SALU_CYCLE_1)
	s_add_u32 s80, s80, s9
	s_addc_u32 s81, s81, 0
	s_and_b32 s9, s8, s11
	s_and_b32 s10, s7, s14
	;; [unrolled: 1-line block ×3, first 2 shown]
	v_cndmask_b32_e64 v2, 0, 1, s9
	v_cndmask_b32_e64 v3, 0, 1, s10
	s_and_b32 s13, s21, s23
	v_cndmask_b32_e64 v4, 0, 1, s11
	v_cndmask_b32_e64 v5, 0, 1, s13
	v_cmp_ne_u32_e64 s9, 0, v2
	v_cmp_ne_u32_e64 s10, 0, v3
	s_delay_alu instid0(VALU_DEP_4) | instskip(NEXT) | instid1(VALU_DEP_4)
	v_cmp_ne_u32_e64 s11, 0, v4
	v_cmp_ne_u32_e64 s13, 0, v5
	s_delay_alu instid0(VALU_DEP_4) | instskip(NEXT) | instid1(VALU_DEP_3)
	s_bcnt1_i32_b32 s9, s9
	s_bcnt1_i32_b32 s10, s10
	s_delay_alu instid0(VALU_DEP_2) | instskip(SKIP_3) | instid1(SALU_CYCLE_1)
	s_bcnt1_i32_b32 s11, s11
	s_add_i32 s9, s10, s9
	s_bcnt1_i32_b32 s13, s13
	s_add_i32 s9, s9, s11
	s_add_i32 s9, s9, s13
	s_delay_alu instid0(SALU_CYCLE_1)
	s_add_u32 s78, s78, s9
	s_addc_u32 s79, s79, 0
	v_mov_b32_e32 v6, s78
	s_and_b32 s8, s8, s12
	s_and_b32 s7, s7, s15
	;; [unrolled: 1-line block ×3, first 2 shown]
	v_cndmask_b32_e64 v2, 0, 1, s8
	v_cndmask_b32_e64 v3, 0, 1, s7
	s_and_b32 s10, s21, s24
	v_cndmask_b32_e64 v4, 0, 1, s9
	v_cndmask_b32_e64 v5, 0, 1, s10
	v_cmp_ne_u32_e64 s7, 0, v2
	v_cmp_ne_u32_e64 s8, 0, v3
	v_mov_b32_e32 v2, s82
	v_cmp_ne_u32_e64 s9, 0, v4
	v_cmp_ne_u32_e64 s10, 0, v5
	s_bcnt1_i32_b32 s7, s7
	s_bcnt1_i32_b32 s8, s8
	v_mov_b32_e32 v4, s80
	s_bcnt1_i32_b32 s9, s9
	s_add_i32 s7, s8, s7
	s_bcnt1_i32_b32 s8, s10
	s_add_i32 s7, s7, s9
	v_mov_b32_e32 v3, s83
	s_add_i32 s7, s7, s8
	v_mov_b32_e32 v5, s81
	s_add_u32 s76, s76, s7
	s_addc_u32 s77, s77, 0
	v_dual_mov_b32 v8, s76 :: v_dual_mov_b32 v7, s79
	v_mov_b32_e32 v9, s77
	s_or_b32 s60, vcc_lo, s60
	s_delay_alu instid0(SALU_CYCLE_1)
	s_and_not1_b32 exec_lo, exec_lo, s60
	s_cbranch_execnz .LBB222_54
; %bb.55:                               ;   in Loop: Header=BB222_18 Depth=1
	s_or_b32 exec_lo, exec_lo, s60
.LBB222_56:                             ;   in Loop: Header=BB222_18 Depth=1
	s_delay_alu instid0(SALU_CYCLE_1) | instskip(SKIP_3) | instid1(VALU_DEP_2)
	s_or_b32 exec_lo, exec_lo, s26
	v_add_co_u32 v18, vcc_lo, v18, v0
	v_add_co_ci_u32_e32 v19, vcc_lo, 0, v19, vcc_lo
	v_dual_mov_b32 v21, 0 :: v_dual_and_b32 v12, 0xffff, v33
	v_cmp_gt_u64_e32 vcc_lo, s[36:37], v[18:19]
	s_and_saveexec_b32 s8, vcc_lo
	s_cbranch_execz .LBB222_58
; %bb.57:                               ;   in Loop: Header=BB222_18 Depth=1
	v_mul_lo_u32 v33, v19, s30
	v_mul_lo_u32 v34, v18, s31
	v_mad_u64_u32 v[20:21], null, v18, s30, 0
	s_delay_alu instid0(VALU_DEP_1) | instskip(NEXT) | instid1(VALU_DEP_1)
	v_add3_u32 v21, v21, v34, v33
	v_lshlrev_b64 v[20:21], 1, v[20:21]
	s_delay_alu instid0(VALU_DEP_1) | instskip(NEXT) | instid1(VALU_DEP_1)
	v_add_co_u32 v20, s7, s29, v20
	v_add_co_ci_u32_e64 v21, s7, s33, v21, s7
	global_load_u16 v21, v[20:21], off
.LBB222_58:                             ;   in Loop: Header=BB222_18 Depth=1
	s_or_b32 exec_lo, exec_lo, s8
	s_and_saveexec_b32 s11, vcc_lo
	s_cbranch_execz .LBB222_65
; %bb.59:                               ;   in Loop: Header=BB222_18 Depth=1
	s_and_b32 s13, s95, 0xfe
	s_mov_b32 s12, 0
	s_branch .LBB222_61
.LBB222_60:                             ;   in Loop: Header=BB222_61 Depth=2
	s_or_b32 exec_lo, exec_lo, s8
	s_waitcnt vmcnt(0)
	v_cmp_lt_i16_e64 s7, -1, v21
	v_and_b32_e32 v33, 0xffff, v21
	v_lshlrev_b32_e32 v21, 16, v21
	s_and_b32 s9, exec_lo, vcc_lo
	s_delay_alu instid0(SALU_CYCLE_1) | instskip(SKIP_1) | instid1(VALU_DEP_2)
	s_or_b32 s12, s9, s12
	v_cndmask_b32_e64 v34, 0xffff, v29, s7
	v_cmp_o_f32_e64 s7, v21, v21
	s_delay_alu instid0(VALU_DEP_2) | instskip(NEXT) | instid1(VALU_DEP_1)
	v_xor_b32_e32 v33, v34, v33
	v_cndmask_b32_e64 v21, 0xffff, v33, s7
	s_delay_alu instid0(VALU_DEP_1) | instskip(SKIP_1) | instid1(VALU_DEP_2)
	v_and_b32_e32 v33, v21, v30
	v_bfe_u32 v21, v21, s13, 2
	v_cmp_eq_u32_e64 s7, v33, v31
	s_delay_alu instid0(VALU_DEP_2) | instskip(SKIP_2) | instid1(VALU_DEP_3)
	v_cmp_eq_u32_e64 s8, 0, v21
	v_cmp_eq_u32_e32 vcc_lo, 1, v21
	v_cmp_eq_u32_e64 s9, 2, v21
	s_and_b32 s8, s7, s8
	s_delay_alu instid0(SALU_CYCLE_1) | instskip(SKIP_4) | instid1(SALU_CYCLE_1)
	v_cndmask_b32_e64 v33, 0, 1, s8
	s_and_b32 s8, s7, vcc_lo
	v_cmp_eq_u32_e32 vcc_lo, 3, v21
	v_cndmask_b32_e64 v34, 0, 1, s8
	s_and_b32 s8, s7, s9
	v_cndmask_b32_e64 v35, 0, 1, s8
	v_cmp_ne_u32_e64 s8, 0, v33
	s_delay_alu instid0(VALU_DEP_3) | instskip(SKIP_1) | instid1(SALU_CYCLE_1)
	v_cmp_ne_u32_e64 s9, 0, v34
	s_and_b32 s7, s7, vcc_lo
	v_cndmask_b32_e64 v21, 0, 1, s7
	s_delay_alu instid0(VALU_DEP_3)
	s_bcnt1_i32_b32 s7, s8
	v_cmp_ne_u32_e64 s10, 0, v35
	v_add_co_u32 v2, vcc_lo, v2, s7
	s_bcnt1_i32_b32 s8, s9
	v_add_co_ci_u32_e32 v3, vcc_lo, 0, v3, vcc_lo
	v_add_co_u32 v4, vcc_lo, v4, s8
	v_add_co_ci_u32_e32 v5, vcc_lo, 0, v5, vcc_lo
	s_bcnt1_i32_b32 s9, s10
	v_cmp_ne_u32_e32 vcc_lo, 0, v21
	v_add_co_u32 v6, s7, v6, s9
	s_delay_alu instid0(VALU_DEP_1)
	v_add_co_ci_u32_e64 v7, s7, 0, v7, s7
	s_bcnt1_i32_b32 s7, vcc_lo
	v_mov_b32_e32 v21, v20
	v_add_co_u32 v8, vcc_lo, v8, s7
	v_add_co_ci_u32_e32 v9, vcc_lo, 0, v9, vcc_lo
	s_and_not1_b32 exec_lo, exec_lo, s12
	s_cbranch_execz .LBB222_64
.LBB222_61:                             ;   Parent Loop BB222_18 Depth=1
                                        ; =>  This Inner Loop Header: Depth=2
	v_add_co_u32 v18, vcc_lo, v18, v12
	v_add_co_ci_u32_e32 v19, vcc_lo, 0, v19, vcc_lo
	v_mov_b32_e32 v20, 0
	s_mov_b32 s8, exec_lo
	s_delay_alu instid0(VALU_DEP_2)
	v_cmp_le_u64_e32 vcc_lo, s[36:37], v[18:19]
	v_cmpx_gt_u64_e64 s[36:37], v[18:19]
	s_cbranch_execz .LBB222_60
; %bb.62:                               ;   in Loop: Header=BB222_61 Depth=2
	v_mul_lo_u32 v20, v19, s30
	v_mul_lo_u32 v35, v18, s31
	v_mad_u64_u32 v[33:34], null, v18, s30, 0
	s_delay_alu instid0(VALU_DEP_1) | instskip(NEXT) | instid1(VALU_DEP_1)
	v_add3_u32 v34, v34, v35, v20
	v_lshlrev_b64 v[33:34], 1, v[33:34]
	s_delay_alu instid0(VALU_DEP_1) | instskip(NEXT) | instid1(VALU_DEP_1)
	v_add_co_u32 v33, s7, s29, v33
	v_add_co_ci_u32_e64 v34, s7, s33, v34, s7
	global_load_u16 v20, v[33:34], off
	s_branch .LBB222_60
.LBB222_63:                             ;   in Loop: Header=BB222_18 Depth=1
                                        ; implicit-def: $vgpr8_vgpr9
                                        ; implicit-def: $vgpr4_vgpr5
	s_cbranch_execnz .LBB222_66
	s_branch .LBB222_75
.LBB222_64:                             ;   in Loop: Header=BB222_18 Depth=1
	s_or_b32 exec_lo, exec_lo, s12
.LBB222_65:                             ;   in Loop: Header=BB222_18 Depth=1
	s_delay_alu instid0(SALU_CYCLE_1)
	s_or_b32 exec_lo, exec_lo, s11
	s_branch .LBB222_75
.LBB222_66:                             ;   in Loop: Header=BB222_18 Depth=1
	global_load_u16 v8, v13, s[72:73]
	s_mov_b64 s[76:77], 0
	s_mov_b32 s61, exec_lo
	s_waitcnt vmcnt(0)
	v_readfirstlane_b32 s7, v8
	v_and_b32_e32 v20, 0xffff, v8
	s_delay_alu instid0(VALU_DEP_2) | instskip(NEXT) | instid1(SALU_CYCLE_1)
	s_and_b32 s7, 0xffff, s7
	s_lshl_b32 s60, s7, 2
	s_delay_alu instid0(SALU_CYCLE_1) | instskip(SKIP_1) | instid1(VALU_DEP_1)
	v_cvt_f32_u32_e32 v2, s60
	s_sub_i32 s8, 0, s60
	v_rcp_iflag_f32_e32 v2, v2
	s_waitcnt_depctr 0xfff
	v_mul_f32_e32 v2, 0x4f7ffffe, v2
	s_delay_alu instid0(VALU_DEP_1) | instskip(NEXT) | instid1(VALU_DEP_1)
	v_cvt_u32_f32_e32 v2, v2
	v_readfirstlane_b32 s7, v2
	v_mov_b32_e32 v2, 0
	v_mov_b32_e32 v3, 0
	s_delay_alu instid0(VALU_DEP_3) | instskip(NEXT) | instid1(VALU_DEP_1)
	s_mul_i32 s8, s8, s7
	v_dual_mov_b32 v5, v3 :: v_dual_mov_b32 v4, v2
	s_mul_hi_u32 s8, s7, s8
	v_dual_mov_b32 v7, v3 :: v_dual_mov_b32 v6, v2
	s_add_i32 s7, s7, s8
	v_dual_mov_b32 v9, v3 :: v_dual_mov_b32 v8, v2
	s_mul_hi_u32 s7, s74, s7
	s_delay_alu instid0(SALU_CYCLE_1) | instskip(NEXT) | instid1(SALU_CYCLE_1)
	s_mul_i32 s7, s7, s60
	s_sub_i32 s7, s74, s7
	s_delay_alu instid0(SALU_CYCLE_1) | instskip(SKIP_2) | instid1(SALU_CYCLE_1)
	s_sub_i32 s8, s7, s60
	s_cmp_ge_u32 s7, s60
	s_cselect_b32 s7, s8, s7
	s_sub_i32 s8, s7, s60
	s_cmp_ge_u32 s7, s60
	s_cselect_b32 s7, s8, s7
	s_delay_alu instid0(SALU_CYCLE_1) | instskip(NEXT) | instid1(SALU_CYCLE_1)
	s_sub_i32 s70, s74, s7
	v_cmpx_gt_u32_e64 s70, v14
	s_cbranch_execz .LBB222_70
; %bb.67:                               ;   in Loop: Header=BB222_18 Depth=1
	v_dual_mov_b32 v21, v27 :: v_dual_lshlrev_b32 v12, 3, v20
	v_dual_mov_b32 v19, v15 :: v_dual_mov_b32 v18, v14
	s_and_b32 s62, s95, 0xfe
	s_mov_b32 s63, 0
	s_mov_b64 s[78:79], 0
	s_mov_b64 s[80:81], 0
	;; [unrolled: 1-line block ×3, first 2 shown]
.LBB222_68:                             ;   Parent Loop BB222_18 Depth=1
                                        ; =>  This Inner Loop Header: Depth=2
	ds_load_b64 v[2:3], v21
	v_add_co_u32 v18, s10, v18, s60
	s_delay_alu instid0(VALU_DEP_1) | instskip(NEXT) | instid1(VALU_DEP_1)
	v_add_co_ci_u32_e64 v19, s10, 0, v19, s10
	v_cmp_le_u64_e64 s10, s[70:71], v[18:19]
	s_waitcnt lgkmcnt(0)
	v_lshrrev_b32_e32 v4, 16, v2
	v_lshrrev_b32_e32 v5, 16, v3
	v_cmp_lt_i16_e32 vcc_lo, -1, v2
	v_cmp_lt_i16_e64 s7, -1, v3
	v_lshlrev_b32_e32 v7, 16, v3
	v_and_b32_e32 v9, 0xffff, v3
	v_and_b32_e32 v3, 0xffff0000, v3
	;; [unrolled: 1-line block ×3, first 2 shown]
	v_lshlrev_b32_e32 v8, 16, v2
	v_and_b32_e32 v2, 0xffff0000, v2
	s_delay_alu instid0(VALU_DEP_4) | instskip(SKIP_2) | instid1(VALU_DEP_4)
	v_cmp_o_f32_e64 s11, v3, v3
	v_cndmask_b32_e32 v3, 0xffff, v29, vcc_lo
	v_cmp_lt_i16_e32 vcc_lo, -1, v4
	v_cmp_o_f32_e64 s12, v2, v2
	v_cndmask_b32_e64 v2, 0xffff, v29, s7
	v_cmp_lt_i16_e64 s7, -1, v5
	v_cmp_o_f32_e64 s9, v8, v8
	v_xor_b32_e32 v3, v3, v6
	v_cndmask_b32_e32 v6, 0xffff, v29, vcc_lo
	v_cmp_o_f32_e64 s8, v7, v7
	v_xor_b32_e32 v2, v2, v9
	v_cndmask_b32_e64 v7, 0xffff, v29, s7
	v_cndmask_b32_e64 v3, 0xffff, v3, s9
	v_xor_b32_e32 v4, v6, v4
	s_delay_alu instid0(VALU_DEP_4) | instskip(NEXT) | instid1(VALU_DEP_4)
	v_cndmask_b32_e64 v2, 0xffff, v2, s8
	v_xor_b32_e32 v5, v7, v5
	s_delay_alu instid0(VALU_DEP_4) | instskip(NEXT) | instid1(VALU_DEP_4)
	v_and_b32_e32 v6, v3, v30
	v_cndmask_b32_e64 v4, 0xffff, v4, s12
	v_bfe_u32 v3, v3, s62, 2
	v_and_b32_e32 v7, v2, v30
	v_cndmask_b32_e64 v5, 0xffff, v5, s11
	v_cmp_eq_u32_e32 vcc_lo, v6, v31
	v_and_b32_e32 v6, v4, v30
	v_bfe_u32 v4, v4, s62, 2
	v_bfe_u32 v2, v2, s62, 2
	v_cmp_eq_u32_e64 s7, v7, v31
	v_and_b32_e32 v7, v5, v30
	v_bfe_u32 v5, v5, s62, 2
	v_cmp_eq_u32_e64 s8, 0, v3
	v_cmp_eq_u32_e64 s17, v6, v31
	v_cmp_eq_u32_e64 s19, 0, v4
	v_cmp_eq_u32_e64 s9, 0, v2
	v_cmp_eq_u32_e64 s18, v7, v31
	v_cmp_eq_u32_e64 s20, 0, v5
	s_and_b32 s25, vcc_lo, s8
	s_and_b32 s19, s17, s19
	v_cmp_eq_u32_e64 s12, 1, v2
	v_cmp_eq_u32_e64 s14, 2, v2
	;; [unrolled: 1-line block ×3, first 2 shown]
	s_and_b32 s26, s7, s9
	v_cmp_eq_u32_e64 s8, 1, v4
	v_cmp_eq_u32_e64 s21, 2, v4
	;; [unrolled: 1-line block ×3, first 2 shown]
	v_cndmask_b32_e64 v2, 0, 1, s25
	v_cndmask_b32_e64 v4, 0, 1, s19
	v_cmp_eq_u32_e64 s11, 1, v3
	v_cmp_eq_u32_e64 s13, 2, v3
	;; [unrolled: 1-line block ×3, first 2 shown]
	v_cndmask_b32_e64 v3, 0, 1, s26
	s_and_b32 s20, s18, s20
	v_cmp_eq_u32_e64 s9, 1, v5
	v_cmp_eq_u32_e64 s22, 2, v5
	;; [unrolled: 1-line block ×3, first 2 shown]
	v_cndmask_b32_e64 v5, 0, 1, s20
	v_cmp_ne_u32_e64 s19, 0, v2
	v_cmp_ne_u32_e64 s25, 0, v4
	v_cmp_ne_u32_e64 s20, 0, v3
	s_delay_alu instid0(VALU_DEP_4) | instskip(NEXT) | instid1(VALU_DEP_4)
	v_cmp_ne_u32_e64 s26, 0, v5
	s_bcnt1_i32_b32 s19, s19
	s_delay_alu instid0(VALU_DEP_3) | instskip(NEXT) | instid1(VALU_DEP_2)
	s_bcnt1_i32_b32 s25, s25
	s_bcnt1_i32_b32 s20, s20
	s_add_i32 s19, s25, s19
	s_bcnt1_i32_b32 s26, s26
	s_add_i32 s19, s19, s20
	s_delay_alu instid0(SALU_CYCLE_1) | instskip(NEXT) | instid1(SALU_CYCLE_1)
	s_add_i32 s19, s19, s26
	s_add_u32 s82, s82, s19
	s_addc_u32 s83, s83, 0
	s_and_b32 s11, vcc_lo, s11
	s_and_b32 s8, s17, s8
	s_and_b32 s12, s7, s12
	v_cndmask_b32_e64 v2, 0, 1, s11
	v_cndmask_b32_e64 v3, 0, 1, s8
	s_and_b32 s9, s18, s9
	v_cndmask_b32_e64 v4, 0, 1, s12
	v_cndmask_b32_e64 v5, 0, 1, s9
	v_cmp_ne_u32_e64 s8, 0, v2
	v_cmp_ne_u32_e64 s9, 0, v3
	s_delay_alu instid0(VALU_DEP_4) | instskip(NEXT) | instid1(VALU_DEP_4)
	v_cmp_ne_u32_e64 s11, 0, v4
	v_cmp_ne_u32_e64 s12, 0, v5
	s_delay_alu instid0(VALU_DEP_4) | instskip(NEXT) | instid1(VALU_DEP_3)
	s_bcnt1_i32_b32 s8, s8
	s_bcnt1_i32_b32 s9, s9
	s_delay_alu instid0(VALU_DEP_2) | instskip(SKIP_3) | instid1(SALU_CYCLE_1)
	s_bcnt1_i32_b32 s11, s11
	s_add_i32 s8, s9, s8
	s_bcnt1_i32_b32 s12, s12
	s_add_i32 s8, s8, s11
	s_add_i32 s8, s8, s12
	s_delay_alu instid0(SALU_CYCLE_1)
	s_add_u32 s80, s80, s8
	s_addc_u32 s81, s81, 0
	s_and_b32 s8, vcc_lo, s13
	s_and_b32 s9, s17, s21
	s_and_b32 s11, s7, s14
	v_cndmask_b32_e64 v2, 0, 1, s8
	v_cndmask_b32_e64 v3, 0, 1, s9
	s_and_b32 s12, s18, s22
	v_cndmask_b32_e64 v4, 0, 1, s11
	v_cndmask_b32_e64 v5, 0, 1, s12
	v_cmp_ne_u32_e64 s8, 0, v2
	v_cmp_ne_u32_e64 s9, 0, v3
	s_delay_alu instid0(VALU_DEP_4) | instskip(NEXT) | instid1(VALU_DEP_4)
	v_cmp_ne_u32_e64 s11, 0, v4
	v_cmp_ne_u32_e64 s12, 0, v5
	s_delay_alu instid0(VALU_DEP_4) | instskip(NEXT) | instid1(VALU_DEP_3)
	s_bcnt1_i32_b32 s8, s8
	s_bcnt1_i32_b32 s9, s9
	s_delay_alu instid0(VALU_DEP_2) | instskip(SKIP_3) | instid1(SALU_CYCLE_1)
	s_bcnt1_i32_b32 s11, s11
	s_add_i32 s8, s9, s8
	s_bcnt1_i32_b32 s12, s12
	s_add_i32 s8, s8, s11
	s_add_i32 s8, s8, s12
	s_delay_alu instid0(SALU_CYCLE_1)
	s_add_u32 s78, s78, s8
	s_addc_u32 s79, s79, 0
	s_and_b32 s8, vcc_lo, s15
	s_and_b32 s9, s17, s23
	s_and_b32 s7, s7, s16
	v_cndmask_b32_e64 v2, 0, 1, s8
	v_cndmask_b32_e64 v3, 0, 1, s9
	s_and_b32 s11, s18, s24
	v_cndmask_b32_e64 v4, 0, 1, s7
	v_cndmask_b32_e64 v5, 0, 1, s11
	v_cmp_ne_u32_e32 vcc_lo, 0, v2
	v_cmp_ne_u32_e64 s7, 0, v3
	v_dual_mov_b32 v6, s78 :: v_dual_add_nc_u32 v21, v21, v12
	v_cmp_ne_u32_e64 s8, 0, v4
	v_cmp_ne_u32_e64 s9, 0, v5
	s_bcnt1_i32_b32 s11, vcc_lo
	s_bcnt1_i32_b32 s7, s7
	v_mov_b32_e32 v2, s82
	s_bcnt1_i32_b32 s8, s8
	s_add_i32 s7, s7, s11
	s_bcnt1_i32_b32 s9, s9
	s_add_i32 s7, s7, s8
	v_mov_b32_e32 v4, s80
	s_add_i32 s7, s7, s9
	v_mov_b32_e32 v3, s83
	s_add_u32 s76, s76, s7
	s_addc_u32 s77, s77, 0
	v_dual_mov_b32 v8, s76 :: v_dual_mov_b32 v5, s81
	v_mov_b32_e32 v7, s79
	v_mov_b32_e32 v9, s77
	s_or_b32 s63, s10, s63
	s_delay_alu instid0(SALU_CYCLE_1)
	s_and_not1_b32 exec_lo, exec_lo, s63
	s_cbranch_execnz .LBB222_68
; %bb.69:                               ;   in Loop: Header=BB222_18 Depth=1
	s_or_b32 exec_lo, exec_lo, s63
.LBB222_70:                             ;   in Loop: Header=BB222_18 Depth=1
	s_delay_alu instid0(SALU_CYCLE_1) | instskip(SKIP_2) | instid1(VALU_DEP_1)
	s_or_b32 exec_lo, exec_lo, s61
	v_add_nc_u32_e32 v12, s70, v0
	s_mov_b32 s14, exec_lo
	v_cmpx_gt_u32_e64 s74, v12
	s_cbranch_execz .LBB222_74
; %bb.71:                               ;   in Loop: Header=BB222_18 Depth=1
	v_mov_b32_e32 v19, v13
	v_dual_mov_b32 v18, v12 :: v_dual_lshlrev_b32 v21, 1, v12
	v_lshlrev_b32_e32 v33, 1, v20
	s_mov_b32 s13, 0
	s_and_b32 s12, s74, 0x7fffffff
	s_and_b32 s16, s95, 0xfe
	s_mov_b32 s15, s13
.LBB222_72:                             ;   Parent Loop BB222_18 Depth=1
                                        ; =>  This Inner Loop Header: Depth=2
	ds_load_u16 v12, v21
	v_add_co_u32 v18, vcc_lo, v18, v20
	v_add_co_ci_u32_e32 v19, vcc_lo, 0, v19, vcc_lo
	v_add_nc_u32_e32 v21, v21, v33
	s_delay_alu instid0(VALU_DEP_2) | instskip(SKIP_4) | instid1(VALU_DEP_3)
	v_cmp_le_u64_e32 vcc_lo, s[12:13], v[18:19]
	s_waitcnt lgkmcnt(0)
	v_cmp_lt_i16_e64 s7, -1, v12
	v_and_b32_e32 v34, 0xffff, v12
	v_lshlrev_b32_e32 v12, 16, v12
	v_cndmask_b32_e64 v35, 0xffff, v29, s7
	s_delay_alu instid0(VALU_DEP_2) | instskip(NEXT) | instid1(VALU_DEP_2)
	v_cmp_o_f32_e64 s7, v12, v12
	v_xor_b32_e32 v34, v35, v34
	s_delay_alu instid0(VALU_DEP_1) | instskip(NEXT) | instid1(VALU_DEP_1)
	v_cndmask_b32_e64 v12, 0xffff, v34, s7
	v_and_b32_e32 v34, v12, v30
	v_bfe_u32 v12, v12, s16, 2
	s_delay_alu instid0(VALU_DEP_2) | instskip(NEXT) | instid1(VALU_DEP_2)
	v_cmp_eq_u32_e64 s7, v34, v31
	v_cmp_eq_u32_e64 s8, 0, v12
	;; [unrolled: 1-line block ×5, first 2 shown]
	s_delay_alu instid0(VALU_DEP_4) | instskip(NEXT) | instid1(SALU_CYCLE_1)
	s_and_b32 s8, s7, s8
	v_cndmask_b32_e64 v12, 0, 1, s8
	s_and_b32 s8, s7, s9
	s_delay_alu instid0(SALU_CYCLE_1)
	v_cndmask_b32_e64 v34, 0, 1, s8
	s_and_b32 s8, s7, s10
	s_and_b32 s7, s7, s11
	v_cndmask_b32_e64 v35, 0, 1, s8
	v_cndmask_b32_e64 v36, 0, 1, s7
	v_cmp_ne_u32_e64 s7, 0, v12
	v_cmp_ne_u32_e64 s8, 0, v34
	s_delay_alu instid0(VALU_DEP_4) | instskip(NEXT) | instid1(VALU_DEP_4)
	v_cmp_ne_u32_e64 s9, 0, v35
	v_cmp_ne_u32_e64 s10, 0, v36
	s_delay_alu instid0(VALU_DEP_4) | instskip(NEXT) | instid1(VALU_DEP_3)
	s_bcnt1_i32_b32 s7, s7
	s_bcnt1_i32_b32 s8, s8
	v_add_co_u32 v2, s7, v2, s7
	s_delay_alu instid0(VALU_DEP_1)
	v_add_co_ci_u32_e64 v3, s7, 0, v3, s7
	v_add_co_u32 v4, s7, v4, s8
	s_bcnt1_i32_b32 s9, s9
	v_add_co_ci_u32_e64 v5, s7, 0, v5, s7
	v_add_co_u32 v6, s7, v6, s9
	s_bcnt1_i32_b32 s10, s10
	v_add_co_ci_u32_e64 v7, s7, 0, v7, s7
	v_add_co_u32 v8, s7, v8, s10
	s_delay_alu instid0(VALU_DEP_1) | instskip(SKIP_1) | instid1(SALU_CYCLE_1)
	v_add_co_ci_u32_e64 v9, s7, 0, v9, s7
	s_or_b32 s15, vcc_lo, s15
	s_and_not1_b32 exec_lo, exec_lo, s15
	s_cbranch_execnz .LBB222_72
; %bb.73:                               ;   in Loop: Header=BB222_18 Depth=1
	s_or_b32 exec_lo, exec_lo, s15
.LBB222_74:                             ;   in Loop: Header=BB222_18 Depth=1
	s_delay_alu instid0(SALU_CYCLE_1)
	s_or_b32 exec_lo, exec_lo, s14
.LBB222_75:                             ;   in Loop: Header=BB222_18 Depth=1
	s_lshl_b32 s7, s99, 7
	s_and_saveexec_b32 s8, s2
	s_cbranch_execz .LBB222_77
; %bb.76:                               ;   in Loop: Header=BB222_18 Depth=1
	v_or_b32_e32 v12, s7, v24
	s_delay_alu instid0(VALU_DEP_1)
	v_lshlrev_b32_e32 v12, 3, v12
	ds_store_b128 v12, v[2:5] offset:3072
	ds_store_b128 v12, v[6:9] offset:3088
.LBB222_77:                             ;   in Loop: Header=BB222_18 Depth=1
	s_or_b32 exec_lo, exec_lo, s8
	s_waitcnt vmcnt(0) lgkmcnt(0)
	s_barrier
	buffer_gl0_inv
	s_and_saveexec_b32 s8, s84
	s_cbranch_execz .LBB222_88
; %bb.78:                               ;   in Loop: Header=BB222_18 Depth=1
	v_mov_b32_e32 v2, 0
	v_mov_b32_e32 v3, 0
	s_and_not1_b32 vcc_lo, exec_lo, s92
	s_cbranch_vccnz .LBB222_87
; %bb.79:                               ;   in Loop: Header=BB222_18 Depth=1
	v_mov_b32_e32 v2, 0
	v_mov_b32_e32 v3, 0
	s_and_not1_b32 vcc_lo, exec_lo, s90
	s_cbranch_vccnz .LBB222_84
; %bb.80:                               ;   in Loop: Header=BB222_18 Depth=1
	v_lshl_add_u32 v4, s99, 10, v28
	s_mov_b32 s9, 0
	s_set_inst_prefetch_distance 0x1
	.p2align	6
.LBB222_81:                             ;   Parent Loop BB222_18 Depth=1
                                        ; =>  This Inner Loop Header: Depth=2
	ds_load_2addr_b64 v[5:8], v4 offset1:4
	ds_load_2addr_b64 v[18:21], v4 offset0:8 offset1:12
	ds_load_2addr_b64 v[33:36], v4 offset0:16 offset1:20
	s_add_i32 s9, s9, 8
	s_delay_alu instid0(SALU_CYCLE_1) | instskip(SKIP_3) | instid1(VALU_DEP_2)
	s_cmp_eq_u32 s91, s9
	s_waitcnt lgkmcnt(2)
	v_add_co_u32 v2, vcc_lo, v5, v2
	v_add_co_ci_u32_e32 v3, vcc_lo, v6, v3, vcc_lo
	v_add_co_u32 v2, vcc_lo, v7, v2
	s_delay_alu instid0(VALU_DEP_2)
	v_add_co_ci_u32_e32 v3, vcc_lo, v8, v3, vcc_lo
	ds_load_2addr_b64 v[5:8], v4 offset0:24 offset1:28
	s_waitcnt lgkmcnt(2)
	v_add_co_u32 v2, vcc_lo, v18, v2
	v_add_co_ci_u32_e32 v3, vcc_lo, v19, v3, vcc_lo
	v_add_nc_u32_e32 v4, 0x100, v4
	s_delay_alu instid0(VALU_DEP_3) | instskip(NEXT) | instid1(VALU_DEP_3)
	v_add_co_u32 v2, vcc_lo, v20, v2
	v_add_co_ci_u32_e32 v3, vcc_lo, v21, v3, vcc_lo
	s_waitcnt lgkmcnt(1)
	s_delay_alu instid0(VALU_DEP_2) | instskip(NEXT) | instid1(VALU_DEP_2)
	v_add_co_u32 v2, vcc_lo, v33, v2
	v_add_co_ci_u32_e32 v3, vcc_lo, v34, v3, vcc_lo
	s_delay_alu instid0(VALU_DEP_2) | instskip(NEXT) | instid1(VALU_DEP_2)
	v_add_co_u32 v2, vcc_lo, v35, v2
	v_add_co_ci_u32_e32 v3, vcc_lo, v36, v3, vcc_lo
	s_waitcnt lgkmcnt(0)
	s_delay_alu instid0(VALU_DEP_2) | instskip(NEXT) | instid1(VALU_DEP_2)
	v_add_co_u32 v2, vcc_lo, v5, v2
	v_add_co_ci_u32_e32 v3, vcc_lo, v6, v3, vcc_lo
	s_delay_alu instid0(VALU_DEP_2) | instskip(NEXT) | instid1(VALU_DEP_2)
	v_add_co_u32 v2, vcc_lo, v7, v2
	v_add_co_ci_u32_e32 v3, vcc_lo, v8, v3, vcc_lo
	s_cbranch_scc0 .LBB222_81
; %bb.82:                               ;   in Loop: Header=BB222_18 Depth=1
	s_set_inst_prefetch_distance 0x2
	s_mov_b32 s9, s91
	s_and_not1_b32 vcc_lo, exec_lo, s93
	s_cbranch_vccz .LBB222_85
	s_branch .LBB222_87
.LBB222_83:                             ;   in Loop: Header=BB222_18 Depth=1
                                        ; implicit-def: $vgpr2_vgpr3
	s_branch .LBB222_51
.LBB222_84:                             ;   in Loop: Header=BB222_18 Depth=1
	s_mov_b32 s9, 0
	s_and_not1_b32 vcc_lo, exec_lo, s93
	s_cbranch_vccnz .LBB222_87
.LBB222_85:                             ;   in Loop: Header=BB222_18 Depth=1
	s_lshl_b32 s10, s99, 10
	s_lshl_b32 s9, s9, 5
	s_delay_alu instid0(SALU_CYCLE_1)
	v_add3_u32 v4, s10, s9, v28
	s_mov_b32 s9, s89
.LBB222_86:                             ;   Parent Loop BB222_18 Depth=1
                                        ; =>  This Inner Loop Header: Depth=2
	ds_load_b64 v[5:6], v4
	v_add_nc_u32_e32 v4, 32, v4
	s_add_i32 s9, s9, -1
	s_delay_alu instid0(SALU_CYCLE_1)
	s_cmp_lg_u32 s9, 0
	s_waitcnt lgkmcnt(0)
	v_add_co_u32 v2, vcc_lo, v5, v2
	v_add_co_ci_u32_e32 v3, vcc_lo, v6, v3, vcc_lo
	s_cbranch_scc1 .LBB222_86
.LBB222_87:                             ;   in Loop: Header=BB222_18 Depth=1
	v_add_lshl_u32 v4, s7, v23, 3
	ds_store_b64 v4, v[2:3] offset:3072
.LBB222_88:                             ;   in Loop: Header=BB222_18 Depth=1
	s_or_b32 exec_lo, exec_lo, s8
	s_lshl_b32 s7, s7, 3
	s_waitcnt lgkmcnt(0)
	v_mov_b32_e32 v6, s7
	s_barrier
	buffer_gl0_inv
	s_and_b32 s22, s95, 0xfe
	v_cmp_eq_u64_e64 s7, 1, v[16:17]
	ds_load_b128 v[2:5], v6 offset:3072
	ds_load_b128 v[6:9], v6 offset:3088
	s_lshl_b32 s20, 3, s22
	s_and_not1_b32 vcc_lo, exec_lo, s59
	s_not_b32 s21, s20
	s_waitcnt lgkmcnt(1)
	v_readfirstlane_b32 s11, v3
	v_readfirstlane_b32 s10, v2
	;; [unrolled: 1-line block ×4, first 2 shown]
	s_waitcnt lgkmcnt(0)
	v_readfirstlane_b32 s15, v7
	v_readfirstlane_b32 s14, v6
	;; [unrolled: 1-line block ×4, first 2 shown]
	s_cbranch_vccnz .LBB222_104
; %bb.89:                               ;   in Loop: Header=BB222_18 Depth=1
	s_cmp_eq_u64 s[10:11], 1
	v_dual_mov_b32 v8, v31 :: v_dual_mov_b32 v9, v30
	v_mov_b32_e32 v6, v32
	s_cselect_b32 s8, -1, 0
                                        ; implicit-def: $sgpr23
                                        ; implicit-def: $sgpr70
                                        ; implicit-def: $sgpr69
	s_delay_alu instid0(SALU_CYCLE_1)
	s_and_b32 s60, s8, s7
	s_mov_b32 s8, -1
	s_and_saveexec_b32 s24, s60
	s_cbranch_execz .LBB222_123
; %bb.90:                               ;   in Loop: Header=BB222_18 Depth=1
	ds_load_b64 v[2:3], v13 offset:5120
	s_waitcnt lgkmcnt(0)
	s_barrier
	buffer_gl0_inv
	v_readfirstlane_b32 s18, v2
	v_readfirstlane_b32 s19, v3
	s_and_saveexec_b32 s8, s6
	s_cbranch_execz .LBB222_92
; %bb.91:                               ;   in Loop: Header=BB222_18 Depth=1
	ds_store_b16 v26, v13
.LBB222_92:                             ;   in Loop: Header=BB222_18 Depth=1
	s_or_b32 exec_lo, exec_lo, s8
	v_and_b32_e32 v8, s21, v31
	v_or_b32_e32 v9, s20, v30
	s_cmp_eq_u64 s[18:19], 0
	s_waitcnt lgkmcnt(0)
	s_barrier
	buffer_gl0_inv
	s_cbranch_scc1 .LBB222_106
; %bb.93:                               ;   in Loop: Header=BB222_18 Depth=1
	s_add_u32 s23, s86, s18
	s_addc_u32 s9, s87, s19
	s_mov_b32 s8, s71
	s_delay_alu instid0(SALU_CYCLE_1)
	s_cmp_lg_u64 s[8:9], 0
	s_cbranch_scc0 .LBB222_150
; %bb.94:                               ;   in Loop: Header=BB222_18 Depth=1
	v_cvt_f32_u32_e32 v2, s35
	s_sub_u32 s26, 0, s35
	s_subb_u32 s48, 0, 0
	s_delay_alu instid0(VALU_DEP_1) | instskip(NEXT) | instid1(VALU_DEP_1)
	v_fmac_f32_e64 v2, 0, 0x4f800000
	v_rcp_f32_e32 v2, v2
	s_waitcnt_depctr 0xfff
	v_mul_f32_e32 v2, 0x5f7ffffc, v2
	s_delay_alu instid0(VALU_DEP_1) | instskip(NEXT) | instid1(VALU_DEP_1)
	v_mul_f32_e32 v3, 0x2f800000, v2
	v_trunc_f32_e32 v3, v3
	s_delay_alu instid0(VALU_DEP_1) | instskip(SKIP_1) | instid1(VALU_DEP_2)
	v_fmac_f32_e32 v2, 0xcf800000, v3
	v_cvt_u32_f32_e32 v3, v3
	v_cvt_u32_f32_e32 v2, v2
	s_delay_alu instid0(VALU_DEP_2) | instskip(NEXT) | instid1(VALU_DEP_2)
	v_readfirstlane_b32 s8, v3
	v_readfirstlane_b32 s25, v2
	s_delay_alu instid0(VALU_DEP_2) | instskip(NEXT) | instid1(VALU_DEP_1)
	s_mul_i32 s49, s26, s8
	s_mul_hi_u32 s51, s26, s25
	s_mul_i32 s50, s48, s25
	s_add_i32 s49, s51, s49
	s_mul_i32 s52, s26, s25
	s_add_i32 s49, s49, s50
	s_mul_hi_u32 s51, s25, s52
	s_mul_hi_u32 s53, s8, s52
	s_mul_i32 s50, s8, s52
	s_mul_hi_u32 s52, s25, s49
	s_mul_i32 s25, s25, s49
	s_mul_hi_u32 s54, s8, s49
	s_add_u32 s25, s51, s25
	s_addc_u32 s51, 0, s52
	s_add_u32 s25, s25, s50
	s_mul_i32 s49, s8, s49
	s_addc_u32 s25, s51, s53
	s_addc_u32 s50, s54, 0
	s_add_u32 s25, s25, s49
	s_addc_u32 s49, 0, s50
	v_add_co_u32 v2, s25, v2, s25
	s_delay_alu instid0(VALU_DEP_1) | instskip(SKIP_1) | instid1(VALU_DEP_1)
	s_cmp_lg_u32 s25, 0
	s_addc_u32 s8, s8, s49
	v_readfirstlane_b32 s25, v2
	s_mul_i32 s49, s26, s8
	s_delay_alu instid0(VALU_DEP_1)
	s_mul_hi_u32 s50, s26, s25
	s_mul_i32 s48, s48, s25
	s_add_i32 s49, s50, s49
	s_mul_i32 s26, s26, s25
	s_add_i32 s49, s49, s48
	s_mul_hi_u32 s50, s8, s26
	s_mul_i32 s51, s8, s26
	s_mul_hi_u32 s26, s25, s26
	s_mul_hi_u32 s52, s25, s49
	s_mul_i32 s25, s25, s49
	s_mul_hi_u32 s48, s8, s49
	s_add_u32 s25, s26, s25
	s_addc_u32 s26, 0, s52
	s_add_u32 s25, s25, s51
	s_mul_i32 s49, s8, s49
	s_addc_u32 s25, s26, s50
	s_addc_u32 s26, s48, 0
	s_add_u32 s25, s25, s49
	s_addc_u32 s26, 0, s26
	v_add_co_u32 v2, s25, v2, s25
	s_delay_alu instid0(VALU_DEP_1) | instskip(SKIP_1) | instid1(VALU_DEP_1)
	s_cmp_lg_u32 s25, 0
	s_addc_u32 s8, s8, s26
	v_readfirstlane_b32 s25, v2
	s_mul_i32 s48, s23, s8
	s_mul_hi_u32 s26, s23, s8
	s_mul_hi_u32 s49, s9, s8
	s_mul_i32 s8, s9, s8
	s_mul_hi_u32 s50, s23, s25
	s_mul_hi_u32 s51, s9, s25
	s_mul_i32 s25, s9, s25
	s_add_u32 s48, s50, s48
	s_addc_u32 s26, 0, s26
	s_add_u32 s25, s48, s25
	s_addc_u32 s25, s26, s51
	s_addc_u32 s26, s49, 0
	s_add_u32 s8, s25, s8
	s_addc_u32 s25, 0, s26
	s_mul_hi_u32 s26, s35, s8
	s_mul_i32 s8, s35, s8
	s_mul_i32 s25, s35, s25
	v_sub_co_u32 v2, s8, s23, s8
	s_add_i32 s26, s26, s25
	s_cmp_lg_u32 s8, 0
	s_delay_alu instid0(VALU_DEP_1) | instskip(SKIP_2) | instid1(VALU_DEP_1)
	v_sub_co_u32 v3, s8, v2, s35
	s_subb_u32 s25, s9, s26
	s_cmp_lg_u32 s8, 0
	v_cmp_le_u32_e32 vcc_lo, s35, v3
	v_sub_co_u32 v4, s8, v3, s35
	s_subb_u32 s26, s25, 0
	s_cmp_lg_u32 s8, 0
	v_cndmask_b32_e64 v5, 0, -1, vcc_lo
	s_subb_u32 s8, s26, 0
	s_cmp_eq_u32 s26, 0
	v_mov_b32_e32 v7, s8
	s_cselect_b32 vcc_lo, -1, 0
	s_cmp_eq_u32 s25, 0
	v_cndmask_b32_e32 v5, -1, v5, vcc_lo
	v_cmp_le_u32_e32 vcc_lo, s35, v2
	s_cselect_b32 s8, -1, 0
	v_cndmask_b32_e64 v6, 0, -1, vcc_lo
	s_delay_alu instid0(VALU_DEP_3) | instskip(NEXT) | instid1(VALU_DEP_2)
	v_cmp_ne_u32_e32 vcc_lo, 0, v5
	v_cndmask_b32_e64 v5, -1, v6, s8
	v_cndmask_b32_e32 v6, s26, v7, vcc_lo
	v_cndmask_b32_e32 v4, v3, v4, vcc_lo
	s_delay_alu instid0(VALU_DEP_3) | instskip(NEXT) | instid1(VALU_DEP_3)
	v_cmp_ne_u32_e32 vcc_lo, 0, v5
	v_cndmask_b32_e32 v3, s25, v6, vcc_lo
	s_delay_alu instid0(VALU_DEP_3)
	v_cndmask_b32_e32 v2, v2, v4, vcc_lo
	s_cbranch_execnz .LBB222_96
.LBB222_95:                             ;   in Loop: Header=BB222_18 Depth=1
	v_cvt_f32_u32_e32 v2, s35
	s_sub_i32 s8, 0, s35
	s_delay_alu instid0(VALU_DEP_1) | instskip(SKIP_2) | instid1(VALU_DEP_1)
	v_rcp_iflag_f32_e32 v2, v2
	s_waitcnt_depctr 0xfff
	v_mul_f32_e32 v2, 0x4f7ffffe, v2
	v_cvt_u32_f32_e32 v2, v2
	s_delay_alu instid0(VALU_DEP_1) | instskip(NEXT) | instid1(VALU_DEP_1)
	v_mul_lo_u32 v3, s8, v2
	v_mul_hi_u32 v3, v2, v3
	s_delay_alu instid0(VALU_DEP_1) | instskip(NEXT) | instid1(VALU_DEP_1)
	v_add_nc_u32_e32 v2, v2, v3
	v_mul_hi_u32 v2, s23, v2
	s_delay_alu instid0(VALU_DEP_1) | instskip(NEXT) | instid1(VALU_DEP_1)
	v_mul_lo_u32 v2, v2, s35
	v_sub_nc_u32_e32 v2, s23, v2
	s_delay_alu instid0(VALU_DEP_1) | instskip(SKIP_1) | instid1(VALU_DEP_2)
	v_subrev_nc_u32_e32 v3, s35, v2
	v_cmp_le_u32_e32 vcc_lo, s35, v2
	v_cndmask_b32_e32 v2, v2, v3, vcc_lo
	s_delay_alu instid0(VALU_DEP_1) | instskip(SKIP_1) | instid1(VALU_DEP_2)
	v_subrev_nc_u32_e32 v3, s35, v2
	v_cmp_le_u32_e32 vcc_lo, s35, v2
	v_cndmask_b32_e32 v12, v2, v3, vcc_lo
	s_delay_alu instid0(VALU_DEP_1)
	v_dual_mov_b32 v2, v12 :: v_dual_mov_b32 v3, v13
.LBB222_96:                             ;   in Loop: Header=BB222_18 Depth=1
	s_delay_alu instid0(VALU_DEP_1) | instskip(NEXT) | instid1(VALU_DEP_2)
	v_sub_co_u32 v2, vcc_lo, s23, v2
	v_sub_co_ci_u32_e32 v3, vcc_lo, s9, v3, vcc_lo
	s_mov_b32 s8, 0
	s_mov_b32 s9, exec_lo
                                        ; implicit-def: $vgpr6
	s_delay_alu instid0(VALU_DEP_1)
	v_cmpx_gt_u64_e64 v[2:3], v[0:1]
	s_cbranch_execz .LBB222_108
; %bb.97:                               ;   in Loop: Header=BB222_18 Depth=1
	v_mov_b32_e32 v6, v25
	v_dual_mov_b32 v5, v1 :: v_dual_mov_b32 v4, v0
	s_mov_b32 s23, 0
                                        ; implicit-def: $sgpr25
	s_branch .LBB222_99
.LBB222_98:                             ;   in Loop: Header=BB222_99 Depth=2
	s_or_b32 exec_lo, exec_lo, s8
	s_waitcnt lgkmcnt(0)
	s_barrier
	buffer_gl0_inv
	ds_load_b32 v7, v13 offset:3072
	v_add_co_u32 v4, vcc_lo, v4, s35
	v_add_co_ci_u32_e32 v5, vcc_lo, 0, v5, vcc_lo
	v_add_nc_u32_e32 v6, s94, v6
	s_waitcnt lgkmcnt(0)
	s_barrier
	s_delay_alu instid0(VALU_DEP_2) | instskip(SKIP_2) | instid1(VALU_DEP_1)
	v_cmp_ge_u64_e32 vcc_lo, v[4:5], v[2:3]
	buffer_gl0_inv
	v_and_b32_e32 v12, 0x7fff, v7
	v_cmp_ne_u16_e64 s8, 0, v12
	s_delay_alu instid0(VALU_DEP_1) | instskip(NEXT) | instid1(SALU_CYCLE_1)
	s_or_b32 s26, vcc_lo, s8
	s_and_b32 s26, exec_lo, s26
	s_delay_alu instid0(SALU_CYCLE_1) | instskip(SKIP_2) | instid1(SALU_CYCLE_1)
	s_or_b32 s23, s26, s23
	s_and_not1_b32 s25, s25, exec_lo
	s_and_b32 s8, s8, exec_lo
	s_or_b32 s25, s25, s8
	s_and_not1_b32 exec_lo, exec_lo, s23
	s_cbranch_execz .LBB222_107
.LBB222_99:                             ;   Parent Loop BB222_18 Depth=1
                                        ; =>  This Inner Loop Header: Depth=2
	s_delay_alu instid0(VALU_DEP_1)
	v_cmp_gt_u64_e32 vcc_lo, s[18:19], v[4:5]
	v_mov_b32_e32 v7, 0
	s_and_saveexec_b32 s8, vcc_lo
	s_cbranch_execz .LBB222_101
; %bb.100:                              ;   in Loop: Header=BB222_99 Depth=2
	ds_load_u16 v7, v6
.LBB222_101:                            ;   in Loop: Header=BB222_99 Depth=2
	s_or_b32 exec_lo, exec_lo, s8
	s_and_saveexec_b32 s8, vcc_lo
	s_cbranch_execz .LBB222_98
; %bb.102:                              ;   in Loop: Header=BB222_99 Depth=2
	s_waitcnt lgkmcnt(0)
	v_cmp_lt_i16_e32 vcc_lo, -1, v7
	v_and_b32_e32 v12, 0xffff, v7
	v_dual_cndmask_b32 v18, 0xffff, v29 :: v_dual_lshlrev_b32 v19, 16, v7
	s_delay_alu instid0(VALU_DEP_1) | instskip(NEXT) | instid1(VALU_DEP_2)
	v_cmp_o_f32_e32 vcc_lo, v19, v19
	v_xor_b32_e32 v12, v18, v12
	s_delay_alu instid0(VALU_DEP_1) | instskip(NEXT) | instid1(VALU_DEP_1)
	v_cndmask_b32_e32 v12, 0xffff, v12, vcc_lo
	v_and_b32_e32 v12, v12, v9
	s_delay_alu instid0(VALU_DEP_1)
	v_cmp_eq_u32_e32 vcc_lo, v12, v8
	s_and_b32 exec_lo, exec_lo, vcc_lo
	s_cbranch_execz .LBB222_98
; %bb.103:                              ;   in Loop: Header=BB222_99 Depth=2
	v_perm_b32 v7, v7, s97, 0x5040100
	ds_store_b32 v13, v7 offset:3072
	s_branch .LBB222_98
.LBB222_104:                            ;   in Loop: Header=BB222_18 Depth=1
	s_mov_b32 s25, 0
	s_mov_b32 s24, 0
                                        ; implicit-def: $sgpr69
                                        ; implicit-def: $sgpr70
                                        ; implicit-def: $sgpr23
                                        ; implicit-def: $vgpr7
                                        ; implicit-def: $vgpr2_vgpr3
                                        ; implicit-def: $vgpr8
                                        ; implicit-def: $vgpr9
                                        ; implicit-def: $vgpr6
	s_cbranch_execnz .LBB222_287
.LBB222_105:                            ;   in Loop: Header=BB222_18 Depth=1
	s_mov_b32 s18, s23
	s_mov_b32 s19, s23
	s_and_saveexec_b32 s7, s25
	s_cbranch_execnz .LBB222_483
	s_branch .LBB222_484
.LBB222_106:                            ;   in Loop: Header=BB222_18 Depth=1
	s_mov_b32 s23, -1
	s_mov_b32 s8, 0
                                        ; implicit-def: $sgpr69
                                        ; implicit-def: $vgpr6
	s_mov_b32 s70, s23
	s_cbranch_execnz .LBB222_109
	s_branch .LBB222_122
.LBB222_107:                            ;   in Loop: Header=BB222_18 Depth=1
	s_or_b32 exec_lo, exec_lo, s23
	v_lshrrev_b32_e32 v6, 16, v7
	s_and_b32 s8, s25, exec_lo
.LBB222_108:                            ;   in Loop: Header=BB222_18 Depth=1
	s_or_b32 exec_lo, exec_lo, s9
	s_mov_b32 s69, -1
	s_mov_b32 s23, 0
	s_delay_alu instid0(SALU_CYCLE_1)
	s_mov_b32 s70, s23
	s_branch .LBB222_122
.LBB222_109:                            ;   in Loop: Header=BB222_18 Depth=1
	s_mov_b32 s26, s71
	s_delay_alu instid0(SALU_CYCLE_1)
	s_cmp_lg_u64 s[26:27], 0
	s_cbranch_scc0 .LBB222_151
; %bb.110:                              ;   in Loop: Header=BB222_18 Depth=1
	v_cvt_f32_u32_e32 v2, s35
	s_sub_u32 s18, 0, s35
	s_subb_u32 s19, 0, 0
	s_delay_alu instid0(VALU_DEP_1) | instskip(NEXT) | instid1(VALU_DEP_1)
	v_fmac_f32_e64 v2, 0, 0x4f800000
	v_rcp_f32_e32 v2, v2
	s_waitcnt_depctr 0xfff
	v_mul_f32_e32 v2, 0x5f7ffffc, v2
	s_delay_alu instid0(VALU_DEP_1) | instskip(NEXT) | instid1(VALU_DEP_1)
	v_mul_f32_e32 v3, 0x2f800000, v2
	v_trunc_f32_e32 v3, v3
	s_delay_alu instid0(VALU_DEP_1) | instskip(SKIP_1) | instid1(VALU_DEP_2)
	v_fmac_f32_e32 v2, 0xcf800000, v3
	v_cvt_u32_f32_e32 v3, v3
	v_cvt_u32_f32_e32 v2, v2
	s_delay_alu instid0(VALU_DEP_2) | instskip(NEXT) | instid1(VALU_DEP_2)
	v_readfirstlane_b32 s8, v3
	v_readfirstlane_b32 s9, v2
	s_delay_alu instid0(VALU_DEP_2) | instskip(NEXT) | instid1(VALU_DEP_1)
	s_mul_i32 s23, s18, s8
	s_mul_hi_u32 s26, s18, s9
	s_mul_i32 s25, s19, s9
	s_add_i32 s23, s26, s23
	s_mul_i32 s48, s18, s9
	s_add_i32 s23, s23, s25
	s_mul_hi_u32 s26, s9, s48
	s_mul_hi_u32 s49, s8, s48
	s_mul_i32 s25, s8, s48
	s_mul_hi_u32 s48, s9, s23
	s_mul_i32 s9, s9, s23
	s_mul_hi_u32 s50, s8, s23
	s_add_u32 s9, s26, s9
	s_addc_u32 s26, 0, s48
	s_add_u32 s9, s9, s25
	s_mul_i32 s23, s8, s23
	s_addc_u32 s9, s26, s49
	s_addc_u32 s25, s50, 0
	s_add_u32 s9, s9, s23
	s_addc_u32 s23, 0, s25
	v_add_co_u32 v2, s9, v2, s9
	s_delay_alu instid0(VALU_DEP_1) | instskip(SKIP_1) | instid1(VALU_DEP_1)
	s_cmp_lg_u32 s9, 0
	s_addc_u32 s8, s8, s23
	v_readfirstlane_b32 s9, v2
	s_mul_i32 s23, s18, s8
	s_delay_alu instid0(VALU_DEP_1)
	s_mul_hi_u32 s25, s18, s9
	s_mul_i32 s19, s19, s9
	s_add_i32 s23, s25, s23
	s_mul_i32 s18, s18, s9
	s_add_i32 s23, s23, s19
	s_mul_hi_u32 s25, s8, s18
	s_mul_i32 s26, s8, s18
	s_mul_hi_u32 s18, s9, s18
	s_mul_hi_u32 s48, s9, s23
	s_mul_i32 s9, s9, s23
	s_mul_hi_u32 s19, s8, s23
	s_add_u32 s9, s18, s9
	s_addc_u32 s18, 0, s48
	s_add_u32 s9, s9, s26
	s_mul_i32 s23, s8, s23
	s_addc_u32 s9, s18, s25
	s_addc_u32 s18, s19, 0
	s_add_u32 s9, s9, s23
	s_addc_u32 s18, 0, s18
	v_add_co_u32 v2, s9, v2, s9
	s_delay_alu instid0(VALU_DEP_1) | instskip(SKIP_1) | instid1(VALU_DEP_1)
	s_cmp_lg_u32 s9, 0
	s_addc_u32 s8, s8, s18
	v_readfirstlane_b32 s9, v2
	s_mul_i32 s19, s88, s8
	s_mul_hi_u32 s18, s88, s8
	s_mul_hi_u32 s23, s27, s8
	s_mul_i32 s8, s27, s8
	s_mul_hi_u32 s25, s88, s9
	s_mul_hi_u32 s26, s27, s9
	s_mul_i32 s9, s27, s9
	s_add_u32 s19, s25, s19
	s_addc_u32 s18, 0, s18
	s_add_u32 s9, s19, s9
	s_addc_u32 s9, s18, s26
	s_addc_u32 s18, s23, 0
	s_add_u32 s8, s9, s8
	s_addc_u32 s9, 0, s18
	s_mul_hi_u32 s18, s35, s8
	s_mul_i32 s8, s35, s8
	s_mul_i32 s9, s35, s9
	v_sub_co_u32 v2, s8, s88, s8
	s_add_i32 s18, s18, s9
	s_cmp_lg_u32 s8, 0
	s_delay_alu instid0(VALU_DEP_1) | instskip(SKIP_2) | instid1(VALU_DEP_1)
	v_sub_co_u32 v3, s8, v2, s35
	s_subb_u32 s9, s27, s18
	s_cmp_lg_u32 s8, 0
	v_cmp_le_u32_e32 vcc_lo, s35, v3
	v_sub_co_u32 v4, s8, v3, s35
	s_subb_u32 s18, s9, 0
	s_cmp_lg_u32 s8, 0
	v_cndmask_b32_e64 v5, 0, -1, vcc_lo
	s_subb_u32 s8, s18, 0
	s_cmp_eq_u32 s18, 0
	v_mov_b32_e32 v7, s8
	s_cselect_b32 vcc_lo, -1, 0
	s_cmp_eq_u32 s9, 0
	v_cndmask_b32_e32 v5, -1, v5, vcc_lo
	v_cmp_le_u32_e32 vcc_lo, s35, v2
	s_cselect_b32 s8, -1, 0
	v_cndmask_b32_e64 v6, 0, -1, vcc_lo
	s_delay_alu instid0(VALU_DEP_3) | instskip(NEXT) | instid1(VALU_DEP_2)
	v_cmp_ne_u32_e32 vcc_lo, 0, v5
	v_cndmask_b32_e64 v5, -1, v6, s8
	v_cndmask_b32_e32 v6, s18, v7, vcc_lo
	v_cndmask_b32_e32 v4, v3, v4, vcc_lo
	s_delay_alu instid0(VALU_DEP_3) | instskip(NEXT) | instid1(VALU_DEP_3)
	v_cmp_ne_u32_e32 vcc_lo, 0, v5
	v_cndmask_b32_e32 v3, s9, v6, vcc_lo
	s_delay_alu instid0(VALU_DEP_3)
	v_cndmask_b32_e32 v2, v2, v4, vcc_lo
	s_cbranch_execnz .LBB222_112
.LBB222_111:                            ;   in Loop: Header=BB222_18 Depth=1
	v_cvt_f32_u32_e32 v2, s35
	s_sub_i32 s8, 0, s35
	s_delay_alu instid0(VALU_DEP_1) | instskip(SKIP_2) | instid1(VALU_DEP_1)
	v_rcp_iflag_f32_e32 v2, v2
	s_waitcnt_depctr 0xfff
	v_mul_f32_e32 v2, 0x4f7ffffe, v2
	v_cvt_u32_f32_e32 v2, v2
	s_delay_alu instid0(VALU_DEP_1) | instskip(NEXT) | instid1(VALU_DEP_1)
	v_mul_lo_u32 v3, s8, v2
	v_mul_hi_u32 v3, v2, v3
	s_delay_alu instid0(VALU_DEP_1) | instskip(NEXT) | instid1(VALU_DEP_1)
	v_add_nc_u32_e32 v2, v2, v3
	v_mul_hi_u32 v2, s88, v2
	s_delay_alu instid0(VALU_DEP_1) | instskip(NEXT) | instid1(VALU_DEP_1)
	v_mul_lo_u32 v2, v2, s35
	v_sub_nc_u32_e32 v2, s88, v2
	s_delay_alu instid0(VALU_DEP_1) | instskip(SKIP_1) | instid1(VALU_DEP_2)
	v_subrev_nc_u32_e32 v3, s35, v2
	v_cmp_le_u32_e32 vcc_lo, s35, v2
	v_cndmask_b32_e32 v2, v2, v3, vcc_lo
	s_delay_alu instid0(VALU_DEP_1) | instskip(SKIP_1) | instid1(VALU_DEP_2)
	v_subrev_nc_u32_e32 v3, s35, v2
	v_cmp_le_u32_e32 vcc_lo, s35, v2
	v_cndmask_b32_e32 v12, v2, v3, vcc_lo
	s_delay_alu instid0(VALU_DEP_1)
	v_dual_mov_b32 v2, v12 :: v_dual_mov_b32 v3, v13
.LBB222_112:                            ;   in Loop: Header=BB222_18 Depth=1
	s_delay_alu instid0(VALU_DEP_1) | instskip(NEXT) | instid1(VALU_DEP_2)
	v_sub_co_u32 v2, vcc_lo, s88, v2
	v_sub_co_ci_u32_e32 v3, vcc_lo, s27, v3, vcc_lo
	s_mov_b32 s8, 0
	s_mov_b32 s9, exec_lo
                                        ; implicit-def: $vgpr6
	s_delay_alu instid0(VALU_DEP_1)
	v_cmpx_gt_u64_e64 v[2:3], v[0:1]
	s_cbranch_execz .LBB222_121
; %bb.113:                              ;   in Loop: Header=BB222_18 Depth=1
	v_dual_mov_b32 v5, v1 :: v_dual_mov_b32 v4, v0
	s_mov_b32 s18, 0
                                        ; implicit-def: $sgpr19
	s_branch .LBB222_115
.LBB222_114:                            ;   in Loop: Header=BB222_115 Depth=2
	s_or_b32 exec_lo, exec_lo, s8
	s_waitcnt vmcnt(0) lgkmcnt(0)
	s_barrier
	buffer_gl0_inv
	ds_load_b32 v6, v13 offset:3072
	v_add_co_u32 v4, vcc_lo, v4, s35
	v_add_co_ci_u32_e32 v5, vcc_lo, 0, v5, vcc_lo
	s_waitcnt lgkmcnt(0)
	s_barrier
	buffer_gl0_inv
	v_cmp_ge_u64_e32 vcc_lo, v[4:5], v[2:3]
	v_and_b32_e32 v7, 0x7fff, v6
	s_delay_alu instid0(VALU_DEP_1) | instskip(NEXT) | instid1(VALU_DEP_1)
	v_cmp_ne_u16_e64 s8, 0, v7
	s_or_b32 s23, vcc_lo, s8
	s_delay_alu instid0(SALU_CYCLE_1) | instskip(NEXT) | instid1(SALU_CYCLE_1)
	s_and_b32 s23, exec_lo, s23
	s_or_b32 s18, s23, s18
	s_and_not1_b32 s19, s19, exec_lo
	s_and_b32 s8, s8, exec_lo
	s_delay_alu instid0(SALU_CYCLE_1)
	s_or_b32 s19, s19, s8
	s_and_not1_b32 exec_lo, exec_lo, s18
	s_cbranch_execz .LBB222_120
.LBB222_115:                            ;   Parent Loop BB222_18 Depth=1
                                        ; =>  This Inner Loop Header: Depth=2
	s_delay_alu instid0(VALU_DEP_1)
	v_cmp_gt_u64_e32 vcc_lo, s[36:37], v[4:5]
	v_mov_b32_e32 v6, 0
	s_and_saveexec_b32 s23, vcc_lo
	s_cbranch_execz .LBB222_117
; %bb.116:                              ;   in Loop: Header=BB222_115 Depth=2
	v_mul_lo_u32 v12, v5, s30
	v_mul_lo_u32 v18, v4, s31
	v_mad_u64_u32 v[6:7], null, v4, s30, 0
	s_delay_alu instid0(VALU_DEP_1) | instskip(NEXT) | instid1(VALU_DEP_1)
	v_add3_u32 v7, v7, v18, v12
	v_lshlrev_b64 v[6:7], 1, v[6:7]
	s_delay_alu instid0(VALU_DEP_1) | instskip(NEXT) | instid1(VALU_DEP_1)
	v_add_co_u32 v6, s8, s29, v6
	v_add_co_ci_u32_e64 v7, s8, s33, v7, s8
	global_load_u16 v6, v[6:7], off
.LBB222_117:                            ;   in Loop: Header=BB222_115 Depth=2
	s_or_b32 exec_lo, exec_lo, s23
	s_and_saveexec_b32 s8, vcc_lo
	s_cbranch_execz .LBB222_114
; %bb.118:                              ;   in Loop: Header=BB222_115 Depth=2
	s_waitcnt vmcnt(0)
	v_cmp_lt_i16_e32 vcc_lo, -1, v6
	v_dual_cndmask_b32 v12, 0xffff, v29 :: v_dual_and_b32 v7, 0xffff, v6
	s_delay_alu instid0(VALU_DEP_1) | instskip(SKIP_1) | instid1(VALU_DEP_1)
	v_xor_b32_e32 v7, v12, v7
	v_lshlrev_b32_e32 v18, 16, v6
	v_cmp_o_f32_e32 vcc_lo, v18, v18
	s_delay_alu instid0(VALU_DEP_3) | instskip(NEXT) | instid1(VALU_DEP_1)
	v_cndmask_b32_e32 v7, 0xffff, v7, vcc_lo
	v_and_b32_e32 v7, v7, v9
	s_delay_alu instid0(VALU_DEP_1)
	v_cmp_eq_u32_e32 vcc_lo, v7, v8
	s_and_b32 exec_lo, exec_lo, vcc_lo
	s_cbranch_execz .LBB222_114
; %bb.119:                              ;   in Loop: Header=BB222_115 Depth=2
	v_perm_b32 v6, v6, s97, 0x5040100
	ds_store_b32 v13, v6 offset:3072
	s_branch .LBB222_114
.LBB222_120:                            ;   in Loop: Header=BB222_18 Depth=1
	s_or_b32 exec_lo, exec_lo, s18
	v_lshrrev_b32_e32 v6, 16, v6
	s_and_b32 s8, s19, exec_lo
.LBB222_121:                            ;   in Loop: Header=BB222_18 Depth=1
	s_or_b32 exec_lo, exec_lo, s9
	s_mov_b32 s70, -1
	s_mov_b32 s23, 0
	s_mov_b32 s69, 0
.LBB222_122:                            ;   in Loop: Header=BB222_18 Depth=1
	s_or_not1_b32 s8, s8, exec_lo
.LBB222_123:                            ;   in Loop: Header=BB222_18 Depth=1
	s_or_b32 exec_lo, exec_lo, s24
	s_mov_b32 s74, 0
	s_mov_b32 s25, 0
	s_mov_b32 s24, 0
                                        ; implicit-def: $vgpr7
                                        ; implicit-def: $vgpr2_vgpr3
	s_and_saveexec_b32 s75, s8
	s_cbranch_execz .LBB222_286
; %bb.124:                              ;   in Loop: Header=BB222_18 Depth=1
	v_dual_mov_b32 v2, 1 :: v_dual_mov_b32 v7, 1
	v_mov_b32_e32 v3, 0
	s_xor_b32 s9, s60, -1
	s_delay_alu instid0(SALU_CYCLE_1)
	s_and_saveexec_b32 s8, s9
	s_cbranch_execz .LBB222_134
; %bb.125:                              ;   in Loop: Header=BB222_18 Depth=1
	s_mov_b32 s18, exec_lo
                                        ; implicit-def: $sgpr19
                                        ; implicit-def: $sgpr9
	v_cmpx_ge_u64_e64 s[10:11], v[16:17]
	s_xor_b32 s18, exec_lo, s18
	s_cbranch_execz .LBB222_131
; %bb.126:                              ;   in Loop: Header=BB222_18 Depth=1
	ds_load_b64 v[2:3], v13 offset:5120
	s_waitcnt lgkmcnt(0)
	v_cmp_ne_u64_e32 vcc_lo, 0, v[2:3]
	s_cbranch_vccnz .LBB222_130
; %bb.127:                              ;   in Loop: Header=BB222_18 Depth=1
	s_and_saveexec_b32 s9, s5
	s_cbranch_execz .LBB222_129
; %bb.128:                              ;   in Loop: Header=BB222_18 Depth=1
	v_dual_mov_b32 v2, s10 :: v_dual_mov_b32 v3, s11
	ds_store_b64 v13, v[2:3] offset:5128
.LBB222_129:                            ;   in Loop: Header=BB222_18 Depth=1
	s_or_b32 exec_lo, exec_lo, s9
	s_waitcnt lgkmcnt(0)
	s_barrier
	buffer_gl0_inv
.LBB222_130:                            ;   in Loop: Header=BB222_18 Depth=1
	v_and_b32_e32 v8, s21, v8
	v_or_b32_e32 v9, s20, v9
	s_mov_b32 s9, 0
	s_mov_b32 s19, 8
.LBB222_131:                            ;   in Loop: Header=BB222_18 Depth=1
	s_or_saveexec_b32 s18, s18
	v_dual_mov_b32 v7, s19 :: v_dual_mov_b32 v2, v16
	v_mov_b32_e32 v3, v17
	s_xor_b32 exec_lo, exec_lo, s18
; %bb.132:                              ;   in Loop: Header=BB222_18 Depth=1
	v_sub_co_u32 v2, vcc_lo, v16, s10
	v_subrev_co_ci_u32_e32 v3, vcc_lo, s11, v17, vcc_lo
	v_mov_b32_e32 v7, 0
	s_or_b32 s9, s9, exec_lo
; %bb.133:                              ;   in Loop: Header=BB222_18 Depth=1
	s_or_b32 exec_lo, exec_lo, s18
	s_delay_alu instid0(SALU_CYCLE_1)
	s_and_b32 s24, s9, exec_lo
.LBB222_134:                            ;   in Loop: Header=BB222_18 Depth=1
	s_or_b32 exec_lo, exec_lo, s8
	s_mov_b32 s25, -1
                                        ; implicit-def: $sgpr9
                                        ; implicit-def: $sgpr18
                                        ; implicit-def: $sgpr19
	s_and_saveexec_b32 s8, s24
	s_delay_alu instid0(SALU_CYCLE_1)
	s_xor_b32 s24, exec_lo, s8
	s_cbranch_execz .LBB222_283
; %bb.135:                              ;   in Loop: Header=BB222_18 Depth=1
	v_cmp_eq_u64_e32 vcc_lo, 1, v[2:3]
	s_cmp_eq_u64 s[12:13], 1
                                        ; implicit-def: $sgpr25
                                        ; implicit-def: $sgpr77
                                        ; implicit-def: $sgpr76
	s_cselect_b32 s8, -1, 0
	s_delay_alu instid0(SALU_CYCLE_1)
	s_and_b32 s60, s8, vcc_lo
	s_mov_b32 s8, -1
	s_and_saveexec_b32 s61, s60
	s_cbranch_execz .LBB222_169
; %bb.136:                              ;   in Loop: Header=BB222_18 Depth=1
	ds_load_b64 v[4:5], v13 offset:5120
	s_waitcnt lgkmcnt(0)
	s_barrier
	buffer_gl0_inv
	v_readfirstlane_b32 s18, v4
	v_readfirstlane_b32 s19, v5
	s_and_saveexec_b32 s8, s6
	s_cbranch_execz .LBB222_138
; %bb.137:                              ;   in Loop: Header=BB222_18 Depth=1
	ds_store_b16 v26, v13
.LBB222_138:                            ;   in Loop: Header=BB222_18 Depth=1
	s_or_b32 exec_lo, exec_lo, s8
	s_lshl_b32 s8, 1, s22
	v_or_b32_e32 v9, s20, v9
	v_and_or_b32 v8, v8, s21, s8
	s_cmp_eq_u64 s[18:19], 0
	s_waitcnt lgkmcnt(0)
	s_barrier
	buffer_gl0_inv
	s_cbranch_scc1 .LBB222_152
; %bb.139:                              ;   in Loop: Header=BB222_18 Depth=1
	s_add_u32 s25, s86, s18
	s_addc_u32 s9, s87, s19
	s_mov_b32 s8, s71
	s_delay_alu instid0(SALU_CYCLE_1)
	s_cmp_lg_u64 s[8:9], 0
	s_cbranch_scc0 .LBB222_196
; %bb.140:                              ;   in Loop: Header=BB222_18 Depth=1
	v_cvt_f32_u32_e32 v4, s35
	s_sub_u32 s62, 0, s35
	s_subb_u32 s63, 0, 0
	s_delay_alu instid0(VALU_DEP_1) | instskip(NEXT) | instid1(VALU_DEP_1)
	v_fmac_f32_e64 v4, 0, 0x4f800000
	v_rcp_f32_e32 v4, v4
	s_waitcnt_depctr 0xfff
	v_mul_f32_e32 v4, 0x5f7ffffc, v4
	s_delay_alu instid0(VALU_DEP_1) | instskip(NEXT) | instid1(VALU_DEP_1)
	v_mul_f32_e32 v5, 0x2f800000, v4
	v_trunc_f32_e32 v5, v5
	s_delay_alu instid0(VALU_DEP_1) | instskip(SKIP_1) | instid1(VALU_DEP_2)
	v_fmac_f32_e32 v4, 0xcf800000, v5
	v_cvt_u32_f32_e32 v5, v5
	v_cvt_u32_f32_e32 v4, v4
	s_delay_alu instid0(VALU_DEP_2) | instskip(NEXT) | instid1(VALU_DEP_2)
	v_readfirstlane_b32 s8, v5
	v_readfirstlane_b32 s26, v4
	s_delay_alu instid0(VALU_DEP_2) | instskip(NEXT) | instid1(VALU_DEP_1)
	s_mul_i32 s76, s62, s8
	s_mul_hi_u32 s78, s62, s26
	s_mul_i32 s77, s63, s26
	s_add_i32 s76, s78, s76
	s_mul_i32 s79, s62, s26
	s_add_i32 s76, s76, s77
	s_mul_hi_u32 s78, s26, s79
	s_mul_hi_u32 s80, s8, s79
	s_mul_i32 s77, s8, s79
	s_mul_hi_u32 s79, s26, s76
	s_mul_i32 s26, s26, s76
	s_mul_hi_u32 s81, s8, s76
	s_add_u32 s26, s78, s26
	s_addc_u32 s78, 0, s79
	s_add_u32 s26, s26, s77
	s_mul_i32 s76, s8, s76
	s_addc_u32 s26, s78, s80
	s_addc_u32 s77, s81, 0
	s_add_u32 s26, s26, s76
	s_addc_u32 s76, 0, s77
	v_add_co_u32 v4, s26, v4, s26
	s_delay_alu instid0(VALU_DEP_1) | instskip(SKIP_1) | instid1(VALU_DEP_1)
	s_cmp_lg_u32 s26, 0
	s_addc_u32 s8, s8, s76
	v_readfirstlane_b32 s26, v4
	s_mul_i32 s76, s62, s8
	s_delay_alu instid0(VALU_DEP_1)
	s_mul_hi_u32 s77, s62, s26
	s_mul_i32 s63, s63, s26
	s_add_i32 s76, s77, s76
	s_mul_i32 s62, s62, s26
	s_add_i32 s76, s76, s63
	s_mul_hi_u32 s77, s8, s62
	s_mul_i32 s78, s8, s62
	s_mul_hi_u32 s62, s26, s62
	s_mul_hi_u32 s79, s26, s76
	s_mul_i32 s26, s26, s76
	s_mul_hi_u32 s63, s8, s76
	s_add_u32 s26, s62, s26
	s_addc_u32 s62, 0, s79
	s_add_u32 s26, s26, s78
	s_mul_i32 s76, s8, s76
	s_addc_u32 s26, s62, s77
	s_addc_u32 s62, s63, 0
	s_add_u32 s26, s26, s76
	s_addc_u32 s62, 0, s62
	v_add_co_u32 v4, s26, v4, s26
	s_delay_alu instid0(VALU_DEP_1) | instskip(SKIP_1) | instid1(VALU_DEP_1)
	s_cmp_lg_u32 s26, 0
	s_addc_u32 s8, s8, s62
	v_readfirstlane_b32 s26, v4
	s_mul_i32 s63, s25, s8
	s_mul_hi_u32 s62, s25, s8
	s_mul_hi_u32 s76, s9, s8
	s_mul_i32 s8, s9, s8
	s_mul_hi_u32 s77, s25, s26
	s_mul_hi_u32 s78, s9, s26
	s_mul_i32 s26, s9, s26
	s_add_u32 s63, s77, s63
	s_addc_u32 s62, 0, s62
	s_add_u32 s26, s63, s26
	s_addc_u32 s26, s62, s78
	s_addc_u32 s62, s76, 0
	s_add_u32 s8, s26, s8
	s_addc_u32 s26, 0, s62
	s_mul_hi_u32 s62, s35, s8
	s_mul_i32 s8, s35, s8
	s_mul_i32 s26, s35, s26
	v_sub_co_u32 v4, s8, s25, s8
	s_add_i32 s62, s62, s26
	s_cmp_lg_u32 s8, 0
	s_delay_alu instid0(VALU_DEP_1) | instskip(SKIP_3) | instid1(VALU_DEP_2)
	v_sub_co_u32 v5, s8, v4, s35
	s_subb_u32 s26, s9, s62
	s_cmp_lg_u32 s8, 0
	v_cmp_le_u32_e32 vcc_lo, s35, v4
	v_cmp_le_u32_e64 s8, s35, v5
	v_sub_co_u32 v6, s62, v5, s35
	s_subb_u32 s63, s26, 0
	s_cmp_lg_u32 s62, 0
	s_delay_alu instid0(VALU_DEP_2)
	v_cndmask_b32_e64 v7, 0, -1, s8
	s_subb_u32 s62, s63, 0
	s_cmp_eq_u32 s63, 0
	v_mov_b32_e32 v18, s62
	v_cndmask_b32_e64 v12, 0, -1, vcc_lo
	s_cselect_b32 vcc_lo, -1, 0
	s_cmp_eq_u32 s26, 0
	v_cndmask_b32_e32 v7, -1, v7, vcc_lo
	s_cselect_b32 vcc_lo, -1, 0
	v_cndmask_b32_e32 v12, -1, v12, vcc_lo
	s_delay_alu instid0(VALU_DEP_2) | instskip(NEXT) | instid1(VALU_DEP_2)
	v_cmp_ne_u32_e32 vcc_lo, 0, v7
	v_cmp_ne_u32_e64 s8, 0, v12
	v_cndmask_b32_e32 v7, s63, v18, vcc_lo
	v_cndmask_b32_e32 v6, v5, v6, vcc_lo
	s_delay_alu instid0(VALU_DEP_2) | instskip(NEXT) | instid1(VALU_DEP_2)
	v_cndmask_b32_e64 v5, s26, v7, s8
	v_cndmask_b32_e64 v4, v4, v6, s8
	s_cbranch_execnz .LBB222_142
.LBB222_141:                            ;   in Loop: Header=BB222_18 Depth=1
	v_cvt_f32_u32_e32 v4, s35
	s_sub_i32 s8, 0, s35
	s_delay_alu instid0(VALU_DEP_1) | instskip(SKIP_2) | instid1(VALU_DEP_1)
	v_rcp_iflag_f32_e32 v4, v4
	s_waitcnt_depctr 0xfff
	v_mul_f32_e32 v4, 0x4f7ffffe, v4
	v_cvt_u32_f32_e32 v4, v4
	s_delay_alu instid0(VALU_DEP_1) | instskip(NEXT) | instid1(VALU_DEP_1)
	v_mul_lo_u32 v5, s8, v4
	v_mul_hi_u32 v5, v4, v5
	s_delay_alu instid0(VALU_DEP_1) | instskip(NEXT) | instid1(VALU_DEP_1)
	v_add_nc_u32_e32 v4, v4, v5
	v_mul_hi_u32 v4, s25, v4
	s_delay_alu instid0(VALU_DEP_1) | instskip(NEXT) | instid1(VALU_DEP_1)
	v_mul_lo_u32 v4, v4, s35
	v_sub_nc_u32_e32 v4, s25, v4
	s_delay_alu instid0(VALU_DEP_1) | instskip(SKIP_1) | instid1(VALU_DEP_2)
	v_subrev_nc_u32_e32 v5, s35, v4
	v_cmp_le_u32_e32 vcc_lo, s35, v4
	v_cndmask_b32_e32 v4, v4, v5, vcc_lo
	s_delay_alu instid0(VALU_DEP_1) | instskip(SKIP_1) | instid1(VALU_DEP_2)
	v_subrev_nc_u32_e32 v5, s35, v4
	v_cmp_le_u32_e32 vcc_lo, s35, v4
	v_cndmask_b32_e32 v12, v4, v5, vcc_lo
	s_delay_alu instid0(VALU_DEP_1)
	v_dual_mov_b32 v4, v12 :: v_dual_mov_b32 v5, v13
.LBB222_142:                            ;   in Loop: Header=BB222_18 Depth=1
	s_delay_alu instid0(VALU_DEP_1) | instskip(NEXT) | instid1(VALU_DEP_2)
	v_sub_co_u32 v4, vcc_lo, s25, v4
	v_sub_co_ci_u32_e32 v5, vcc_lo, s9, v5, vcc_lo
	s_mov_b32 s8, 0
	s_mov_b32 s9, exec_lo
                                        ; implicit-def: $vgpr6
	s_delay_alu instid0(VALU_DEP_1)
	v_cmpx_gt_u64_e64 v[4:5], v[0:1]
	s_cbranch_execz .LBB222_154
; %bb.143:                              ;   in Loop: Header=BB222_18 Depth=1
	v_mov_b32_e32 v12, v25
	v_dual_mov_b32 v7, v1 :: v_dual_mov_b32 v6, v0
	s_mov_b32 s25, 0
                                        ; implicit-def: $sgpr26
	s_branch .LBB222_145
.LBB222_144:                            ;   in Loop: Header=BB222_145 Depth=2
	s_or_b32 exec_lo, exec_lo, s8
	s_waitcnt lgkmcnt(0)
	s_barrier
	buffer_gl0_inv
	ds_load_b32 v18, v13 offset:3072
	v_add_co_u32 v6, vcc_lo, v6, s35
	v_add_co_ci_u32_e32 v7, vcc_lo, 0, v7, vcc_lo
	v_add_nc_u32_e32 v12, s94, v12
	s_waitcnt lgkmcnt(0)
	s_barrier
	s_delay_alu instid0(VALU_DEP_2) | instskip(SKIP_2) | instid1(VALU_DEP_1)
	v_cmp_ge_u64_e32 vcc_lo, v[6:7], v[4:5]
	buffer_gl0_inv
	v_and_b32_e32 v19, 0x7fff, v18
	v_cmp_ne_u16_e64 s8, 0, v19
	s_delay_alu instid0(VALU_DEP_1) | instskip(NEXT) | instid1(SALU_CYCLE_1)
	s_or_b32 s62, vcc_lo, s8
	s_and_b32 s62, exec_lo, s62
	s_delay_alu instid0(SALU_CYCLE_1) | instskip(SKIP_2) | instid1(SALU_CYCLE_1)
	s_or_b32 s25, s62, s25
	s_and_not1_b32 s26, s26, exec_lo
	s_and_b32 s8, s8, exec_lo
	s_or_b32 s26, s26, s8
	s_and_not1_b32 exec_lo, exec_lo, s25
	s_cbranch_execz .LBB222_153
.LBB222_145:                            ;   Parent Loop BB222_18 Depth=1
                                        ; =>  This Inner Loop Header: Depth=2
	s_delay_alu instid0(VALU_DEP_1)
	v_cmp_gt_u64_e32 vcc_lo, s[18:19], v[6:7]
	v_mov_b32_e32 v18, 0
	s_and_saveexec_b32 s8, vcc_lo
	s_cbranch_execz .LBB222_147
; %bb.146:                              ;   in Loop: Header=BB222_145 Depth=2
	ds_load_u16 v18, v12
.LBB222_147:                            ;   in Loop: Header=BB222_145 Depth=2
	s_or_b32 exec_lo, exec_lo, s8
	s_and_saveexec_b32 s8, vcc_lo
	s_cbranch_execz .LBB222_144
; %bb.148:                              ;   in Loop: Header=BB222_145 Depth=2
	s_waitcnt lgkmcnt(0)
	v_cmp_lt_i16_e32 vcc_lo, -1, v18
	v_and_b32_e32 v19, 0xffff, v18
	v_dual_cndmask_b32 v20, 0xffff, v29 :: v_dual_lshlrev_b32 v21, 16, v18
	s_delay_alu instid0(VALU_DEP_1) | instskip(NEXT) | instid1(VALU_DEP_2)
	v_cmp_o_f32_e32 vcc_lo, v21, v21
	v_xor_b32_e32 v19, v20, v19
	s_delay_alu instid0(VALU_DEP_1) | instskip(NEXT) | instid1(VALU_DEP_1)
	v_cndmask_b32_e32 v19, 0xffff, v19, vcc_lo
	v_and_b32_e32 v19, v19, v9
	s_delay_alu instid0(VALU_DEP_1)
	v_cmp_eq_u32_e32 vcc_lo, v19, v8
	s_and_b32 exec_lo, exec_lo, vcc_lo
	s_cbranch_execz .LBB222_144
; %bb.149:                              ;   in Loop: Header=BB222_145 Depth=2
	v_perm_b32 v18, v18, s97, 0x5040100
	ds_store_b32 v13, v18 offset:3072
	s_branch .LBB222_144
.LBB222_150:                            ;   in Loop: Header=BB222_18 Depth=1
                                        ; implicit-def: $vgpr2_vgpr3
	s_branch .LBB222_95
.LBB222_151:                            ;   in Loop: Header=BB222_18 Depth=1
                                        ; implicit-def: $vgpr2_vgpr3
	s_branch .LBB222_111
.LBB222_152:                            ;   in Loop: Header=BB222_18 Depth=1
	s_mov_b32 s25, -1
	s_mov_b32 s8, 0
                                        ; implicit-def: $sgpr76
                                        ; implicit-def: $vgpr6
	s_mov_b32 s77, s25
	s_cbranch_execnz .LBB222_155
	s_branch .LBB222_168
.LBB222_153:                            ;   in Loop: Header=BB222_18 Depth=1
	s_or_b32 exec_lo, exec_lo, s25
	v_lshrrev_b32_e32 v6, 16, v18
	s_and_b32 s8, s26, exec_lo
.LBB222_154:                            ;   in Loop: Header=BB222_18 Depth=1
	s_or_b32 exec_lo, exec_lo, s9
	s_mov_b32 s76, -1
	s_mov_b32 s25, 0
	s_delay_alu instid0(SALU_CYCLE_1)
	s_mov_b32 s77, s25
	s_branch .LBB222_168
.LBB222_155:                            ;   in Loop: Header=BB222_18 Depth=1
	s_mov_b32 s26, s71
	s_delay_alu instid0(SALU_CYCLE_1)
	s_cmp_lg_u64 s[26:27], 0
	s_cbranch_scc0 .LBB222_197
; %bb.156:                              ;   in Loop: Header=BB222_18 Depth=1
	v_cvt_f32_u32_e32 v4, s35
	s_sub_u32 s18, 0, s35
	s_subb_u32 s19, 0, 0
	s_delay_alu instid0(VALU_DEP_1) | instskip(NEXT) | instid1(VALU_DEP_1)
	v_fmac_f32_e64 v4, 0, 0x4f800000
	v_rcp_f32_e32 v4, v4
	s_waitcnt_depctr 0xfff
	v_mul_f32_e32 v4, 0x5f7ffffc, v4
	s_delay_alu instid0(VALU_DEP_1) | instskip(NEXT) | instid1(VALU_DEP_1)
	v_mul_f32_e32 v5, 0x2f800000, v4
	v_trunc_f32_e32 v5, v5
	s_delay_alu instid0(VALU_DEP_1) | instskip(SKIP_1) | instid1(VALU_DEP_2)
	v_fmac_f32_e32 v4, 0xcf800000, v5
	v_cvt_u32_f32_e32 v5, v5
	v_cvt_u32_f32_e32 v4, v4
	s_delay_alu instid0(VALU_DEP_2) | instskip(NEXT) | instid1(VALU_DEP_2)
	v_readfirstlane_b32 s8, v5
	v_readfirstlane_b32 s9, v4
	s_delay_alu instid0(VALU_DEP_2) | instskip(NEXT) | instid1(VALU_DEP_1)
	s_mul_i32 s25, s18, s8
	s_mul_hi_u32 s62, s18, s9
	s_mul_i32 s26, s19, s9
	s_add_i32 s25, s62, s25
	s_mul_i32 s63, s18, s9
	s_add_i32 s25, s25, s26
	s_mul_hi_u32 s62, s9, s63
	s_mul_hi_u32 s76, s8, s63
	s_mul_i32 s26, s8, s63
	s_mul_hi_u32 s63, s9, s25
	s_mul_i32 s9, s9, s25
	s_mul_hi_u32 s77, s8, s25
	s_add_u32 s9, s62, s9
	s_addc_u32 s62, 0, s63
	s_add_u32 s9, s9, s26
	s_mul_i32 s25, s8, s25
	s_addc_u32 s9, s62, s76
	s_addc_u32 s26, s77, 0
	s_add_u32 s9, s9, s25
	s_addc_u32 s25, 0, s26
	v_add_co_u32 v4, s9, v4, s9
	s_delay_alu instid0(VALU_DEP_1) | instskip(SKIP_1) | instid1(VALU_DEP_1)
	s_cmp_lg_u32 s9, 0
	s_addc_u32 s8, s8, s25
	v_readfirstlane_b32 s9, v4
	s_mul_i32 s25, s18, s8
	s_delay_alu instid0(VALU_DEP_1)
	s_mul_hi_u32 s26, s18, s9
	s_mul_i32 s19, s19, s9
	s_add_i32 s25, s26, s25
	s_mul_i32 s18, s18, s9
	s_add_i32 s25, s25, s19
	s_mul_hi_u32 s26, s8, s18
	s_mul_i32 s62, s8, s18
	s_mul_hi_u32 s18, s9, s18
	s_mul_hi_u32 s63, s9, s25
	s_mul_i32 s9, s9, s25
	s_mul_hi_u32 s19, s8, s25
	s_add_u32 s9, s18, s9
	s_addc_u32 s18, 0, s63
	s_add_u32 s9, s9, s62
	s_mul_i32 s25, s8, s25
	s_addc_u32 s9, s18, s26
	s_addc_u32 s18, s19, 0
	s_add_u32 s9, s9, s25
	s_addc_u32 s18, 0, s18
	v_add_co_u32 v4, s9, v4, s9
	s_delay_alu instid0(VALU_DEP_1) | instskip(SKIP_1) | instid1(VALU_DEP_1)
	s_cmp_lg_u32 s9, 0
	s_addc_u32 s8, s8, s18
	v_readfirstlane_b32 s9, v4
	s_mul_i32 s19, s88, s8
	s_mul_hi_u32 s18, s88, s8
	s_mul_hi_u32 s25, s27, s8
	s_mul_i32 s8, s27, s8
	s_mul_hi_u32 s26, s88, s9
	s_mul_hi_u32 s62, s27, s9
	s_mul_i32 s9, s27, s9
	s_add_u32 s19, s26, s19
	s_addc_u32 s18, 0, s18
	s_add_u32 s9, s19, s9
	s_addc_u32 s9, s18, s62
	s_addc_u32 s18, s25, 0
	s_add_u32 s8, s9, s8
	s_addc_u32 s9, 0, s18
	s_mul_hi_u32 s18, s35, s8
	s_mul_i32 s8, s35, s8
	s_mul_i32 s9, s35, s9
	v_sub_co_u32 v4, s8, s88, s8
	s_add_i32 s18, s18, s9
	s_cmp_lg_u32 s8, 0
	s_delay_alu instid0(VALU_DEP_1) | instskip(SKIP_3) | instid1(VALU_DEP_2)
	v_sub_co_u32 v5, s8, v4, s35
	s_subb_u32 s9, s27, s18
	s_cmp_lg_u32 s8, 0
	v_cmp_le_u32_e32 vcc_lo, s35, v4
	v_cmp_le_u32_e64 s8, s35, v5
	v_sub_co_u32 v6, s18, v5, s35
	s_subb_u32 s19, s9, 0
	s_cmp_lg_u32 s18, 0
	s_delay_alu instid0(VALU_DEP_2)
	v_cndmask_b32_e64 v7, 0, -1, s8
	s_subb_u32 s18, s19, 0
	s_cmp_eq_u32 s19, 0
	v_mov_b32_e32 v18, s18
	v_cndmask_b32_e64 v12, 0, -1, vcc_lo
	s_cselect_b32 vcc_lo, -1, 0
	s_cmp_eq_u32 s9, 0
	v_cndmask_b32_e32 v7, -1, v7, vcc_lo
	s_cselect_b32 vcc_lo, -1, 0
	v_cndmask_b32_e32 v12, -1, v12, vcc_lo
	s_delay_alu instid0(VALU_DEP_2) | instskip(NEXT) | instid1(VALU_DEP_2)
	v_cmp_ne_u32_e32 vcc_lo, 0, v7
	v_cmp_ne_u32_e64 s8, 0, v12
	v_cndmask_b32_e32 v7, s19, v18, vcc_lo
	v_cndmask_b32_e32 v6, v5, v6, vcc_lo
	s_delay_alu instid0(VALU_DEP_2) | instskip(NEXT) | instid1(VALU_DEP_2)
	v_cndmask_b32_e64 v5, s9, v7, s8
	v_cndmask_b32_e64 v4, v4, v6, s8
	s_cbranch_execnz .LBB222_158
.LBB222_157:                            ;   in Loop: Header=BB222_18 Depth=1
	v_cvt_f32_u32_e32 v4, s35
	s_sub_i32 s8, 0, s35
	s_delay_alu instid0(VALU_DEP_1) | instskip(SKIP_2) | instid1(VALU_DEP_1)
	v_rcp_iflag_f32_e32 v4, v4
	s_waitcnt_depctr 0xfff
	v_mul_f32_e32 v4, 0x4f7ffffe, v4
	v_cvt_u32_f32_e32 v4, v4
	s_delay_alu instid0(VALU_DEP_1) | instskip(NEXT) | instid1(VALU_DEP_1)
	v_mul_lo_u32 v5, s8, v4
	v_mul_hi_u32 v5, v4, v5
	s_delay_alu instid0(VALU_DEP_1) | instskip(NEXT) | instid1(VALU_DEP_1)
	v_add_nc_u32_e32 v4, v4, v5
	v_mul_hi_u32 v4, s88, v4
	s_delay_alu instid0(VALU_DEP_1) | instskip(NEXT) | instid1(VALU_DEP_1)
	v_mul_lo_u32 v4, v4, s35
	v_sub_nc_u32_e32 v4, s88, v4
	s_delay_alu instid0(VALU_DEP_1) | instskip(SKIP_1) | instid1(VALU_DEP_2)
	v_subrev_nc_u32_e32 v5, s35, v4
	v_cmp_le_u32_e32 vcc_lo, s35, v4
	v_cndmask_b32_e32 v4, v4, v5, vcc_lo
	s_delay_alu instid0(VALU_DEP_1) | instskip(SKIP_1) | instid1(VALU_DEP_2)
	v_subrev_nc_u32_e32 v5, s35, v4
	v_cmp_le_u32_e32 vcc_lo, s35, v4
	v_cndmask_b32_e32 v12, v4, v5, vcc_lo
	s_delay_alu instid0(VALU_DEP_1)
	v_dual_mov_b32 v4, v12 :: v_dual_mov_b32 v5, v13
.LBB222_158:                            ;   in Loop: Header=BB222_18 Depth=1
	s_delay_alu instid0(VALU_DEP_1) | instskip(NEXT) | instid1(VALU_DEP_2)
	v_sub_co_u32 v4, vcc_lo, s88, v4
	v_sub_co_ci_u32_e32 v5, vcc_lo, s27, v5, vcc_lo
	s_mov_b32 s8, 0
	s_mov_b32 s9, exec_lo
                                        ; implicit-def: $vgpr6
	s_delay_alu instid0(VALU_DEP_1)
	v_cmpx_gt_u64_e64 v[4:5], v[0:1]
	s_cbranch_execz .LBB222_167
; %bb.159:                              ;   in Loop: Header=BB222_18 Depth=1
	v_dual_mov_b32 v7, v1 :: v_dual_mov_b32 v6, v0
	s_mov_b32 s18, 0
                                        ; implicit-def: $sgpr19
	s_branch .LBB222_161
.LBB222_160:                            ;   in Loop: Header=BB222_161 Depth=2
	s_or_b32 exec_lo, exec_lo, s8
	s_waitcnt vmcnt(0) lgkmcnt(0)
	s_barrier
	buffer_gl0_inv
	ds_load_b32 v12, v13 offset:3072
	v_add_co_u32 v6, vcc_lo, v6, s35
	v_add_co_ci_u32_e32 v7, vcc_lo, 0, v7, vcc_lo
	s_waitcnt lgkmcnt(0)
	s_barrier
	buffer_gl0_inv
	v_cmp_ge_u64_e32 vcc_lo, v[6:7], v[4:5]
	v_and_b32_e32 v18, 0x7fff, v12
	s_delay_alu instid0(VALU_DEP_1) | instskip(NEXT) | instid1(VALU_DEP_1)
	v_cmp_ne_u16_e64 s8, 0, v18
	s_or_b32 s25, vcc_lo, s8
	s_delay_alu instid0(SALU_CYCLE_1) | instskip(NEXT) | instid1(SALU_CYCLE_1)
	s_and_b32 s25, exec_lo, s25
	s_or_b32 s18, s25, s18
	s_and_not1_b32 s19, s19, exec_lo
	s_and_b32 s8, s8, exec_lo
	s_delay_alu instid0(SALU_CYCLE_1)
	s_or_b32 s19, s19, s8
	s_and_not1_b32 exec_lo, exec_lo, s18
	s_cbranch_execz .LBB222_166
.LBB222_161:                            ;   Parent Loop BB222_18 Depth=1
                                        ; =>  This Inner Loop Header: Depth=2
	s_delay_alu instid0(VALU_DEP_1)
	v_cmp_gt_u64_e32 vcc_lo, s[36:37], v[6:7]
	v_mov_b32_e32 v12, 0
	s_and_saveexec_b32 s25, vcc_lo
	s_cbranch_execz .LBB222_163
; %bb.162:                              ;   in Loop: Header=BB222_161 Depth=2
	v_mul_lo_u32 v12, v7, s30
	v_mul_lo_u32 v20, v6, s31
	v_mad_u64_u32 v[18:19], null, v6, s30, 0
	s_delay_alu instid0(VALU_DEP_1) | instskip(NEXT) | instid1(VALU_DEP_1)
	v_add3_u32 v19, v19, v20, v12
	v_lshlrev_b64 v[18:19], 1, v[18:19]
	s_delay_alu instid0(VALU_DEP_1) | instskip(NEXT) | instid1(VALU_DEP_1)
	v_add_co_u32 v18, s8, s29, v18
	v_add_co_ci_u32_e64 v19, s8, s33, v19, s8
	global_load_u16 v12, v[18:19], off
.LBB222_163:                            ;   in Loop: Header=BB222_161 Depth=2
	s_or_b32 exec_lo, exec_lo, s25
	s_and_saveexec_b32 s8, vcc_lo
	s_cbranch_execz .LBB222_160
; %bb.164:                              ;   in Loop: Header=BB222_161 Depth=2
	s_waitcnt vmcnt(0)
	v_cmp_lt_i16_e32 vcc_lo, -1, v12
	v_and_b32_e32 v18, 0xffff, v12
	v_dual_cndmask_b32 v19, 0xffff, v29 :: v_dual_lshlrev_b32 v20, 16, v12
	s_delay_alu instid0(VALU_DEP_1) | instskip(NEXT) | instid1(VALU_DEP_2)
	v_cmp_o_f32_e32 vcc_lo, v20, v20
	v_xor_b32_e32 v18, v19, v18
	s_delay_alu instid0(VALU_DEP_1) | instskip(NEXT) | instid1(VALU_DEP_1)
	v_cndmask_b32_e32 v18, 0xffff, v18, vcc_lo
	v_and_b32_e32 v18, v18, v9
	s_delay_alu instid0(VALU_DEP_1)
	v_cmp_eq_u32_e32 vcc_lo, v18, v8
	s_and_b32 exec_lo, exec_lo, vcc_lo
	s_cbranch_execz .LBB222_160
; %bb.165:                              ;   in Loop: Header=BB222_161 Depth=2
	v_perm_b32 v12, v12, s97, 0x5040100
	ds_store_b32 v13, v12 offset:3072
	s_branch .LBB222_160
.LBB222_166:                            ;   in Loop: Header=BB222_18 Depth=1
	s_or_b32 exec_lo, exec_lo, s18
	v_lshrrev_b32_e32 v6, 16, v12
	s_and_b32 s8, s19, exec_lo
.LBB222_167:                            ;   in Loop: Header=BB222_18 Depth=1
	s_or_b32 exec_lo, exec_lo, s9
	s_mov_b32 s77, -1
	s_mov_b32 s25, 0
	s_mov_b32 s76, 0
.LBB222_168:                            ;   in Loop: Header=BB222_18 Depth=1
	s_or_not1_b32 s8, s8, exec_lo
.LBB222_169:                            ;   in Loop: Header=BB222_18 Depth=1
	s_or_b32 exec_lo, exec_lo, s61
	s_mov_b32 s26, 0
                                        ; implicit-def: $vgpr7
	s_and_saveexec_b32 s78, s8
	s_cbranch_execz .LBB222_282
; %bb.170:                              ;   in Loop: Header=BB222_18 Depth=1
	v_dual_mov_b32 v4, 1 :: v_dual_mov_b32 v7, 1
	v_mov_b32_e32 v5, 0
	s_xor_b32 s9, s60, -1
	s_delay_alu instid0(SALU_CYCLE_1)
	s_and_saveexec_b32 s8, s9
	s_cbranch_execz .LBB222_180
; %bb.171:                              ;   in Loop: Header=BB222_18 Depth=1
	s_mov_b32 s18, exec_lo
                                        ; implicit-def: $sgpr19
                                        ; implicit-def: $sgpr9
	v_cmpx_ge_u64_e64 s[12:13], v[2:3]
	s_xor_b32 s18, exec_lo, s18
	s_cbranch_execz .LBB222_177
; %bb.172:                              ;   in Loop: Header=BB222_18 Depth=1
	ds_load_b64 v[4:5], v13 offset:5120
	s_waitcnt lgkmcnt(0)
	v_cmp_ne_u64_e32 vcc_lo, 0, v[4:5]
	s_cbranch_vccnz .LBB222_176
; %bb.173:                              ;   in Loop: Header=BB222_18 Depth=1
	s_and_saveexec_b32 s9, s5
	s_cbranch_execz .LBB222_175
; %bb.174:                              ;   in Loop: Header=BB222_18 Depth=1
	v_dual_mov_b32 v4, s12 :: v_dual_mov_b32 v5, s13
	ds_store_b64 v13, v[4:5] offset:5128
.LBB222_175:                            ;   in Loop: Header=BB222_18 Depth=1
	s_or_b32 exec_lo, exec_lo, s9
	s_waitcnt lgkmcnt(0)
	s_barrier
	buffer_gl0_inv
.LBB222_176:                            ;   in Loop: Header=BB222_18 Depth=1
	s_lshl_b32 s9, 1, s22
	v_or_b32_e32 v9, s20, v9
	v_and_or_b32 v8, v8, s21, s9
	s_mov_b32 s9, 0
	s_mov_b32 s19, 8
.LBB222_177:                            ;   in Loop: Header=BB222_18 Depth=1
	s_or_saveexec_b32 s18, s18
	v_mov_b32_e32 v7, s19
	s_xor_b32 exec_lo, exec_lo, s18
; %bb.178:                              ;   in Loop: Header=BB222_18 Depth=1
	v_sub_co_u32 v2, vcc_lo, v2, s12
	v_subrev_co_ci_u32_e32 v3, vcc_lo, s13, v3, vcc_lo
	v_mov_b32_e32 v7, 0
	s_or_b32 s9, s9, exec_lo
; %bb.179:                              ;   in Loop: Header=BB222_18 Depth=1
	s_or_b32 exec_lo, exec_lo, s18
	s_delay_alu instid0(VALU_DEP_2)
	v_dual_mov_b32 v5, v3 :: v_dual_mov_b32 v4, v2
	s_and_b32 s26, s9, exec_lo
.LBB222_180:                            ;   in Loop: Header=BB222_18 Depth=1
	s_or_b32 exec_lo, exec_lo, s8
	s_mov_b32 s8, -1
                                        ; implicit-def: $sgpr9
                                        ; implicit-def: $sgpr18
                                        ; implicit-def: $sgpr19
	s_and_saveexec_b32 s79, s26
	s_cbranch_execz .LBB222_281
; %bb.181:                              ;   in Loop: Header=BB222_18 Depth=1
	v_cmp_eq_u64_e32 vcc_lo, 1, v[4:5]
	s_cmp_eq_u64 s[14:15], 1
                                        ; implicit-def: $sgpr80
                                        ; implicit-def: $sgpr82
                                        ; implicit-def: $sgpr81
	s_cselect_b32 s8, -1, 0
	s_delay_alu instid0(SALU_CYCLE_1)
	s_and_b32 s60, s8, vcc_lo
	s_mov_b32 s8, -1
	s_and_saveexec_b32 s61, s60
	s_cbranch_execz .LBB222_215
; %bb.182:                              ;   in Loop: Header=BB222_18 Depth=1
	ds_load_b64 v[2:3], v13 offset:5120
	s_waitcnt lgkmcnt(0)
	s_barrier
	buffer_gl0_inv
	v_readfirstlane_b32 s18, v2
	v_readfirstlane_b32 s19, v3
	s_and_saveexec_b32 s8, s6
	s_cbranch_execz .LBB222_184
; %bb.183:                              ;   in Loop: Header=BB222_18 Depth=1
	ds_store_b16 v26, v13
.LBB222_184:                            ;   in Loop: Header=BB222_18 Depth=1
	s_or_b32 exec_lo, exec_lo, s8
	s_lshl_b32 s8, 2, s22
	v_or_b32_e32 v9, s20, v9
	v_and_or_b32 v8, v8, s21, s8
	s_cmp_eq_u64 s[18:19], 0
	s_waitcnt lgkmcnt(0)
	s_barrier
	buffer_gl0_inv
	s_cbranch_scc1 .LBB222_198
; %bb.185:                              ;   in Loop: Header=BB222_18 Depth=1
	s_add_u32 s26, s86, s18
	s_addc_u32 s9, s87, s19
	s_mov_b32 s8, s71
	s_delay_alu instid0(SALU_CYCLE_1)
	s_cmp_lg_u64 s[8:9], 0
	s_cbranch_scc0 .LBB222_233
; %bb.186:                              ;   in Loop: Header=BB222_18 Depth=1
	v_cvt_f32_u32_e32 v2, s35
	s_sub_u32 s63, 0, s35
	s_subb_u32 s80, 0, 0
	s_delay_alu instid0(VALU_DEP_1) | instskip(NEXT) | instid1(VALU_DEP_1)
	v_fmac_f32_e64 v2, 0, 0x4f800000
	v_rcp_f32_e32 v2, v2
	s_waitcnt_depctr 0xfff
	v_mul_f32_e32 v2, 0x5f7ffffc, v2
	s_delay_alu instid0(VALU_DEP_1) | instskip(NEXT) | instid1(VALU_DEP_1)
	v_mul_f32_e32 v3, 0x2f800000, v2
	v_trunc_f32_e32 v3, v3
	s_delay_alu instid0(VALU_DEP_1) | instskip(SKIP_1) | instid1(VALU_DEP_2)
	v_fmac_f32_e32 v2, 0xcf800000, v3
	v_cvt_u32_f32_e32 v3, v3
	v_cvt_u32_f32_e32 v2, v2
	s_delay_alu instid0(VALU_DEP_2) | instskip(NEXT) | instid1(VALU_DEP_2)
	v_readfirstlane_b32 s8, v3
	v_readfirstlane_b32 s62, v2
	s_delay_alu instid0(VALU_DEP_2) | instskip(NEXT) | instid1(VALU_DEP_1)
	s_mul_i32 s81, s63, s8
	s_mul_hi_u32 s83, s63, s62
	s_mul_i32 s82, s80, s62
	s_add_i32 s81, s83, s81
	s_mul_i32 vcc_lo, s63, s62
	s_add_i32 s81, s81, s82
	s_mul_hi_u32 s83, s62, vcc_lo
	s_mul_hi_u32 s50, s62, s81
	s_mul_i32 s62, s62, s81
	s_mul_i32 s49, s8, vcc_lo
	s_add_u32 s62, s83, s62
	s_mul_hi_u32 s48, s8, vcc_lo
	s_addc_u32 s50, 0, s50
	s_mul_hi_u32 s51, s8, s81
	s_add_u32 s49, s62, s49
	s_mul_i32 s81, s8, s81
	s_addc_u32 s48, s50, s48
	s_addc_u32 s49, s51, 0
	s_add_u32 s48, s48, s81
	s_addc_u32 s49, 0, s49
	v_add_co_u32 v2, s48, v2, s48
	s_delay_alu instid0(VALU_DEP_1) | instskip(SKIP_1) | instid1(VALU_DEP_1)
	s_cmp_lg_u32 s48, 0
	s_addc_u32 s8, s8, s49
	v_readfirstlane_b32 s48, v2
	s_mul_i32 s49, s63, s8
	s_delay_alu instid0(VALU_DEP_1)
	s_mul_hi_u32 s50, s63, s48
	s_mul_i32 s80, s80, s48
	s_add_i32 s49, s50, s49
	s_mul_i32 s63, s63, s48
	s_add_i32 s49, s49, s80
	s_mul_hi_u32 s62, s48, s63
	s_mul_hi_u32 s80, s48, s49
	s_mul_i32 s48, s48, s49
	s_mul_i32 s51, s8, s63
	s_add_u32 s48, s62, s48
	s_mul_hi_u32 s50, s8, s63
	s_addc_u32 s62, 0, s80
	s_mul_hi_u32 s63, s8, s49
	s_add_u32 s48, s48, s51
	s_mul_i32 s49, s8, s49
	s_addc_u32 s48, s62, s50
	s_addc_u32 s50, s63, 0
	s_add_u32 s48, s48, s49
	s_addc_u32 s49, 0, s50
	v_add_co_u32 v2, s48, v2, s48
	s_delay_alu instid0(VALU_DEP_1) | instskip(SKIP_1) | instid1(VALU_DEP_1)
	s_cmp_lg_u32 s48, 0
	s_addc_u32 s8, s8, s49
	v_readfirstlane_b32 s48, v2
	s_mul_i32 s50, s26, s8
	s_mul_hi_u32 s49, s26, s8
	s_mul_hi_u32 s51, s9, s8
	s_mul_i32 s8, s9, s8
	s_mul_hi_u32 s62, s26, s48
	s_mul_hi_u32 s63, s9, s48
	s_mul_i32 s48, s9, s48
	s_add_u32 s50, s62, s50
	s_addc_u32 s49, 0, s49
	s_add_u32 s48, s50, s48
	s_addc_u32 s48, s49, s63
	s_addc_u32 s49, s51, 0
	s_add_u32 s8, s48, s8
	s_addc_u32 s48, 0, s49
	s_mul_hi_u32 s49, s35, s8
	s_mul_i32 s8, s35, s8
	s_mul_i32 s48, s35, s48
	v_sub_co_u32 v2, s8, s26, s8
	s_add_i32 s49, s49, s48
	s_cmp_lg_u32 s8, 0
	s_delay_alu instid0(VALU_DEP_1) | instskip(SKIP_3) | instid1(VALU_DEP_2)
	v_sub_co_u32 v3, s8, v2, s35
	s_subb_u32 s48, s9, s49
	s_cmp_lg_u32 s8, 0
	v_cmp_le_u32_e32 vcc_lo, s35, v2
	v_cmp_le_u32_e64 s8, s35, v3
	v_sub_co_u32 v6, s49, v3, s35
	s_subb_u32 s50, s48, 0
	s_cmp_lg_u32 s49, 0
	s_delay_alu instid0(VALU_DEP_2)
	v_cndmask_b32_e64 v7, 0, -1, s8
	s_subb_u32 s49, s50, 0
	s_cmp_eq_u32 s50, 0
	v_mov_b32_e32 v18, s49
	v_cndmask_b32_e64 v12, 0, -1, vcc_lo
	s_cselect_b32 vcc_lo, -1, 0
	s_cmp_eq_u32 s48, 0
	v_cndmask_b32_e32 v7, -1, v7, vcc_lo
	s_cselect_b32 vcc_lo, -1, 0
	v_cndmask_b32_e32 v12, -1, v12, vcc_lo
	s_delay_alu instid0(VALU_DEP_2) | instskip(NEXT) | instid1(VALU_DEP_2)
	v_cmp_ne_u32_e32 vcc_lo, 0, v7
	v_cmp_ne_u32_e64 s8, 0, v12
	v_cndmask_b32_e32 v7, s50, v18, vcc_lo
	v_cndmask_b32_e32 v6, v3, v6, vcc_lo
	s_delay_alu instid0(VALU_DEP_2) | instskip(NEXT) | instid1(VALU_DEP_2)
	v_cndmask_b32_e64 v3, s48, v7, s8
	v_cndmask_b32_e64 v2, v2, v6, s8
	s_cbranch_execnz .LBB222_188
.LBB222_187:                            ;   in Loop: Header=BB222_18 Depth=1
	v_cvt_f32_u32_e32 v2, s35
	s_sub_i32 s8, 0, s35
	s_delay_alu instid0(VALU_DEP_1) | instskip(SKIP_2) | instid1(VALU_DEP_1)
	v_rcp_iflag_f32_e32 v2, v2
	s_waitcnt_depctr 0xfff
	v_mul_f32_e32 v2, 0x4f7ffffe, v2
	v_cvt_u32_f32_e32 v2, v2
	s_delay_alu instid0(VALU_DEP_1) | instskip(NEXT) | instid1(VALU_DEP_1)
	v_mul_lo_u32 v3, s8, v2
	v_mul_hi_u32 v3, v2, v3
	s_delay_alu instid0(VALU_DEP_1) | instskip(NEXT) | instid1(VALU_DEP_1)
	v_add_nc_u32_e32 v2, v2, v3
	v_mul_hi_u32 v2, s26, v2
	s_delay_alu instid0(VALU_DEP_1) | instskip(NEXT) | instid1(VALU_DEP_1)
	v_mul_lo_u32 v2, v2, s35
	v_sub_nc_u32_e32 v2, s26, v2
	s_delay_alu instid0(VALU_DEP_1) | instskip(SKIP_1) | instid1(VALU_DEP_2)
	v_subrev_nc_u32_e32 v3, s35, v2
	v_cmp_le_u32_e32 vcc_lo, s35, v2
	v_cndmask_b32_e32 v2, v2, v3, vcc_lo
	s_delay_alu instid0(VALU_DEP_1) | instskip(SKIP_1) | instid1(VALU_DEP_2)
	v_subrev_nc_u32_e32 v3, s35, v2
	v_cmp_le_u32_e32 vcc_lo, s35, v2
	v_cndmask_b32_e32 v12, v2, v3, vcc_lo
	s_delay_alu instid0(VALU_DEP_1)
	v_dual_mov_b32 v2, v12 :: v_dual_mov_b32 v3, v13
.LBB222_188:                            ;   in Loop: Header=BB222_18 Depth=1
	s_delay_alu instid0(VALU_DEP_1) | instskip(NEXT) | instid1(VALU_DEP_2)
	v_sub_co_u32 v2, vcc_lo, s26, v2
	v_sub_co_ci_u32_e32 v3, vcc_lo, s9, v3, vcc_lo
	s_mov_b32 s8, 0
	s_mov_b32 s9, exec_lo
                                        ; implicit-def: $vgpr6
	s_delay_alu instid0(VALU_DEP_1)
	v_cmpx_gt_u64_e64 v[2:3], v[0:1]
	s_cbranch_execz .LBB222_200
; %bb.189:                              ;   in Loop: Header=BB222_18 Depth=1
	v_mov_b32_e32 v12, v25
	v_dual_mov_b32 v7, v1 :: v_dual_mov_b32 v6, v0
	s_mov_b32 s26, 0
                                        ; implicit-def: $sgpr62
	s_branch .LBB222_191
.LBB222_190:                            ;   in Loop: Header=BB222_191 Depth=2
	s_or_b32 exec_lo, exec_lo, s8
	s_waitcnt lgkmcnt(0)
	s_barrier
	buffer_gl0_inv
	ds_load_b32 v18, v13 offset:3072
	v_add_co_u32 v6, vcc_lo, v6, s35
	v_add_co_ci_u32_e32 v7, vcc_lo, 0, v7, vcc_lo
	v_add_nc_u32_e32 v12, s94, v12
	s_waitcnt lgkmcnt(0)
	s_barrier
	s_delay_alu instid0(VALU_DEP_2) | instskip(SKIP_2) | instid1(VALU_DEP_1)
	v_cmp_ge_u64_e32 vcc_lo, v[6:7], v[2:3]
	buffer_gl0_inv
	v_and_b32_e32 v19, 0x7fff, v18
	v_cmp_ne_u16_e64 s8, 0, v19
	s_delay_alu instid0(VALU_DEP_1) | instskip(NEXT) | instid1(SALU_CYCLE_1)
	s_or_b32 s48, vcc_lo, s8
	s_and_b32 s48, exec_lo, s48
	s_delay_alu instid0(SALU_CYCLE_1) | instskip(SKIP_2) | instid1(SALU_CYCLE_1)
	s_or_b32 s26, s48, s26
	s_and_not1_b32 s48, s62, exec_lo
	s_and_b32 s8, s8, exec_lo
	s_or_b32 s62, s48, s8
	s_and_not1_b32 exec_lo, exec_lo, s26
	s_cbranch_execz .LBB222_199
.LBB222_191:                            ;   Parent Loop BB222_18 Depth=1
                                        ; =>  This Inner Loop Header: Depth=2
	s_delay_alu instid0(VALU_DEP_1)
	v_cmp_gt_u64_e32 vcc_lo, s[18:19], v[6:7]
	v_mov_b32_e32 v18, 0
	s_and_saveexec_b32 s8, vcc_lo
	s_cbranch_execz .LBB222_193
; %bb.192:                              ;   in Loop: Header=BB222_191 Depth=2
	ds_load_u16 v18, v12
.LBB222_193:                            ;   in Loop: Header=BB222_191 Depth=2
	s_or_b32 exec_lo, exec_lo, s8
	s_and_saveexec_b32 s8, vcc_lo
	s_cbranch_execz .LBB222_190
; %bb.194:                              ;   in Loop: Header=BB222_191 Depth=2
	s_waitcnt lgkmcnt(0)
	v_cmp_lt_i16_e32 vcc_lo, -1, v18
	v_and_b32_e32 v19, 0xffff, v18
	v_dual_cndmask_b32 v20, 0xffff, v29 :: v_dual_lshlrev_b32 v21, 16, v18
	s_delay_alu instid0(VALU_DEP_1) | instskip(NEXT) | instid1(VALU_DEP_2)
	v_cmp_o_f32_e32 vcc_lo, v21, v21
	v_xor_b32_e32 v19, v20, v19
	s_delay_alu instid0(VALU_DEP_1) | instskip(NEXT) | instid1(VALU_DEP_1)
	v_cndmask_b32_e32 v19, 0xffff, v19, vcc_lo
	v_and_b32_e32 v19, v19, v9
	s_delay_alu instid0(VALU_DEP_1)
	v_cmp_eq_u32_e32 vcc_lo, v19, v8
	s_and_b32 exec_lo, exec_lo, vcc_lo
	s_cbranch_execz .LBB222_190
; %bb.195:                              ;   in Loop: Header=BB222_191 Depth=2
	v_perm_b32 v18, v18, s97, 0x5040100
	ds_store_b32 v13, v18 offset:3072
	s_branch .LBB222_190
.LBB222_196:                            ;   in Loop: Header=BB222_18 Depth=1
                                        ; implicit-def: $vgpr4_vgpr5
	s_branch .LBB222_141
.LBB222_197:                            ;   in Loop: Header=BB222_18 Depth=1
                                        ; implicit-def: $vgpr4_vgpr5
	s_branch .LBB222_157
.LBB222_198:                            ;   in Loop: Header=BB222_18 Depth=1
	s_mov_b32 s80, -1
	s_mov_b32 s8, 0
                                        ; implicit-def: $sgpr81
                                        ; implicit-def: $vgpr6
	s_mov_b32 s82, s80
	s_cbranch_execnz .LBB222_201
	s_branch .LBB222_214
.LBB222_199:                            ;   in Loop: Header=BB222_18 Depth=1
	s_or_b32 exec_lo, exec_lo, s26
	v_lshrrev_b32_e32 v6, 16, v18
	s_and_b32 s8, s62, exec_lo
.LBB222_200:                            ;   in Loop: Header=BB222_18 Depth=1
	s_or_b32 exec_lo, exec_lo, s9
	s_mov_b32 s81, -1
	s_mov_b32 s80, 0
	s_delay_alu instid0(SALU_CYCLE_1)
	s_mov_b32 s82, s80
	s_branch .LBB222_214
.LBB222_201:                            ;   in Loop: Header=BB222_18 Depth=1
	s_mov_b32 s26, s71
	s_delay_alu instid0(SALU_CYCLE_1)
	s_cmp_lg_u64 s[26:27], 0
	s_cbranch_scc0 .LBB222_234
; %bb.202:                              ;   in Loop: Header=BB222_18 Depth=1
	v_cvt_f32_u32_e32 v2, s35
	s_sub_u32 s18, 0, s35
	s_subb_u32 s19, 0, 0
	s_delay_alu instid0(VALU_DEP_1) | instskip(NEXT) | instid1(VALU_DEP_1)
	v_fmac_f32_e64 v2, 0, 0x4f800000
	v_rcp_f32_e32 v2, v2
	s_waitcnt_depctr 0xfff
	v_mul_f32_e32 v2, 0x5f7ffffc, v2
	s_delay_alu instid0(VALU_DEP_1) | instskip(NEXT) | instid1(VALU_DEP_1)
	v_mul_f32_e32 v3, 0x2f800000, v2
	v_trunc_f32_e32 v3, v3
	s_delay_alu instid0(VALU_DEP_1) | instskip(SKIP_1) | instid1(VALU_DEP_2)
	v_fmac_f32_e32 v2, 0xcf800000, v3
	v_cvt_u32_f32_e32 v3, v3
	v_cvt_u32_f32_e32 v2, v2
	s_delay_alu instid0(VALU_DEP_2) | instskip(NEXT) | instid1(VALU_DEP_2)
	v_readfirstlane_b32 s8, v3
	v_readfirstlane_b32 s9, v2
	s_delay_alu instid0(VALU_DEP_2) | instskip(NEXT) | instid1(VALU_DEP_1)
	s_mul_i32 s26, s18, s8
	s_mul_hi_u32 s49, s18, s9
	s_mul_i32 s48, s19, s9
	s_add_i32 s26, s49, s26
	s_mul_i32 s50, s18, s9
	s_add_i32 s26, s26, s48
	s_mul_hi_u32 s49, s9, s50
	s_mul_hi_u32 s51, s8, s50
	s_mul_i32 s48, s8, s50
	s_mul_hi_u32 s50, s9, s26
	s_mul_i32 s9, s9, s26
	s_mul_hi_u32 s62, s8, s26
	s_add_u32 s9, s49, s9
	s_addc_u32 s49, 0, s50
	s_add_u32 s9, s9, s48
	s_mul_i32 s26, s8, s26
	s_addc_u32 s9, s49, s51
	s_addc_u32 s48, s62, 0
	s_add_u32 s9, s9, s26
	s_addc_u32 s26, 0, s48
	v_add_co_u32 v2, s9, v2, s9
	s_delay_alu instid0(VALU_DEP_1) | instskip(SKIP_1) | instid1(VALU_DEP_1)
	s_cmp_lg_u32 s9, 0
	s_addc_u32 s8, s8, s26
	v_readfirstlane_b32 s9, v2
	s_mul_i32 s26, s18, s8
	s_delay_alu instid0(VALU_DEP_1)
	s_mul_hi_u32 s48, s18, s9
	s_mul_i32 s19, s19, s9
	s_add_i32 s26, s48, s26
	s_mul_i32 s18, s18, s9
	s_add_i32 s26, s26, s19
	s_mul_hi_u32 s48, s8, s18
	s_mul_i32 s49, s8, s18
	s_mul_hi_u32 s18, s9, s18
	s_mul_hi_u32 s50, s9, s26
	s_mul_i32 s9, s9, s26
	s_mul_hi_u32 s19, s8, s26
	s_add_u32 s9, s18, s9
	s_addc_u32 s18, 0, s50
	s_add_u32 s9, s9, s49
	s_mul_i32 s26, s8, s26
	s_addc_u32 s9, s18, s48
	s_addc_u32 s18, s19, 0
	s_add_u32 s9, s9, s26
	s_addc_u32 s18, 0, s18
	v_add_co_u32 v2, s9, v2, s9
	s_delay_alu instid0(VALU_DEP_1) | instskip(SKIP_1) | instid1(VALU_DEP_1)
	s_cmp_lg_u32 s9, 0
	s_addc_u32 s8, s8, s18
	v_readfirstlane_b32 s9, v2
	s_mul_i32 s19, s88, s8
	s_mul_hi_u32 s18, s88, s8
	s_mul_hi_u32 s26, s27, s8
	s_mul_i32 s8, s27, s8
	s_mul_hi_u32 s48, s88, s9
	s_mul_hi_u32 s49, s27, s9
	s_mul_i32 s9, s27, s9
	s_add_u32 s19, s48, s19
	s_addc_u32 s18, 0, s18
	s_add_u32 s9, s19, s9
	s_addc_u32 s9, s18, s49
	s_addc_u32 s18, s26, 0
	s_add_u32 s8, s9, s8
	s_addc_u32 s9, 0, s18
	s_mul_hi_u32 s18, s35, s8
	s_mul_i32 s8, s35, s8
	s_mul_i32 s9, s35, s9
	v_sub_co_u32 v2, s8, s88, s8
	s_add_i32 s18, s18, s9
	s_cmp_lg_u32 s8, 0
	s_delay_alu instid0(VALU_DEP_1) | instskip(SKIP_3) | instid1(VALU_DEP_2)
	v_sub_co_u32 v3, s8, v2, s35
	s_subb_u32 s9, s27, s18
	s_cmp_lg_u32 s8, 0
	v_cmp_le_u32_e32 vcc_lo, s35, v2
	v_cmp_le_u32_e64 s8, s35, v3
	v_sub_co_u32 v6, s18, v3, s35
	s_subb_u32 s19, s9, 0
	s_cmp_lg_u32 s18, 0
	s_delay_alu instid0(VALU_DEP_2)
	v_cndmask_b32_e64 v7, 0, -1, s8
	s_subb_u32 s18, s19, 0
	s_cmp_eq_u32 s19, 0
	v_mov_b32_e32 v18, s18
	v_cndmask_b32_e64 v12, 0, -1, vcc_lo
	s_cselect_b32 vcc_lo, -1, 0
	s_cmp_eq_u32 s9, 0
	v_cndmask_b32_e32 v7, -1, v7, vcc_lo
	s_cselect_b32 vcc_lo, -1, 0
	v_cndmask_b32_e32 v12, -1, v12, vcc_lo
	s_delay_alu instid0(VALU_DEP_2) | instskip(NEXT) | instid1(VALU_DEP_2)
	v_cmp_ne_u32_e32 vcc_lo, 0, v7
	v_cmp_ne_u32_e64 s8, 0, v12
	v_cndmask_b32_e32 v7, s19, v18, vcc_lo
	v_cndmask_b32_e32 v6, v3, v6, vcc_lo
	s_delay_alu instid0(VALU_DEP_2) | instskip(NEXT) | instid1(VALU_DEP_2)
	v_cndmask_b32_e64 v3, s9, v7, s8
	v_cndmask_b32_e64 v2, v2, v6, s8
	s_cbranch_execnz .LBB222_204
.LBB222_203:                            ;   in Loop: Header=BB222_18 Depth=1
	v_cvt_f32_u32_e32 v2, s35
	s_sub_i32 s8, 0, s35
	s_delay_alu instid0(VALU_DEP_1) | instskip(SKIP_2) | instid1(VALU_DEP_1)
	v_rcp_iflag_f32_e32 v2, v2
	s_waitcnt_depctr 0xfff
	v_mul_f32_e32 v2, 0x4f7ffffe, v2
	v_cvt_u32_f32_e32 v2, v2
	s_delay_alu instid0(VALU_DEP_1) | instskip(NEXT) | instid1(VALU_DEP_1)
	v_mul_lo_u32 v3, s8, v2
	v_mul_hi_u32 v3, v2, v3
	s_delay_alu instid0(VALU_DEP_1) | instskip(NEXT) | instid1(VALU_DEP_1)
	v_add_nc_u32_e32 v2, v2, v3
	v_mul_hi_u32 v2, s88, v2
	s_delay_alu instid0(VALU_DEP_1) | instskip(NEXT) | instid1(VALU_DEP_1)
	v_mul_lo_u32 v2, v2, s35
	v_sub_nc_u32_e32 v2, s88, v2
	s_delay_alu instid0(VALU_DEP_1) | instskip(SKIP_1) | instid1(VALU_DEP_2)
	v_subrev_nc_u32_e32 v3, s35, v2
	v_cmp_le_u32_e32 vcc_lo, s35, v2
	v_cndmask_b32_e32 v2, v2, v3, vcc_lo
	s_delay_alu instid0(VALU_DEP_1) | instskip(SKIP_1) | instid1(VALU_DEP_2)
	v_subrev_nc_u32_e32 v3, s35, v2
	v_cmp_le_u32_e32 vcc_lo, s35, v2
	v_cndmask_b32_e32 v12, v2, v3, vcc_lo
	s_delay_alu instid0(VALU_DEP_1)
	v_dual_mov_b32 v2, v12 :: v_dual_mov_b32 v3, v13
.LBB222_204:                            ;   in Loop: Header=BB222_18 Depth=1
	s_delay_alu instid0(VALU_DEP_1) | instskip(NEXT) | instid1(VALU_DEP_2)
	v_sub_co_u32 v2, vcc_lo, s88, v2
	v_sub_co_ci_u32_e32 v3, vcc_lo, s27, v3, vcc_lo
	s_mov_b32 s8, 0
	s_mov_b32 s9, exec_lo
                                        ; implicit-def: $vgpr6
	s_delay_alu instid0(VALU_DEP_1)
	v_cmpx_gt_u64_e64 v[2:3], v[0:1]
	s_cbranch_execz .LBB222_213
; %bb.205:                              ;   in Loop: Header=BB222_18 Depth=1
	v_dual_mov_b32 v7, v1 :: v_dual_mov_b32 v6, v0
	s_mov_b32 s18, 0
                                        ; implicit-def: $sgpr19
	s_branch .LBB222_207
.LBB222_206:                            ;   in Loop: Header=BB222_207 Depth=2
	s_or_b32 exec_lo, exec_lo, s8
	s_waitcnt vmcnt(0) lgkmcnt(0)
	s_barrier
	buffer_gl0_inv
	ds_load_b32 v12, v13 offset:3072
	v_add_co_u32 v6, vcc_lo, v6, s35
	v_add_co_ci_u32_e32 v7, vcc_lo, 0, v7, vcc_lo
	s_waitcnt lgkmcnt(0)
	s_barrier
	buffer_gl0_inv
	v_cmp_ge_u64_e32 vcc_lo, v[6:7], v[2:3]
	v_and_b32_e32 v18, 0x7fff, v12
	s_delay_alu instid0(VALU_DEP_1) | instskip(NEXT) | instid1(VALU_DEP_1)
	v_cmp_ne_u16_e64 s8, 0, v18
	s_or_b32 s26, vcc_lo, s8
	s_delay_alu instid0(SALU_CYCLE_1) | instskip(NEXT) | instid1(SALU_CYCLE_1)
	s_and_b32 s26, exec_lo, s26
	s_or_b32 s18, s26, s18
	s_and_not1_b32 s19, s19, exec_lo
	s_and_b32 s8, s8, exec_lo
	s_delay_alu instid0(SALU_CYCLE_1)
	s_or_b32 s19, s19, s8
	s_and_not1_b32 exec_lo, exec_lo, s18
	s_cbranch_execz .LBB222_212
.LBB222_207:                            ;   Parent Loop BB222_18 Depth=1
                                        ; =>  This Inner Loop Header: Depth=2
	s_delay_alu instid0(VALU_DEP_1)
	v_cmp_gt_u64_e32 vcc_lo, s[36:37], v[6:7]
	v_mov_b32_e32 v12, 0
	s_and_saveexec_b32 s26, vcc_lo
	s_cbranch_execz .LBB222_209
; %bb.208:                              ;   in Loop: Header=BB222_207 Depth=2
	v_mul_lo_u32 v12, v7, s30
	v_mul_lo_u32 v20, v6, s31
	v_mad_u64_u32 v[18:19], null, v6, s30, 0
	s_delay_alu instid0(VALU_DEP_1) | instskip(NEXT) | instid1(VALU_DEP_1)
	v_add3_u32 v19, v19, v20, v12
	v_lshlrev_b64 v[18:19], 1, v[18:19]
	s_delay_alu instid0(VALU_DEP_1) | instskip(NEXT) | instid1(VALU_DEP_1)
	v_add_co_u32 v18, s8, s29, v18
	v_add_co_ci_u32_e64 v19, s8, s33, v19, s8
	global_load_u16 v12, v[18:19], off
.LBB222_209:                            ;   in Loop: Header=BB222_207 Depth=2
	s_or_b32 exec_lo, exec_lo, s26
	s_and_saveexec_b32 s8, vcc_lo
	s_cbranch_execz .LBB222_206
; %bb.210:                              ;   in Loop: Header=BB222_207 Depth=2
	s_waitcnt vmcnt(0)
	v_cmp_lt_i16_e32 vcc_lo, -1, v12
	v_and_b32_e32 v18, 0xffff, v12
	v_dual_cndmask_b32 v19, 0xffff, v29 :: v_dual_lshlrev_b32 v20, 16, v12
	s_delay_alu instid0(VALU_DEP_1) | instskip(NEXT) | instid1(VALU_DEP_2)
	v_cmp_o_f32_e32 vcc_lo, v20, v20
	v_xor_b32_e32 v18, v19, v18
	s_delay_alu instid0(VALU_DEP_1) | instskip(NEXT) | instid1(VALU_DEP_1)
	v_cndmask_b32_e32 v18, 0xffff, v18, vcc_lo
	v_and_b32_e32 v18, v18, v9
	s_delay_alu instid0(VALU_DEP_1)
	v_cmp_eq_u32_e32 vcc_lo, v18, v8
	s_and_b32 exec_lo, exec_lo, vcc_lo
	s_cbranch_execz .LBB222_206
; %bb.211:                              ;   in Loop: Header=BB222_207 Depth=2
	v_perm_b32 v12, v12, s97, 0x5040100
	ds_store_b32 v13, v12 offset:3072
	s_branch .LBB222_206
.LBB222_212:                            ;   in Loop: Header=BB222_18 Depth=1
	s_or_b32 exec_lo, exec_lo, s18
	v_lshrrev_b32_e32 v6, 16, v12
	s_and_b32 s8, s19, exec_lo
.LBB222_213:                            ;   in Loop: Header=BB222_18 Depth=1
	s_or_b32 exec_lo, exec_lo, s9
	s_mov_b32 s82, -1
	s_mov_b32 s80, 0
	s_mov_b32 s81, 0
.LBB222_214:                            ;   in Loop: Header=BB222_18 Depth=1
	s_or_not1_b32 s8, s8, exec_lo
.LBB222_215:                            ;   in Loop: Header=BB222_18 Depth=1
	s_or_b32 exec_lo, exec_lo, s61
	s_mov_b32 s26, 0
                                        ; implicit-def: $vgpr7
	s_and_saveexec_b32 s83, s8
	s_cbranch_execz .LBB222_280
; %bb.216:                              ;   in Loop: Header=BB222_18 Depth=1
	v_dual_mov_b32 v2, 1 :: v_dual_mov_b32 v7, 1
	v_mov_b32_e32 v3, 0
	s_xor_b32 s9, s60, -1
	s_delay_alu instid0(SALU_CYCLE_1)
	s_and_saveexec_b32 s8, s9
	s_cbranch_execz .LBB222_226
; %bb.217:                              ;   in Loop: Header=BB222_18 Depth=1
	s_mov_b32 s18, exec_lo
                                        ; implicit-def: $sgpr19
                                        ; implicit-def: $sgpr9
	v_cmpx_ge_u64_e64 s[14:15], v[4:5]
	s_xor_b32 s18, exec_lo, s18
	s_cbranch_execz .LBB222_223
; %bb.218:                              ;   in Loop: Header=BB222_18 Depth=1
	ds_load_b64 v[2:3], v13 offset:5120
	s_waitcnt lgkmcnt(0)
	v_cmp_ne_u64_e32 vcc_lo, 0, v[2:3]
	s_cbranch_vccnz .LBB222_222
; %bb.219:                              ;   in Loop: Header=BB222_18 Depth=1
	s_and_saveexec_b32 s9, s5
	s_cbranch_execz .LBB222_221
; %bb.220:                              ;   in Loop: Header=BB222_18 Depth=1
	v_dual_mov_b32 v2, s14 :: v_dual_mov_b32 v3, s15
	ds_store_b64 v13, v[2:3] offset:5128
.LBB222_221:                            ;   in Loop: Header=BB222_18 Depth=1
	s_or_b32 exec_lo, exec_lo, s9
	s_waitcnt lgkmcnt(0)
	s_barrier
	buffer_gl0_inv
.LBB222_222:                            ;   in Loop: Header=BB222_18 Depth=1
	s_lshl_b32 s9, 2, s22
	v_or_b32_e32 v9, s20, v9
	v_and_or_b32 v8, v8, s21, s9
	s_mov_b32 s9, 0
	s_mov_b32 s19, 8
.LBB222_223:                            ;   in Loop: Header=BB222_18 Depth=1
	s_or_saveexec_b32 s18, s18
	v_mov_b32_e32 v7, s19
	s_xor_b32 exec_lo, exec_lo, s18
; %bb.224:                              ;   in Loop: Header=BB222_18 Depth=1
	v_sub_co_u32 v4, vcc_lo, v4, s14
	v_subrev_co_ci_u32_e32 v5, vcc_lo, s15, v5, vcc_lo
	v_mov_b32_e32 v7, 0
	s_or_b32 s9, s9, exec_lo
; %bb.225:                              ;   in Loop: Header=BB222_18 Depth=1
	s_or_b32 exec_lo, exec_lo, s18
	s_delay_alu instid0(VALU_DEP_2)
	v_dual_mov_b32 v2, v4 :: v_dual_mov_b32 v3, v5
	s_and_b32 s26, s9, exec_lo
.LBB222_226:                            ;   in Loop: Header=BB222_18 Depth=1
	s_or_b32 exec_lo, exec_lo, s8
	s_mov_b32 s19, -1
                                        ; implicit-def: $sgpr8
                                        ; implicit-def: $sgpr18
                                        ; implicit-def: $sgpr9
	s_and_saveexec_b32 s60, s26
	s_cbranch_execz .LBB222_279
; %bb.227:                              ;   in Loop: Header=BB222_18 Depth=1
	v_cmp_eq_u64_e32 vcc_lo, 1, v[2:3]
	s_cmp_eq_u64 s[16:17], 1
	s_mov_b32 s26, -1
	s_cselect_b32 s8, -1, 0
                                        ; implicit-def: $sgpr18
                                        ; implicit-def: $sgpr9
	s_delay_alu instid0(SALU_CYCLE_1) | instskip(NEXT) | instid1(SALU_CYCLE_1)
	s_and_b32 s61, s8, vcc_lo
                                        ; implicit-def: $sgpr8
	s_and_saveexec_b32 s62, s61
	s_cbranch_execz .LBB222_266
; %bb.228:                              ;   in Loop: Header=BB222_18 Depth=1
	ds_load_b64 v[4:5], v13 offset:5120
	s_waitcnt lgkmcnt(0)
	s_barrier
	buffer_gl0_inv
	v_readfirstlane_b32 s18, v4
	v_readfirstlane_b32 s19, v5
	s_and_saveexec_b32 s8, s6
	s_cbranch_execz .LBB222_230
; %bb.229:                              ;   in Loop: Header=BB222_18 Depth=1
	ds_store_b16 v26, v13
.LBB222_230:                            ;   in Loop: Header=BB222_18 Depth=1
	s_or_b32 exec_lo, exec_lo, s8
	v_or_b32_e32 v8, s20, v8
	v_or_b32_e32 v9, s20, v9
	s_cmp_eq_u64 s[18:19], 0
	s_waitcnt lgkmcnt(0)
	s_barrier
	buffer_gl0_inv
	s_cbranch_scc1 .LBB222_235
; %bb.231:                              ;   in Loop: Header=BB222_18 Depth=1
	s_add_u32 s26, s86, s18
	s_addc_u32 s9, s87, s19
	s_mov_b32 s8, s71
	s_delay_alu instid0(SALU_CYCLE_1)
	s_cmp_lg_u64 s[8:9], 0
	s_cbranch_scc0 .LBB222_236
; %bb.232:                              ;   in Loop: Header=BB222_18 Depth=1
	v_cvt_f32_u32_e32 v4, s35
	s_sub_u32 s49, 0, s35
	s_subb_u32 s50, 0, 0
	s_delay_alu instid0(VALU_DEP_1) | instskip(NEXT) | instid1(VALU_DEP_1)
	v_fmac_f32_e64 v4, 0, 0x4f800000
	v_rcp_f32_e32 v4, v4
	s_waitcnt_depctr 0xfff
	v_mul_f32_e32 v4, 0x5f7ffffc, v4
	s_delay_alu instid0(VALU_DEP_1) | instskip(NEXT) | instid1(VALU_DEP_1)
	v_mul_f32_e32 v5, 0x2f800000, v4
	v_trunc_f32_e32 v5, v5
	s_delay_alu instid0(VALU_DEP_1) | instskip(SKIP_1) | instid1(VALU_DEP_2)
	v_fmac_f32_e32 v4, 0xcf800000, v5
	v_cvt_u32_f32_e32 v5, v5
	v_cvt_u32_f32_e32 v4, v4
	s_delay_alu instid0(VALU_DEP_2) | instskip(NEXT) | instid1(VALU_DEP_2)
	v_readfirstlane_b32 s8, v5
	v_readfirstlane_b32 s48, v4
	s_delay_alu instid0(VALU_DEP_2) | instskip(NEXT) | instid1(VALU_DEP_1)
	s_mul_i32 s51, s49, s8
	s_mul_hi_u32 vcc_lo, s49, s48
	s_mul_i32 s63, s50, s48
	s_add_i32 s51, vcc_lo, s51
	s_mul_i32 s52, s49, s48
	s_add_i32 s51, s51, s63
	s_mul_hi_u32 s53, s48, s52
	s_mul_hi_u32 s55, s48, s51
	s_mul_i32 s48, s48, s51
	s_mul_hi_u32 s54, s8, s52
	s_mul_i32 s52, s8, s52
	s_add_u32 s48, s53, s48
	s_addc_u32 s53, 0, s55
	s_mul_hi_u32 s63, s8, s51
	s_add_u32 s48, s48, s52
	s_mul_i32 s51, s8, s51
	s_addc_u32 s48, s53, s54
	s_addc_u32 s52, s63, 0
	s_add_u32 s48, s48, s51
	s_addc_u32 s51, 0, s52
	v_add_co_u32 v4, s48, v4, s48
	s_delay_alu instid0(VALU_DEP_1) | instskip(SKIP_1) | instid1(VALU_DEP_1)
	s_cmp_lg_u32 s48, 0
	s_addc_u32 s8, s8, s51
	v_readfirstlane_b32 s48, v4
	s_mul_i32 s51, s49, s8
	s_delay_alu instid0(VALU_DEP_1)
	s_mul_hi_u32 s52, s49, s48
	s_mul_i32 s50, s50, s48
	s_add_i32 s51, s52, s51
	s_mul_i32 s49, s49, s48
	s_add_i32 s51, s51, s50
	s_mul_hi_u32 s52, s8, s49
	s_mul_i32 s53, s8, s49
	s_mul_hi_u32 s49, s48, s49
	s_mul_hi_u32 s54, s48, s51
	s_mul_i32 s48, s48, s51
	s_mul_hi_u32 s50, s8, s51
	s_add_u32 s48, s49, s48
	s_addc_u32 s49, 0, s54
	s_add_u32 s48, s48, s53
	s_mul_i32 s51, s8, s51
	s_addc_u32 s48, s49, s52
	s_addc_u32 s49, s50, 0
	s_add_u32 s48, s48, s51
	s_addc_u32 s49, 0, s49
	v_add_co_u32 v4, s48, v4, s48
	s_delay_alu instid0(VALU_DEP_1) | instskip(SKIP_1) | instid1(VALU_DEP_1)
	s_cmp_lg_u32 s48, 0
	s_addc_u32 s8, s8, s49
	v_readfirstlane_b32 s48, v4
	s_mul_i32 s50, s26, s8
	s_mul_hi_u32 s49, s26, s8
	s_mul_hi_u32 s51, s9, s8
	s_mul_i32 s8, s9, s8
	s_mul_hi_u32 s52, s26, s48
	s_mul_hi_u32 s53, s9, s48
	s_mul_i32 s48, s9, s48
	s_add_u32 s50, s52, s50
	s_addc_u32 s49, 0, s49
	s_add_u32 s48, s50, s48
	s_addc_u32 s48, s49, s53
	s_addc_u32 s49, s51, 0
	s_add_u32 s8, s48, s8
	s_addc_u32 s48, 0, s49
	s_mul_hi_u32 s49, s35, s8
	s_mul_i32 s8, s35, s8
	s_mul_i32 s48, s35, s48
	v_sub_co_u32 v4, s8, s26, s8
	s_add_i32 s49, s49, s48
	s_cmp_lg_u32 s8, 0
	s_delay_alu instid0(VALU_DEP_1) | instskip(SKIP_3) | instid1(VALU_DEP_2)
	v_sub_co_u32 v5, s8, v4, s35
	s_subb_u32 s48, s9, s49
	s_cmp_lg_u32 s8, 0
	v_cmp_le_u32_e32 vcc_lo, s35, v4
	v_cmp_le_u32_e64 s8, s35, v5
	v_sub_co_u32 v6, s49, v5, s35
	s_subb_u32 s50, s48, 0
	s_cmp_lg_u32 s49, 0
	s_delay_alu instid0(VALU_DEP_2)
	v_cndmask_b32_e64 v7, 0, -1, s8
	s_subb_u32 s49, s50, 0
	s_cmp_eq_u32 s50, 0
	v_mov_b32_e32 v18, s49
	v_cndmask_b32_e64 v12, 0, -1, vcc_lo
	s_cselect_b32 vcc_lo, -1, 0
	s_cmp_eq_u32 s48, 0
	v_cndmask_b32_e32 v7, -1, v7, vcc_lo
	s_cselect_b32 vcc_lo, -1, 0
	v_cndmask_b32_e32 v12, -1, v12, vcc_lo
	s_delay_alu instid0(VALU_DEP_2) | instskip(NEXT) | instid1(VALU_DEP_2)
	v_cmp_ne_u32_e32 vcc_lo, 0, v7
	v_cmp_ne_u32_e64 s8, 0, v12
	v_cndmask_b32_e32 v7, s50, v18, vcc_lo
	v_cndmask_b32_e32 v6, v5, v6, vcc_lo
	s_delay_alu instid0(VALU_DEP_2) | instskip(NEXT) | instid1(VALU_DEP_2)
	v_cndmask_b32_e64 v5, s48, v7, s8
	v_cndmask_b32_e64 v4, v4, v6, s8
	s_mov_b32 s8, 0
	s_branch .LBB222_237
.LBB222_233:                            ;   in Loop: Header=BB222_18 Depth=1
                                        ; implicit-def: $vgpr2_vgpr3
	s_branch .LBB222_187
.LBB222_234:                            ;   in Loop: Header=BB222_18 Depth=1
                                        ; implicit-def: $vgpr2_vgpr3
	s_branch .LBB222_203
.LBB222_235:                            ;   in Loop: Header=BB222_18 Depth=1
	s_mov_b32 s8, -1
	s_mov_b32 s26, 0
                                        ; implicit-def: $sgpr9
                                        ; implicit-def: $vgpr6
	s_branch .LBB222_249
.LBB222_236:                            ;   in Loop: Header=BB222_18 Depth=1
	s_mov_b32 s8, -1
                                        ; implicit-def: $vgpr4_vgpr5
.LBB222_237:                            ;   in Loop: Header=BB222_18 Depth=1
	s_delay_alu instid0(SALU_CYCLE_1)
	s_and_not1_b32 vcc_lo, exec_lo, s8
	s_cbranch_vccnz .LBB222_239
; %bb.238:                              ;   in Loop: Header=BB222_18 Depth=1
	v_cvt_f32_u32_e32 v4, s35
	s_sub_i32 s8, 0, s35
	s_delay_alu instid0(VALU_DEP_1) | instskip(SKIP_2) | instid1(VALU_DEP_1)
	v_rcp_iflag_f32_e32 v4, v4
	s_waitcnt_depctr 0xfff
	v_mul_f32_e32 v4, 0x4f7ffffe, v4
	v_cvt_u32_f32_e32 v4, v4
	s_delay_alu instid0(VALU_DEP_1) | instskip(NEXT) | instid1(VALU_DEP_1)
	v_mul_lo_u32 v5, s8, v4
	v_mul_hi_u32 v5, v4, v5
	s_delay_alu instid0(VALU_DEP_1) | instskip(NEXT) | instid1(VALU_DEP_1)
	v_add_nc_u32_e32 v4, v4, v5
	v_mul_hi_u32 v4, s26, v4
	s_delay_alu instid0(VALU_DEP_1) | instskip(NEXT) | instid1(VALU_DEP_1)
	v_mul_lo_u32 v4, v4, s35
	v_sub_nc_u32_e32 v4, s26, v4
	s_delay_alu instid0(VALU_DEP_1) | instskip(SKIP_1) | instid1(VALU_DEP_2)
	v_subrev_nc_u32_e32 v5, s35, v4
	v_cmp_le_u32_e32 vcc_lo, s35, v4
	v_cndmask_b32_e32 v4, v4, v5, vcc_lo
	s_delay_alu instid0(VALU_DEP_1) | instskip(SKIP_1) | instid1(VALU_DEP_2)
	v_subrev_nc_u32_e32 v5, s35, v4
	v_cmp_le_u32_e32 vcc_lo, s35, v4
	v_cndmask_b32_e32 v12, v4, v5, vcc_lo
	s_delay_alu instid0(VALU_DEP_1)
	v_dual_mov_b32 v4, v12 :: v_dual_mov_b32 v5, v13
.LBB222_239:                            ;   in Loop: Header=BB222_18 Depth=1
	s_delay_alu instid0(VALU_DEP_1) | instskip(NEXT) | instid1(VALU_DEP_2)
	v_sub_co_u32 v4, vcc_lo, s26, v4
	v_sub_co_ci_u32_e32 v5, vcc_lo, s9, v5, vcc_lo
	s_mov_b32 s26, 0
	s_mov_b32 s9, exec_lo
                                        ; implicit-def: $vgpr6
	s_delay_alu instid0(VALU_DEP_1)
	v_cmpx_gt_u64_e64 v[4:5], v[0:1]
	s_cbranch_execz .LBB222_248
; %bb.240:                              ;   in Loop: Header=BB222_18 Depth=1
	v_mov_b32_e32 v12, v25
	v_dual_mov_b32 v7, v1 :: v_dual_mov_b32 v6, v0
                                        ; implicit-def: $sgpr63
	s_branch .LBB222_242
.LBB222_241:                            ;   in Loop: Header=BB222_242 Depth=2
	s_or_b32 exec_lo, exec_lo, s8
	s_waitcnt lgkmcnt(0)
	s_barrier
	buffer_gl0_inv
	ds_load_b32 v18, v13 offset:3072
	v_add_co_u32 v6, vcc_lo, v6, s35
	v_add_co_ci_u32_e32 v7, vcc_lo, 0, v7, vcc_lo
	v_add_nc_u32_e32 v12, s94, v12
	s_waitcnt lgkmcnt(0)
	s_barrier
	s_delay_alu instid0(VALU_DEP_2) | instskip(SKIP_2) | instid1(VALU_DEP_1)
	v_cmp_ge_u64_e32 vcc_lo, v[6:7], v[4:5]
	buffer_gl0_inv
	v_and_b32_e32 v19, 0x7fff, v18
	v_cmp_ne_u16_e64 s8, 0, v19
	s_delay_alu instid0(VALU_DEP_1) | instskip(NEXT) | instid1(SALU_CYCLE_1)
	s_or_b32 s48, vcc_lo, s8
	s_and_b32 s48, exec_lo, s48
	s_delay_alu instid0(SALU_CYCLE_1) | instskip(SKIP_2) | instid1(SALU_CYCLE_1)
	s_or_b32 s26, s48, s26
	s_and_not1_b32 s48, s63, exec_lo
	s_and_b32 s8, s8, exec_lo
	s_or_b32 s63, s48, s8
	s_and_not1_b32 exec_lo, exec_lo, s26
	s_cbranch_execz .LBB222_247
.LBB222_242:                            ;   Parent Loop BB222_18 Depth=1
                                        ; =>  This Inner Loop Header: Depth=2
	s_delay_alu instid0(VALU_DEP_1)
	v_cmp_gt_u64_e32 vcc_lo, s[18:19], v[6:7]
	v_mov_b32_e32 v18, 0
	s_and_saveexec_b32 s8, vcc_lo
	s_cbranch_execz .LBB222_244
; %bb.243:                              ;   in Loop: Header=BB222_242 Depth=2
	ds_load_u16 v18, v12
.LBB222_244:                            ;   in Loop: Header=BB222_242 Depth=2
	s_or_b32 exec_lo, exec_lo, s8
	s_and_saveexec_b32 s8, vcc_lo
	s_cbranch_execz .LBB222_241
; %bb.245:                              ;   in Loop: Header=BB222_242 Depth=2
	s_waitcnt lgkmcnt(0)
	v_cmp_lt_i16_e32 vcc_lo, -1, v18
	v_and_b32_e32 v19, 0xffff, v18
	v_dual_cndmask_b32 v20, 0xffff, v29 :: v_dual_lshlrev_b32 v21, 16, v18
	s_delay_alu instid0(VALU_DEP_1) | instskip(NEXT) | instid1(VALU_DEP_2)
	v_cmp_o_f32_e32 vcc_lo, v21, v21
	v_xor_b32_e32 v19, v20, v19
	s_delay_alu instid0(VALU_DEP_1) | instskip(NEXT) | instid1(VALU_DEP_1)
	v_cndmask_b32_e32 v19, 0xffff, v19, vcc_lo
	v_and_b32_e32 v19, v19, v9
	s_delay_alu instid0(VALU_DEP_1)
	v_cmp_eq_u32_e32 vcc_lo, v19, v8
	s_and_b32 exec_lo, exec_lo, vcc_lo
	s_cbranch_execz .LBB222_241
; %bb.246:                              ;   in Loop: Header=BB222_242 Depth=2
	v_perm_b32 v18, v18, s97, 0x5040100
	ds_store_b32 v13, v18 offset:3072
	s_branch .LBB222_241
.LBB222_247:                            ;   in Loop: Header=BB222_18 Depth=1
	s_or_b32 exec_lo, exec_lo, s26
	v_lshrrev_b32_e32 v6, 16, v18
	s_and_b32 s26, s63, exec_lo
.LBB222_248:                            ;   in Loop: Header=BB222_18 Depth=1
	s_or_b32 exec_lo, exec_lo, s9
	s_mov_b32 s9, -1
	s_mov_b32 s8, 0
.LBB222_249:                            ;   in Loop: Header=BB222_18 Depth=1
	s_delay_alu instid0(SALU_CYCLE_1)
	s_and_b32 vcc_lo, exec_lo, s8
	s_mov_b32 s18, s8
	s_cbranch_vccz .LBB222_265
; %bb.250:                              ;   in Loop: Header=BB222_18 Depth=1
	s_mov_b32 s26, s71
	s_delay_alu instid0(SALU_CYCLE_1)
	s_cmp_lg_u64 s[26:27], 0
	s_cbranch_scc0 .LBB222_252
; %bb.251:                              ;   in Loop: Header=BB222_18 Depth=1
	v_cvt_f32_u32_e32 v4, s35
	s_sub_u32 s18, 0, s35
	s_subb_u32 s19, 0, 0
	s_delay_alu instid0(VALU_DEP_1) | instskip(NEXT) | instid1(VALU_DEP_1)
	v_fmac_f32_e64 v4, 0, 0x4f800000
	v_rcp_f32_e32 v4, v4
	s_waitcnt_depctr 0xfff
	v_mul_f32_e32 v4, 0x5f7ffffc, v4
	s_delay_alu instid0(VALU_DEP_1) | instskip(NEXT) | instid1(VALU_DEP_1)
	v_mul_f32_e32 v5, 0x2f800000, v4
	v_trunc_f32_e32 v5, v5
	s_delay_alu instid0(VALU_DEP_1) | instskip(SKIP_1) | instid1(VALU_DEP_2)
	v_fmac_f32_e32 v4, 0xcf800000, v5
	v_cvt_u32_f32_e32 v5, v5
	v_cvt_u32_f32_e32 v4, v4
	s_delay_alu instid0(VALU_DEP_2) | instskip(NEXT) | instid1(VALU_DEP_2)
	v_readfirstlane_b32 s8, v5
	v_readfirstlane_b32 s9, v4
	s_delay_alu instid0(VALU_DEP_2) | instskip(NEXT) | instid1(VALU_DEP_1)
	s_mul_i32 s26, s18, s8
	s_mul_hi_u32 s49, s18, s9
	s_mul_i32 s48, s19, s9
	s_add_i32 s26, s49, s26
	s_mul_i32 s50, s18, s9
	s_add_i32 s26, s26, s48
	s_mul_hi_u32 s49, s9, s50
	s_mul_hi_u32 s51, s8, s50
	s_mul_i32 s48, s8, s50
	s_mul_hi_u32 s50, s9, s26
	s_mul_i32 s9, s9, s26
	s_mul_hi_u32 s52, s8, s26
	s_add_u32 s9, s49, s9
	s_addc_u32 s49, 0, s50
	s_add_u32 s9, s9, s48
	s_mul_i32 s26, s8, s26
	s_addc_u32 s9, s49, s51
	s_addc_u32 s48, s52, 0
	s_add_u32 s9, s9, s26
	s_addc_u32 s26, 0, s48
	v_add_co_u32 v4, s9, v4, s9
	s_delay_alu instid0(VALU_DEP_1) | instskip(SKIP_1) | instid1(VALU_DEP_1)
	s_cmp_lg_u32 s9, 0
	s_addc_u32 s8, s8, s26
	v_readfirstlane_b32 s9, v4
	s_mul_i32 s26, s18, s8
	s_delay_alu instid0(VALU_DEP_1)
	s_mul_hi_u32 s48, s18, s9
	s_mul_i32 s19, s19, s9
	s_add_i32 s26, s48, s26
	s_mul_i32 s18, s18, s9
	s_add_i32 s26, s26, s19
	s_mul_hi_u32 s48, s8, s18
	s_mul_i32 s49, s8, s18
	s_mul_hi_u32 s18, s9, s18
	s_mul_hi_u32 s50, s9, s26
	s_mul_i32 s9, s9, s26
	s_mul_hi_u32 s19, s8, s26
	s_add_u32 s9, s18, s9
	s_addc_u32 s18, 0, s50
	s_add_u32 s9, s9, s49
	s_mul_i32 s26, s8, s26
	s_addc_u32 s9, s18, s48
	s_addc_u32 s18, s19, 0
	s_add_u32 s9, s9, s26
	s_addc_u32 s18, 0, s18
	v_add_co_u32 v4, s9, v4, s9
	s_delay_alu instid0(VALU_DEP_1) | instskip(SKIP_1) | instid1(VALU_DEP_1)
	s_cmp_lg_u32 s9, 0
	s_addc_u32 s8, s8, s18
	v_readfirstlane_b32 s9, v4
	s_mul_i32 s19, s88, s8
	s_mul_hi_u32 s18, s88, s8
	s_mul_hi_u32 s26, s27, s8
	s_mul_i32 s8, s27, s8
	s_mul_hi_u32 s48, s88, s9
	s_mul_hi_u32 s49, s27, s9
	s_mul_i32 s9, s27, s9
	s_add_u32 s19, s48, s19
	s_addc_u32 s18, 0, s18
	s_add_u32 s9, s19, s9
	s_addc_u32 s9, s18, s49
	s_addc_u32 s18, s26, 0
	s_add_u32 s8, s9, s8
	s_addc_u32 s9, 0, s18
	s_mul_hi_u32 s18, s35, s8
	s_mul_i32 s8, s35, s8
	s_mul_i32 s9, s35, s9
	v_sub_co_u32 v4, s8, s88, s8
	s_add_i32 s18, s18, s9
	s_cmp_lg_u32 s8, 0
	s_delay_alu instid0(VALU_DEP_1) | instskip(SKIP_3) | instid1(VALU_DEP_2)
	v_sub_co_u32 v5, s8, v4, s35
	s_subb_u32 s9, s27, s18
	s_cmp_lg_u32 s8, 0
	v_cmp_le_u32_e32 vcc_lo, s35, v4
	v_cmp_le_u32_e64 s8, s35, v5
	v_sub_co_u32 v6, s18, v5, s35
	s_subb_u32 s19, s9, 0
	s_cmp_lg_u32 s18, 0
	s_delay_alu instid0(VALU_DEP_2)
	v_cndmask_b32_e64 v7, 0, -1, s8
	s_subb_u32 s18, s19, 0
	s_cmp_eq_u32 s19, 0
	v_mov_b32_e32 v18, s18
	v_cndmask_b32_e64 v12, 0, -1, vcc_lo
	s_cselect_b32 vcc_lo, -1, 0
	s_cmp_eq_u32 s9, 0
	v_cndmask_b32_e32 v7, -1, v7, vcc_lo
	s_cselect_b32 vcc_lo, -1, 0
	v_cndmask_b32_e32 v12, -1, v12, vcc_lo
	s_delay_alu instid0(VALU_DEP_2) | instskip(NEXT) | instid1(VALU_DEP_2)
	v_cmp_ne_u32_e32 vcc_lo, 0, v7
	v_cmp_ne_u32_e64 s8, 0, v12
	v_cndmask_b32_e32 v7, s19, v18, vcc_lo
	v_cndmask_b32_e32 v6, v5, v6, vcc_lo
	s_delay_alu instid0(VALU_DEP_2) | instskip(NEXT) | instid1(VALU_DEP_2)
	v_cndmask_b32_e64 v5, s9, v7, s8
	v_cndmask_b32_e64 v4, v4, v6, s8
	s_mov_b32 s8, 0
	s_branch .LBB222_253
.LBB222_252:                            ;   in Loop: Header=BB222_18 Depth=1
	s_mov_b32 s8, -1
                                        ; implicit-def: $vgpr4_vgpr5
.LBB222_253:                            ;   in Loop: Header=BB222_18 Depth=1
	s_delay_alu instid0(SALU_CYCLE_1)
	s_and_not1_b32 vcc_lo, exec_lo, s8
	s_cbranch_vccnz .LBB222_255
; %bb.254:                              ;   in Loop: Header=BB222_18 Depth=1
	v_cvt_f32_u32_e32 v4, s35
	s_sub_i32 s8, 0, s35
	s_delay_alu instid0(VALU_DEP_1) | instskip(SKIP_2) | instid1(VALU_DEP_1)
	v_rcp_iflag_f32_e32 v4, v4
	s_waitcnt_depctr 0xfff
	v_mul_f32_e32 v4, 0x4f7ffffe, v4
	v_cvt_u32_f32_e32 v4, v4
	s_delay_alu instid0(VALU_DEP_1) | instskip(NEXT) | instid1(VALU_DEP_1)
	v_mul_lo_u32 v5, s8, v4
	v_mul_hi_u32 v5, v4, v5
	s_delay_alu instid0(VALU_DEP_1) | instskip(NEXT) | instid1(VALU_DEP_1)
	v_add_nc_u32_e32 v4, v4, v5
	v_mul_hi_u32 v4, s88, v4
	s_delay_alu instid0(VALU_DEP_1) | instskip(NEXT) | instid1(VALU_DEP_1)
	v_mul_lo_u32 v4, v4, s35
	v_sub_nc_u32_e32 v4, s88, v4
	s_delay_alu instid0(VALU_DEP_1) | instskip(SKIP_1) | instid1(VALU_DEP_2)
	v_subrev_nc_u32_e32 v5, s35, v4
	v_cmp_le_u32_e32 vcc_lo, s35, v4
	v_cndmask_b32_e32 v4, v4, v5, vcc_lo
	s_delay_alu instid0(VALU_DEP_1) | instskip(SKIP_1) | instid1(VALU_DEP_2)
	v_subrev_nc_u32_e32 v5, s35, v4
	v_cmp_le_u32_e32 vcc_lo, s35, v4
	v_cndmask_b32_e32 v12, v4, v5, vcc_lo
	s_delay_alu instid0(VALU_DEP_1)
	v_dual_mov_b32 v4, v12 :: v_dual_mov_b32 v5, v13
.LBB222_255:                            ;   in Loop: Header=BB222_18 Depth=1
	s_delay_alu instid0(VALU_DEP_1) | instskip(NEXT) | instid1(VALU_DEP_2)
	v_sub_co_u32 v4, vcc_lo, s88, v4
	v_sub_co_ci_u32_e32 v5, vcc_lo, s27, v5, vcc_lo
	s_mov_b32 s26, 0
	s_mov_b32 s9, exec_lo
                                        ; implicit-def: $vgpr6
	s_delay_alu instid0(VALU_DEP_1)
	v_cmpx_gt_u64_e64 v[4:5], v[0:1]
	s_cbranch_execz .LBB222_264
; %bb.256:                              ;   in Loop: Header=BB222_18 Depth=1
	v_dual_mov_b32 v7, v1 :: v_dual_mov_b32 v6, v0
	s_mov_b32 s18, 0
                                        ; implicit-def: $sgpr19
	s_branch .LBB222_258
.LBB222_257:                            ;   in Loop: Header=BB222_258 Depth=2
	s_or_b32 exec_lo, exec_lo, s8
	s_waitcnt vmcnt(0) lgkmcnt(0)
	s_barrier
	buffer_gl0_inv
	ds_load_b32 v12, v13 offset:3072
	v_add_co_u32 v6, vcc_lo, v6, s35
	v_add_co_ci_u32_e32 v7, vcc_lo, 0, v7, vcc_lo
	s_waitcnt lgkmcnt(0)
	s_barrier
	buffer_gl0_inv
	v_cmp_ge_u64_e32 vcc_lo, v[6:7], v[4:5]
	v_and_b32_e32 v18, 0x7fff, v12
	s_delay_alu instid0(VALU_DEP_1) | instskip(NEXT) | instid1(VALU_DEP_1)
	v_cmp_ne_u16_e64 s8, 0, v18
	s_or_b32 s26, vcc_lo, s8
	s_delay_alu instid0(SALU_CYCLE_1) | instskip(NEXT) | instid1(SALU_CYCLE_1)
	s_and_b32 s26, exec_lo, s26
	s_or_b32 s18, s26, s18
	s_and_not1_b32 s19, s19, exec_lo
	s_and_b32 s8, s8, exec_lo
	s_delay_alu instid0(SALU_CYCLE_1)
	s_or_b32 s19, s19, s8
	s_and_not1_b32 exec_lo, exec_lo, s18
	s_cbranch_execz .LBB222_263
.LBB222_258:                            ;   Parent Loop BB222_18 Depth=1
                                        ; =>  This Inner Loop Header: Depth=2
	s_delay_alu instid0(VALU_DEP_1)
	v_cmp_gt_u64_e32 vcc_lo, s[36:37], v[6:7]
	v_mov_b32_e32 v12, 0
	s_and_saveexec_b32 s26, vcc_lo
	s_cbranch_execz .LBB222_260
; %bb.259:                              ;   in Loop: Header=BB222_258 Depth=2
	v_mul_lo_u32 v12, v7, s30
	v_mul_lo_u32 v20, v6, s31
	v_mad_u64_u32 v[18:19], null, v6, s30, 0
	s_delay_alu instid0(VALU_DEP_1) | instskip(NEXT) | instid1(VALU_DEP_1)
	v_add3_u32 v19, v19, v20, v12
	v_lshlrev_b64 v[18:19], 1, v[18:19]
	s_delay_alu instid0(VALU_DEP_1) | instskip(NEXT) | instid1(VALU_DEP_1)
	v_add_co_u32 v18, s8, s29, v18
	v_add_co_ci_u32_e64 v19, s8, s33, v19, s8
	global_load_u16 v12, v[18:19], off
.LBB222_260:                            ;   in Loop: Header=BB222_258 Depth=2
	s_or_b32 exec_lo, exec_lo, s26
	s_and_saveexec_b32 s8, vcc_lo
	s_cbranch_execz .LBB222_257
; %bb.261:                              ;   in Loop: Header=BB222_258 Depth=2
	s_waitcnt vmcnt(0)
	v_cmp_lt_i16_e32 vcc_lo, -1, v12
	v_and_b32_e32 v18, 0xffff, v12
	v_dual_cndmask_b32 v19, 0xffff, v29 :: v_dual_lshlrev_b32 v20, 16, v12
	s_delay_alu instid0(VALU_DEP_1) | instskip(NEXT) | instid1(VALU_DEP_2)
	v_cmp_o_f32_e32 vcc_lo, v20, v20
	v_xor_b32_e32 v18, v19, v18
	s_delay_alu instid0(VALU_DEP_1) | instskip(NEXT) | instid1(VALU_DEP_1)
	v_cndmask_b32_e32 v18, 0xffff, v18, vcc_lo
	v_and_b32_e32 v18, v18, v9
	s_delay_alu instid0(VALU_DEP_1)
	v_cmp_eq_u32_e32 vcc_lo, v18, v8
	s_and_b32 exec_lo, exec_lo, vcc_lo
	s_cbranch_execz .LBB222_257
; %bb.262:                              ;   in Loop: Header=BB222_258 Depth=2
	v_perm_b32 v12, v12, s97, 0x5040100
	ds_store_b32 v13, v12 offset:3072
	s_branch .LBB222_257
.LBB222_263:                            ;   in Loop: Header=BB222_18 Depth=1
	s_or_b32 exec_lo, exec_lo, s18
	v_lshrrev_b32_e32 v6, 16, v12
	s_and_b32 s26, s19, exec_lo
.LBB222_264:                            ;   in Loop: Header=BB222_18 Depth=1
	s_or_b32 exec_lo, exec_lo, s9
	s_mov_b32 s18, -1
	s_mov_b32 s8, 0
	s_mov_b32 s9, 0
.LBB222_265:                            ;   in Loop: Header=BB222_18 Depth=1
	s_or_not1_b32 s26, s26, exec_lo
.LBB222_266:                            ;   in Loop: Header=BB222_18 Depth=1
	s_or_b32 exec_lo, exec_lo, s62
	s_mov_b32 s62, 0
                                        ; implicit-def: $vgpr7
                                        ; implicit-def: $vgpr4_vgpr5
	s_and_saveexec_b32 s19, s26
	s_cbranch_execz .LBB222_278
; %bb.267:                              ;   in Loop: Header=BB222_18 Depth=1
	v_dual_mov_b32 v4, 1 :: v_dual_mov_b32 v7, 1
	v_mov_b32_e32 v5, 0
	s_xor_b32 s48, s61, -1
	s_delay_alu instid0(SALU_CYCLE_1)
	s_and_saveexec_b32 s26, s48
	s_cbranch_execz .LBB222_277
; %bb.268:                              ;   in Loop: Header=BB222_18 Depth=1
                                        ; implicit-def: $sgpr62
	s_mov_b32 s48, exec_lo
	v_cmpx_ge_u64_e64 s[16:17], v[2:3]
	s_xor_b32 s61, exec_lo, s48
	s_cbranch_execz .LBB222_274
; %bb.269:                              ;   in Loop: Header=BB222_18 Depth=1
	ds_load_b64 v[4:5], v13 offset:5120
	s_waitcnt lgkmcnt(0)
	v_cmp_ne_u64_e32 vcc_lo, 0, v[4:5]
	s_cbranch_vccnz .LBB222_273
; %bb.270:                              ;   in Loop: Header=BB222_18 Depth=1
	s_and_saveexec_b32 s62, s5
	s_cbranch_execz .LBB222_272
; %bb.271:                              ;   in Loop: Header=BB222_18 Depth=1
	v_dual_mov_b32 v4, s16 :: v_dual_mov_b32 v5, s17
	ds_store_b64 v13, v[4:5] offset:5128
.LBB222_272:                            ;   in Loop: Header=BB222_18 Depth=1
	s_or_b32 exec_lo, exec_lo, s62
	s_waitcnt lgkmcnt(0)
	s_barrier
	buffer_gl0_inv
.LBB222_273:                            ;   in Loop: Header=BB222_18 Depth=1
	v_or_b32_e32 v8, s20, v8
	v_or_b32_e32 v9, s20, v9
	s_mov_b32 s62, 8
.LBB222_274:                            ;   in Loop: Header=BB222_18 Depth=1
	s_or_saveexec_b32 s61, s61
	v_mov_b32_e32 v7, s62
	s_xor_b32 exec_lo, exec_lo, s61
; %bb.275:                              ;   in Loop: Header=BB222_18 Depth=1
	v_sub_co_u32 v2, vcc_lo, v2, s16
	v_subrev_co_ci_u32_e32 v3, vcc_lo, s17, v3, vcc_lo
	v_mov_b32_e32 v7, 8
; %bb.276:                              ;   in Loop: Header=BB222_18 Depth=1
	s_or_b32 exec_lo, exec_lo, s61
	s_delay_alu instid0(VALU_DEP_2)
	v_dual_mov_b32 v5, v3 :: v_dual_mov_b32 v4, v2
.LBB222_277:                            ;   in Loop: Header=BB222_18 Depth=1
	s_or_b32 exec_lo, exec_lo, s26
	s_delay_alu instid0(SALU_CYCLE_1)
	s_mov_b32 s62, exec_lo
.LBB222_278:                            ;   in Loop: Header=BB222_18 Depth=1
	s_or_b32 exec_lo, exec_lo, s19
	s_delay_alu instid0(VALU_DEP_1)
	v_dual_mov_b32 v2, v4 :: v_dual_mov_b32 v3, v5
	s_or_not1_b32 s19, s62, exec_lo
.LBB222_279:                            ;   in Loop: Header=BB222_18 Depth=1
	s_or_b32 exec_lo, exec_lo, s60
	s_delay_alu instid0(SALU_CYCLE_1)
	s_and_not1_b32 s26, s80, exec_lo
	s_and_b32 s8, s8, exec_lo
	v_dual_mov_b32 v5, v3 :: v_dual_mov_b32 v4, v2
	s_or_b32 s80, s26, s8
	s_and_not1_b32 s8, s82, exec_lo
	s_and_b32 s18, s18, exec_lo
	s_and_not1_b32 s26, s81, exec_lo
	s_and_b32 s9, s9, exec_lo
	s_or_b32 s82, s8, s18
	s_or_b32 s81, s26, s9
	s_and_b32 s26, s19, exec_lo
.LBB222_280:                            ;   in Loop: Header=BB222_18 Depth=1
	s_or_b32 exec_lo, exec_lo, s83
	s_delay_alu instid0(SALU_CYCLE_1)
	s_and_b32 s19, s80, exec_lo
	s_and_b32 s18, s82, exec_lo
	;; [unrolled: 1-line block ×3, first 2 shown]
	s_or_not1_b32 s8, s26, exec_lo
.LBB222_281:                            ;   in Loop: Header=BB222_18 Depth=1
	s_or_b32 exec_lo, exec_lo, s79
	s_delay_alu instid0(SALU_CYCLE_1)
	s_and_not1_b32 s25, s25, exec_lo
	s_and_b32 s19, s19, exec_lo
	v_dual_mov_b32 v2, v4 :: v_dual_mov_b32 v3, v5
	s_or_b32 s25, s25, s19
	s_and_not1_b32 s19, s77, exec_lo
	s_and_b32 s18, s18, exec_lo
	s_and_not1_b32 s26, s76, exec_lo
	s_and_b32 s9, s9, exec_lo
	s_or_b32 s77, s19, s18
	s_or_b32 s76, s26, s9
	s_and_b32 s26, s8, exec_lo
.LBB222_282:                            ;   in Loop: Header=BB222_18 Depth=1
	s_or_b32 exec_lo, exec_lo, s78
	s_delay_alu instid0(SALU_CYCLE_1)
	s_and_b32 s19, s25, exec_lo
	s_and_b32 s18, s77, exec_lo
	;; [unrolled: 1-line block ×3, first 2 shown]
	s_or_not1_b32 s25, s26, exec_lo
.LBB222_283:                            ;   in Loop: Header=BB222_18 Depth=1
	s_or_b32 exec_lo, exec_lo, s24
	s_mov_b32 s8, 0
	s_mov_b32 s24, 0
	s_and_saveexec_b32 s26, s25
	s_delay_alu instid0(SALU_CYCLE_1)
	s_xor_b32 s25, exec_lo, s26
; %bb.284:                              ;   in Loop: Header=BB222_18 Depth=1
	v_cmp_ne_u32_e32 vcc_lo, 8, v7
	v_cmp_eq_u32_e64 s8, 8, v7
	s_and_not1_b32 s19, s19, exec_lo
	s_and_not1_b32 s18, s18, exec_lo
	;; [unrolled: 1-line block ×3, first 2 shown]
	s_and_b32 s24, vcc_lo, exec_lo
	s_and_b32 s8, s8, exec_lo
; %bb.285:                              ;   in Loop: Header=BB222_18 Depth=1
	s_or_b32 exec_lo, exec_lo, s25
	s_delay_alu instid0(SALU_CYCLE_1)
	s_and_not1_b32 s23, s23, exec_lo
	s_and_b32 s19, s19, exec_lo
	s_and_b32 s18, s18, exec_lo
	s_or_b32 s23, s23, s19
	s_and_not1_b32 s19, s70, exec_lo
	s_and_not1_b32 s25, s69, exec_lo
	s_and_b32 s9, s9, exec_lo
	s_or_b32 s70, s19, s18
	s_or_b32 s69, s25, s9
	s_and_b32 s24, s24, exec_lo
	s_and_b32 s25, s8, exec_lo
.LBB222_286:                            ;   in Loop: Header=BB222_18 Depth=1
	s_or_b32 exec_lo, exec_lo, s75
	s_delay_alu instid0(SALU_CYCLE_1)
	s_and_b32 vcc_lo, exec_lo, s74
	s_cbranch_vccz .LBB222_105
.LBB222_287:                            ;   in Loop: Header=BB222_18 Depth=1
	s_cmp_eq_u64 s[16:17], 1
                                        ; implicit-def: $sgpr18
                                        ; implicit-def: $sgpr19
                                        ; implicit-def: $sgpr23
	s_cselect_b32 s8, -1, 0
	s_delay_alu instid0(SALU_CYCLE_1)
	s_and_b32 s60, s8, s7
	s_mov_b32 s7, -1
	s_and_saveexec_b32 s61, s60
	s_cbranch_execz .LBB222_319
; %bb.288:                              ;   in Loop: Header=BB222_18 Depth=1
	ds_load_b64 v[2:3], v13 offset:5120
	s_waitcnt lgkmcnt(0)
	s_barrier
	buffer_gl0_inv
	v_readfirstlane_b32 s8, v2
	v_readfirstlane_b32 s9, v3
	s_and_saveexec_b32 s7, s6
	s_cbranch_execz .LBB222_290
; %bb.289:                              ;   in Loop: Header=BB222_18 Depth=1
	ds_store_b16 v26, v13
.LBB222_290:                            ;   in Loop: Header=BB222_18 Depth=1
	s_or_b32 exec_lo, exec_lo, s7
	v_or_b32_e32 v31, s20, v31
	v_or_b32_e32 v30, s20, v30
	s_cmp_eq_u64 s[8:9], 0
	s_waitcnt lgkmcnt(0)
	s_barrier
	buffer_gl0_inv
	s_cbranch_scc1 .LBB222_302
; %bb.291:                              ;   in Loop: Header=BB222_18 Depth=1
	s_add_u32 s23, s86, s8
	s_addc_u32 s19, s87, s9
	s_mov_b32 s18, s71
	s_delay_alu instid0(SALU_CYCLE_1)
	s_cmp_lg_u64 s[18:19], 0
	s_cbranch_scc0 .LBB222_346
; %bb.292:                              ;   in Loop: Header=BB222_18 Depth=1
	v_cvt_f32_u32_e32 v2, s35
	s_sub_u32 s26, 0, s35
	s_subb_u32 s62, 0, 0
	s_delay_alu instid0(VALU_DEP_1) | instskip(NEXT) | instid1(VALU_DEP_1)
	v_fmac_f32_e64 v2, 0, 0x4f800000
	v_rcp_f32_e32 v2, v2
	s_waitcnt_depctr 0xfff
	v_mul_f32_e32 v2, 0x5f7ffffc, v2
	s_delay_alu instid0(VALU_DEP_1) | instskip(NEXT) | instid1(VALU_DEP_1)
	v_mul_f32_e32 v3, 0x2f800000, v2
	v_trunc_f32_e32 v3, v3
	s_delay_alu instid0(VALU_DEP_1) | instskip(SKIP_1) | instid1(VALU_DEP_2)
	v_fmac_f32_e32 v2, 0xcf800000, v3
	v_cvt_u32_f32_e32 v3, v3
	v_cvt_u32_f32_e32 v2, v2
	s_delay_alu instid0(VALU_DEP_2) | instskip(NEXT) | instid1(VALU_DEP_2)
	v_readfirstlane_b32 s7, v3
	v_readfirstlane_b32 s18, v2
	s_delay_alu instid0(VALU_DEP_2) | instskip(NEXT) | instid1(VALU_DEP_1)
	s_mul_i32 s63, s26, s7
	s_mul_hi_u32 s70, s26, s18
	s_mul_i32 s69, s62, s18
	s_add_i32 s63, s70, s63
	s_mul_i32 s74, s26, s18
	s_add_i32 s63, s63, s69
	s_mul_hi_u32 s70, s18, s74
	s_mul_hi_u32 s75, s7, s74
	s_mul_i32 s69, s7, s74
	s_mul_hi_u32 s74, s18, s63
	s_mul_i32 s18, s18, s63
	s_mul_hi_u32 s76, s7, s63
	s_add_u32 s18, s70, s18
	s_addc_u32 s70, 0, s74
	s_add_u32 s18, s18, s69
	s_mul_i32 s63, s7, s63
	s_addc_u32 s18, s70, s75
	s_addc_u32 s69, s76, 0
	s_add_u32 s18, s18, s63
	s_addc_u32 s63, 0, s69
	v_add_co_u32 v2, s18, v2, s18
	s_delay_alu instid0(VALU_DEP_1) | instskip(SKIP_1) | instid1(VALU_DEP_1)
	s_cmp_lg_u32 s18, 0
	s_addc_u32 s7, s7, s63
	v_readfirstlane_b32 s18, v2
	s_mul_i32 s63, s26, s7
	s_delay_alu instid0(VALU_DEP_1)
	s_mul_hi_u32 s69, s26, s18
	s_mul_i32 s62, s62, s18
	s_add_i32 s63, s69, s63
	s_mul_i32 s26, s26, s18
	s_add_i32 s63, s63, s62
	s_mul_hi_u32 s69, s7, s26
	s_mul_i32 s70, s7, s26
	s_mul_hi_u32 s26, s18, s26
	s_mul_hi_u32 s74, s18, s63
	s_mul_i32 s18, s18, s63
	s_mul_hi_u32 s62, s7, s63
	s_add_u32 s18, s26, s18
	s_addc_u32 s26, 0, s74
	s_add_u32 s18, s18, s70
	s_mul_i32 s63, s7, s63
	s_addc_u32 s18, s26, s69
	s_addc_u32 s26, s62, 0
	s_add_u32 s18, s18, s63
	s_addc_u32 s26, 0, s26
	v_add_co_u32 v2, s18, v2, s18
	s_delay_alu instid0(VALU_DEP_1) | instskip(SKIP_1) | instid1(VALU_DEP_1)
	s_cmp_lg_u32 s18, 0
	s_addc_u32 s7, s7, s26
	v_readfirstlane_b32 s18, v2
	s_mul_i32 s62, s23, s7
	s_mul_hi_u32 s26, s23, s7
	s_mul_hi_u32 s63, s19, s7
	s_mul_i32 s7, s19, s7
	s_mul_hi_u32 s69, s23, s18
	s_mul_hi_u32 s70, s19, s18
	s_mul_i32 s18, s19, s18
	s_add_u32 s62, s69, s62
	s_addc_u32 s26, 0, s26
	s_add_u32 s18, s62, s18
	s_addc_u32 s18, s26, s70
	s_addc_u32 s26, s63, 0
	s_add_u32 s7, s18, s7
	s_addc_u32 s18, 0, s26
	s_mul_hi_u32 s26, s35, s7
	s_mul_i32 s7, s35, s7
	s_mul_i32 s18, s35, s18
	v_sub_co_u32 v2, s7, s23, s7
	s_add_i32 s26, s26, s18
	s_cmp_lg_u32 s7, 0
	s_delay_alu instid0(VALU_DEP_1) | instskip(SKIP_3) | instid1(VALU_DEP_2)
	v_sub_co_u32 v3, s7, v2, s35
	s_subb_u32 s18, s19, s26
	s_cmp_lg_u32 s7, 0
	v_cmp_le_u32_e32 vcc_lo, s35, v2
	v_cmp_le_u32_e64 s7, s35, v3
	v_sub_co_u32 v4, s26, v3, s35
	s_subb_u32 s62, s18, 0
	s_cmp_lg_u32 s26, 0
	s_delay_alu instid0(VALU_DEP_2)
	v_cndmask_b32_e64 v5, 0, -1, s7
	s_subb_u32 s26, s62, 0
	s_cmp_eq_u32 s62, 0
	v_mov_b32_e32 v7, s26
	v_cndmask_b32_e64 v6, 0, -1, vcc_lo
	s_cselect_b32 vcc_lo, -1, 0
	s_cmp_eq_u32 s18, 0
	v_cndmask_b32_e32 v5, -1, v5, vcc_lo
	s_cselect_b32 vcc_lo, -1, 0
	v_cndmask_b32_e32 v6, -1, v6, vcc_lo
	s_delay_alu instid0(VALU_DEP_2) | instskip(NEXT) | instid1(VALU_DEP_2)
	v_cmp_ne_u32_e32 vcc_lo, 0, v5
	v_cmp_ne_u32_e64 s7, 0, v6
	v_cndmask_b32_e32 v5, s62, v7, vcc_lo
	v_cndmask_b32_e32 v4, v3, v4, vcc_lo
	s_delay_alu instid0(VALU_DEP_2) | instskip(NEXT) | instid1(VALU_DEP_2)
	v_cndmask_b32_e64 v3, s18, v5, s7
	v_cndmask_b32_e64 v2, v2, v4, s7
	s_cbranch_execnz .LBB222_294
.LBB222_293:                            ;   in Loop: Header=BB222_18 Depth=1
	v_cvt_f32_u32_e32 v2, s35
	s_sub_i32 s7, 0, s35
	s_delay_alu instid0(VALU_DEP_1) | instskip(SKIP_2) | instid1(VALU_DEP_1)
	v_rcp_iflag_f32_e32 v2, v2
	s_waitcnt_depctr 0xfff
	v_mul_f32_e32 v2, 0x4f7ffffe, v2
	v_cvt_u32_f32_e32 v2, v2
	s_delay_alu instid0(VALU_DEP_1) | instskip(NEXT) | instid1(VALU_DEP_1)
	v_mul_lo_u32 v3, s7, v2
	v_mul_hi_u32 v3, v2, v3
	s_delay_alu instid0(VALU_DEP_1) | instskip(NEXT) | instid1(VALU_DEP_1)
	v_add_nc_u32_e32 v2, v2, v3
	v_mul_hi_u32 v2, s23, v2
	s_delay_alu instid0(VALU_DEP_1) | instskip(NEXT) | instid1(VALU_DEP_1)
	v_mul_lo_u32 v2, v2, s35
	v_sub_nc_u32_e32 v2, s23, v2
	s_delay_alu instid0(VALU_DEP_1) | instskip(SKIP_1) | instid1(VALU_DEP_2)
	v_subrev_nc_u32_e32 v3, s35, v2
	v_cmp_le_u32_e32 vcc_lo, s35, v2
	v_cndmask_b32_e32 v2, v2, v3, vcc_lo
	s_delay_alu instid0(VALU_DEP_1) | instskip(SKIP_1) | instid1(VALU_DEP_2)
	v_subrev_nc_u32_e32 v3, s35, v2
	v_cmp_le_u32_e32 vcc_lo, s35, v2
	v_cndmask_b32_e32 v12, v2, v3, vcc_lo
	s_delay_alu instid0(VALU_DEP_1)
	v_dual_mov_b32 v2, v12 :: v_dual_mov_b32 v3, v13
.LBB222_294:                            ;   in Loop: Header=BB222_18 Depth=1
	s_delay_alu instid0(VALU_DEP_1) | instskip(NEXT) | instid1(VALU_DEP_2)
	v_sub_co_u32 v2, vcc_lo, s23, v2
	v_sub_co_ci_u32_e32 v3, vcc_lo, s19, v3, vcc_lo
	s_mov_b32 s7, 0
	s_mov_b32 s18, exec_lo
                                        ; implicit-def: $vgpr32
	s_delay_alu instid0(VALU_DEP_1)
	v_cmpx_gt_u64_e64 v[2:3], v[0:1]
	s_cbranch_execz .LBB222_304
; %bb.295:                              ;   in Loop: Header=BB222_18 Depth=1
	v_mov_b32_e32 v6, v25
	v_dual_mov_b32 v5, v1 :: v_dual_mov_b32 v4, v0
	s_mov_b32 s19, 0
                                        ; implicit-def: $sgpr23
	s_branch .LBB222_297
.LBB222_296:                            ;   in Loop: Header=BB222_297 Depth=2
	s_or_b32 exec_lo, exec_lo, s7
	s_waitcnt lgkmcnt(0)
	s_barrier
	buffer_gl0_inv
	ds_load_b32 v7, v13 offset:3072
	v_add_co_u32 v4, vcc_lo, v4, s35
	v_add_co_ci_u32_e32 v5, vcc_lo, 0, v5, vcc_lo
	v_add_nc_u32_e32 v6, s94, v6
	s_waitcnt lgkmcnt(0)
	s_barrier
	s_delay_alu instid0(VALU_DEP_2) | instskip(SKIP_2) | instid1(VALU_DEP_1)
	v_cmp_ge_u64_e32 vcc_lo, v[4:5], v[2:3]
	buffer_gl0_inv
	v_and_b32_e32 v8, 0x7fff, v7
	v_cmp_ne_u16_e64 s7, 0, v8
	s_delay_alu instid0(VALU_DEP_1) | instskip(NEXT) | instid1(SALU_CYCLE_1)
	s_or_b32 s26, vcc_lo, s7
	s_and_b32 s26, exec_lo, s26
	s_delay_alu instid0(SALU_CYCLE_1) | instskip(SKIP_2) | instid1(SALU_CYCLE_1)
	s_or_b32 s19, s26, s19
	s_and_not1_b32 s23, s23, exec_lo
	s_and_b32 s7, s7, exec_lo
	s_or_b32 s23, s23, s7
	s_and_not1_b32 exec_lo, exec_lo, s19
	s_cbranch_execz .LBB222_303
.LBB222_297:                            ;   Parent Loop BB222_18 Depth=1
                                        ; =>  This Inner Loop Header: Depth=2
	s_delay_alu instid0(VALU_DEP_1)
	v_cmp_gt_u64_e32 vcc_lo, s[8:9], v[4:5]
	v_mov_b32_e32 v7, 0
	s_and_saveexec_b32 s7, vcc_lo
	s_cbranch_execz .LBB222_299
; %bb.298:                              ;   in Loop: Header=BB222_297 Depth=2
	ds_load_u16 v7, v6
.LBB222_299:                            ;   in Loop: Header=BB222_297 Depth=2
	s_or_b32 exec_lo, exec_lo, s7
	s_and_saveexec_b32 s7, vcc_lo
	s_cbranch_execz .LBB222_296
; %bb.300:                              ;   in Loop: Header=BB222_297 Depth=2
	s_waitcnt lgkmcnt(0)
	v_cmp_lt_i16_e32 vcc_lo, -1, v7
	v_and_b32_e32 v8, 0xffff, v7
	v_dual_cndmask_b32 v9, 0xffff, v29 :: v_dual_lshlrev_b32 v12, 16, v7
	s_delay_alu instid0(VALU_DEP_1) | instskip(NEXT) | instid1(VALU_DEP_2)
	v_cmp_o_f32_e32 vcc_lo, v12, v12
	v_xor_b32_e32 v8, v9, v8
	s_delay_alu instid0(VALU_DEP_1) | instskip(NEXT) | instid1(VALU_DEP_1)
	v_cndmask_b32_e32 v8, 0xffff, v8, vcc_lo
	v_and_b32_e32 v8, v8, v30
	s_delay_alu instid0(VALU_DEP_1)
	v_cmp_eq_u32_e32 vcc_lo, v8, v31
	s_and_b32 exec_lo, exec_lo, vcc_lo
	s_cbranch_execz .LBB222_296
; %bb.301:                              ;   in Loop: Header=BB222_297 Depth=2
	v_perm_b32 v7, v7, s97, 0x5040100
	ds_store_b32 v13, v7 offset:3072
	s_branch .LBB222_296
.LBB222_302:                            ;   in Loop: Header=BB222_18 Depth=1
	s_mov_b32 s18, -1
	s_mov_b32 s7, 0
                                        ; implicit-def: $sgpr19
                                        ; implicit-def: $vgpr32
	s_mov_b32 s23, s18
	s_cbranch_execnz .LBB222_305
	s_branch .LBB222_318
.LBB222_303:                            ;   in Loop: Header=BB222_18 Depth=1
	s_or_b32 exec_lo, exec_lo, s19
	v_lshrrev_b32_e32 v32, 16, v7
	s_and_b32 s7, s23, exec_lo
.LBB222_304:                            ;   in Loop: Header=BB222_18 Depth=1
	s_or_b32 exec_lo, exec_lo, s18
	s_mov_b32 s18, 0
	s_mov_b32 s19, -1
	s_mov_b32 s23, s18
	s_branch .LBB222_318
.LBB222_305:                            ;   in Loop: Header=BB222_18 Depth=1
	s_mov_b32 s26, s71
	s_delay_alu instid0(SALU_CYCLE_1)
	s_cmp_lg_u64 s[26:27], 0
	s_cbranch_scc0 .LBB222_347
; %bb.306:                              ;   in Loop: Header=BB222_18 Depth=1
	v_cvt_f32_u32_e32 v2, s35
	s_sub_u32 s9, 0, s35
	s_subb_u32 s18, 0, 0
	s_delay_alu instid0(VALU_DEP_1) | instskip(NEXT) | instid1(VALU_DEP_1)
	v_fmac_f32_e64 v2, 0, 0x4f800000
	v_rcp_f32_e32 v2, v2
	s_waitcnt_depctr 0xfff
	v_mul_f32_e32 v2, 0x5f7ffffc, v2
	s_delay_alu instid0(VALU_DEP_1) | instskip(NEXT) | instid1(VALU_DEP_1)
	v_mul_f32_e32 v3, 0x2f800000, v2
	v_trunc_f32_e32 v3, v3
	s_delay_alu instid0(VALU_DEP_1) | instskip(SKIP_1) | instid1(VALU_DEP_2)
	v_fmac_f32_e32 v2, 0xcf800000, v3
	v_cvt_u32_f32_e32 v3, v3
	v_cvt_u32_f32_e32 v2, v2
	s_delay_alu instid0(VALU_DEP_2) | instskip(NEXT) | instid1(VALU_DEP_2)
	v_readfirstlane_b32 s7, v3
	v_readfirstlane_b32 s8, v2
	s_delay_alu instid0(VALU_DEP_2) | instskip(NEXT) | instid1(VALU_DEP_1)
	s_mul_i32 s19, s9, s7
	s_mul_hi_u32 s26, s9, s8
	s_mul_i32 s23, s18, s8
	s_add_i32 s19, s26, s19
	s_mul_i32 s62, s9, s8
	s_add_i32 s19, s19, s23
	s_mul_hi_u32 s26, s8, s62
	s_mul_hi_u32 s63, s7, s62
	s_mul_i32 s23, s7, s62
	s_mul_hi_u32 s62, s8, s19
	s_mul_i32 s8, s8, s19
	s_mul_hi_u32 s69, s7, s19
	s_add_u32 s8, s26, s8
	s_addc_u32 s26, 0, s62
	s_add_u32 s8, s8, s23
	s_mul_i32 s19, s7, s19
	s_addc_u32 s8, s26, s63
	s_addc_u32 s23, s69, 0
	s_add_u32 s8, s8, s19
	s_addc_u32 s19, 0, s23
	v_add_co_u32 v2, s8, v2, s8
	s_delay_alu instid0(VALU_DEP_1) | instskip(SKIP_1) | instid1(VALU_DEP_1)
	s_cmp_lg_u32 s8, 0
	s_addc_u32 s7, s7, s19
	v_readfirstlane_b32 s8, v2
	s_mul_i32 s19, s9, s7
	s_delay_alu instid0(VALU_DEP_1)
	s_mul_hi_u32 s23, s9, s8
	s_mul_i32 s18, s18, s8
	s_add_i32 s19, s23, s19
	s_mul_i32 s9, s9, s8
	s_add_i32 s19, s19, s18
	s_mul_hi_u32 s23, s7, s9
	s_mul_i32 s26, s7, s9
	s_mul_hi_u32 s9, s8, s9
	s_mul_hi_u32 s62, s8, s19
	s_mul_i32 s8, s8, s19
	s_mul_hi_u32 s18, s7, s19
	s_add_u32 s8, s9, s8
	s_addc_u32 s9, 0, s62
	s_add_u32 s8, s8, s26
	s_mul_i32 s19, s7, s19
	s_addc_u32 s8, s9, s23
	s_addc_u32 s9, s18, 0
	s_add_u32 s8, s8, s19
	s_addc_u32 s9, 0, s9
	v_add_co_u32 v2, s8, v2, s8
	s_delay_alu instid0(VALU_DEP_1) | instskip(SKIP_1) | instid1(VALU_DEP_1)
	s_cmp_lg_u32 s8, 0
	s_addc_u32 s7, s7, s9
	v_readfirstlane_b32 s8, v2
	s_mul_i32 s18, s88, s7
	s_mul_hi_u32 s9, s88, s7
	s_mul_hi_u32 s19, s27, s7
	s_mul_i32 s7, s27, s7
	s_mul_hi_u32 s23, s88, s8
	s_mul_hi_u32 s26, s27, s8
	s_mul_i32 s8, s27, s8
	s_add_u32 s18, s23, s18
	s_addc_u32 s9, 0, s9
	s_add_u32 s8, s18, s8
	s_addc_u32 s8, s9, s26
	s_addc_u32 s9, s19, 0
	s_add_u32 s7, s8, s7
	s_addc_u32 s8, 0, s9
	s_mul_hi_u32 s9, s35, s7
	s_mul_i32 s7, s35, s7
	s_mul_i32 s8, s35, s8
	v_sub_co_u32 v2, s7, s88, s7
	s_add_i32 s9, s9, s8
	s_cmp_lg_u32 s7, 0
	s_delay_alu instid0(VALU_DEP_1) | instskip(SKIP_2) | instid1(VALU_DEP_1)
	v_sub_co_u32 v3, s7, v2, s35
	s_subb_u32 s8, s27, s9
	s_cmp_lg_u32 s7, 0
	v_cmp_le_u32_e32 vcc_lo, s35, v3
	v_sub_co_u32 v4, s7, v3, s35
	s_subb_u32 s9, s8, 0
	s_cmp_lg_u32 s7, 0
	v_cndmask_b32_e64 v5, 0, -1, vcc_lo
	s_subb_u32 s7, s9, 0
	s_cmp_eq_u32 s9, 0
	v_mov_b32_e32 v7, s7
	s_cselect_b32 vcc_lo, -1, 0
	s_cmp_eq_u32 s8, 0
	v_cndmask_b32_e32 v5, -1, v5, vcc_lo
	v_cmp_le_u32_e32 vcc_lo, s35, v2
	s_cselect_b32 s7, -1, 0
	v_cndmask_b32_e64 v6, 0, -1, vcc_lo
	s_delay_alu instid0(VALU_DEP_3) | instskip(NEXT) | instid1(VALU_DEP_2)
	v_cmp_ne_u32_e32 vcc_lo, 0, v5
	v_cndmask_b32_e64 v5, -1, v6, s7
	v_cndmask_b32_e32 v6, s9, v7, vcc_lo
	v_cndmask_b32_e32 v4, v3, v4, vcc_lo
	s_delay_alu instid0(VALU_DEP_3) | instskip(NEXT) | instid1(VALU_DEP_3)
	v_cmp_ne_u32_e32 vcc_lo, 0, v5
	v_cndmask_b32_e32 v3, s8, v6, vcc_lo
	s_delay_alu instid0(VALU_DEP_3)
	v_cndmask_b32_e32 v2, v2, v4, vcc_lo
	s_cbranch_execnz .LBB222_308
.LBB222_307:                            ;   in Loop: Header=BB222_18 Depth=1
	v_cvt_f32_u32_e32 v2, s35
	s_sub_i32 s7, 0, s35
	s_delay_alu instid0(VALU_DEP_1) | instskip(SKIP_2) | instid1(VALU_DEP_1)
	v_rcp_iflag_f32_e32 v2, v2
	s_waitcnt_depctr 0xfff
	v_mul_f32_e32 v2, 0x4f7ffffe, v2
	v_cvt_u32_f32_e32 v2, v2
	s_delay_alu instid0(VALU_DEP_1) | instskip(NEXT) | instid1(VALU_DEP_1)
	v_mul_lo_u32 v3, s7, v2
	v_mul_hi_u32 v3, v2, v3
	s_delay_alu instid0(VALU_DEP_1) | instskip(NEXT) | instid1(VALU_DEP_1)
	v_add_nc_u32_e32 v2, v2, v3
	v_mul_hi_u32 v2, s88, v2
	s_delay_alu instid0(VALU_DEP_1) | instskip(NEXT) | instid1(VALU_DEP_1)
	v_mul_lo_u32 v2, v2, s35
	v_sub_nc_u32_e32 v2, s88, v2
	s_delay_alu instid0(VALU_DEP_1) | instskip(SKIP_1) | instid1(VALU_DEP_2)
	v_subrev_nc_u32_e32 v3, s35, v2
	v_cmp_le_u32_e32 vcc_lo, s35, v2
	v_cndmask_b32_e32 v2, v2, v3, vcc_lo
	s_delay_alu instid0(VALU_DEP_1) | instskip(SKIP_1) | instid1(VALU_DEP_2)
	v_subrev_nc_u32_e32 v3, s35, v2
	v_cmp_le_u32_e32 vcc_lo, s35, v2
	v_cndmask_b32_e32 v12, v2, v3, vcc_lo
	s_delay_alu instid0(VALU_DEP_1)
	v_dual_mov_b32 v2, v12 :: v_dual_mov_b32 v3, v13
.LBB222_308:                            ;   in Loop: Header=BB222_18 Depth=1
	s_delay_alu instid0(VALU_DEP_1) | instskip(NEXT) | instid1(VALU_DEP_2)
	v_sub_co_u32 v2, vcc_lo, s88, v2
	v_sub_co_ci_u32_e32 v3, vcc_lo, s27, v3, vcc_lo
	s_mov_b32 s7, 0
	s_mov_b32 s8, exec_lo
                                        ; implicit-def: $vgpr32
	s_delay_alu instid0(VALU_DEP_1)
	v_cmpx_gt_u64_e64 v[2:3], v[0:1]
	s_cbranch_execz .LBB222_317
; %bb.309:                              ;   in Loop: Header=BB222_18 Depth=1
	v_dual_mov_b32 v5, v1 :: v_dual_mov_b32 v4, v0
	s_mov_b32 s9, 0
                                        ; implicit-def: $sgpr18
	s_branch .LBB222_311
.LBB222_310:                            ;   in Loop: Header=BB222_311 Depth=2
	s_or_b32 exec_lo, exec_lo, s7
	s_waitcnt vmcnt(0) lgkmcnt(0)
	s_barrier
	buffer_gl0_inv
	ds_load_b32 v6, v13 offset:3072
	v_add_co_u32 v4, vcc_lo, v4, s35
	v_add_co_ci_u32_e32 v5, vcc_lo, 0, v5, vcc_lo
	s_waitcnt lgkmcnt(0)
	s_barrier
	buffer_gl0_inv
	v_cmp_ge_u64_e32 vcc_lo, v[4:5], v[2:3]
	v_and_b32_e32 v7, 0x7fff, v6
	s_delay_alu instid0(VALU_DEP_1) | instskip(NEXT) | instid1(VALU_DEP_1)
	v_cmp_ne_u16_e64 s7, 0, v7
	s_or_b32 s19, vcc_lo, s7
	s_delay_alu instid0(SALU_CYCLE_1) | instskip(NEXT) | instid1(SALU_CYCLE_1)
	s_and_b32 s19, exec_lo, s19
	s_or_b32 s9, s19, s9
	s_and_not1_b32 s18, s18, exec_lo
	s_and_b32 s7, s7, exec_lo
	s_delay_alu instid0(SALU_CYCLE_1)
	s_or_b32 s18, s18, s7
	s_and_not1_b32 exec_lo, exec_lo, s9
	s_cbranch_execz .LBB222_316
.LBB222_311:                            ;   Parent Loop BB222_18 Depth=1
                                        ; =>  This Inner Loop Header: Depth=2
	s_delay_alu instid0(VALU_DEP_1)
	v_cmp_gt_u64_e32 vcc_lo, s[36:37], v[4:5]
	v_mov_b32_e32 v6, 0
	s_and_saveexec_b32 s19, vcc_lo
	s_cbranch_execz .LBB222_313
; %bb.312:                              ;   in Loop: Header=BB222_311 Depth=2
	v_mul_lo_u32 v8, v5, s30
	v_mul_lo_u32 v9, v4, s31
	v_mad_u64_u32 v[6:7], null, v4, s30, 0
	s_delay_alu instid0(VALU_DEP_1) | instskip(NEXT) | instid1(VALU_DEP_1)
	v_add3_u32 v7, v7, v9, v8
	v_lshlrev_b64 v[6:7], 1, v[6:7]
	s_delay_alu instid0(VALU_DEP_1) | instskip(NEXT) | instid1(VALU_DEP_1)
	v_add_co_u32 v6, s7, s29, v6
	v_add_co_ci_u32_e64 v7, s7, s33, v7, s7
	global_load_u16 v6, v[6:7], off
.LBB222_313:                            ;   in Loop: Header=BB222_311 Depth=2
	s_or_b32 exec_lo, exec_lo, s19
	s_and_saveexec_b32 s7, vcc_lo
	s_cbranch_execz .LBB222_310
; %bb.314:                              ;   in Loop: Header=BB222_311 Depth=2
	s_waitcnt vmcnt(0)
	v_cmp_lt_i16_e32 vcc_lo, -1, v6
	v_and_b32_e32 v7, 0xffff, v6
	v_dual_cndmask_b32 v8, 0xffff, v29 :: v_dual_lshlrev_b32 v9, 16, v6
	s_delay_alu instid0(VALU_DEP_1) | instskip(NEXT) | instid1(VALU_DEP_2)
	v_cmp_o_f32_e32 vcc_lo, v9, v9
	v_xor_b32_e32 v7, v8, v7
	s_delay_alu instid0(VALU_DEP_1) | instskip(NEXT) | instid1(VALU_DEP_1)
	v_cndmask_b32_e32 v7, 0xffff, v7, vcc_lo
	v_and_b32_e32 v7, v7, v30
	s_delay_alu instid0(VALU_DEP_1)
	v_cmp_eq_u32_e32 vcc_lo, v7, v31
	s_and_b32 exec_lo, exec_lo, vcc_lo
	s_cbranch_execz .LBB222_310
; %bb.315:                              ;   in Loop: Header=BB222_311 Depth=2
	v_perm_b32 v6, v6, s97, 0x5040100
	ds_store_b32 v13, v6 offset:3072
	s_branch .LBB222_310
.LBB222_316:                            ;   in Loop: Header=BB222_18 Depth=1
	s_or_b32 exec_lo, exec_lo, s9
	v_lshrrev_b32_e32 v32, 16, v6
	s_and_b32 s7, s18, exec_lo
.LBB222_317:                            ;   in Loop: Header=BB222_18 Depth=1
	s_or_b32 exec_lo, exec_lo, s8
	s_mov_b32 s19, 0
	s_mov_b32 s18, -1
	s_mov_b32 s23, 0
.LBB222_318:                            ;   in Loop: Header=BB222_18 Depth=1
	s_or_not1_b32 s7, s7, exec_lo
.LBB222_319:                            ;   in Loop: Header=BB222_18 Depth=1
	s_or_b32 exec_lo, exec_lo, s61
                                        ; implicit-def: $vgpr7
                                        ; implicit-def: $vgpr2_vgpr3
                                        ; implicit-def: $vgpr8
                                        ; implicit-def: $vgpr9
                                        ; implicit-def: $vgpr6
	s_and_saveexec_b32 s69, s7
	s_cbranch_execz .LBB222_482
; %bb.320:                              ;   in Loop: Header=BB222_18 Depth=1
	v_dual_mov_b32 v2, 1 :: v_dual_mov_b32 v7, 1
	v_mov_b32_e32 v3, 0
	s_xor_b32 s8, s60, -1
	s_mov_b32 s26, 0
	s_and_saveexec_b32 s7, s8
	s_cbranch_execz .LBB222_330
; %bb.321:                              ;   in Loop: Header=BB222_18 Depth=1
	s_mov_b32 s9, exec_lo
                                        ; implicit-def: $sgpr26
                                        ; implicit-def: $sgpr8
	v_cmpx_ge_u64_e64 s[16:17], v[16:17]
	s_xor_b32 s9, exec_lo, s9
	s_cbranch_execz .LBB222_327
; %bb.322:                              ;   in Loop: Header=BB222_18 Depth=1
	ds_load_b64 v[2:3], v13 offset:5120
	s_waitcnt lgkmcnt(0)
	v_cmp_ne_u64_e32 vcc_lo, 0, v[2:3]
	s_cbranch_vccnz .LBB222_326
; %bb.323:                              ;   in Loop: Header=BB222_18 Depth=1
	s_and_saveexec_b32 s8, s5
	s_cbranch_execz .LBB222_325
; %bb.324:                              ;   in Loop: Header=BB222_18 Depth=1
	v_dual_mov_b32 v2, s16 :: v_dual_mov_b32 v3, s17
	ds_store_b64 v13, v[2:3] offset:5128
.LBB222_325:                            ;   in Loop: Header=BB222_18 Depth=1
	s_or_b32 exec_lo, exec_lo, s8
	s_waitcnt lgkmcnt(0)
	s_barrier
	buffer_gl0_inv
.LBB222_326:                            ;   in Loop: Header=BB222_18 Depth=1
	v_or_b32_e32 v31, s20, v31
	v_or_b32_e32 v30, s20, v30
	s_mov_b32 s8, 0
	s_mov_b32 s26, 5
.LBB222_327:                            ;   in Loop: Header=BB222_18 Depth=1
	s_or_saveexec_b32 s9, s9
	v_mov_b32_e32 v7, s26
	s_xor_b32 exec_lo, exec_lo, s9
; %bb.328:                              ;   in Loop: Header=BB222_18 Depth=1
	v_sub_co_u32 v16, vcc_lo, v16, s16
	v_subrev_co_ci_u32_e32 v17, vcc_lo, s17, v17, vcc_lo
	v_mov_b32_e32 v7, 0
	s_or_b32 s8, s8, exec_lo
; %bb.329:                              ;   in Loop: Header=BB222_18 Depth=1
	s_or_b32 exec_lo, exec_lo, s9
	s_delay_alu instid0(VALU_DEP_2)
	v_dual_mov_b32 v2, v16 :: v_dual_mov_b32 v3, v17
	s_and_b32 s26, s8, exec_lo
.LBB222_330:                            ;   in Loop: Header=BB222_18 Depth=1
	s_or_b32 exec_lo, exec_lo, s7
	s_mov_b32 s17, -1
                                        ; implicit-def: $sgpr8
                                        ; implicit-def: $sgpr9
                                        ; implicit-def: $sgpr16
	s_and_saveexec_b32 s7, s26
	s_delay_alu instid0(SALU_CYCLE_1)
	s_xor_b32 s70, exec_lo, s7
	s_cbranch_execz .LBB222_479
; %bb.331:                              ;   in Loop: Header=BB222_18 Depth=1
	v_cmp_eq_u64_e32 vcc_lo, 1, v[2:3]
	s_cmp_eq_u64 s[14:15], 1
                                        ; implicit-def: $sgpr16
                                        ; implicit-def: $sgpr17
                                        ; implicit-def: $sgpr74
	s_cselect_b32 s7, -1, 0
	s_delay_alu instid0(SALU_CYCLE_1)
	s_and_b32 s60, s7, vcc_lo
	s_mov_b32 s7, -1
	s_and_saveexec_b32 s61, s60
	s_cbranch_execz .LBB222_365
; %bb.332:                              ;   in Loop: Header=BB222_18 Depth=1
	ds_load_b64 v[4:5], v13 offset:5120
	s_waitcnt lgkmcnt(0)
	s_barrier
	buffer_gl0_inv
	v_readfirstlane_b32 s8, v4
	v_readfirstlane_b32 s9, v5
	s_and_saveexec_b32 s7, s6
	s_cbranch_execz .LBB222_334
; %bb.333:                              ;   in Loop: Header=BB222_18 Depth=1
	ds_store_b16 v26, v13
.LBB222_334:                            ;   in Loop: Header=BB222_18 Depth=1
	s_or_b32 exec_lo, exec_lo, s7
	s_lshl_b32 s7, 2, s22
	v_or_b32_e32 v30, s20, v30
	v_and_or_b32 v31, v31, s21, s7
	s_cmp_eq_u64 s[8:9], 0
	s_waitcnt lgkmcnt(0)
	s_barrier
	buffer_gl0_inv
	s_cbranch_scc1 .LBB222_348
; %bb.335:                              ;   in Loop: Header=BB222_18 Depth=1
	s_add_u32 s26, s86, s8
	s_addc_u32 s17, s87, s9
	s_mov_b32 s16, s71
	s_delay_alu instid0(SALU_CYCLE_1)
	s_cmp_lg_u64 s[16:17], 0
	s_cbranch_scc0 .LBB222_392
; %bb.336:                              ;   in Loop: Header=BB222_18 Depth=1
	v_cvt_f32_u32_e32 v4, s35
	s_sub_u32 s62, 0, s35
	s_subb_u32 s63, 0, 0
	s_delay_alu instid0(VALU_DEP_1) | instskip(NEXT) | instid1(VALU_DEP_1)
	v_fmac_f32_e64 v4, 0, 0x4f800000
	v_rcp_f32_e32 v4, v4
	s_waitcnt_depctr 0xfff
	v_mul_f32_e32 v4, 0x5f7ffffc, v4
	s_delay_alu instid0(VALU_DEP_1) | instskip(NEXT) | instid1(VALU_DEP_1)
	v_mul_f32_e32 v5, 0x2f800000, v4
	v_trunc_f32_e32 v5, v5
	s_delay_alu instid0(VALU_DEP_1) | instskip(SKIP_1) | instid1(VALU_DEP_2)
	v_fmac_f32_e32 v4, 0xcf800000, v5
	v_cvt_u32_f32_e32 v5, v5
	v_cvt_u32_f32_e32 v4, v4
	s_delay_alu instid0(VALU_DEP_2) | instskip(NEXT) | instid1(VALU_DEP_2)
	v_readfirstlane_b32 s7, v5
	v_readfirstlane_b32 s16, v4
	s_delay_alu instid0(VALU_DEP_2) | instskip(NEXT) | instid1(VALU_DEP_1)
	s_mul_i32 s74, s62, s7
	s_mul_hi_u32 s76, s62, s16
	s_mul_i32 s75, s63, s16
	s_add_i32 s74, s76, s74
	s_mul_i32 s77, s62, s16
	s_add_i32 s74, s74, s75
	s_mul_hi_u32 s76, s16, s77
	s_mul_hi_u32 s78, s7, s77
	s_mul_i32 s75, s7, s77
	s_mul_hi_u32 s77, s16, s74
	s_mul_i32 s16, s16, s74
	s_mul_hi_u32 s79, s7, s74
	s_add_u32 s16, s76, s16
	s_addc_u32 s76, 0, s77
	s_add_u32 s16, s16, s75
	s_mul_i32 s74, s7, s74
	s_addc_u32 s16, s76, s78
	s_addc_u32 s75, s79, 0
	s_add_u32 s16, s16, s74
	s_addc_u32 s74, 0, s75
	v_add_co_u32 v4, s16, v4, s16
	s_delay_alu instid0(VALU_DEP_1) | instskip(SKIP_1) | instid1(VALU_DEP_1)
	s_cmp_lg_u32 s16, 0
	s_addc_u32 s7, s7, s74
	v_readfirstlane_b32 s16, v4
	s_mul_i32 s74, s62, s7
	s_delay_alu instid0(VALU_DEP_1)
	s_mul_hi_u32 s75, s62, s16
	s_mul_i32 s63, s63, s16
	s_add_i32 s74, s75, s74
	s_mul_i32 s62, s62, s16
	s_add_i32 s74, s74, s63
	s_mul_hi_u32 s75, s7, s62
	s_mul_i32 s76, s7, s62
	s_mul_hi_u32 s62, s16, s62
	s_mul_hi_u32 s77, s16, s74
	s_mul_i32 s16, s16, s74
	s_mul_hi_u32 s63, s7, s74
	s_add_u32 s16, s62, s16
	s_addc_u32 s62, 0, s77
	s_add_u32 s16, s16, s76
	s_mul_i32 s74, s7, s74
	s_addc_u32 s16, s62, s75
	s_addc_u32 s62, s63, 0
	s_add_u32 s16, s16, s74
	s_addc_u32 s62, 0, s62
	v_add_co_u32 v4, s16, v4, s16
	s_delay_alu instid0(VALU_DEP_1) | instskip(SKIP_1) | instid1(VALU_DEP_1)
	s_cmp_lg_u32 s16, 0
	s_addc_u32 s7, s7, s62
	v_readfirstlane_b32 s16, v4
	s_mul_i32 s63, s26, s7
	s_mul_hi_u32 s62, s26, s7
	s_mul_hi_u32 s74, s17, s7
	s_mul_i32 s7, s17, s7
	s_mul_hi_u32 s75, s26, s16
	s_mul_hi_u32 s76, s17, s16
	s_mul_i32 s16, s17, s16
	s_add_u32 s63, s75, s63
	s_addc_u32 s62, 0, s62
	s_add_u32 s16, s63, s16
	s_addc_u32 s16, s62, s76
	s_addc_u32 s62, s74, 0
	s_add_u32 s7, s16, s7
	s_addc_u32 s16, 0, s62
	s_mul_hi_u32 s62, s35, s7
	s_mul_i32 s7, s35, s7
	s_mul_i32 s16, s35, s16
	v_sub_co_u32 v4, s7, s26, s7
	s_add_i32 s62, s62, s16
	s_cmp_lg_u32 s7, 0
	s_delay_alu instid0(VALU_DEP_1) | instskip(SKIP_3) | instid1(VALU_DEP_2)
	v_sub_co_u32 v5, s7, v4, s35
	s_subb_u32 s16, s17, s62
	s_cmp_lg_u32 s7, 0
	v_cmp_le_u32_e32 vcc_lo, s35, v4
	v_cmp_le_u32_e64 s7, s35, v5
	v_sub_co_u32 v6, s62, v5, s35
	s_subb_u32 s63, s16, 0
	s_cmp_lg_u32 s62, 0
	s_delay_alu instid0(VALU_DEP_2)
	v_cndmask_b32_e64 v7, 0, -1, s7
	s_subb_u32 s62, s63, 0
	s_cmp_eq_u32 s63, 0
	v_mov_b32_e32 v9, s62
	v_cndmask_b32_e64 v8, 0, -1, vcc_lo
	s_cselect_b32 vcc_lo, -1, 0
	s_cmp_eq_u32 s16, 0
	v_cndmask_b32_e32 v7, -1, v7, vcc_lo
	s_cselect_b32 vcc_lo, -1, 0
	v_cndmask_b32_e32 v8, -1, v8, vcc_lo
	s_delay_alu instid0(VALU_DEP_2) | instskip(NEXT) | instid1(VALU_DEP_2)
	v_cmp_ne_u32_e32 vcc_lo, 0, v7
	v_cmp_ne_u32_e64 s7, 0, v8
	v_cndmask_b32_e32 v7, s63, v9, vcc_lo
	v_cndmask_b32_e32 v6, v5, v6, vcc_lo
	s_delay_alu instid0(VALU_DEP_2) | instskip(NEXT) | instid1(VALU_DEP_2)
	v_cndmask_b32_e64 v5, s16, v7, s7
	v_cndmask_b32_e64 v4, v4, v6, s7
	s_cbranch_execnz .LBB222_338
.LBB222_337:                            ;   in Loop: Header=BB222_18 Depth=1
	v_cvt_f32_u32_e32 v4, s35
	s_sub_i32 s7, 0, s35
	s_delay_alu instid0(VALU_DEP_1) | instskip(SKIP_2) | instid1(VALU_DEP_1)
	v_rcp_iflag_f32_e32 v4, v4
	s_waitcnt_depctr 0xfff
	v_mul_f32_e32 v4, 0x4f7ffffe, v4
	v_cvt_u32_f32_e32 v4, v4
	s_delay_alu instid0(VALU_DEP_1) | instskip(NEXT) | instid1(VALU_DEP_1)
	v_mul_lo_u32 v5, s7, v4
	v_mul_hi_u32 v5, v4, v5
	s_delay_alu instid0(VALU_DEP_1) | instskip(NEXT) | instid1(VALU_DEP_1)
	v_add_nc_u32_e32 v4, v4, v5
	v_mul_hi_u32 v4, s26, v4
	s_delay_alu instid0(VALU_DEP_1) | instskip(NEXT) | instid1(VALU_DEP_1)
	v_mul_lo_u32 v4, v4, s35
	v_sub_nc_u32_e32 v4, s26, v4
	s_delay_alu instid0(VALU_DEP_1) | instskip(SKIP_1) | instid1(VALU_DEP_2)
	v_subrev_nc_u32_e32 v5, s35, v4
	v_cmp_le_u32_e32 vcc_lo, s35, v4
	v_cndmask_b32_e32 v4, v4, v5, vcc_lo
	s_delay_alu instid0(VALU_DEP_1) | instskip(SKIP_1) | instid1(VALU_DEP_2)
	v_subrev_nc_u32_e32 v5, s35, v4
	v_cmp_le_u32_e32 vcc_lo, s35, v4
	v_cndmask_b32_e32 v12, v4, v5, vcc_lo
	s_delay_alu instid0(VALU_DEP_1)
	v_dual_mov_b32 v4, v12 :: v_dual_mov_b32 v5, v13
.LBB222_338:                            ;   in Loop: Header=BB222_18 Depth=1
	s_delay_alu instid0(VALU_DEP_1) | instskip(NEXT) | instid1(VALU_DEP_2)
	v_sub_co_u32 v4, vcc_lo, s26, v4
	v_sub_co_ci_u32_e32 v5, vcc_lo, s17, v5, vcc_lo
	s_mov_b32 s7, 0
	s_mov_b32 s16, exec_lo
                                        ; implicit-def: $vgpr32
	s_delay_alu instid0(VALU_DEP_1)
	v_cmpx_gt_u64_e64 v[4:5], v[0:1]
	s_cbranch_execz .LBB222_350
; %bb.339:                              ;   in Loop: Header=BB222_18 Depth=1
	v_mov_b32_e32 v8, v25
	v_dual_mov_b32 v7, v1 :: v_dual_mov_b32 v6, v0
	s_mov_b32 s17, 0
                                        ; implicit-def: $sgpr26
	s_branch .LBB222_341
.LBB222_340:                            ;   in Loop: Header=BB222_341 Depth=2
	s_or_b32 exec_lo, exec_lo, s7
	s_waitcnt lgkmcnt(0)
	s_barrier
	buffer_gl0_inv
	ds_load_b32 v9, v13 offset:3072
	v_add_co_u32 v6, vcc_lo, v6, s35
	v_add_co_ci_u32_e32 v7, vcc_lo, 0, v7, vcc_lo
	v_add_nc_u32_e32 v8, s94, v8
	s_waitcnt lgkmcnt(0)
	s_barrier
	s_delay_alu instid0(VALU_DEP_2) | instskip(SKIP_2) | instid1(VALU_DEP_1)
	v_cmp_ge_u64_e32 vcc_lo, v[6:7], v[4:5]
	buffer_gl0_inv
	v_and_b32_e32 v12, 0x7fff, v9
	v_cmp_ne_u16_e64 s7, 0, v12
	s_delay_alu instid0(VALU_DEP_1) | instskip(NEXT) | instid1(SALU_CYCLE_1)
	s_or_b32 s62, vcc_lo, s7
	s_and_b32 s62, exec_lo, s62
	s_delay_alu instid0(SALU_CYCLE_1) | instskip(SKIP_2) | instid1(SALU_CYCLE_1)
	s_or_b32 s17, s62, s17
	s_and_not1_b32 s26, s26, exec_lo
	s_and_b32 s7, s7, exec_lo
	s_or_b32 s26, s26, s7
	s_and_not1_b32 exec_lo, exec_lo, s17
	s_cbranch_execz .LBB222_349
.LBB222_341:                            ;   Parent Loop BB222_18 Depth=1
                                        ; =>  This Inner Loop Header: Depth=2
	s_delay_alu instid0(VALU_DEP_1)
	v_cmp_gt_u64_e32 vcc_lo, s[8:9], v[6:7]
	v_mov_b32_e32 v9, 0
	s_and_saveexec_b32 s7, vcc_lo
	s_cbranch_execz .LBB222_343
; %bb.342:                              ;   in Loop: Header=BB222_341 Depth=2
	ds_load_u16 v9, v8
.LBB222_343:                            ;   in Loop: Header=BB222_341 Depth=2
	s_or_b32 exec_lo, exec_lo, s7
	s_and_saveexec_b32 s7, vcc_lo
	s_cbranch_execz .LBB222_340
; %bb.344:                              ;   in Loop: Header=BB222_341 Depth=2
	s_waitcnt lgkmcnt(0)
	v_cmp_lt_i16_e32 vcc_lo, -1, v9
	v_and_b32_e32 v12, 0xffff, v9
	v_cndmask_b32_e32 v16, 0xffff, v29, vcc_lo
	s_delay_alu instid0(VALU_DEP_1) | instskip(SKIP_1) | instid1(VALU_DEP_1)
	v_xor_b32_e32 v12, v16, v12
	v_lshlrev_b32_e32 v17, 16, v9
	v_cmp_o_f32_e32 vcc_lo, v17, v17
	s_delay_alu instid0(VALU_DEP_3) | instskip(NEXT) | instid1(VALU_DEP_1)
	v_cndmask_b32_e32 v12, 0xffff, v12, vcc_lo
	v_and_b32_e32 v12, v12, v30
	s_delay_alu instid0(VALU_DEP_1)
	v_cmp_eq_u32_e32 vcc_lo, v12, v31
	s_and_b32 exec_lo, exec_lo, vcc_lo
	s_cbranch_execz .LBB222_340
; %bb.345:                              ;   in Loop: Header=BB222_341 Depth=2
	v_perm_b32 v9, v9, s97, 0x5040100
	ds_store_b32 v13, v9 offset:3072
	s_branch .LBB222_340
.LBB222_346:                            ;   in Loop: Header=BB222_18 Depth=1
                                        ; implicit-def: $vgpr2_vgpr3
	s_branch .LBB222_293
.LBB222_347:                            ;   in Loop: Header=BB222_18 Depth=1
                                        ; implicit-def: $vgpr2_vgpr3
	s_branch .LBB222_307
.LBB222_348:                            ;   in Loop: Header=BB222_18 Depth=1
	s_mov_b32 s16, -1
	s_mov_b32 s7, 0
                                        ; implicit-def: $sgpr17
                                        ; implicit-def: $vgpr32
	s_mov_b32 s74, s16
	s_cbranch_execnz .LBB222_351
	s_branch .LBB222_364
.LBB222_349:                            ;   in Loop: Header=BB222_18 Depth=1
	s_or_b32 exec_lo, exec_lo, s17
	v_lshrrev_b32_e32 v32, 16, v9
	s_and_b32 s7, s26, exec_lo
.LBB222_350:                            ;   in Loop: Header=BB222_18 Depth=1
	s_or_b32 exec_lo, exec_lo, s16
	s_mov_b32 s16, 0
	s_mov_b32 s17, -1
	s_mov_b32 s74, s16
	s_branch .LBB222_364
.LBB222_351:                            ;   in Loop: Header=BB222_18 Depth=1
	s_mov_b32 s26, s71
	s_delay_alu instid0(SALU_CYCLE_1)
	s_cmp_lg_u64 s[26:27], 0
	s_cbranch_scc0 .LBB222_393
; %bb.352:                              ;   in Loop: Header=BB222_18 Depth=1
	v_cvt_f32_u32_e32 v4, s35
	s_sub_u32 s9, 0, s35
	s_subb_u32 s16, 0, 0
	s_delay_alu instid0(VALU_DEP_1) | instskip(NEXT) | instid1(VALU_DEP_1)
	v_fmac_f32_e64 v4, 0, 0x4f800000
	v_rcp_f32_e32 v4, v4
	s_waitcnt_depctr 0xfff
	v_mul_f32_e32 v4, 0x5f7ffffc, v4
	s_delay_alu instid0(VALU_DEP_1) | instskip(NEXT) | instid1(VALU_DEP_1)
	v_mul_f32_e32 v5, 0x2f800000, v4
	v_trunc_f32_e32 v5, v5
	s_delay_alu instid0(VALU_DEP_1) | instskip(SKIP_1) | instid1(VALU_DEP_2)
	v_fmac_f32_e32 v4, 0xcf800000, v5
	v_cvt_u32_f32_e32 v5, v5
	v_cvt_u32_f32_e32 v4, v4
	s_delay_alu instid0(VALU_DEP_2) | instskip(NEXT) | instid1(VALU_DEP_2)
	v_readfirstlane_b32 s7, v5
	v_readfirstlane_b32 s8, v4
	s_delay_alu instid0(VALU_DEP_2) | instskip(NEXT) | instid1(VALU_DEP_1)
	s_mul_i32 s17, s9, s7
	s_mul_hi_u32 s62, s9, s8
	s_mul_i32 s26, s16, s8
	s_add_i32 s17, s62, s17
	s_mul_i32 s63, s9, s8
	s_add_i32 s17, s17, s26
	s_mul_hi_u32 s62, s8, s63
	s_mul_hi_u32 s74, s7, s63
	s_mul_i32 s26, s7, s63
	s_mul_hi_u32 s63, s8, s17
	s_mul_i32 s8, s8, s17
	s_mul_hi_u32 s75, s7, s17
	s_add_u32 s8, s62, s8
	s_addc_u32 s62, 0, s63
	s_add_u32 s8, s8, s26
	s_mul_i32 s17, s7, s17
	s_addc_u32 s8, s62, s74
	s_addc_u32 s26, s75, 0
	s_add_u32 s8, s8, s17
	s_addc_u32 s17, 0, s26
	v_add_co_u32 v4, s8, v4, s8
	s_delay_alu instid0(VALU_DEP_1) | instskip(SKIP_1) | instid1(VALU_DEP_1)
	s_cmp_lg_u32 s8, 0
	s_addc_u32 s7, s7, s17
	v_readfirstlane_b32 s8, v4
	s_mul_i32 s17, s9, s7
	s_delay_alu instid0(VALU_DEP_1)
	s_mul_hi_u32 s26, s9, s8
	s_mul_i32 s16, s16, s8
	s_add_i32 s17, s26, s17
	s_mul_i32 s9, s9, s8
	s_add_i32 s17, s17, s16
	s_mul_hi_u32 s26, s7, s9
	s_mul_i32 s62, s7, s9
	s_mul_hi_u32 s9, s8, s9
	s_mul_hi_u32 s63, s8, s17
	s_mul_i32 s8, s8, s17
	s_mul_hi_u32 s16, s7, s17
	s_add_u32 s8, s9, s8
	s_addc_u32 s9, 0, s63
	s_add_u32 s8, s8, s62
	s_mul_i32 s17, s7, s17
	s_addc_u32 s8, s9, s26
	s_addc_u32 s9, s16, 0
	s_add_u32 s8, s8, s17
	s_addc_u32 s9, 0, s9
	v_add_co_u32 v4, s8, v4, s8
	s_delay_alu instid0(VALU_DEP_1) | instskip(SKIP_1) | instid1(VALU_DEP_1)
	s_cmp_lg_u32 s8, 0
	s_addc_u32 s7, s7, s9
	v_readfirstlane_b32 s8, v4
	s_mul_i32 s16, s88, s7
	s_mul_hi_u32 s9, s88, s7
	s_mul_hi_u32 s17, s27, s7
	s_mul_i32 s7, s27, s7
	s_mul_hi_u32 s26, s88, s8
	s_mul_hi_u32 s62, s27, s8
	s_mul_i32 s8, s27, s8
	s_add_u32 s16, s26, s16
	s_addc_u32 s9, 0, s9
	s_add_u32 s8, s16, s8
	s_addc_u32 s8, s9, s62
	s_addc_u32 s9, s17, 0
	s_add_u32 s7, s8, s7
	s_addc_u32 s8, 0, s9
	s_mul_hi_u32 s9, s35, s7
	s_mul_i32 s7, s35, s7
	s_mul_i32 s8, s35, s8
	v_sub_co_u32 v4, s7, s88, s7
	s_add_i32 s9, s9, s8
	s_cmp_lg_u32 s7, 0
	s_delay_alu instid0(VALU_DEP_1) | instskip(SKIP_2) | instid1(VALU_DEP_1)
	v_sub_co_u32 v5, s7, v4, s35
	s_subb_u32 s8, s27, s9
	s_cmp_lg_u32 s7, 0
	v_cmp_le_u32_e32 vcc_lo, s35, v5
	v_sub_co_u32 v6, s7, v5, s35
	s_subb_u32 s9, s8, 0
	s_cmp_lg_u32 s7, 0
	v_cndmask_b32_e64 v7, 0, -1, vcc_lo
	s_subb_u32 s7, s9, 0
	s_cmp_eq_u32 s9, 0
	v_mov_b32_e32 v9, s7
	s_cselect_b32 vcc_lo, -1, 0
	s_cmp_eq_u32 s8, 0
	v_cndmask_b32_e32 v7, -1, v7, vcc_lo
	v_cmp_le_u32_e32 vcc_lo, s35, v4
	s_cselect_b32 s7, -1, 0
	v_cndmask_b32_e64 v8, 0, -1, vcc_lo
	s_delay_alu instid0(VALU_DEP_3) | instskip(NEXT) | instid1(VALU_DEP_2)
	v_cmp_ne_u32_e32 vcc_lo, 0, v7
	v_cndmask_b32_e64 v7, -1, v8, s7
	v_cndmask_b32_e32 v8, s9, v9, vcc_lo
	v_cndmask_b32_e32 v6, v5, v6, vcc_lo
	s_delay_alu instid0(VALU_DEP_3) | instskip(NEXT) | instid1(VALU_DEP_3)
	v_cmp_ne_u32_e32 vcc_lo, 0, v7
	v_cndmask_b32_e32 v5, s8, v8, vcc_lo
	s_delay_alu instid0(VALU_DEP_3)
	v_cndmask_b32_e32 v4, v4, v6, vcc_lo
	s_cbranch_execnz .LBB222_354
.LBB222_353:                            ;   in Loop: Header=BB222_18 Depth=1
	v_cvt_f32_u32_e32 v4, s35
	s_sub_i32 s7, 0, s35
	s_delay_alu instid0(VALU_DEP_1) | instskip(SKIP_2) | instid1(VALU_DEP_1)
	v_rcp_iflag_f32_e32 v4, v4
	s_waitcnt_depctr 0xfff
	v_mul_f32_e32 v4, 0x4f7ffffe, v4
	v_cvt_u32_f32_e32 v4, v4
	s_delay_alu instid0(VALU_DEP_1) | instskip(NEXT) | instid1(VALU_DEP_1)
	v_mul_lo_u32 v5, s7, v4
	v_mul_hi_u32 v5, v4, v5
	s_delay_alu instid0(VALU_DEP_1) | instskip(NEXT) | instid1(VALU_DEP_1)
	v_add_nc_u32_e32 v4, v4, v5
	v_mul_hi_u32 v4, s88, v4
	s_delay_alu instid0(VALU_DEP_1) | instskip(NEXT) | instid1(VALU_DEP_1)
	v_mul_lo_u32 v4, v4, s35
	v_sub_nc_u32_e32 v4, s88, v4
	s_delay_alu instid0(VALU_DEP_1) | instskip(SKIP_1) | instid1(VALU_DEP_2)
	v_subrev_nc_u32_e32 v5, s35, v4
	v_cmp_le_u32_e32 vcc_lo, s35, v4
	v_cndmask_b32_e32 v4, v4, v5, vcc_lo
	s_delay_alu instid0(VALU_DEP_1) | instskip(SKIP_1) | instid1(VALU_DEP_2)
	v_subrev_nc_u32_e32 v5, s35, v4
	v_cmp_le_u32_e32 vcc_lo, s35, v4
	v_cndmask_b32_e32 v12, v4, v5, vcc_lo
	s_delay_alu instid0(VALU_DEP_1)
	v_dual_mov_b32 v4, v12 :: v_dual_mov_b32 v5, v13
.LBB222_354:                            ;   in Loop: Header=BB222_18 Depth=1
	s_delay_alu instid0(VALU_DEP_1) | instskip(NEXT) | instid1(VALU_DEP_2)
	v_sub_co_u32 v4, vcc_lo, s88, v4
	v_sub_co_ci_u32_e32 v5, vcc_lo, s27, v5, vcc_lo
	s_mov_b32 s7, 0
	s_mov_b32 s8, exec_lo
                                        ; implicit-def: $vgpr32
	s_delay_alu instid0(VALU_DEP_1)
	v_cmpx_gt_u64_e64 v[4:5], v[0:1]
	s_cbranch_execz .LBB222_363
; %bb.355:                              ;   in Loop: Header=BB222_18 Depth=1
	v_dual_mov_b32 v7, v1 :: v_dual_mov_b32 v6, v0
	s_mov_b32 s9, 0
                                        ; implicit-def: $sgpr16
	s_branch .LBB222_357
.LBB222_356:                            ;   in Loop: Header=BB222_357 Depth=2
	s_or_b32 exec_lo, exec_lo, s7
	s_waitcnt vmcnt(0) lgkmcnt(0)
	s_barrier
	buffer_gl0_inv
	ds_load_b32 v8, v13 offset:3072
	v_add_co_u32 v6, vcc_lo, v6, s35
	v_add_co_ci_u32_e32 v7, vcc_lo, 0, v7, vcc_lo
	s_waitcnt lgkmcnt(0)
	s_barrier
	buffer_gl0_inv
	v_cmp_ge_u64_e32 vcc_lo, v[6:7], v[4:5]
	v_and_b32_e32 v9, 0x7fff, v8
	s_delay_alu instid0(VALU_DEP_1) | instskip(NEXT) | instid1(VALU_DEP_1)
	v_cmp_ne_u16_e64 s7, 0, v9
	s_or_b32 s17, vcc_lo, s7
	s_delay_alu instid0(SALU_CYCLE_1) | instskip(NEXT) | instid1(SALU_CYCLE_1)
	s_and_b32 s17, exec_lo, s17
	s_or_b32 s9, s17, s9
	s_and_not1_b32 s16, s16, exec_lo
	s_and_b32 s7, s7, exec_lo
	s_delay_alu instid0(SALU_CYCLE_1)
	s_or_b32 s16, s16, s7
	s_and_not1_b32 exec_lo, exec_lo, s9
	s_cbranch_execz .LBB222_362
.LBB222_357:                            ;   Parent Loop BB222_18 Depth=1
                                        ; =>  This Inner Loop Header: Depth=2
	s_delay_alu instid0(VALU_DEP_1)
	v_cmp_gt_u64_e32 vcc_lo, s[36:37], v[6:7]
	v_mov_b32_e32 v8, 0
	s_and_saveexec_b32 s17, vcc_lo
	s_cbranch_execz .LBB222_359
; %bb.358:                              ;   in Loop: Header=BB222_357 Depth=2
	v_mul_lo_u32 v12, v7, s30
	v_mul_lo_u32 v16, v6, s31
	v_mad_u64_u32 v[8:9], null, v6, s30, 0
	s_delay_alu instid0(VALU_DEP_1) | instskip(NEXT) | instid1(VALU_DEP_1)
	v_add3_u32 v9, v9, v16, v12
	v_lshlrev_b64 v[8:9], 1, v[8:9]
	s_delay_alu instid0(VALU_DEP_1) | instskip(NEXT) | instid1(VALU_DEP_1)
	v_add_co_u32 v8, s7, s29, v8
	v_add_co_ci_u32_e64 v9, s7, s33, v9, s7
	global_load_u16 v8, v[8:9], off
.LBB222_359:                            ;   in Loop: Header=BB222_357 Depth=2
	s_or_b32 exec_lo, exec_lo, s17
	s_and_saveexec_b32 s7, vcc_lo
	s_cbranch_execz .LBB222_356
; %bb.360:                              ;   in Loop: Header=BB222_357 Depth=2
	s_waitcnt vmcnt(0)
	v_cmp_lt_i16_e32 vcc_lo, -1, v8
	v_dual_cndmask_b32 v12, 0xffff, v29 :: v_dual_and_b32 v9, 0xffff, v8
	s_delay_alu instid0(VALU_DEP_1) | instskip(SKIP_1) | instid1(VALU_DEP_1)
	v_xor_b32_e32 v9, v12, v9
	v_lshlrev_b32_e32 v16, 16, v8
	v_cmp_o_f32_e32 vcc_lo, v16, v16
	s_delay_alu instid0(VALU_DEP_3) | instskip(NEXT) | instid1(VALU_DEP_1)
	v_cndmask_b32_e32 v9, 0xffff, v9, vcc_lo
	v_and_b32_e32 v9, v9, v30
	s_delay_alu instid0(VALU_DEP_1)
	v_cmp_eq_u32_e32 vcc_lo, v9, v31
	s_and_b32 exec_lo, exec_lo, vcc_lo
	s_cbranch_execz .LBB222_356
; %bb.361:                              ;   in Loop: Header=BB222_357 Depth=2
	v_perm_b32 v8, v8, s97, 0x5040100
	ds_store_b32 v13, v8 offset:3072
	s_branch .LBB222_356
.LBB222_362:                            ;   in Loop: Header=BB222_18 Depth=1
	s_or_b32 exec_lo, exec_lo, s9
	v_lshrrev_b32_e32 v32, 16, v8
	s_and_b32 s7, s16, exec_lo
.LBB222_363:                            ;   in Loop: Header=BB222_18 Depth=1
	s_or_b32 exec_lo, exec_lo, s8
	s_mov_b32 s17, 0
	s_mov_b32 s16, -1
	s_mov_b32 s74, 0
.LBB222_364:                            ;   in Loop: Header=BB222_18 Depth=1
	s_or_not1_b32 s7, s7, exec_lo
.LBB222_365:                            ;   in Loop: Header=BB222_18 Depth=1
	s_or_b32 exec_lo, exec_lo, s61
	s_mov_b32 s26, 0
                                        ; implicit-def: $vgpr7
	s_and_saveexec_b32 s75, s7
	s_cbranch_execz .LBB222_478
; %bb.366:                              ;   in Loop: Header=BB222_18 Depth=1
	v_dual_mov_b32 v4, 1 :: v_dual_mov_b32 v7, 1
	v_mov_b32_e32 v5, 0
	s_xor_b32 s8, s60, -1
	s_delay_alu instid0(SALU_CYCLE_1)
	s_and_saveexec_b32 s7, s8
	s_cbranch_execz .LBB222_376
; %bb.367:                              ;   in Loop: Header=BB222_18 Depth=1
	s_mov_b32 s9, exec_lo
                                        ; implicit-def: $sgpr26
                                        ; implicit-def: $sgpr8
	v_cmpx_ge_u64_e64 s[14:15], v[2:3]
	s_xor_b32 s9, exec_lo, s9
	s_cbranch_execz .LBB222_373
; %bb.368:                              ;   in Loop: Header=BB222_18 Depth=1
	ds_load_b64 v[4:5], v13 offset:5120
	s_waitcnt lgkmcnt(0)
	v_cmp_ne_u64_e32 vcc_lo, 0, v[4:5]
	s_cbranch_vccnz .LBB222_372
; %bb.369:                              ;   in Loop: Header=BB222_18 Depth=1
	s_and_saveexec_b32 s8, s5
	s_cbranch_execz .LBB222_371
; %bb.370:                              ;   in Loop: Header=BB222_18 Depth=1
	v_dual_mov_b32 v4, s14 :: v_dual_mov_b32 v5, s15
	ds_store_b64 v13, v[4:5] offset:5128
.LBB222_371:                            ;   in Loop: Header=BB222_18 Depth=1
	s_or_b32 exec_lo, exec_lo, s8
	s_waitcnt lgkmcnt(0)
	s_barrier
	buffer_gl0_inv
.LBB222_372:                            ;   in Loop: Header=BB222_18 Depth=1
	s_lshl_b32 s8, 2, s22
	v_or_b32_e32 v30, s20, v30
	v_and_or_b32 v31, v31, s21, s8
	s_mov_b32 s8, 0
	s_mov_b32 s26, 5
.LBB222_373:                            ;   in Loop: Header=BB222_18 Depth=1
	s_or_saveexec_b32 s9, s9
	v_mov_b32_e32 v7, s26
	s_xor_b32 exec_lo, exec_lo, s9
; %bb.374:                              ;   in Loop: Header=BB222_18 Depth=1
	v_sub_co_u32 v2, vcc_lo, v2, s14
	v_subrev_co_ci_u32_e32 v3, vcc_lo, s15, v3, vcc_lo
	v_mov_b32_e32 v7, 0
	s_or_b32 s8, s8, exec_lo
; %bb.375:                              ;   in Loop: Header=BB222_18 Depth=1
	s_or_b32 exec_lo, exec_lo, s9
	s_delay_alu instid0(VALU_DEP_2)
	v_dual_mov_b32 v5, v3 :: v_dual_mov_b32 v4, v2
	s_and_b32 s26, s8, exec_lo
.LBB222_376:                            ;   in Loop: Header=BB222_18 Depth=1
	s_or_b32 exec_lo, exec_lo, s7
	s_mov_b32 s7, -1
                                        ; implicit-def: $sgpr8
                                        ; implicit-def: $sgpr9
                                        ; implicit-def: $sgpr14
	s_and_saveexec_b32 s76, s26
	s_cbranch_execz .LBB222_477
; %bb.377:                              ;   in Loop: Header=BB222_18 Depth=1
	v_cmp_eq_u64_e32 vcc_lo, 1, v[4:5]
	s_cmp_eq_u64 s[12:13], 1
                                        ; implicit-def: $sgpr14
                                        ; implicit-def: $sgpr15
                                        ; implicit-def: $sgpr77
	s_cselect_b32 s7, -1, 0
	s_delay_alu instid0(SALU_CYCLE_1)
	s_and_b32 s60, s7, vcc_lo
	s_mov_b32 s7, -1
	s_and_saveexec_b32 s61, s60
	s_cbranch_execz .LBB222_411
; %bb.378:                              ;   in Loop: Header=BB222_18 Depth=1
	ds_load_b64 v[2:3], v13 offset:5120
	s_waitcnt lgkmcnt(0)
	s_barrier
	buffer_gl0_inv
	v_readfirstlane_b32 s8, v2
	v_readfirstlane_b32 s9, v3
	s_and_saveexec_b32 s7, s6
	s_cbranch_execz .LBB222_380
; %bb.379:                              ;   in Loop: Header=BB222_18 Depth=1
	ds_store_b16 v26, v13
.LBB222_380:                            ;   in Loop: Header=BB222_18 Depth=1
	s_or_b32 exec_lo, exec_lo, s7
	s_lshl_b32 s7, 1, s22
	v_or_b32_e32 v30, s20, v30
	v_and_or_b32 v31, v31, s21, s7
	s_cmp_eq_u64 s[8:9], 0
	s_waitcnt lgkmcnt(0)
	s_barrier
	buffer_gl0_inv
	s_cbranch_scc1 .LBB222_394
; %bb.381:                              ;   in Loop: Header=BB222_18 Depth=1
	s_add_u32 s26, s86, s8
	s_addc_u32 s15, s87, s9
	s_mov_b32 s14, s71
	s_delay_alu instid0(SALU_CYCLE_1)
	s_cmp_lg_u64 s[14:15], 0
	s_cbranch_scc0 .LBB222_429
; %bb.382:                              ;   in Loop: Header=BB222_18 Depth=1
	v_cvt_f32_u32_e32 v2, s35
	s_sub_u32 s62, 0, s35
	s_subb_u32 s63, 0, 0
	s_delay_alu instid0(VALU_DEP_1) | instskip(NEXT) | instid1(VALU_DEP_1)
	v_fmac_f32_e64 v2, 0, 0x4f800000
	v_rcp_f32_e32 v2, v2
	s_waitcnt_depctr 0xfff
	v_mul_f32_e32 v2, 0x5f7ffffc, v2
	s_delay_alu instid0(VALU_DEP_1) | instskip(NEXT) | instid1(VALU_DEP_1)
	v_mul_f32_e32 v3, 0x2f800000, v2
	v_trunc_f32_e32 v3, v3
	s_delay_alu instid0(VALU_DEP_1) | instskip(SKIP_1) | instid1(VALU_DEP_2)
	v_fmac_f32_e32 v2, 0xcf800000, v3
	v_cvt_u32_f32_e32 v3, v3
	v_cvt_u32_f32_e32 v2, v2
	s_delay_alu instid0(VALU_DEP_2) | instskip(NEXT) | instid1(VALU_DEP_2)
	v_readfirstlane_b32 s7, v3
	v_readfirstlane_b32 s14, v2
	s_delay_alu instid0(VALU_DEP_2) | instskip(NEXT) | instid1(VALU_DEP_1)
	s_mul_i32 s77, s62, s7
	s_mul_hi_u32 s79, s62, s14
	s_mul_i32 s78, s63, s14
	s_add_i32 s77, s79, s77
	s_mul_i32 s80, s62, s14
	s_add_i32 s77, s77, s78
	s_mul_hi_u32 s79, s14, s80
	s_mul_hi_u32 s81, s7, s80
	s_mul_i32 s78, s7, s80
	s_mul_hi_u32 s80, s14, s77
	s_mul_i32 s14, s14, s77
	s_mul_hi_u32 s82, s7, s77
	s_add_u32 s14, s79, s14
	s_addc_u32 s79, 0, s80
	s_add_u32 s14, s14, s78
	s_mul_i32 s77, s7, s77
	s_addc_u32 s14, s79, s81
	s_addc_u32 s78, s82, 0
	s_add_u32 s14, s14, s77
	s_addc_u32 s77, 0, s78
	v_add_co_u32 v2, s14, v2, s14
	s_delay_alu instid0(VALU_DEP_1) | instskip(SKIP_1) | instid1(VALU_DEP_1)
	s_cmp_lg_u32 s14, 0
	s_addc_u32 s7, s7, s77
	v_readfirstlane_b32 s14, v2
	s_mul_i32 s77, s62, s7
	s_delay_alu instid0(VALU_DEP_1)
	s_mul_hi_u32 s78, s62, s14
	s_mul_i32 s63, s63, s14
	s_add_i32 s77, s78, s77
	s_mul_i32 s62, s62, s14
	s_add_i32 s77, s77, s63
	s_mul_hi_u32 s78, s7, s62
	s_mul_i32 s79, s7, s62
	s_mul_hi_u32 s62, s14, s62
	s_mul_hi_u32 s80, s14, s77
	s_mul_i32 s14, s14, s77
	s_mul_hi_u32 s63, s7, s77
	s_add_u32 s14, s62, s14
	s_addc_u32 s62, 0, s80
	s_add_u32 s14, s14, s79
	s_mul_i32 s77, s7, s77
	s_addc_u32 s14, s62, s78
	s_addc_u32 s62, s63, 0
	s_add_u32 s14, s14, s77
	s_addc_u32 s62, 0, s62
	v_add_co_u32 v2, s14, v2, s14
	s_delay_alu instid0(VALU_DEP_1) | instskip(SKIP_1) | instid1(VALU_DEP_1)
	s_cmp_lg_u32 s14, 0
	s_addc_u32 s7, s7, s62
	v_readfirstlane_b32 s14, v2
	s_mul_i32 s63, s26, s7
	s_mul_hi_u32 s62, s26, s7
	s_mul_hi_u32 s77, s15, s7
	s_mul_i32 s7, s15, s7
	s_mul_hi_u32 s78, s26, s14
	s_mul_hi_u32 s79, s15, s14
	s_mul_i32 s14, s15, s14
	s_add_u32 s63, s78, s63
	s_addc_u32 s62, 0, s62
	s_add_u32 s14, s63, s14
	s_addc_u32 s14, s62, s79
	s_addc_u32 s62, s77, 0
	s_add_u32 s7, s14, s7
	s_addc_u32 s14, 0, s62
	s_mul_hi_u32 s62, s35, s7
	s_mul_i32 s7, s35, s7
	s_mul_i32 s14, s35, s14
	v_sub_co_u32 v2, s7, s26, s7
	s_add_i32 s62, s62, s14
	s_cmp_lg_u32 s7, 0
	s_delay_alu instid0(VALU_DEP_1) | instskip(SKIP_3) | instid1(VALU_DEP_2)
	v_sub_co_u32 v3, s7, v2, s35
	s_subb_u32 s14, s15, s62
	s_cmp_lg_u32 s7, 0
	v_cmp_le_u32_e32 vcc_lo, s35, v2
	v_cmp_le_u32_e64 s7, s35, v3
	v_sub_co_u32 v6, s62, v3, s35
	s_subb_u32 s63, s14, 0
	s_cmp_lg_u32 s62, 0
	s_delay_alu instid0(VALU_DEP_2)
	v_cndmask_b32_e64 v7, 0, -1, s7
	s_subb_u32 s62, s63, 0
	s_cmp_eq_u32 s63, 0
	v_mov_b32_e32 v9, s62
	v_cndmask_b32_e64 v8, 0, -1, vcc_lo
	s_cselect_b32 vcc_lo, -1, 0
	s_cmp_eq_u32 s14, 0
	v_cndmask_b32_e32 v7, -1, v7, vcc_lo
	s_cselect_b32 vcc_lo, -1, 0
	v_cndmask_b32_e32 v8, -1, v8, vcc_lo
	s_delay_alu instid0(VALU_DEP_2) | instskip(NEXT) | instid1(VALU_DEP_2)
	v_cmp_ne_u32_e32 vcc_lo, 0, v7
	v_cmp_ne_u32_e64 s7, 0, v8
	v_cndmask_b32_e32 v7, s63, v9, vcc_lo
	v_cndmask_b32_e32 v6, v3, v6, vcc_lo
	s_delay_alu instid0(VALU_DEP_2) | instskip(NEXT) | instid1(VALU_DEP_2)
	v_cndmask_b32_e64 v3, s14, v7, s7
	v_cndmask_b32_e64 v2, v2, v6, s7
	s_cbranch_execnz .LBB222_384
.LBB222_383:                            ;   in Loop: Header=BB222_18 Depth=1
	v_cvt_f32_u32_e32 v2, s35
	s_sub_i32 s7, 0, s35
	s_delay_alu instid0(VALU_DEP_1) | instskip(SKIP_2) | instid1(VALU_DEP_1)
	v_rcp_iflag_f32_e32 v2, v2
	s_waitcnt_depctr 0xfff
	v_mul_f32_e32 v2, 0x4f7ffffe, v2
	v_cvt_u32_f32_e32 v2, v2
	s_delay_alu instid0(VALU_DEP_1) | instskip(NEXT) | instid1(VALU_DEP_1)
	v_mul_lo_u32 v3, s7, v2
	v_mul_hi_u32 v3, v2, v3
	s_delay_alu instid0(VALU_DEP_1) | instskip(NEXT) | instid1(VALU_DEP_1)
	v_add_nc_u32_e32 v2, v2, v3
	v_mul_hi_u32 v2, s26, v2
	s_delay_alu instid0(VALU_DEP_1) | instskip(NEXT) | instid1(VALU_DEP_1)
	v_mul_lo_u32 v2, v2, s35
	v_sub_nc_u32_e32 v2, s26, v2
	s_delay_alu instid0(VALU_DEP_1) | instskip(SKIP_1) | instid1(VALU_DEP_2)
	v_subrev_nc_u32_e32 v3, s35, v2
	v_cmp_le_u32_e32 vcc_lo, s35, v2
	v_cndmask_b32_e32 v2, v2, v3, vcc_lo
	s_delay_alu instid0(VALU_DEP_1) | instskip(SKIP_1) | instid1(VALU_DEP_2)
	v_subrev_nc_u32_e32 v3, s35, v2
	v_cmp_le_u32_e32 vcc_lo, s35, v2
	v_cndmask_b32_e32 v12, v2, v3, vcc_lo
	s_delay_alu instid0(VALU_DEP_1)
	v_dual_mov_b32 v2, v12 :: v_dual_mov_b32 v3, v13
.LBB222_384:                            ;   in Loop: Header=BB222_18 Depth=1
	s_delay_alu instid0(VALU_DEP_1) | instskip(NEXT) | instid1(VALU_DEP_2)
	v_sub_co_u32 v2, vcc_lo, s26, v2
	v_sub_co_ci_u32_e32 v3, vcc_lo, s15, v3, vcc_lo
	s_mov_b32 s7, 0
	s_mov_b32 s14, exec_lo
                                        ; implicit-def: $vgpr32
	s_delay_alu instid0(VALU_DEP_1)
	v_cmpx_gt_u64_e64 v[2:3], v[0:1]
	s_cbranch_execz .LBB222_396
; %bb.385:                              ;   in Loop: Header=BB222_18 Depth=1
	v_mov_b32_e32 v8, v25
	v_dual_mov_b32 v7, v1 :: v_dual_mov_b32 v6, v0
	s_mov_b32 s15, 0
                                        ; implicit-def: $sgpr26
	s_branch .LBB222_387
.LBB222_386:                            ;   in Loop: Header=BB222_387 Depth=2
	s_or_b32 exec_lo, exec_lo, s7
	s_waitcnt lgkmcnt(0)
	s_barrier
	buffer_gl0_inv
	ds_load_b32 v9, v13 offset:3072
	v_add_co_u32 v6, vcc_lo, v6, s35
	v_add_co_ci_u32_e32 v7, vcc_lo, 0, v7, vcc_lo
	v_add_nc_u32_e32 v8, s94, v8
	s_waitcnt lgkmcnt(0)
	s_barrier
	s_delay_alu instid0(VALU_DEP_2) | instskip(SKIP_2) | instid1(VALU_DEP_1)
	v_cmp_ge_u64_e32 vcc_lo, v[6:7], v[2:3]
	buffer_gl0_inv
	v_and_b32_e32 v12, 0x7fff, v9
	v_cmp_ne_u16_e64 s7, 0, v12
	s_delay_alu instid0(VALU_DEP_1) | instskip(NEXT) | instid1(SALU_CYCLE_1)
	s_or_b32 s62, vcc_lo, s7
	s_and_b32 s62, exec_lo, s62
	s_delay_alu instid0(SALU_CYCLE_1) | instskip(SKIP_2) | instid1(SALU_CYCLE_1)
	s_or_b32 s15, s62, s15
	s_and_not1_b32 s26, s26, exec_lo
	s_and_b32 s7, s7, exec_lo
	s_or_b32 s26, s26, s7
	s_and_not1_b32 exec_lo, exec_lo, s15
	s_cbranch_execz .LBB222_395
.LBB222_387:                            ;   Parent Loop BB222_18 Depth=1
                                        ; =>  This Inner Loop Header: Depth=2
	s_delay_alu instid0(VALU_DEP_1)
	v_cmp_gt_u64_e32 vcc_lo, s[8:9], v[6:7]
	v_mov_b32_e32 v9, 0
	s_and_saveexec_b32 s7, vcc_lo
	s_cbranch_execz .LBB222_389
; %bb.388:                              ;   in Loop: Header=BB222_387 Depth=2
	ds_load_u16 v9, v8
.LBB222_389:                            ;   in Loop: Header=BB222_387 Depth=2
	s_or_b32 exec_lo, exec_lo, s7
	s_and_saveexec_b32 s7, vcc_lo
	s_cbranch_execz .LBB222_386
; %bb.390:                              ;   in Loop: Header=BB222_387 Depth=2
	s_waitcnt lgkmcnt(0)
	v_cmp_lt_i16_e32 vcc_lo, -1, v9
	v_and_b32_e32 v12, 0xffff, v9
	v_cndmask_b32_e32 v16, 0xffff, v29, vcc_lo
	s_delay_alu instid0(VALU_DEP_1) | instskip(SKIP_1) | instid1(VALU_DEP_1)
	v_xor_b32_e32 v12, v16, v12
	v_lshlrev_b32_e32 v17, 16, v9
	v_cmp_o_f32_e32 vcc_lo, v17, v17
	s_delay_alu instid0(VALU_DEP_3) | instskip(NEXT) | instid1(VALU_DEP_1)
	v_cndmask_b32_e32 v12, 0xffff, v12, vcc_lo
	v_and_b32_e32 v12, v12, v30
	s_delay_alu instid0(VALU_DEP_1)
	v_cmp_eq_u32_e32 vcc_lo, v12, v31
	s_and_b32 exec_lo, exec_lo, vcc_lo
	s_cbranch_execz .LBB222_386
; %bb.391:                              ;   in Loop: Header=BB222_387 Depth=2
	v_perm_b32 v9, v9, s97, 0x5040100
	ds_store_b32 v13, v9 offset:3072
	s_branch .LBB222_386
.LBB222_392:                            ;   in Loop: Header=BB222_18 Depth=1
                                        ; implicit-def: $vgpr4_vgpr5
	s_branch .LBB222_337
.LBB222_393:                            ;   in Loop: Header=BB222_18 Depth=1
                                        ; implicit-def: $vgpr4_vgpr5
	s_branch .LBB222_353
.LBB222_394:                            ;   in Loop: Header=BB222_18 Depth=1
	s_mov_b32 s14, -1
	s_mov_b32 s7, 0
                                        ; implicit-def: $sgpr15
                                        ; implicit-def: $vgpr32
	s_mov_b32 s77, s14
	s_cbranch_execnz .LBB222_397
	s_branch .LBB222_410
.LBB222_395:                            ;   in Loop: Header=BB222_18 Depth=1
	s_or_b32 exec_lo, exec_lo, s15
	v_lshrrev_b32_e32 v32, 16, v9
	s_and_b32 s7, s26, exec_lo
.LBB222_396:                            ;   in Loop: Header=BB222_18 Depth=1
	s_or_b32 exec_lo, exec_lo, s14
	s_mov_b32 s14, 0
	s_mov_b32 s15, -1
	s_mov_b32 s77, s14
	s_branch .LBB222_410
.LBB222_397:                            ;   in Loop: Header=BB222_18 Depth=1
	s_mov_b32 s26, s71
	s_delay_alu instid0(SALU_CYCLE_1)
	s_cmp_lg_u64 s[26:27], 0
	s_cbranch_scc0 .LBB222_430
; %bb.398:                              ;   in Loop: Header=BB222_18 Depth=1
	v_cvt_f32_u32_e32 v2, s35
	s_sub_u32 s9, 0, s35
	s_subb_u32 s14, 0, 0
	s_delay_alu instid0(VALU_DEP_1) | instskip(NEXT) | instid1(VALU_DEP_1)
	v_fmac_f32_e64 v2, 0, 0x4f800000
	v_rcp_f32_e32 v2, v2
	s_waitcnt_depctr 0xfff
	v_mul_f32_e32 v2, 0x5f7ffffc, v2
	s_delay_alu instid0(VALU_DEP_1) | instskip(NEXT) | instid1(VALU_DEP_1)
	v_mul_f32_e32 v3, 0x2f800000, v2
	v_trunc_f32_e32 v3, v3
	s_delay_alu instid0(VALU_DEP_1) | instskip(SKIP_1) | instid1(VALU_DEP_2)
	v_fmac_f32_e32 v2, 0xcf800000, v3
	v_cvt_u32_f32_e32 v3, v3
	v_cvt_u32_f32_e32 v2, v2
	s_delay_alu instid0(VALU_DEP_2) | instskip(NEXT) | instid1(VALU_DEP_2)
	v_readfirstlane_b32 s7, v3
	v_readfirstlane_b32 s8, v2
	s_delay_alu instid0(VALU_DEP_2) | instskip(NEXT) | instid1(VALU_DEP_1)
	s_mul_i32 s15, s9, s7
	s_mul_hi_u32 s62, s9, s8
	s_mul_i32 s26, s14, s8
	s_add_i32 s15, s62, s15
	s_mul_i32 s63, s9, s8
	s_add_i32 s15, s15, s26
	s_mul_hi_u32 s62, s8, s63
	s_mul_hi_u32 s77, s7, s63
	s_mul_i32 s26, s7, s63
	s_mul_hi_u32 s63, s8, s15
	s_mul_i32 s8, s8, s15
	s_mul_hi_u32 s78, s7, s15
	s_add_u32 s8, s62, s8
	s_addc_u32 s62, 0, s63
	s_add_u32 s8, s8, s26
	s_mul_i32 s15, s7, s15
	s_addc_u32 s8, s62, s77
	s_addc_u32 s26, s78, 0
	s_add_u32 s8, s8, s15
	s_addc_u32 s15, 0, s26
	v_add_co_u32 v2, s8, v2, s8
	s_delay_alu instid0(VALU_DEP_1) | instskip(SKIP_1) | instid1(VALU_DEP_1)
	s_cmp_lg_u32 s8, 0
	s_addc_u32 s7, s7, s15
	v_readfirstlane_b32 s8, v2
	s_mul_i32 s15, s9, s7
	s_delay_alu instid0(VALU_DEP_1)
	s_mul_hi_u32 s26, s9, s8
	s_mul_i32 s14, s14, s8
	s_add_i32 s15, s26, s15
	s_mul_i32 s9, s9, s8
	s_add_i32 s15, s15, s14
	s_mul_hi_u32 s26, s7, s9
	s_mul_i32 s62, s7, s9
	s_mul_hi_u32 s9, s8, s9
	s_mul_hi_u32 s63, s8, s15
	s_mul_i32 s8, s8, s15
	s_mul_hi_u32 s14, s7, s15
	s_add_u32 s8, s9, s8
	s_addc_u32 s9, 0, s63
	s_add_u32 s8, s8, s62
	s_mul_i32 s15, s7, s15
	s_addc_u32 s8, s9, s26
	s_addc_u32 s9, s14, 0
	s_add_u32 s8, s8, s15
	s_addc_u32 s9, 0, s9
	v_add_co_u32 v2, s8, v2, s8
	s_delay_alu instid0(VALU_DEP_1) | instskip(SKIP_1) | instid1(VALU_DEP_1)
	s_cmp_lg_u32 s8, 0
	s_addc_u32 s7, s7, s9
	v_readfirstlane_b32 s8, v2
	s_mul_i32 s14, s88, s7
	s_mul_hi_u32 s9, s88, s7
	s_mul_hi_u32 s15, s27, s7
	s_mul_i32 s7, s27, s7
	s_mul_hi_u32 s26, s88, s8
	s_mul_hi_u32 s62, s27, s8
	s_mul_i32 s8, s27, s8
	s_add_u32 s14, s26, s14
	s_addc_u32 s9, 0, s9
	s_add_u32 s8, s14, s8
	s_addc_u32 s8, s9, s62
	s_addc_u32 s9, s15, 0
	s_add_u32 s7, s8, s7
	s_addc_u32 s8, 0, s9
	s_mul_hi_u32 s9, s35, s7
	s_mul_i32 s7, s35, s7
	s_mul_i32 s8, s35, s8
	v_sub_co_u32 v2, s7, s88, s7
	s_add_i32 s9, s9, s8
	s_cmp_lg_u32 s7, 0
	s_delay_alu instid0(VALU_DEP_1) | instskip(SKIP_3) | instid1(VALU_DEP_2)
	v_sub_co_u32 v3, s7, v2, s35
	s_subb_u32 s8, s27, s9
	s_cmp_lg_u32 s7, 0
	v_cmp_le_u32_e32 vcc_lo, s35, v2
	v_cmp_le_u32_e64 s7, s35, v3
	v_sub_co_u32 v6, s9, v3, s35
	s_subb_u32 s14, s8, 0
	s_cmp_lg_u32 s9, 0
	s_delay_alu instid0(VALU_DEP_2)
	v_cndmask_b32_e64 v7, 0, -1, s7
	s_subb_u32 s9, s14, 0
	s_cmp_eq_u32 s14, 0
	v_mov_b32_e32 v9, s9
	v_cndmask_b32_e64 v8, 0, -1, vcc_lo
	s_cselect_b32 vcc_lo, -1, 0
	s_cmp_eq_u32 s8, 0
	v_cndmask_b32_e32 v7, -1, v7, vcc_lo
	s_cselect_b32 vcc_lo, -1, 0
	v_cndmask_b32_e32 v8, -1, v8, vcc_lo
	s_delay_alu instid0(VALU_DEP_2) | instskip(NEXT) | instid1(VALU_DEP_2)
	v_cmp_ne_u32_e32 vcc_lo, 0, v7
	v_cmp_ne_u32_e64 s7, 0, v8
	v_cndmask_b32_e32 v7, s14, v9, vcc_lo
	v_cndmask_b32_e32 v6, v3, v6, vcc_lo
	s_delay_alu instid0(VALU_DEP_2) | instskip(NEXT) | instid1(VALU_DEP_2)
	v_cndmask_b32_e64 v3, s8, v7, s7
	v_cndmask_b32_e64 v2, v2, v6, s7
	s_cbranch_execnz .LBB222_400
.LBB222_399:                            ;   in Loop: Header=BB222_18 Depth=1
	v_cvt_f32_u32_e32 v2, s35
	s_sub_i32 s7, 0, s35
	s_delay_alu instid0(VALU_DEP_1) | instskip(SKIP_2) | instid1(VALU_DEP_1)
	v_rcp_iflag_f32_e32 v2, v2
	s_waitcnt_depctr 0xfff
	v_mul_f32_e32 v2, 0x4f7ffffe, v2
	v_cvt_u32_f32_e32 v2, v2
	s_delay_alu instid0(VALU_DEP_1) | instskip(NEXT) | instid1(VALU_DEP_1)
	v_mul_lo_u32 v3, s7, v2
	v_mul_hi_u32 v3, v2, v3
	s_delay_alu instid0(VALU_DEP_1) | instskip(NEXT) | instid1(VALU_DEP_1)
	v_add_nc_u32_e32 v2, v2, v3
	v_mul_hi_u32 v2, s88, v2
	s_delay_alu instid0(VALU_DEP_1) | instskip(NEXT) | instid1(VALU_DEP_1)
	v_mul_lo_u32 v2, v2, s35
	v_sub_nc_u32_e32 v2, s88, v2
	s_delay_alu instid0(VALU_DEP_1) | instskip(SKIP_1) | instid1(VALU_DEP_2)
	v_subrev_nc_u32_e32 v3, s35, v2
	v_cmp_le_u32_e32 vcc_lo, s35, v2
	v_cndmask_b32_e32 v2, v2, v3, vcc_lo
	s_delay_alu instid0(VALU_DEP_1) | instskip(SKIP_1) | instid1(VALU_DEP_2)
	v_subrev_nc_u32_e32 v3, s35, v2
	v_cmp_le_u32_e32 vcc_lo, s35, v2
	v_cndmask_b32_e32 v12, v2, v3, vcc_lo
	s_delay_alu instid0(VALU_DEP_1)
	v_dual_mov_b32 v2, v12 :: v_dual_mov_b32 v3, v13
.LBB222_400:                            ;   in Loop: Header=BB222_18 Depth=1
	s_delay_alu instid0(VALU_DEP_1) | instskip(NEXT) | instid1(VALU_DEP_2)
	v_sub_co_u32 v2, vcc_lo, s88, v2
	v_sub_co_ci_u32_e32 v3, vcc_lo, s27, v3, vcc_lo
	s_mov_b32 s7, 0
	s_mov_b32 s8, exec_lo
                                        ; implicit-def: $vgpr32
	s_delay_alu instid0(VALU_DEP_1)
	v_cmpx_gt_u64_e64 v[2:3], v[0:1]
	s_cbranch_execz .LBB222_409
; %bb.401:                              ;   in Loop: Header=BB222_18 Depth=1
	v_dual_mov_b32 v7, v1 :: v_dual_mov_b32 v6, v0
	s_mov_b32 s9, 0
                                        ; implicit-def: $sgpr14
	s_branch .LBB222_403
.LBB222_402:                            ;   in Loop: Header=BB222_403 Depth=2
	s_or_b32 exec_lo, exec_lo, s7
	s_waitcnt vmcnt(0) lgkmcnt(0)
	s_barrier
	buffer_gl0_inv
	ds_load_b32 v8, v13 offset:3072
	v_add_co_u32 v6, vcc_lo, v6, s35
	v_add_co_ci_u32_e32 v7, vcc_lo, 0, v7, vcc_lo
	s_waitcnt lgkmcnt(0)
	s_barrier
	buffer_gl0_inv
	v_cmp_ge_u64_e32 vcc_lo, v[6:7], v[2:3]
	v_and_b32_e32 v9, 0x7fff, v8
	s_delay_alu instid0(VALU_DEP_1) | instskip(NEXT) | instid1(VALU_DEP_1)
	v_cmp_ne_u16_e64 s7, 0, v9
	s_or_b32 s15, vcc_lo, s7
	s_delay_alu instid0(SALU_CYCLE_1) | instskip(NEXT) | instid1(SALU_CYCLE_1)
	s_and_b32 s15, exec_lo, s15
	s_or_b32 s9, s15, s9
	s_and_not1_b32 s14, s14, exec_lo
	s_and_b32 s7, s7, exec_lo
	s_delay_alu instid0(SALU_CYCLE_1)
	s_or_b32 s14, s14, s7
	s_and_not1_b32 exec_lo, exec_lo, s9
	s_cbranch_execz .LBB222_408
.LBB222_403:                            ;   Parent Loop BB222_18 Depth=1
                                        ; =>  This Inner Loop Header: Depth=2
	s_delay_alu instid0(VALU_DEP_1)
	v_cmp_gt_u64_e32 vcc_lo, s[36:37], v[6:7]
	v_mov_b32_e32 v8, 0
	s_and_saveexec_b32 s15, vcc_lo
	s_cbranch_execz .LBB222_405
; %bb.404:                              ;   in Loop: Header=BB222_403 Depth=2
	v_mul_lo_u32 v12, v7, s30
	v_mul_lo_u32 v16, v6, s31
	v_mad_u64_u32 v[8:9], null, v6, s30, 0
	s_delay_alu instid0(VALU_DEP_1) | instskip(NEXT) | instid1(VALU_DEP_1)
	v_add3_u32 v9, v9, v16, v12
	v_lshlrev_b64 v[8:9], 1, v[8:9]
	s_delay_alu instid0(VALU_DEP_1) | instskip(NEXT) | instid1(VALU_DEP_1)
	v_add_co_u32 v8, s7, s29, v8
	v_add_co_ci_u32_e64 v9, s7, s33, v9, s7
	global_load_u16 v8, v[8:9], off
.LBB222_405:                            ;   in Loop: Header=BB222_403 Depth=2
	s_or_b32 exec_lo, exec_lo, s15
	s_and_saveexec_b32 s7, vcc_lo
	s_cbranch_execz .LBB222_402
; %bb.406:                              ;   in Loop: Header=BB222_403 Depth=2
	s_waitcnt vmcnt(0)
	v_cmp_lt_i16_e32 vcc_lo, -1, v8
	v_dual_cndmask_b32 v12, 0xffff, v29 :: v_dual_and_b32 v9, 0xffff, v8
	s_delay_alu instid0(VALU_DEP_1) | instskip(SKIP_1) | instid1(VALU_DEP_1)
	v_xor_b32_e32 v9, v12, v9
	v_lshlrev_b32_e32 v16, 16, v8
	v_cmp_o_f32_e32 vcc_lo, v16, v16
	s_delay_alu instid0(VALU_DEP_3) | instskip(NEXT) | instid1(VALU_DEP_1)
	v_cndmask_b32_e32 v9, 0xffff, v9, vcc_lo
	v_and_b32_e32 v9, v9, v30
	s_delay_alu instid0(VALU_DEP_1)
	v_cmp_eq_u32_e32 vcc_lo, v9, v31
	s_and_b32 exec_lo, exec_lo, vcc_lo
	s_cbranch_execz .LBB222_402
; %bb.407:                              ;   in Loop: Header=BB222_403 Depth=2
	v_perm_b32 v8, v8, s97, 0x5040100
	ds_store_b32 v13, v8 offset:3072
	s_branch .LBB222_402
.LBB222_408:                            ;   in Loop: Header=BB222_18 Depth=1
	s_or_b32 exec_lo, exec_lo, s9
	v_lshrrev_b32_e32 v32, 16, v8
	s_and_b32 s7, s14, exec_lo
.LBB222_409:                            ;   in Loop: Header=BB222_18 Depth=1
	s_or_b32 exec_lo, exec_lo, s8
	s_mov_b32 s15, 0
	s_mov_b32 s14, -1
	s_mov_b32 s77, 0
.LBB222_410:                            ;   in Loop: Header=BB222_18 Depth=1
	s_or_not1_b32 s7, s7, exec_lo
.LBB222_411:                            ;   in Loop: Header=BB222_18 Depth=1
	s_or_b32 exec_lo, exec_lo, s61
	s_mov_b32 s26, 0
                                        ; implicit-def: $vgpr7
	s_and_saveexec_b32 s78, s7
	s_cbranch_execz .LBB222_476
; %bb.412:                              ;   in Loop: Header=BB222_18 Depth=1
	v_dual_mov_b32 v2, 1 :: v_dual_mov_b32 v7, 1
	v_mov_b32_e32 v3, 0
	s_xor_b32 s8, s60, -1
	s_delay_alu instid0(SALU_CYCLE_1)
	s_and_saveexec_b32 s7, s8
	s_cbranch_execz .LBB222_422
; %bb.413:                              ;   in Loop: Header=BB222_18 Depth=1
	s_mov_b32 s9, exec_lo
                                        ; implicit-def: $sgpr26
                                        ; implicit-def: $sgpr8
	v_cmpx_ge_u64_e64 s[12:13], v[4:5]
	s_xor_b32 s9, exec_lo, s9
	s_cbranch_execz .LBB222_419
; %bb.414:                              ;   in Loop: Header=BB222_18 Depth=1
	ds_load_b64 v[2:3], v13 offset:5120
	s_waitcnt lgkmcnt(0)
	v_cmp_ne_u64_e32 vcc_lo, 0, v[2:3]
	s_cbranch_vccnz .LBB222_418
; %bb.415:                              ;   in Loop: Header=BB222_18 Depth=1
	s_and_saveexec_b32 s8, s5
	s_cbranch_execz .LBB222_417
; %bb.416:                              ;   in Loop: Header=BB222_18 Depth=1
	v_dual_mov_b32 v2, s12 :: v_dual_mov_b32 v3, s13
	ds_store_b64 v13, v[2:3] offset:5128
.LBB222_417:                            ;   in Loop: Header=BB222_18 Depth=1
	s_or_b32 exec_lo, exec_lo, s8
	s_waitcnt lgkmcnt(0)
	s_barrier
	buffer_gl0_inv
.LBB222_418:                            ;   in Loop: Header=BB222_18 Depth=1
	s_lshl_b32 s8, 1, s22
	v_or_b32_e32 v30, s20, v30
	v_and_or_b32 v31, v31, s21, s8
	s_mov_b32 s8, 0
	s_mov_b32 s26, 5
.LBB222_419:                            ;   in Loop: Header=BB222_18 Depth=1
	s_or_saveexec_b32 s9, s9
	v_mov_b32_e32 v7, s26
	s_xor_b32 exec_lo, exec_lo, s9
; %bb.420:                              ;   in Loop: Header=BB222_18 Depth=1
	v_sub_co_u32 v4, vcc_lo, v4, s12
	v_subrev_co_ci_u32_e32 v5, vcc_lo, s13, v5, vcc_lo
	v_mov_b32_e32 v7, 0
	s_or_b32 s8, s8, exec_lo
; %bb.421:                              ;   in Loop: Header=BB222_18 Depth=1
	s_or_b32 exec_lo, exec_lo, s9
	s_delay_alu instid0(VALU_DEP_2)
	v_dual_mov_b32 v2, v4 :: v_dual_mov_b32 v3, v5
	s_and_b32 s26, s8, exec_lo
.LBB222_422:                            ;   in Loop: Header=BB222_18 Depth=1
	s_or_b32 exec_lo, exec_lo, s7
	s_mov_b32 s12, -1
                                        ; implicit-def: $sgpr7
                                        ; implicit-def: $sgpr8
                                        ; implicit-def: $sgpr9
	s_and_saveexec_b32 s22, s26
	s_cbranch_execz .LBB222_475
; %bb.423:                              ;   in Loop: Header=BB222_18 Depth=1
	v_cmp_eq_u64_e32 vcc_lo, 1, v[2:3]
	s_cmp_eq_u64 s[10:11], 1
	s_mov_b32 s13, -1
	s_cselect_b32 s7, -1, 0
                                        ; implicit-def: $sgpr8
                                        ; implicit-def: $sgpr9
	s_delay_alu instid0(SALU_CYCLE_1) | instskip(NEXT) | instid1(SALU_CYCLE_1)
	s_and_b32 s60, s7, vcc_lo
                                        ; implicit-def: $sgpr7
	s_and_saveexec_b32 s61, s60
	s_cbranch_execz .LBB222_462
; %bb.424:                              ;   in Loop: Header=BB222_18 Depth=1
	ds_load_b64 v[4:5], v13 offset:5120
	s_waitcnt lgkmcnt(0)
	s_barrier
	buffer_gl0_inv
	v_readfirstlane_b32 s8, v4
	v_readfirstlane_b32 s9, v5
	s_and_saveexec_b32 s7, s6
	s_cbranch_execz .LBB222_426
; %bb.425:                              ;   in Loop: Header=BB222_18 Depth=1
	ds_store_b16 v26, v13
.LBB222_426:                            ;   in Loop: Header=BB222_18 Depth=1
	s_or_b32 exec_lo, exec_lo, s7
	v_and_b32_e32 v31, s21, v31
	v_or_b32_e32 v30, s20, v30
	s_cmp_eq_u64 s[8:9], 0
	s_waitcnt lgkmcnt(0)
	s_barrier
	buffer_gl0_inv
	s_cbranch_scc1 .LBB222_431
; %bb.427:                              ;   in Loop: Header=BB222_18 Depth=1
	s_add_u32 s26, s86, s8
	s_addc_u32 s13, s87, s9
	s_mov_b32 s12, s71
	s_delay_alu instid0(SALU_CYCLE_1)
	s_cmp_lg_u64 s[12:13], 0
	s_cbranch_scc0 .LBB222_432
; %bb.428:                              ;   in Loop: Header=BB222_18 Depth=1
	v_cvt_f32_u32_e32 v4, s35
	s_sub_u32 s62, 0, s35
	s_subb_u32 s63, 0, 0
	s_delay_alu instid0(VALU_DEP_1) | instskip(NEXT) | instid1(VALU_DEP_1)
	v_fmac_f32_e64 v4, 0, 0x4f800000
	v_rcp_f32_e32 v4, v4
	s_waitcnt_depctr 0xfff
	v_mul_f32_e32 v4, 0x5f7ffffc, v4
	s_delay_alu instid0(VALU_DEP_1) | instskip(NEXT) | instid1(VALU_DEP_1)
	v_mul_f32_e32 v5, 0x2f800000, v4
	v_trunc_f32_e32 v5, v5
	s_delay_alu instid0(VALU_DEP_1) | instskip(SKIP_1) | instid1(VALU_DEP_2)
	v_fmac_f32_e32 v4, 0xcf800000, v5
	v_cvt_u32_f32_e32 v5, v5
	v_cvt_u32_f32_e32 v4, v4
	s_delay_alu instid0(VALU_DEP_2) | instskip(NEXT) | instid1(VALU_DEP_2)
	v_readfirstlane_b32 s7, v5
	v_readfirstlane_b32 s12, v4
	s_delay_alu instid0(VALU_DEP_2) | instskip(NEXT) | instid1(VALU_DEP_1)
	s_mul_i32 s79, s62, s7
	s_mul_hi_u32 s81, s62, s12
	s_mul_i32 s80, s63, s12
	s_add_i32 s79, s81, s79
	s_mul_i32 s82, s62, s12
	s_add_i32 s79, s79, s80
	s_mul_hi_u32 s81, s12, s82
	s_mul_hi_u32 s83, s7, s82
	s_mul_i32 s80, s7, s82
	s_mul_hi_u32 s82, s12, s79
	s_mul_i32 s12, s12, s79
	s_mul_hi_u32 vcc_lo, s7, s79
	s_add_u32 s12, s81, s12
	s_addc_u32 s81, 0, s82
	s_add_u32 s12, s12, s80
	s_mul_i32 s79, s7, s79
	s_addc_u32 s12, s81, s83
	s_addc_u32 s80, vcc_lo, 0
	s_add_u32 s12, s12, s79
	s_addc_u32 s79, 0, s80
	v_add_co_u32 v4, s12, v4, s12
	s_delay_alu instid0(VALU_DEP_1) | instskip(SKIP_1) | instid1(VALU_DEP_1)
	s_cmp_lg_u32 s12, 0
	s_addc_u32 s7, s7, s79
	v_readfirstlane_b32 s12, v4
	s_mul_i32 s79, s62, s7
	s_delay_alu instid0(VALU_DEP_1)
	s_mul_hi_u32 s80, s62, s12
	s_mul_i32 s63, s63, s12
	s_add_i32 s79, s80, s79
	s_mul_i32 s62, s62, s12
	s_add_i32 s79, s79, s63
	s_mul_hi_u32 s80, s7, s62
	s_mul_i32 s81, s7, s62
	s_mul_hi_u32 s62, s12, s62
	s_mul_hi_u32 s82, s12, s79
	s_mul_i32 s12, s12, s79
	s_mul_hi_u32 s63, s7, s79
	s_add_u32 s12, s62, s12
	s_addc_u32 s62, 0, s82
	s_add_u32 s12, s12, s81
	s_mul_i32 s79, s7, s79
	s_addc_u32 s12, s62, s80
	s_addc_u32 s62, s63, 0
	s_add_u32 s12, s12, s79
	s_addc_u32 s62, 0, s62
	v_add_co_u32 v4, s12, v4, s12
	s_delay_alu instid0(VALU_DEP_1) | instskip(SKIP_1) | instid1(VALU_DEP_1)
	s_cmp_lg_u32 s12, 0
	s_addc_u32 s7, s7, s62
	v_readfirstlane_b32 s12, v4
	s_mul_i32 s63, s26, s7
	s_mul_hi_u32 s62, s26, s7
	s_mul_hi_u32 s79, s13, s7
	s_mul_i32 s7, s13, s7
	s_mul_hi_u32 s80, s26, s12
	s_mul_hi_u32 s81, s13, s12
	s_mul_i32 s12, s13, s12
	s_add_u32 s63, s80, s63
	s_addc_u32 s62, 0, s62
	s_add_u32 s12, s63, s12
	s_addc_u32 s12, s62, s81
	s_addc_u32 s62, s79, 0
	s_add_u32 s7, s12, s7
	s_addc_u32 s12, 0, s62
	s_mul_hi_u32 s62, s35, s7
	s_mul_i32 s7, s35, s7
	s_mul_i32 s12, s35, s12
	v_sub_co_u32 v4, s7, s26, s7
	s_add_i32 s62, s62, s12
	s_cmp_lg_u32 s7, 0
	s_delay_alu instid0(VALU_DEP_1) | instskip(SKIP_3) | instid1(VALU_DEP_2)
	v_sub_co_u32 v5, s7, v4, s35
	s_subb_u32 s12, s13, s62
	s_cmp_lg_u32 s7, 0
	v_cmp_le_u32_e32 vcc_lo, s35, v4
	v_cmp_le_u32_e64 s7, s35, v5
	v_sub_co_u32 v6, s62, v5, s35
	s_subb_u32 s63, s12, 0
	s_cmp_lg_u32 s62, 0
	s_delay_alu instid0(VALU_DEP_2)
	v_cndmask_b32_e64 v7, 0, -1, s7
	s_subb_u32 s62, s63, 0
	s_cmp_eq_u32 s63, 0
	v_mov_b32_e32 v9, s62
	v_cndmask_b32_e64 v8, 0, -1, vcc_lo
	s_cselect_b32 vcc_lo, -1, 0
	s_cmp_eq_u32 s12, 0
	v_cndmask_b32_e32 v7, -1, v7, vcc_lo
	s_cselect_b32 vcc_lo, -1, 0
	v_cndmask_b32_e32 v8, -1, v8, vcc_lo
	s_delay_alu instid0(VALU_DEP_2) | instskip(NEXT) | instid1(VALU_DEP_2)
	v_cmp_ne_u32_e32 vcc_lo, 0, v7
	v_cmp_ne_u32_e64 s7, 0, v8
	v_cndmask_b32_e32 v7, s63, v9, vcc_lo
	v_cndmask_b32_e32 v6, v5, v6, vcc_lo
	s_delay_alu instid0(VALU_DEP_2) | instskip(NEXT) | instid1(VALU_DEP_2)
	v_cndmask_b32_e64 v5, s12, v7, s7
	v_cndmask_b32_e64 v4, v4, v6, s7
	s_mov_b32 s7, 0
	s_branch .LBB222_433
.LBB222_429:                            ;   in Loop: Header=BB222_18 Depth=1
                                        ; implicit-def: $vgpr2_vgpr3
	s_branch .LBB222_383
.LBB222_430:                            ;   in Loop: Header=BB222_18 Depth=1
                                        ; implicit-def: $vgpr2_vgpr3
	s_branch .LBB222_399
.LBB222_431:                            ;   in Loop: Header=BB222_18 Depth=1
	s_mov_b32 s7, -1
	s_mov_b32 s13, 0
                                        ; implicit-def: $sgpr8
                                        ; implicit-def: $vgpr32
	s_branch .LBB222_445
.LBB222_432:                            ;   in Loop: Header=BB222_18 Depth=1
	s_mov_b32 s7, -1
                                        ; implicit-def: $vgpr4_vgpr5
.LBB222_433:                            ;   in Loop: Header=BB222_18 Depth=1
	s_delay_alu instid0(SALU_CYCLE_1)
	s_and_not1_b32 vcc_lo, exec_lo, s7
	s_cbranch_vccnz .LBB222_435
; %bb.434:                              ;   in Loop: Header=BB222_18 Depth=1
	v_cvt_f32_u32_e32 v4, s35
	s_sub_i32 s7, 0, s35
	s_delay_alu instid0(VALU_DEP_1) | instskip(SKIP_2) | instid1(VALU_DEP_1)
	v_rcp_iflag_f32_e32 v4, v4
	s_waitcnt_depctr 0xfff
	v_mul_f32_e32 v4, 0x4f7ffffe, v4
	v_cvt_u32_f32_e32 v4, v4
	s_delay_alu instid0(VALU_DEP_1) | instskip(NEXT) | instid1(VALU_DEP_1)
	v_mul_lo_u32 v5, s7, v4
	v_mul_hi_u32 v5, v4, v5
	s_delay_alu instid0(VALU_DEP_1) | instskip(NEXT) | instid1(VALU_DEP_1)
	v_add_nc_u32_e32 v4, v4, v5
	v_mul_hi_u32 v4, s26, v4
	s_delay_alu instid0(VALU_DEP_1) | instskip(NEXT) | instid1(VALU_DEP_1)
	v_mul_lo_u32 v4, v4, s35
	v_sub_nc_u32_e32 v4, s26, v4
	s_delay_alu instid0(VALU_DEP_1) | instskip(SKIP_1) | instid1(VALU_DEP_2)
	v_subrev_nc_u32_e32 v5, s35, v4
	v_cmp_le_u32_e32 vcc_lo, s35, v4
	v_cndmask_b32_e32 v4, v4, v5, vcc_lo
	s_delay_alu instid0(VALU_DEP_1) | instskip(SKIP_1) | instid1(VALU_DEP_2)
	v_subrev_nc_u32_e32 v5, s35, v4
	v_cmp_le_u32_e32 vcc_lo, s35, v4
	v_cndmask_b32_e32 v12, v4, v5, vcc_lo
	s_delay_alu instid0(VALU_DEP_1)
	v_dual_mov_b32 v4, v12 :: v_dual_mov_b32 v5, v13
.LBB222_435:                            ;   in Loop: Header=BB222_18 Depth=1
	s_delay_alu instid0(VALU_DEP_1) | instskip(NEXT) | instid1(VALU_DEP_2)
	v_sub_co_u32 v4, vcc_lo, s26, v4
	v_sub_co_ci_u32_e32 v5, vcc_lo, s13, v5, vcc_lo
	s_mov_b32 s13, 0
	s_mov_b32 s12, exec_lo
                                        ; implicit-def: $vgpr32
	s_delay_alu instid0(VALU_DEP_1)
	v_cmpx_gt_u64_e64 v[4:5], v[0:1]
	s_cbranch_execz .LBB222_444
; %bb.436:                              ;   in Loop: Header=BB222_18 Depth=1
	v_mov_b32_e32 v8, v25
	v_dual_mov_b32 v7, v1 :: v_dual_mov_b32 v6, v0
                                        ; implicit-def: $sgpr26
	s_branch .LBB222_438
.LBB222_437:                            ;   in Loop: Header=BB222_438 Depth=2
	s_or_b32 exec_lo, exec_lo, s7
	s_waitcnt lgkmcnt(0)
	s_barrier
	buffer_gl0_inv
	ds_load_b32 v9, v13 offset:3072
	v_add_co_u32 v6, vcc_lo, v6, s35
	v_add_co_ci_u32_e32 v7, vcc_lo, 0, v7, vcc_lo
	v_add_nc_u32_e32 v8, s94, v8
	s_waitcnt lgkmcnt(0)
	s_barrier
	s_delay_alu instid0(VALU_DEP_2) | instskip(SKIP_2) | instid1(VALU_DEP_1)
	v_cmp_ge_u64_e32 vcc_lo, v[6:7], v[4:5]
	buffer_gl0_inv
	v_and_b32_e32 v12, 0x7fff, v9
	v_cmp_ne_u16_e64 s7, 0, v12
	s_delay_alu instid0(VALU_DEP_1) | instskip(NEXT) | instid1(SALU_CYCLE_1)
	s_or_b32 s62, vcc_lo, s7
	s_and_b32 s62, exec_lo, s62
	s_delay_alu instid0(SALU_CYCLE_1) | instskip(SKIP_2) | instid1(SALU_CYCLE_1)
	s_or_b32 s13, s62, s13
	s_and_not1_b32 s26, s26, exec_lo
	s_and_b32 s7, s7, exec_lo
	s_or_b32 s26, s26, s7
	s_and_not1_b32 exec_lo, exec_lo, s13
	s_cbranch_execz .LBB222_443
.LBB222_438:                            ;   Parent Loop BB222_18 Depth=1
                                        ; =>  This Inner Loop Header: Depth=2
	s_delay_alu instid0(VALU_DEP_1)
	v_cmp_gt_u64_e32 vcc_lo, s[8:9], v[6:7]
	v_mov_b32_e32 v9, 0
	s_and_saveexec_b32 s7, vcc_lo
	s_cbranch_execz .LBB222_440
; %bb.439:                              ;   in Loop: Header=BB222_438 Depth=2
	ds_load_u16 v9, v8
.LBB222_440:                            ;   in Loop: Header=BB222_438 Depth=2
	s_or_b32 exec_lo, exec_lo, s7
	s_and_saveexec_b32 s7, vcc_lo
	s_cbranch_execz .LBB222_437
; %bb.441:                              ;   in Loop: Header=BB222_438 Depth=2
	s_waitcnt lgkmcnt(0)
	v_cmp_lt_i16_e32 vcc_lo, -1, v9
	v_and_b32_e32 v12, 0xffff, v9
	v_cndmask_b32_e32 v16, 0xffff, v29, vcc_lo
	s_delay_alu instid0(VALU_DEP_1) | instskip(SKIP_1) | instid1(VALU_DEP_1)
	v_xor_b32_e32 v12, v16, v12
	v_lshlrev_b32_e32 v17, 16, v9
	v_cmp_o_f32_e32 vcc_lo, v17, v17
	s_delay_alu instid0(VALU_DEP_3) | instskip(NEXT) | instid1(VALU_DEP_1)
	v_cndmask_b32_e32 v12, 0xffff, v12, vcc_lo
	v_and_b32_e32 v12, v12, v30
	s_delay_alu instid0(VALU_DEP_1)
	v_cmp_eq_u32_e32 vcc_lo, v12, v31
	s_and_b32 exec_lo, exec_lo, vcc_lo
	s_cbranch_execz .LBB222_437
; %bb.442:                              ;   in Loop: Header=BB222_438 Depth=2
	v_perm_b32 v9, v9, s97, 0x5040100
	ds_store_b32 v13, v9 offset:3072
	s_branch .LBB222_437
.LBB222_443:                            ;   in Loop: Header=BB222_18 Depth=1
	s_or_b32 exec_lo, exec_lo, s13
	v_lshrrev_b32_e32 v32, 16, v9
	s_and_b32 s13, s26, exec_lo
.LBB222_444:                            ;   in Loop: Header=BB222_18 Depth=1
	s_or_b32 exec_lo, exec_lo, s12
	s_mov_b32 s7, 0
	s_mov_b32 s8, -1
.LBB222_445:                            ;   in Loop: Header=BB222_18 Depth=1
	s_and_b32 vcc_lo, exec_lo, s7
	s_mov_b32 s9, s7
	s_cbranch_vccz .LBB222_461
; %bb.446:                              ;   in Loop: Header=BB222_18 Depth=1
	s_mov_b32 s26, s71
	s_delay_alu instid0(SALU_CYCLE_1)
	s_cmp_lg_u64 s[26:27], 0
	s_cbranch_scc0 .LBB222_448
; %bb.447:                              ;   in Loop: Header=BB222_18 Depth=1
	v_cvt_f32_u32_e32 v4, s35
	s_sub_u32 s9, 0, s35
	s_subb_u32 s12, 0, 0
	s_delay_alu instid0(VALU_DEP_1) | instskip(NEXT) | instid1(VALU_DEP_1)
	v_fmac_f32_e64 v4, 0, 0x4f800000
	v_rcp_f32_e32 v4, v4
	s_waitcnt_depctr 0xfff
	v_mul_f32_e32 v4, 0x5f7ffffc, v4
	s_delay_alu instid0(VALU_DEP_1) | instskip(NEXT) | instid1(VALU_DEP_1)
	v_mul_f32_e32 v5, 0x2f800000, v4
	v_trunc_f32_e32 v5, v5
	s_delay_alu instid0(VALU_DEP_1) | instskip(SKIP_1) | instid1(VALU_DEP_2)
	v_fmac_f32_e32 v4, 0xcf800000, v5
	v_cvt_u32_f32_e32 v5, v5
	v_cvt_u32_f32_e32 v4, v4
	s_delay_alu instid0(VALU_DEP_2) | instskip(NEXT) | instid1(VALU_DEP_2)
	v_readfirstlane_b32 s7, v5
	v_readfirstlane_b32 s8, v4
	s_delay_alu instid0(VALU_DEP_2) | instskip(NEXT) | instid1(VALU_DEP_1)
	s_mul_i32 s13, s9, s7
	s_mul_hi_u32 s62, s9, s8
	s_mul_i32 s26, s12, s8
	s_add_i32 s13, s62, s13
	s_mul_i32 s63, s9, s8
	s_add_i32 s13, s13, s26
	s_mul_hi_u32 s62, s8, s63
	s_mul_hi_u32 s79, s7, s63
	s_mul_i32 s26, s7, s63
	s_mul_hi_u32 s63, s8, s13
	s_mul_i32 s8, s8, s13
	s_mul_hi_u32 s80, s7, s13
	s_add_u32 s8, s62, s8
	s_addc_u32 s62, 0, s63
	s_add_u32 s8, s8, s26
	s_mul_i32 s13, s7, s13
	s_addc_u32 s8, s62, s79
	s_addc_u32 s26, s80, 0
	s_add_u32 s8, s8, s13
	s_addc_u32 s13, 0, s26
	v_add_co_u32 v4, s8, v4, s8
	s_delay_alu instid0(VALU_DEP_1) | instskip(SKIP_1) | instid1(VALU_DEP_1)
	s_cmp_lg_u32 s8, 0
	s_addc_u32 s7, s7, s13
	v_readfirstlane_b32 s8, v4
	s_mul_i32 s13, s9, s7
	s_delay_alu instid0(VALU_DEP_1)
	s_mul_hi_u32 s26, s9, s8
	s_mul_i32 s12, s12, s8
	s_add_i32 s13, s26, s13
	s_mul_i32 s9, s9, s8
	s_add_i32 s13, s13, s12
	s_mul_hi_u32 s26, s7, s9
	s_mul_i32 s62, s7, s9
	s_mul_hi_u32 s9, s8, s9
	s_mul_hi_u32 s63, s8, s13
	s_mul_i32 s8, s8, s13
	s_mul_hi_u32 s12, s7, s13
	s_add_u32 s8, s9, s8
	s_addc_u32 s9, 0, s63
	s_add_u32 s8, s8, s62
	s_mul_i32 s13, s7, s13
	s_addc_u32 s8, s9, s26
	s_addc_u32 s9, s12, 0
	s_add_u32 s8, s8, s13
	s_addc_u32 s9, 0, s9
	v_add_co_u32 v4, s8, v4, s8
	s_delay_alu instid0(VALU_DEP_1) | instskip(SKIP_1) | instid1(VALU_DEP_1)
	s_cmp_lg_u32 s8, 0
	s_addc_u32 s7, s7, s9
	v_readfirstlane_b32 s8, v4
	s_mul_i32 s12, s88, s7
	s_mul_hi_u32 s9, s88, s7
	s_mul_hi_u32 s13, s27, s7
	s_mul_i32 s7, s27, s7
	s_mul_hi_u32 s26, s88, s8
	s_mul_hi_u32 s62, s27, s8
	s_mul_i32 s8, s27, s8
	s_add_u32 s12, s26, s12
	s_addc_u32 s9, 0, s9
	s_add_u32 s8, s12, s8
	s_addc_u32 s8, s9, s62
	s_addc_u32 s9, s13, 0
	s_add_u32 s7, s8, s7
	s_addc_u32 s8, 0, s9
	s_mul_hi_u32 s9, s35, s7
	s_mul_i32 s7, s35, s7
	s_mul_i32 s8, s35, s8
	v_sub_co_u32 v4, s7, s88, s7
	s_add_i32 s9, s9, s8
	s_cmp_lg_u32 s7, 0
	s_delay_alu instid0(VALU_DEP_1) | instskip(SKIP_3) | instid1(VALU_DEP_2)
	v_sub_co_u32 v5, s7, v4, s35
	s_subb_u32 s8, s27, s9
	s_cmp_lg_u32 s7, 0
	v_cmp_le_u32_e32 vcc_lo, s35, v4
	v_cmp_le_u32_e64 s7, s35, v5
	v_sub_co_u32 v6, s9, v5, s35
	s_subb_u32 s12, s8, 0
	s_cmp_lg_u32 s9, 0
	s_delay_alu instid0(VALU_DEP_2)
	v_cndmask_b32_e64 v7, 0, -1, s7
	s_subb_u32 s9, s12, 0
	s_cmp_eq_u32 s12, 0
	v_mov_b32_e32 v9, s9
	v_cndmask_b32_e64 v8, 0, -1, vcc_lo
	s_cselect_b32 vcc_lo, -1, 0
	s_cmp_eq_u32 s8, 0
	v_cndmask_b32_e32 v7, -1, v7, vcc_lo
	s_cselect_b32 vcc_lo, -1, 0
	v_cndmask_b32_e32 v8, -1, v8, vcc_lo
	s_delay_alu instid0(VALU_DEP_2) | instskip(NEXT) | instid1(VALU_DEP_2)
	v_cmp_ne_u32_e32 vcc_lo, 0, v7
	v_cmp_ne_u32_e64 s7, 0, v8
	v_cndmask_b32_e32 v7, s12, v9, vcc_lo
	v_cndmask_b32_e32 v6, v5, v6, vcc_lo
	s_delay_alu instid0(VALU_DEP_2) | instskip(NEXT) | instid1(VALU_DEP_2)
	v_cndmask_b32_e64 v5, s8, v7, s7
	v_cndmask_b32_e64 v4, v4, v6, s7
	s_mov_b32 s7, 0
	s_branch .LBB222_449
.LBB222_448:                            ;   in Loop: Header=BB222_18 Depth=1
	s_mov_b32 s7, -1
                                        ; implicit-def: $vgpr4_vgpr5
.LBB222_449:                            ;   in Loop: Header=BB222_18 Depth=1
	s_delay_alu instid0(SALU_CYCLE_1)
	s_and_not1_b32 vcc_lo, exec_lo, s7
	s_cbranch_vccnz .LBB222_451
; %bb.450:                              ;   in Loop: Header=BB222_18 Depth=1
	v_cvt_f32_u32_e32 v4, s35
	s_sub_i32 s7, 0, s35
	s_delay_alu instid0(VALU_DEP_1) | instskip(SKIP_2) | instid1(VALU_DEP_1)
	v_rcp_iflag_f32_e32 v4, v4
	s_waitcnt_depctr 0xfff
	v_mul_f32_e32 v4, 0x4f7ffffe, v4
	v_cvt_u32_f32_e32 v4, v4
	s_delay_alu instid0(VALU_DEP_1) | instskip(NEXT) | instid1(VALU_DEP_1)
	v_mul_lo_u32 v5, s7, v4
	v_mul_hi_u32 v5, v4, v5
	s_delay_alu instid0(VALU_DEP_1) | instskip(NEXT) | instid1(VALU_DEP_1)
	v_add_nc_u32_e32 v4, v4, v5
	v_mul_hi_u32 v4, s88, v4
	s_delay_alu instid0(VALU_DEP_1) | instskip(NEXT) | instid1(VALU_DEP_1)
	v_mul_lo_u32 v4, v4, s35
	v_sub_nc_u32_e32 v4, s88, v4
	s_delay_alu instid0(VALU_DEP_1) | instskip(SKIP_1) | instid1(VALU_DEP_2)
	v_subrev_nc_u32_e32 v5, s35, v4
	v_cmp_le_u32_e32 vcc_lo, s35, v4
	v_cndmask_b32_e32 v4, v4, v5, vcc_lo
	s_delay_alu instid0(VALU_DEP_1) | instskip(SKIP_1) | instid1(VALU_DEP_2)
	v_subrev_nc_u32_e32 v5, s35, v4
	v_cmp_le_u32_e32 vcc_lo, s35, v4
	v_cndmask_b32_e32 v12, v4, v5, vcc_lo
	s_delay_alu instid0(VALU_DEP_1)
	v_dual_mov_b32 v4, v12 :: v_dual_mov_b32 v5, v13
.LBB222_451:                            ;   in Loop: Header=BB222_18 Depth=1
	s_delay_alu instid0(VALU_DEP_1) | instskip(NEXT) | instid1(VALU_DEP_2)
	v_sub_co_u32 v4, vcc_lo, s88, v4
	v_sub_co_ci_u32_e32 v5, vcc_lo, s27, v5, vcc_lo
	s_mov_b32 s13, 0
	s_mov_b32 s8, exec_lo
                                        ; implicit-def: $vgpr32
	s_delay_alu instid0(VALU_DEP_1)
	v_cmpx_gt_u64_e64 v[4:5], v[0:1]
	s_cbranch_execz .LBB222_460
; %bb.452:                              ;   in Loop: Header=BB222_18 Depth=1
	v_dual_mov_b32 v7, v1 :: v_dual_mov_b32 v6, v0
	s_mov_b32 s9, 0
                                        ; implicit-def: $sgpr12
	s_branch .LBB222_454
.LBB222_453:                            ;   in Loop: Header=BB222_454 Depth=2
	s_or_b32 exec_lo, exec_lo, s7
	s_waitcnt vmcnt(0) lgkmcnt(0)
	s_barrier
	buffer_gl0_inv
	ds_load_b32 v8, v13 offset:3072
	v_add_co_u32 v6, vcc_lo, v6, s35
	v_add_co_ci_u32_e32 v7, vcc_lo, 0, v7, vcc_lo
	s_waitcnt lgkmcnt(0)
	s_barrier
	buffer_gl0_inv
	v_cmp_ge_u64_e32 vcc_lo, v[6:7], v[4:5]
	v_and_b32_e32 v9, 0x7fff, v8
	s_delay_alu instid0(VALU_DEP_1) | instskip(NEXT) | instid1(VALU_DEP_1)
	v_cmp_ne_u16_e64 s7, 0, v9
	s_or_b32 s13, vcc_lo, s7
	s_delay_alu instid0(SALU_CYCLE_1) | instskip(NEXT) | instid1(SALU_CYCLE_1)
	s_and_b32 s13, exec_lo, s13
	s_or_b32 s9, s13, s9
	s_and_not1_b32 s12, s12, exec_lo
	s_and_b32 s7, s7, exec_lo
	s_delay_alu instid0(SALU_CYCLE_1)
	s_or_b32 s12, s12, s7
	s_and_not1_b32 exec_lo, exec_lo, s9
	s_cbranch_execz .LBB222_459
.LBB222_454:                            ;   Parent Loop BB222_18 Depth=1
                                        ; =>  This Inner Loop Header: Depth=2
	s_delay_alu instid0(VALU_DEP_1)
	v_cmp_gt_u64_e32 vcc_lo, s[36:37], v[6:7]
	v_mov_b32_e32 v8, 0
	s_and_saveexec_b32 s13, vcc_lo
	s_cbranch_execz .LBB222_456
; %bb.455:                              ;   in Loop: Header=BB222_454 Depth=2
	v_mul_lo_u32 v12, v7, s30
	v_mul_lo_u32 v16, v6, s31
	v_mad_u64_u32 v[8:9], null, v6, s30, 0
	s_delay_alu instid0(VALU_DEP_1) | instskip(NEXT) | instid1(VALU_DEP_1)
	v_add3_u32 v9, v9, v16, v12
	v_lshlrev_b64 v[8:9], 1, v[8:9]
	s_delay_alu instid0(VALU_DEP_1) | instskip(NEXT) | instid1(VALU_DEP_1)
	v_add_co_u32 v8, s7, s29, v8
	v_add_co_ci_u32_e64 v9, s7, s33, v9, s7
	global_load_u16 v8, v[8:9], off
.LBB222_456:                            ;   in Loop: Header=BB222_454 Depth=2
	s_or_b32 exec_lo, exec_lo, s13
	s_and_saveexec_b32 s7, vcc_lo
	s_cbranch_execz .LBB222_453
; %bb.457:                              ;   in Loop: Header=BB222_454 Depth=2
	s_waitcnt vmcnt(0)
	v_cmp_lt_i16_e32 vcc_lo, -1, v8
	v_dual_cndmask_b32 v12, 0xffff, v29 :: v_dual_and_b32 v9, 0xffff, v8
	s_delay_alu instid0(VALU_DEP_1) | instskip(SKIP_1) | instid1(VALU_DEP_1)
	v_xor_b32_e32 v9, v12, v9
	v_lshlrev_b32_e32 v16, 16, v8
	v_cmp_o_f32_e32 vcc_lo, v16, v16
	s_delay_alu instid0(VALU_DEP_3) | instskip(NEXT) | instid1(VALU_DEP_1)
	v_cndmask_b32_e32 v9, 0xffff, v9, vcc_lo
	v_and_b32_e32 v9, v9, v30
	s_delay_alu instid0(VALU_DEP_1)
	v_cmp_eq_u32_e32 vcc_lo, v9, v31
	s_and_b32 exec_lo, exec_lo, vcc_lo
	s_cbranch_execz .LBB222_453
; %bb.458:                              ;   in Loop: Header=BB222_454 Depth=2
	v_perm_b32 v8, v8, s97, 0x5040100
	ds_store_b32 v13, v8 offset:3072
	s_branch .LBB222_453
.LBB222_459:                            ;   in Loop: Header=BB222_18 Depth=1
	s_or_b32 exec_lo, exec_lo, s9
	v_lshrrev_b32_e32 v32, 16, v8
	s_and_b32 s13, s12, exec_lo
.LBB222_460:                            ;   in Loop: Header=BB222_18 Depth=1
	s_or_b32 exec_lo, exec_lo, s8
	s_mov_b32 s8, 0
	s_mov_b32 s7, -1
	s_mov_b32 s9, 0
.LBB222_461:                            ;   in Loop: Header=BB222_18 Depth=1
	s_or_not1_b32 s13, s13, exec_lo
.LBB222_462:                            ;   in Loop: Header=BB222_18 Depth=1
	s_or_b32 exec_lo, exec_lo, s61
	s_mov_b32 s26, 0
                                        ; implicit-def: $vgpr7
                                        ; implicit-def: $vgpr4_vgpr5
	s_and_saveexec_b32 s12, s13
	s_cbranch_execz .LBB222_474
; %bb.463:                              ;   in Loop: Header=BB222_18 Depth=1
	v_dual_mov_b32 v4, 1 :: v_dual_mov_b32 v7, 1
	v_mov_b32_e32 v5, 0
	s_xor_b32 s26, s60, -1
	s_delay_alu instid0(SALU_CYCLE_1)
	s_and_saveexec_b32 s13, s26
	s_cbranch_execz .LBB222_473
; %bb.464:                              ;   in Loop: Header=BB222_18 Depth=1
	s_mov_b32 s26, exec_lo
                                        ; implicit-def: $sgpr60
	v_cmpx_ge_u64_e64 s[10:11], v[2:3]
	s_xor_b32 s26, exec_lo, s26
	s_cbranch_execz .LBB222_470
; %bb.465:                              ;   in Loop: Header=BB222_18 Depth=1
	ds_load_b64 v[4:5], v13 offset:5120
	s_waitcnt lgkmcnt(0)
	v_cmp_ne_u64_e32 vcc_lo, 0, v[4:5]
	s_cbranch_vccnz .LBB222_469
; %bb.466:                              ;   in Loop: Header=BB222_18 Depth=1
	s_and_saveexec_b32 s60, s5
	s_cbranch_execz .LBB222_468
; %bb.467:                              ;   in Loop: Header=BB222_18 Depth=1
	v_dual_mov_b32 v4, s10 :: v_dual_mov_b32 v5, s11
	ds_store_b64 v13, v[4:5] offset:5128
.LBB222_468:                            ;   in Loop: Header=BB222_18 Depth=1
	s_or_b32 exec_lo, exec_lo, s60
	s_waitcnt lgkmcnt(0)
	s_barrier
	buffer_gl0_inv
.LBB222_469:                            ;   in Loop: Header=BB222_18 Depth=1
	v_and_b32_e32 v31, s21, v31
	v_or_b32_e32 v30, s20, v30
	s_mov_b32 s60, 5
.LBB222_470:                            ;   in Loop: Header=BB222_18 Depth=1
	s_or_saveexec_b32 s20, s26
	v_mov_b32_e32 v7, s60
	s_xor_b32 exec_lo, exec_lo, s20
; %bb.471:                              ;   in Loop: Header=BB222_18 Depth=1
	v_sub_co_u32 v2, vcc_lo, v2, s10
	v_subrev_co_ci_u32_e32 v3, vcc_lo, s11, v3, vcc_lo
	v_mov_b32_e32 v7, 5
; %bb.472:                              ;   in Loop: Header=BB222_18 Depth=1
	s_or_b32 exec_lo, exec_lo, s20
	s_delay_alu instid0(VALU_DEP_2)
	v_dual_mov_b32 v5, v3 :: v_dual_mov_b32 v4, v2
.LBB222_473:                            ;   in Loop: Header=BB222_18 Depth=1
	s_or_b32 exec_lo, exec_lo, s13
	s_delay_alu instid0(SALU_CYCLE_1)
	s_mov_b32 s26, exec_lo
.LBB222_474:                            ;   in Loop: Header=BB222_18 Depth=1
	s_or_b32 exec_lo, exec_lo, s12
	s_delay_alu instid0(VALU_DEP_1)
	v_dual_mov_b32 v2, v4 :: v_dual_mov_b32 v3, v5
	s_or_not1_b32 s12, s26, exec_lo
.LBB222_475:                            ;   in Loop: Header=BB222_18 Depth=1
	s_or_b32 exec_lo, exec_lo, s22
	s_delay_alu instid0(SALU_CYCLE_1)
	s_and_not1_b32 s10, s14, exec_lo
	s_and_b32 s7, s7, exec_lo
	s_and_b32 s8, s8, exec_lo
	s_or_b32 s14, s10, s7
	s_and_not1_b32 s7, s15, exec_lo
	s_and_not1_b32 s10, s77, exec_lo
	s_and_b32 s9, s9, exec_lo
	v_dual_mov_b32 v5, v3 :: v_dual_mov_b32 v4, v2
	s_or_b32 s15, s7, s8
	s_or_b32 s77, s10, s9
	s_and_b32 s26, s12, exec_lo
.LBB222_476:                            ;   in Loop: Header=BB222_18 Depth=1
	s_or_b32 exec_lo, exec_lo, s78
	s_delay_alu instid0(SALU_CYCLE_1)
	s_and_b32 s14, s14, exec_lo
	s_and_b32 s9, s15, exec_lo
	;; [unrolled: 1-line block ×3, first 2 shown]
	s_or_not1_b32 s7, s26, exec_lo
.LBB222_477:                            ;   in Loop: Header=BB222_18 Depth=1
	s_or_b32 exec_lo, exec_lo, s76
	s_delay_alu instid0(SALU_CYCLE_1)
	s_and_not1_b32 s10, s16, exec_lo
	s_and_b32 s11, s14, exec_lo
	s_and_b32 s9, s9, exec_lo
	s_or_b32 s16, s10, s11
	s_and_not1_b32 s10, s17, exec_lo
	s_and_not1_b32 s11, s74, exec_lo
	s_and_b32 s8, s8, exec_lo
	v_dual_mov_b32 v2, v4 :: v_dual_mov_b32 v3, v5
	s_or_b32 s17, s10, s9
	s_or_b32 s74, s11, s8
	s_and_b32 s26, s7, exec_lo
.LBB222_478:                            ;   in Loop: Header=BB222_18 Depth=1
	s_or_b32 exec_lo, exec_lo, s75
	s_delay_alu instid0(SALU_CYCLE_1)
	s_and_b32 s16, s16, exec_lo
	s_and_b32 s9, s17, exec_lo
	;; [unrolled: 1-line block ×3, first 2 shown]
	s_or_not1_b32 s17, s26, exec_lo
.LBB222_479:                            ;   in Loop: Header=BB222_18 Depth=1
	s_or_b32 exec_lo, exec_lo, s70
	s_mov_b32 s7, s25
	s_mov_b32 s10, s24
	s_and_saveexec_b32 s11, s17
; %bb.480:                              ;   in Loop: Header=BB222_18 Depth=1
	v_cmp_eq_u32_e32 vcc_lo, 5, v7
	v_cmp_ne_u32_e64 s7, 5, v7
	s_and_not1_b32 s10, s24, exec_lo
	s_and_not1_b32 s12, s25, exec_lo
	;; [unrolled: 1-line block ×3, first 2 shown]
	s_and_b32 s13, vcc_lo, exec_lo
	s_and_b32 s7, s7, exec_lo
	s_and_not1_b32 s9, s9, exec_lo
	s_and_not1_b32 s8, s8, exec_lo
	s_or_b32 s10, s10, s7
	s_or_b32 s7, s12, s13
; %bb.481:                              ;   in Loop: Header=BB222_18 Depth=1
	s_or_b32 exec_lo, exec_lo, s11
	s_delay_alu instid0(SALU_CYCLE_1)
	s_and_not1_b32 s11, s18, exec_lo
	s_and_b32 s12, s16, exec_lo
	s_and_b32 s9, s9, exec_lo
	s_or_b32 s18, s11, s12
	s_and_not1_b32 s11, s19, exec_lo
	s_and_not1_b32 s12, s23, exec_lo
	s_and_b32 s8, s8, exec_lo
	v_dual_mov_b32 v8, v31 :: v_dual_mov_b32 v9, v30
	v_mov_b32_e32 v6, v32
	s_or_b32 s19, s11, s9
	s_or_b32 s23, s12, s8
	s_and_not1_b32 s8, s24, exec_lo
	s_and_b32 s9, s10, exec_lo
	s_and_not1_b32 s10, s25, exec_lo
	s_and_b32 s7, s7, exec_lo
	s_or_b32 s24, s8, s9
	s_or_b32 s25, s10, s7
.LBB222_482:                            ;   in Loop: Header=BB222_18 Depth=1
	s_or_b32 exec_lo, exec_lo, s69
	s_mov_b32 s70, s23
	s_mov_b32 s69, s23
	s_and_saveexec_b32 s7, s25
.LBB222_483:                            ;   in Loop: Header=BB222_18 Depth=1
	v_mov_b32_e32 v7, 0
	s_and_not1_b32 s23, s23, exec_lo
	s_and_not1_b32 s18, s18, exec_lo
	;; [unrolled: 1-line block ×5, first 2 shown]
	s_or_b32 s24, s24, exec_lo
.LBB222_484:                            ;   in Loop: Header=BB222_18 Depth=1
	s_or_b32 exec_lo, exec_lo, s7
	s_delay_alu instid0(SALU_CYCLE_1)
	s_and_not1_b32 s7, s68, exec_lo
	s_and_b32 s9, s23, exec_lo
	s_and_not1_b32 s10, vcc_hi, exec_lo
	s_or_b32 s68, s7, s9
	s_and_not1_b32 s7, s67, exec_lo
	s_and_b32 s9, s18, exec_lo
	s_and_b32 s11, s19, exec_lo
	s_or_b32 s67, s7, s9
	s_or_b32 vcc_hi, s10, s11
	s_and_not1_b32 s7, s66, exec_lo
	s_and_b32 s9, s70, exec_lo
	s_and_not1_b32 s10, s104, exec_lo
	s_and_b32 s11, s69, exec_lo
	s_mov_b32 s8, -1
	s_or_b32 s66, s7, s9
	s_or_b32 s104, s10, s11
                                        ; implicit-def: $vgpr30
                                        ; implicit-def: $vgpr31
                                        ; implicit-def: $vgpr16_vgpr17
                                        ; implicit-def: $vgpr32
	s_and_saveexec_b32 s7, s24
	s_delay_alu instid0(SALU_CYCLE_1)
	s_xor_b32 s7, exec_lo, s7
	s_cbranch_execz .LBB222_17
; %bb.485:                              ;   in Loop: Header=BB222_18 Depth=1
	s_mov_b32 s9, -1
	s_mov_b32 s10, exec_lo
	v_cmpx_eq_u32_e32 0, v7
	s_cbranch_execz .LBB222_16
; %bb.486:                              ;   in Loop: Header=BB222_18 Depth=1
	s_xor_b32 s99, s99, 1
	s_add_i32 s11, s95, -2
	s_cmp_eq_u32 s95, 0
	s_mov_b32 s95, s11
	s_cselect_b32 s8, -1, 0
	s_xor_b32 s9, exec_lo, -1
	s_or_not1_b32 s8, s8, exec_lo
	s_branch .LBB222_16
.LBB222_487:
	s_or_b32 exec_lo, exec_lo, s96
	s_xor_b32 s7, s103, -1
	s_xor_b32 s9, s101, -1
	;; [unrolled: 1-line block ×5, first 2 shown]
	s_mov_b32 s8, 0
	s_and_saveexec_b32 s12, s11
	s_delay_alu instid0(SALU_CYCLE_1)
	s_xor_b32 s14, exec_lo, s12
	s_cbranch_execz .LBB222_548
; %bb.488:
	s_and_saveexec_b32 s11, s10
	s_delay_alu instid0(SALU_CYCLE_1)
	s_xor_b32 s15, exec_lo, s11
	s_cbranch_execz .LBB222_546
; %bb.489:
	;; [unrolled: 5-line block ×4, first 2 shown]
	s_and_saveexec_b32 s7, s6
	s_delay_alu instid0(SALU_CYCLE_1)
	s_xor_b32 s6, exec_lo, s7
; %bb.492:
	v_and_b32_e32 v2, 0x8000, v8
	v_mov_b32_e32 v3, 0xffff
	s_delay_alu instid0(VALU_DEP_2) | instskip(NEXT) | instid1(VALU_DEP_2)
	v_cmp_eq_u32_e32 vcc_lo, 0, v2
	v_cndmask_b32_e32 v2, 0x8000, v3, vcc_lo
	s_delay_alu instid0(VALU_DEP_1)
	v_xor_b32_e32 v6, v2, v8
; %bb.493:
	s_or_b32 exec_lo, exec_lo, s6
	s_and_saveexec_b32 s6, s5
	s_cbranch_execz .LBB222_495
; %bb.494:
	v_mov_b32_e32 v2, 0
	s_delay_alu instid0(VALU_DEP_1)
	v_mov_b32_e32 v3, v2
	ds_store_b64 v2, v[2:3] offset:5136
.LBB222_495:
	s_or_b32 exec_lo, exec_lo, s6
	v_mov_b32_e32 v16, 0
	s_waitcnt lgkmcnt(0)
	s_barrier
	buffer_gl0_inv
	s_and_saveexec_b32 s5, s4
	s_cbranch_execz .LBB222_497
; %bb.496:
	global_load_u16 v16, v[10:11], off
.LBB222_497:
	s_or_b32 exec_lo, exec_lo, s5
	s_clause 0x2
	s_load_b64 s[26:27], s[0:1], 0x450
	s_load_b128 s[48:51], s[0:1], 0x298
	s_load_b64 s[24:25], s[0:1], 0x2a8
	s_add_u32 s5, s36, 31
	s_addc_u32 s7, s37, 0
	s_and_b32 s6, s5, 0xffffffe0
	s_mul_i32 s5, s64, s47
	s_mul_hi_u32 s8, s64, s46
	s_mul_i32 s9, s64, s46
	s_add_i32 s8, s8, s5
	s_sub_u32 s12, s34, s9
	s_subb_u32 s8, 0, s8
	s_mul_i32 s18, s56, s42
	s_mul_i32 s20, s58, s44
	v_dual_mov_b32 v15, 0x8000 :: v_dual_lshlrev_b32 v4, 16, v6
	v_cmp_lt_i16_e32 vcc_lo, -1, v6
	v_and_b32_e32 v2, 0xffff, v6
	s_mov_b32 s21, -1
	s_waitcnt lgkmcnt(0)
	s_mul_i32 s5, s12, s27
	v_cndmask_b32_e32 v3, 0xffff, v15, vcc_lo
	s_mul_hi_u32 s9, s12, s26
	s_mul_i32 s8, s8, s26
	s_add_i32 s5, s9, s5
	s_mul_i32 s9, s28, s40
	s_add_i32 s13, s5, s8
	s_mul_i32 s5, s28, s41
	s_mul_hi_u32 s8, s28, s40
	s_mul_hi_u32 s11, s28, s48
	s_add_i32 s8, s8, s5
	s_sub_u32 s5, s56, s9
	s_subb_u32 s8, s57, s8
	s_mul_i32 s9, s5, s51
	s_mul_hi_u32 s10, s5, s50
	s_mul_i32 s8, s8, s50
	s_add_i32 s9, s10, s9
	s_mul_i32 s10, s28, s49
	s_add_i32 s9, s9, s8
	s_add_i32 s11, s11, s10
	s_mul_i32 s8, s56, s43
	s_mul_hi_u32 s10, s56, s42
	s_load_b128 s[40:43], s[0:1], 0x440
	s_add_i32 s10, s10, s8
	s_sub_u32 s18, s34, s18
	s_subb_u32 s10, 0, s10
	s_mul_i32 s8, s18, s25
	s_mul_hi_u32 s19, s18, s24
	s_mul_i32 s10, s10, s24
	s_add_i32 s8, s19, s8
	s_mul_i32 s18, s18, s24
	s_add_i32 s19, s8, s10
	s_mul_i32 s8, s58, s45
	s_mul_hi_u32 s10, s58, s44
	s_load_b64 s[44:45], s[0:1], 0x1c8
	s_add_i32 s10, s10, s8
	s_sub_u32 s20, s64, s20
	s_mul_i32 s8, s5, s50
	s_subb_u32 s10, s65, s10
	v_xor_b32_e32 v2, v3, v2
	v_cmp_o_f32_e32 vcc_lo, v4, v4
	s_mul_i32 s12, s12, s26
	s_waitcnt lgkmcnt(0)
	s_mul_i32 s5, s20, s43
	s_mul_hi_u32 s22, s20, s42
	s_mul_i32 s24, s58, s40
	s_add_i32 s5, s22, s5
	s_mul_i32 s22, s10, s42
	s_mul_i32 s10, s28, s48
	s_add_i32 s23, s5, s22
	s_mul_i32 s5, s58, s41
	s_mul_hi_u32 s22, s58, s40
	s_lshl_b64 s[10:11], s[10:11], 1
	s_add_i32 s25, s22, s5
	v_cndmask_b32_e32 v14, 0xffff, v2, vcc_lo
	s_add_u32 s5, s44, s10
	s_addc_u32 s10, s45, s11
	s_lshl_b64 s[8:9], s[8:9], 1
	v_cmp_gt_u64_e32 vcc_lo, s[6:7], v[0:1]
	s_add_u32 s5, s5, s8
	s_addc_u32 s22, s10, s9
	s_clause 0x1
	s_load_b64 s[8:9], s[0:1], 0x368
	s_load_b64 s[10:11], s[0:1], 0x510
	s_lshl_b64 s[0:1], s[18:19], 1
	s_delay_alu instid0(SALU_CYCLE_1)
	s_add_u32 s5, s5, s0
	s_addc_u32 s18, s22, s1
	s_lshl_b64 s[0:1], s[24:25], 3
	v_readlane_b32 s24, v37, 0
	v_readlane_b32 s25, v37, 1
	s_mul_i32 s22, s20, s42
	s_delay_alu instid0(VALU_DEP_2) | instskip(NEXT) | instid1(VALU_DEP_1)
	s_add_u32 s19, s24, s0
	s_addc_u32 s20, s25, s1
	s_lshl_b64 s[0:1], s[22:23], 3
	s_delay_alu instid0(SALU_CYCLE_1) | instskip(SKIP_2) | instid1(SALU_CYCLE_1)
	s_add_u32 s19, s19, s0
	s_addc_u32 s20, s20, s1
	s_lshl_b64 s[0:1], s[12:13], 3
	s_add_u32 s12, s19, s0
	s_addc_u32 s13, s20, s1
	s_mov_b32 s19, 0
	s_mov_b32 s1, 0
	s_and_saveexec_b32 s20, vcc_lo
	s_cbranch_execz .LBB222_515
; %bb.498:
	v_mov_b32_e32 v9, v1
	v_dual_mov_b32 v3, 0 :: v_dual_mov_b32 v8, v0
	s_mov_b32 s21, 0
                                        ; implicit-def: $sgpr22
                                        ; implicit-def: $vgpr6_vgpr7
	s_branch .LBB222_500
.LBB222_499:                            ;   in Loop: Header=BB222_500 Depth=1
	s_or_b32 exec_lo, exec_lo, s23
	s_xor_b32 s0, s25, -1
	s_and_b32 s1, exec_lo, s1
	v_dual_mov_b32 v9, v5 :: v_dual_mov_b32 v8, v4
	s_or_b32 s21, s1, s21
	s_waitcnt vmcnt(0)
	v_mov_b32_e32 v16, v17
	s_and_not1_b32 s1, s22, exec_lo
	s_and_b32 s0, s0, exec_lo
	s_delay_alu instid0(SALU_CYCLE_1)
	s_or_b32 s22, s1, s0
	s_and_not1_b32 exec_lo, exec_lo, s21
	s_cbranch_execz .LBB222_514
.LBB222_500:                            ; =>This Inner Loop Header: Depth=1
	s_delay_alu instid0(VALU_DEP_1) | instskip(NEXT) | instid1(VALU_DEP_1)
	v_add_co_u32 v4, s0, v8, s35
	v_add_co_ci_u32_e64 v5, s0, 0, v9, s0
	v_mov_b32_e32 v17, 0
	s_mov_b32 s1, exec_lo
	s_delay_alu instid0(VALU_DEP_2)
	v_cmpx_gt_u64_e64 s[36:37], v[4:5]
	s_cbranch_execz .LBB222_502
; %bb.501:                              ;   in Loop: Header=BB222_500 Depth=1
	v_mul_lo_u32 v2, v5, s30
	v_mul_lo_u32 v17, v4, s31
	v_mad_u64_u32 v[12:13], null, v4, s30, 0
	s_delay_alu instid0(VALU_DEP_1) | instskip(NEXT) | instid1(VALU_DEP_1)
	v_add3_u32 v13, v13, v17, v2
	v_lshlrev_b64 v[12:13], 1, v[12:13]
	s_delay_alu instid0(VALU_DEP_1) | instskip(NEXT) | instid1(VALU_DEP_1)
	v_add_co_u32 v12, s0, s29, v12
	v_add_co_ci_u32_e64 v13, s0, s33, v13, s0
	global_load_u16 v17, v[12:13], off
.LBB222_502:                            ;   in Loop: Header=BB222_500 Depth=1
	s_or_b32 exec_lo, exec_lo, s1
	s_mov_b32 s23, 0
	s_mov_b32 s1, exec_lo
	v_cmpx_gt_u64_e64 s[36:37], v[8:9]
	s_cbranch_execz .LBB222_504
; %bb.503:                              ;   in Loop: Header=BB222_500 Depth=1
	s_waitcnt vmcnt(0)
	v_cmp_lt_i16_e64 s0, -1, v16
	v_and_b32_e32 v2, 0xffff, v16
	v_lshlrev_b32_e32 v13, 16, v16
	s_delay_alu instid0(VALU_DEP_3) | instskip(NEXT) | instid1(VALU_DEP_2)
	v_cndmask_b32_e64 v12, 0xffff, v15, s0
	v_cmp_o_f32_e64 s0, v13, v13
	s_delay_alu instid0(VALU_DEP_2) | instskip(NEXT) | instid1(VALU_DEP_1)
	v_xor_b32_e32 v2, v12, v2
	v_cndmask_b32_e64 v2, 0xffff, v2, s0
	s_delay_alu instid0(VALU_DEP_1) | instskip(NEXT) | instid1(VALU_DEP_1)
	v_cmp_gt_u32_e64 s0, v2, v14
	v_cndmask_b32_e64 v12, 0, 1, s0
	v_cmp_lt_u32_e64 s0, v2, v14
	s_delay_alu instid0(VALU_DEP_1) | instskip(NEXT) | instid1(VALU_DEP_1)
	v_cndmask_b32_e64 v2, 0, 1, s0
	v_cndmask_b32_e64 v2, v2, v12, s3
	s_delay_alu instid0(VALU_DEP_1) | instskip(NEXT) | instid1(VALU_DEP_1)
	v_and_b32_e32 v2, 1, v2
	v_cmp_eq_u32_e64 s0, 1, v2
	s_delay_alu instid0(VALU_DEP_1)
	s_and_b32 s23, s0, exec_lo
.LBB222_504:                            ;   in Loop: Header=BB222_500 Depth=1
	s_or_b32 exec_lo, exec_lo, s1
	v_cndmask_b32_e64 v2, 0, 1, s23
	s_delay_alu instid0(VALU_DEP_1) | instskip(NEXT) | instid1(VALU_DEP_1)
	v_cmp_ne_u32_e64 s0, 0, v2
	s_cmp_lg_u32 s0, 0
	s_cselect_b32 s1, -1, 0
	s_delay_alu instid0(SALU_CYCLE_1) | instskip(NEXT) | instid1(SALU_CYCLE_1)
	s_and_b32 s1, s2, s1
	s_and_saveexec_b32 s24, s1
	s_cbranch_execz .LBB222_508
; %bb.505:                              ;   in Loop: Header=BB222_500 Depth=1
	s_mov_b32 s27, exec_lo
	s_bcnt1_i32_b32 s25, s0
	v_mbcnt_lo_u32_b32 v12, s27, 0
	s_mov_b32 s26, exec_lo
                                        ; implicit-def: $vgpr6_vgpr7
	s_delay_alu instid0(VALU_DEP_1)
	v_cmpx_eq_u32_e32 0, v12
	s_cbranch_execz .LBB222_507
; %bb.506:                              ;   in Loop: Header=BB222_500 Depth=1
	s_bcnt1_i32_b32 s1, s27
	s_delay_alu instid0(SALU_CYCLE_1) | instskip(NEXT) | instid1(SALU_CYCLE_1)
	s_mul_i32 s1, s25, s1
	v_mov_b32_e32 v2, s1
	s_waitcnt lgkmcnt(0)
	ds_add_rtn_u64 v[6:7], v3, v[2:3] offset:5136
.LBB222_507:                            ;   in Loop: Header=BB222_500 Depth=1
	s_or_b32 exec_lo, exec_lo, s26
	s_waitcnt lgkmcnt(0)
	v_readfirstlane_b32 s27, v7
	v_readfirstlane_b32 s26, v6
	s_delay_alu instid0(VALU_DEP_1)
	v_mad_u64_u32 v[6:7], null, s25, v12, s[26:27]
.LBB222_508:                            ;   in Loop: Header=BB222_500 Depth=1
	s_or_b32 exec_lo, exec_lo, s24
	s_waitcnt lgkmcnt(0)
	ds_bpermute_b32 v6, v3, v6
	ds_bpermute_b32 v7, v3, v7
	s_mov_b32 s1, -1
	s_mov_b32 s26, -1
                                        ; implicit-def: $sgpr25
	s_and_saveexec_b32 s24, s23
	s_cbranch_execz .LBB222_512
; %bb.509:                              ;   in Loop: Header=BB222_500 Depth=1
	v_and_b32_e32 v2, s0, v22
	s_mov_b32 s23, 0
	s_mov_b32 s25, exec_lo
	s_delay_alu instid0(VALU_DEP_1) | instskip(SKIP_1) | instid1(VALU_DEP_1)
	v_bcnt_u32_b32 v2, v2, 0
	s_waitcnt lgkmcnt(0)
	v_add_co_u32 v12, s0, v6, v2
	s_delay_alu instid0(VALU_DEP_1) | instskip(NEXT) | instid1(VALU_DEP_1)
	v_add_co_ci_u32_e64 v13, s0, 0, v7, s0
	v_cmpx_gt_u64_e64 s[38:39], v[12:13]
	s_cbranch_execz .LBB222_511
; %bb.510:                              ;   in Loop: Header=BB222_500 Depth=1
	v_mul_lo_u32 v2, v13, s8
	v_mul_lo_u32 v23, v12, s9
	v_mad_u64_u32 v[18:19], null, v12, s8, 0
	v_mul_lo_u32 v13, v13, s10
	v_mul_lo_u32 v24, v12, s11
	v_mad_u64_u32 v[20:21], null, v12, s10, 0
	s_mov_b32 s23, exec_lo
	s_delay_alu instid0(VALU_DEP_4) | instskip(NEXT) | instid1(VALU_DEP_2)
	v_add3_u32 v19, v19, v23, v2
	v_add3_u32 v21, v21, v24, v13
	s_delay_alu instid0(VALU_DEP_2) | instskip(NEXT) | instid1(VALU_DEP_2)
	v_lshlrev_b64 v[12:13], 1, v[18:19]
	v_lshlrev_b64 v[18:19], 3, v[20:21]
	s_delay_alu instid0(VALU_DEP_2) | instskip(NEXT) | instid1(VALU_DEP_1)
	v_add_co_u32 v12, s0, s5, v12
	v_add_co_ci_u32_e64 v13, s0, s18, v13, s0
	s_delay_alu instid0(VALU_DEP_3) | instskip(NEXT) | instid1(VALU_DEP_1)
	v_add_co_u32 v18, s0, s12, v18
	v_add_co_ci_u32_e64 v19, s0, s13, v19, s0
	s_waitcnt vmcnt(0)
	global_store_b16 v[12:13], v16, off
	global_store_b64 v[18:19], v[8:9], off
.LBB222_511:                            ;   in Loop: Header=BB222_500 Depth=1
	s_or_b32 exec_lo, exec_lo, s25
	s_mov_b32 s25, -1
	s_or_not1_b32 s26, s23, exec_lo
.LBB222_512:                            ;   in Loop: Header=BB222_500 Depth=1
	s_or_b32 exec_lo, exec_lo, s24
	s_and_saveexec_b32 s23, s26
	s_cbranch_execz .LBB222_499
; %bb.513:                              ;   in Loop: Header=BB222_500 Depth=1
	v_cmp_le_u64_e64 s0, s[6:7], v[4:5]
	s_and_not1_b32 s25, s25, exec_lo
	s_delay_alu instid0(VALU_DEP_1)
	s_or_not1_b32 s1, s0, exec_lo
	s_branch .LBB222_499
.LBB222_514:
	s_or_b32 exec_lo, exec_lo, s21
	s_delay_alu instid0(SALU_CYCLE_1)
	s_mov_b32 s1, exec_lo
	s_or_not1_b32 s21, s22, exec_lo
.LBB222_515:
	s_or_b32 exec_lo, exec_lo, s20
	s_and_saveexec_b32 s3, s21
	s_cbranch_execz .LBB222_540
; %bb.516:
	v_mov_b32_e32 v12, 0
	s_waitcnt vmcnt(0) lgkmcnt(0)
	s_waitcnt_vscnt null, 0x0
	s_barrier
	buffer_gl0_inv
	s_and_saveexec_b32 s0, s4
	s_cbranch_execz .LBB222_518
; %bb.517:
	global_load_u16 v12, v[10:11], off
.LBB222_518:
	s_or_b32 exec_lo, exec_lo, s0
	s_mov_b32 s0, 0
	s_and_saveexec_b32 s4, vcc_lo
	s_cbranch_execz .LBB222_539
; %bb.519:
	v_dual_mov_b32 v3, 0 :: v_dual_mov_b32 v10, 0x8000
	s_mov_b32 s20, 0
                                        ; implicit-def: $sgpr19
                                        ; implicit-def: $vgpr4_vgpr5
	s_branch .LBB222_522
.LBB222_520:                            ;   in Loop: Header=BB222_522 Depth=1
	s_or_b32 exec_lo, exec_lo, s21
	s_waitcnt vmcnt(0)
	v_mov_b32_e32 v12, v11
	v_dual_mov_b32 v0, v6 :: v_dual_mov_b32 v1, v7
	s_or_not1_b32 s23, s23, exec_lo
	s_or_not1_b32 s22, s22, exec_lo
.LBB222_521:                            ;   in Loop: Header=BB222_522 Depth=1
	s_or_b32 exec_lo, exec_lo, s0
	s_xor_b32 s0, s23, -1
	s_and_b32 s21, exec_lo, s22
	s_delay_alu instid0(SALU_CYCLE_1) | instskip(SKIP_2) | instid1(SALU_CYCLE_1)
	s_or_b32 s20, s21, s20
	s_and_not1_b32 s19, s19, exec_lo
	s_and_b32 s0, s0, exec_lo
	s_or_b32 s19, s19, s0
	s_and_not1_b32 exec_lo, exec_lo, s20
	s_cbranch_execz .LBB222_537
.LBB222_522:                            ; =>This Inner Loop Header: Depth=1
	v_add_co_u32 v6, vcc_lo, v0, s35
	v_add_co_ci_u32_e32 v7, vcc_lo, 0, v1, vcc_lo
	s_waitcnt vmcnt(0)
	v_mov_b32_e32 v11, 0
	s_mov_b32 s0, exec_lo
	s_delay_alu instid0(VALU_DEP_2)
	v_cmpx_gt_u64_e64 s[36:37], v[6:7]
	s_cbranch_execz .LBB222_524
; %bb.523:                              ;   in Loop: Header=BB222_522 Depth=1
	v_mul_lo_u32 v2, v7, s30
	v_mul_lo_u32 v11, v6, s31
	v_mad_u64_u32 v[8:9], null, v6, s30, 0
	s_delay_alu instid0(VALU_DEP_1) | instskip(NEXT) | instid1(VALU_DEP_1)
	v_add3_u32 v9, v9, v11, v2
	v_lshlrev_b64 v[8:9], 1, v[8:9]
	s_delay_alu instid0(VALU_DEP_1) | instskip(NEXT) | instid1(VALU_DEP_2)
	v_add_co_u32 v8, vcc_lo, s29, v8
	v_add_co_ci_u32_e32 v9, vcc_lo, s33, v9, vcc_lo
	global_load_u16 v11, v[8:9], off
.LBB222_524:                            ;   in Loop: Header=BB222_522 Depth=1
	s_or_b32 exec_lo, exec_lo, s0
	s_mov_b32 s21, 0
	s_mov_b32 s0, exec_lo
	v_cmpx_gt_u64_e64 s[36:37], v[0:1]
	s_cbranch_execz .LBB222_526
; %bb.525:                              ;   in Loop: Header=BB222_522 Depth=1
	s_waitcnt vmcnt(0)
	v_cmp_lt_i16_e32 vcc_lo, -1, v12
	v_and_b32_e32 v2, 0xffff, v12
	v_dual_cndmask_b32 v8, 0xffff, v10 :: v_dual_lshlrev_b32 v9, 16, v12
	s_delay_alu instid0(VALU_DEP_1) | instskip(NEXT) | instid1(VALU_DEP_2)
	v_cmp_o_f32_e32 vcc_lo, v9, v9
	v_xor_b32_e32 v2, v8, v2
	s_delay_alu instid0(VALU_DEP_1) | instskip(NEXT) | instid1(VALU_DEP_1)
	v_cndmask_b32_e32 v2, 0xffff, v2, vcc_lo
	v_cmp_eq_u32_e32 vcc_lo, v2, v14
	s_and_b32 s21, vcc_lo, exec_lo
.LBB222_526:                            ;   in Loop: Header=BB222_522 Depth=1
	s_or_b32 exec_lo, exec_lo, s0
	v_cndmask_b32_e64 v2, 0, 1, s21
	s_delay_alu instid0(VALU_DEP_1) | instskip(SKIP_2) | instid1(SALU_CYCLE_1)
	v_cmp_ne_u32_e32 vcc_lo, 0, v2
	s_cmp_lg_u32 vcc_lo, 0
	s_cselect_b32 s0, -1, 0
	s_and_b32 s0, s2, s0
	s_delay_alu instid0(SALU_CYCLE_1)
	s_and_saveexec_b32 s22, s0
	s_cbranch_execz .LBB222_530
; %bb.527:                              ;   in Loop: Header=BB222_522 Depth=1
	s_mov_b32 s25, exec_lo
	s_bcnt1_i32_b32 s23, vcc_lo
	v_mbcnt_lo_u32_b32 v8, s25, 0
	s_mov_b32 s24, exec_lo
                                        ; implicit-def: $vgpr4_vgpr5
	s_delay_alu instid0(VALU_DEP_1)
	v_cmpx_eq_u32_e32 0, v8
	s_cbranch_execz .LBB222_529
; %bb.528:                              ;   in Loop: Header=BB222_522 Depth=1
	s_bcnt1_i32_b32 s0, s25
	s_delay_alu instid0(SALU_CYCLE_1) | instskip(NEXT) | instid1(SALU_CYCLE_1)
	s_mul_i32 s0, s23, s0
	v_mov_b32_e32 v2, s0
	ds_add_rtn_u64 v[4:5], v3, v[2:3] offset:5136
.LBB222_529:                            ;   in Loop: Header=BB222_522 Depth=1
	s_or_b32 exec_lo, exec_lo, s24
	s_waitcnt lgkmcnt(0)
	v_readfirstlane_b32 s25, v5
	v_readfirstlane_b32 s24, v4
	s_delay_alu instid0(VALU_DEP_1)
	v_mad_u64_u32 v[4:5], null, s23, v8, s[24:25]
.LBB222_530:                            ;   in Loop: Header=BB222_522 Depth=1
	s_or_b32 exec_lo, exec_lo, s22
	ds_bpermute_b32 v4, v3, v4
	ds_bpermute_b32 v5, v3, v5
	s_cmp_eq_u32 vcc_lo, 0
	s_mov_b32 s22, -1
	s_cselect_b32 s23, -1, 0
	s_waitcnt lgkmcnt(0)
	v_cmp_gt_u64_e64 s0, s[38:39], v[4:5]
	s_delay_alu instid0(VALU_DEP_1)
	s_or_b32 s24, s23, s0
	s_mov_b32 s23, -1
	s_and_saveexec_b32 s0, s24
	s_cbranch_execz .LBB222_521
; %bb.531:                              ;   in Loop: Header=BB222_522 Depth=1
	v_and_b32_e32 v2, vcc_lo, v22
	v_sub_co_u32 v8, vcc_lo, s38, v4
	v_sub_co_ci_u32_e32 v9, vcc_lo, s39, v5, vcc_lo
	s_delay_alu instid0(VALU_DEP_3) | instskip(SKIP_1) | instid1(VALU_DEP_1)
	v_bcnt_u32_b32 v2, v2, 0
	s_mov_b32 s24, -1
	v_bcnt_u32_b32 v2, 0, v2
	s_delay_alu instid0(VALU_DEP_1) | instskip(SKIP_1) | instid1(SALU_CYCLE_1)
	v_cmp_gt_u64_e32 vcc_lo, v[8:9], v[2:3]
	s_and_b32 s25, s21, vcc_lo
	s_and_saveexec_b32 s21, s25
	s_cbranch_execz .LBB222_535
; %bb.532:                              ;   in Loop: Header=BB222_522 Depth=1
	v_add_co_u32 v8, vcc_lo, v4, v2
	v_add_co_ci_u32_e32 v9, vcc_lo, 0, v5, vcc_lo
	s_mov_b32 s24, 0
	s_mov_b32 s23, exec_lo
	s_delay_alu instid0(VALU_DEP_1)
	v_cmpx_gt_u64_e64 s[38:39], v[8:9]
	s_cbranch_execz .LBB222_534
; %bb.533:                              ;   in Loop: Header=BB222_522 Depth=1
	v_mul_lo_u32 v2, v9, s8
	v_mul_lo_u32 v13, v8, s9
	v_mad_u64_u32 v[15:16], null, v8, s8, 0
	v_mul_lo_u32 v9, v9, s10
	v_mul_lo_u32 v19, v8, s11
	v_mad_u64_u32 v[17:18], null, v8, s10, 0
	s_mov_b32 s24, exec_lo
	s_delay_alu instid0(VALU_DEP_4) | instskip(NEXT) | instid1(VALU_DEP_2)
	v_add3_u32 v16, v16, v13, v2
	v_add3_u32 v18, v18, v19, v9
	s_delay_alu instid0(VALU_DEP_2) | instskip(NEXT) | instid1(VALU_DEP_2)
	v_lshlrev_b64 v[8:9], 1, v[15:16]
	v_lshlrev_b64 v[15:16], 3, v[17:18]
	s_delay_alu instid0(VALU_DEP_2) | instskip(NEXT) | instid1(VALU_DEP_3)
	v_add_co_u32 v8, vcc_lo, s5, v8
	v_add_co_ci_u32_e32 v9, vcc_lo, s18, v9, vcc_lo
	s_delay_alu instid0(VALU_DEP_3) | instskip(NEXT) | instid1(VALU_DEP_4)
	v_add_co_u32 v15, vcc_lo, s12, v15
	v_add_co_ci_u32_e32 v16, vcc_lo, s13, v16, vcc_lo
	s_waitcnt vmcnt(0)
	global_store_b16 v[8:9], v12, off
	global_store_b64 v[15:16], v[0:1], off
.LBB222_534:                            ;   in Loop: Header=BB222_522 Depth=1
	s_or_b32 exec_lo, exec_lo, s23
	s_delay_alu instid0(SALU_CYCLE_1)
	s_xor_b32 s23, exec_lo, -1
	s_or_not1_b32 s24, s24, exec_lo
.LBB222_535:                            ;   in Loop: Header=BB222_522 Depth=1
	s_or_b32 exec_lo, exec_lo, s21
	s_and_saveexec_b32 s21, s24
	s_cbranch_execz .LBB222_520
; %bb.536:                              ;   in Loop: Header=BB222_522 Depth=1
	v_cmp_le_u64_e32 vcc_lo, s[6:7], v[6:7]
	s_or_b32 s23, s23, exec_lo
	s_or_not1_b32 s22, vcc_lo, exec_lo
	s_branch .LBB222_520
.LBB222_537:
	s_or_b32 exec_lo, exec_lo, s20
	s_mov_b32 s0, 0
	s_and_saveexec_b32 s2, s19
	s_delay_alu instid0(SALU_CYCLE_1)
	s_xor_b32 s2, exec_lo, s2
	s_cbranch_execnz .LBB222_572
.LBB222_538:
	s_or_b32 exec_lo, exec_lo, s2
	s_delay_alu instid0(SALU_CYCLE_1)
	s_and_b32 s0, s0, exec_lo
.LBB222_539:
	s_or_b32 exec_lo, exec_lo, s4
	s_delay_alu instid0(SALU_CYCLE_1)
	s_and_b32 s19, s0, exec_lo
	s_and_not1_b32 s1, s1, exec_lo
.LBB222_540:
	s_or_b32 exec_lo, exec_lo, s3
	s_and_saveexec_b32 s0, s1
	s_delay_alu instid0(SALU_CYCLE_1)
	s_xor_b32 s0, exec_lo, s0
	s_cbranch_execnz .LBB222_566
.LBB222_541:
	s_or_b32 exec_lo, exec_lo, s0
	s_waitcnt lgkmcnt(0)
	s_and_b32 s8, s19, exec_lo
.LBB222_542:
	s_and_not1_saveexec_b32 s0, s17
	s_cbranch_execnz .LBB222_562
.LBB222_543:
	s_or_b32 exec_lo, exec_lo, s0
	s_delay_alu instid0(SALU_CYCLE_1)
	s_and_b32 s8, s8, exec_lo
.LBB222_544:
	s_and_not1_saveexec_b32 s0, s16
	s_cbranch_execnz .LBB222_558
.LBB222_545:
	s_or_b32 exec_lo, exec_lo, s0
	s_delay_alu instid0(SALU_CYCLE_1)
	s_and_b32 s8, s8, exec_lo
.LBB222_546:
	s_and_not1_saveexec_b32 s0, s15
	s_cbranch_execnz .LBB222_554
.LBB222_547:
	s_or_b32 exec_lo, exec_lo, s0
	s_delay_alu instid0(SALU_CYCLE_1)
	s_and_b32 s8, s8, exec_lo
.LBB222_548:
	s_and_not1_saveexec_b32 s0, s14
	s_cbranch_execnz .LBB222_552
; %bb.549:
	s_or_b32 exec_lo, exec_lo, s0
	s_and_saveexec_b32 s0, s8
.LBB222_550:
	; divergent unreachable
.LBB222_551:
	s_nop 0
	s_sendmsg sendmsg(MSG_DEALLOC_VGPRS)
	s_endpgm
.LBB222_552:
	s_cbranch_execnz .LBB222_556
; %bb.553:
	s_or_b32 s8, s8, exec_lo
	s_or_b32 exec_lo, exec_lo, s0
	s_and_saveexec_b32 s0, s8
	s_cbranch_execnz .LBB222_550
	s_branch .LBB222_551
.LBB222_554:
	s_cbranch_execnz .LBB222_560
; %bb.555:
	s_or_b32 s8, s8, exec_lo
	s_branch .LBB222_547
.LBB222_556:
	s_trap 2
	s_sendmsg_rtn_b32 s0, sendmsg(MSG_RTN_GET_DOORBELL)
	s_mov_b32 ttmp2, m0
	s_waitcnt lgkmcnt(0)
	s_and_b32 s0, s0, 0x3ff
	s_delay_alu instid0(SALU_CYCLE_1) | instskip(NEXT) | instid1(SALU_CYCLE_1)
	s_bitset1_b32 s0, 10
	s_mov_b32 m0, s0
	s_sendmsg sendmsg(MSG_INTERRUPT)
	s_mov_b32 m0, ttmp2
.LBB222_557:                            ; =>This Inner Loop Header: Depth=1
	s_sethalt 5
	s_branch .LBB222_557
.LBB222_558:
	s_cbranch_execnz .LBB222_564
; %bb.559:
	s_or_b32 s8, s8, exec_lo
	s_branch .LBB222_545
.LBB222_560:
	s_trap 2
	s_sendmsg_rtn_b32 s0, sendmsg(MSG_RTN_GET_DOORBELL)
	s_mov_b32 ttmp2, m0
	s_waitcnt lgkmcnt(0)
	s_and_b32 s0, s0, 0x3ff
	s_delay_alu instid0(SALU_CYCLE_1) | instskip(NEXT) | instid1(SALU_CYCLE_1)
	s_bitset1_b32 s0, 10
	s_mov_b32 m0, s0
	s_sendmsg sendmsg(MSG_INTERRUPT)
	s_mov_b32 m0, ttmp2
.LBB222_561:                            ; =>This Inner Loop Header: Depth=1
	s_sethalt 5
	s_branch .LBB222_561
.LBB222_562:
	s_cbranch_execnz .LBB222_568
; %bb.563:
	s_or_b32 s8, s8, exec_lo
	s_branch .LBB222_543
.LBB222_564:
	s_trap 2
	s_sendmsg_rtn_b32 s0, sendmsg(MSG_RTN_GET_DOORBELL)
	s_mov_b32 ttmp2, m0
	s_waitcnt lgkmcnt(0)
	s_and_b32 s0, s0, 0x3ff
	s_delay_alu instid0(SALU_CYCLE_1) | instskip(NEXT) | instid1(SALU_CYCLE_1)
	s_bitset1_b32 s0, 10
	s_mov_b32 m0, s0
	s_sendmsg sendmsg(MSG_INTERRUPT)
	s_mov_b32 m0, ttmp2
.LBB222_565:                            ; =>This Inner Loop Header: Depth=1
	s_sethalt 5
	s_branch .LBB222_565
.LBB222_566:
	s_cbranch_execnz .LBB222_570
; %bb.567:
	s_or_b32 s19, s19, exec_lo
	s_branch .LBB222_541
.LBB222_568:
	s_trap 2
	s_sendmsg_rtn_b32 s0, sendmsg(MSG_RTN_GET_DOORBELL)
	s_mov_b32 ttmp2, m0
	s_waitcnt lgkmcnt(0)
	s_and_b32 s0, s0, 0x3ff
	s_delay_alu instid0(SALU_CYCLE_1) | instskip(NEXT) | instid1(SALU_CYCLE_1)
	s_bitset1_b32 s0, 10
	s_mov_b32 m0, s0
	s_sendmsg sendmsg(MSG_INTERRUPT)
	s_mov_b32 m0, ttmp2
.LBB222_569:                            ; =>This Inner Loop Header: Depth=1
	s_sethalt 5
	s_branch .LBB222_569
.LBB222_570:
	s_trap 2
	s_sendmsg_rtn_b32 s0, sendmsg(MSG_RTN_GET_DOORBELL)
	s_mov_b32 ttmp2, m0
	s_waitcnt lgkmcnt(0)
	s_and_b32 s0, s0, 0x3ff
	s_delay_alu instid0(SALU_CYCLE_1) | instskip(NEXT) | instid1(SALU_CYCLE_1)
	s_bitset1_b32 s0, 10
	s_mov_b32 m0, s0
	s_sendmsg sendmsg(MSG_INTERRUPT)
	s_mov_b32 m0, ttmp2
.LBB222_571:                            ; =>This Inner Loop Header: Depth=1
	s_sethalt 5
	s_branch .LBB222_571
.LBB222_572:
	s_cbranch_execnz .LBB222_574
; %bb.573:
	s_mov_b32 s0, exec_lo
	s_branch .LBB222_538
.LBB222_574:
	s_trap 2
	s_sendmsg_rtn_b32 s0, sendmsg(MSG_RTN_GET_DOORBELL)
	s_mov_b32 ttmp2, m0
	s_waitcnt lgkmcnt(0)
	s_and_b32 s0, s0, 0x3ff
	s_delay_alu instid0(SALU_CYCLE_1) | instskip(NEXT) | instid1(SALU_CYCLE_1)
	s_bitset1_b32 s0, 10
	s_mov_b32 m0, s0
	s_sendmsg sendmsg(MSG_INTERRUPT)
	s_mov_b32 m0, ttmp2
.LBB222_575:                            ; =>This Inner Loop Header: Depth=1
	s_sethalt 5
	s_branch .LBB222_575
	.section	.rodata,"a",@progbits
	.p2align	6, 0x0
	.amdhsa_kernel _ZN2at6native6sbtopk10gatherTopKIN3c108BFloat16EmLi3ELb0EEEvNS_4cuda6detail10TensorInfoIKT_T0_EESA_SA_bSA_SA_NS7_IS8_SA_EESA_NS7_IlSA_EESA_PS8_
		.amdhsa_group_segment_fixed_size 5152
		.amdhsa_private_segment_fixed_size 0
		.amdhsa_kernarg_size 1568
		.amdhsa_user_sgpr_count 13
		.amdhsa_user_sgpr_dispatch_ptr 0
		.amdhsa_user_sgpr_queue_ptr 0
		.amdhsa_user_sgpr_kernarg_segment_ptr 1
		.amdhsa_user_sgpr_dispatch_id 0
		.amdhsa_user_sgpr_private_segment_size 0
		.amdhsa_wavefront_size32 1
		.amdhsa_uses_dynamic_stack 0
		.amdhsa_enable_private_segment 0
		.amdhsa_system_sgpr_workgroup_id_x 1
		.amdhsa_system_sgpr_workgroup_id_y 1
		.amdhsa_system_sgpr_workgroup_id_z 1
		.amdhsa_system_sgpr_workgroup_info 0
		.amdhsa_system_vgpr_workitem_id 0
		.amdhsa_next_free_vgpr 38
		.amdhsa_next_free_sgpr 105
		.amdhsa_reserve_vcc 1
		.amdhsa_float_round_mode_32 0
		.amdhsa_float_round_mode_16_64 0
		.amdhsa_float_denorm_mode_32 3
		.amdhsa_float_denorm_mode_16_64 3
		.amdhsa_dx10_clamp 1
		.amdhsa_ieee_mode 1
		.amdhsa_fp16_overflow 0
		.amdhsa_workgroup_processor_mode 1
		.amdhsa_memory_ordered 1
		.amdhsa_forward_progress 0
		.amdhsa_shared_vgpr_count 0
		.amdhsa_exception_fp_ieee_invalid_op 0
		.amdhsa_exception_fp_denorm_src 0
		.amdhsa_exception_fp_ieee_div_zero 0
		.amdhsa_exception_fp_ieee_overflow 0
		.amdhsa_exception_fp_ieee_underflow 0
		.amdhsa_exception_fp_ieee_inexact 0
		.amdhsa_exception_int_div_zero 0
	.end_amdhsa_kernel
	.section	.text._ZN2at6native6sbtopk10gatherTopKIN3c108BFloat16EmLi3ELb0EEEvNS_4cuda6detail10TensorInfoIKT_T0_EESA_SA_bSA_SA_NS7_IS8_SA_EESA_NS7_IlSA_EESA_PS8_,"axG",@progbits,_ZN2at6native6sbtopk10gatherTopKIN3c108BFloat16EmLi3ELb0EEEvNS_4cuda6detail10TensorInfoIKT_T0_EESA_SA_bSA_SA_NS7_IS8_SA_EESA_NS7_IlSA_EESA_PS8_,comdat
.Lfunc_end222:
	.size	_ZN2at6native6sbtopk10gatherTopKIN3c108BFloat16EmLi3ELb0EEEvNS_4cuda6detail10TensorInfoIKT_T0_EESA_SA_bSA_SA_NS7_IS8_SA_EESA_NS7_IlSA_EESA_PS8_, .Lfunc_end222-_ZN2at6native6sbtopk10gatherTopKIN3c108BFloat16EmLi3ELb0EEEvNS_4cuda6detail10TensorInfoIKT_T0_EESA_SA_bSA_SA_NS7_IS8_SA_EESA_NS7_IlSA_EESA_PS8_
                                        ; -- End function
	.section	.AMDGPU.csdata,"",@progbits
; Kernel info:
; codeLenInByte = 31228
; NumSgprs: 107
; NumVgprs: 38
; ScratchSize: 0
; MemoryBound: 0
; FloatMode: 240
; IeeeMode: 1
; LDSByteSize: 5152 bytes/workgroup (compile time only)
; SGPRBlocks: 13
; VGPRBlocks: 4
; NumSGPRsForWavesPerEU: 107
; NumVGPRsForWavesPerEU: 38
; Occupancy: 16
; WaveLimiterHint : 1
; COMPUTE_PGM_RSRC2:SCRATCH_EN: 0
; COMPUTE_PGM_RSRC2:USER_SGPR: 13
; COMPUTE_PGM_RSRC2:TRAP_HANDLER: 0
; COMPUTE_PGM_RSRC2:TGID_X_EN: 1
; COMPUTE_PGM_RSRC2:TGID_Y_EN: 1
; COMPUTE_PGM_RSRC2:TGID_Z_EN: 1
; COMPUTE_PGM_RSRC2:TIDIG_COMP_CNT: 0
	.section	.text._ZN2at6native6mbtopk23computeBlockDigitCountsIN3c108BFloat16EmjLin1EEEvNS_4cuda6detail10TensorInfoIKT_T0_EEjPjjSA_iijT1_PSD_Ps,"axG",@progbits,_ZN2at6native6mbtopk23computeBlockDigitCountsIN3c108BFloat16EmjLin1EEEvNS_4cuda6detail10TensorInfoIKT_T0_EEjPjjSA_iijT1_PSD_Ps,comdat
	.protected	_ZN2at6native6mbtopk23computeBlockDigitCountsIN3c108BFloat16EmjLin1EEEvNS_4cuda6detail10TensorInfoIKT_T0_EEjPjjSA_iijT1_PSD_Ps ; -- Begin function _ZN2at6native6mbtopk23computeBlockDigitCountsIN3c108BFloat16EmjLin1EEEvNS_4cuda6detail10TensorInfoIKT_T0_EEjPjjSA_iijT1_PSD_Ps
	.globl	_ZN2at6native6mbtopk23computeBlockDigitCountsIN3c108BFloat16EmjLin1EEEvNS_4cuda6detail10TensorInfoIKT_T0_EEjPjjSA_iijT1_PSD_Ps
	.p2align	8
	.type	_ZN2at6native6mbtopk23computeBlockDigitCountsIN3c108BFloat16EmjLin1EEEvNS_4cuda6detail10TensorInfoIKT_T0_EEjPjjSA_iijT1_PSD_Ps,@function
_ZN2at6native6mbtopk23computeBlockDigitCountsIN3c108BFloat16EmjLin1EEEvNS_4cuda6detail10TensorInfoIKT_T0_EEjPjjSA_iijT1_PSD_Ps: ; @_ZN2at6native6mbtopk23computeBlockDigitCountsIN3c108BFloat16EmjLin1EEEvNS_4cuda6detail10TensorInfoIKT_T0_EEjPjjSA_iijT1_PSD_Ps
; %bb.0:
	s_clause 0x2
	s_load_b128 s[8:11], s[0:1], 0x1c0
	s_load_b32 s5, s[0:1], 0x1b0
	s_load_b64 s[2:3], s[0:1], 0x1e0
	s_waitcnt lgkmcnt(0)
	v_cvt_f32_u32_e32 v1, s10
	s_sub_i32 s6, 0, s10
	s_mul_i32 s3, s3, s15
	s_delay_alu instid0(SALU_CYCLE_1) | instskip(NEXT) | instid1(VALU_DEP_1)
	s_add_i32 s3, s3, s14
	v_rcp_iflag_f32_e32 v1, v1
	s_mul_i32 s24, s3, s2
	s_delay_alu instid0(SALU_CYCLE_1) | instskip(SKIP_3) | instid1(VALU_DEP_1)
	s_add_i32 s24, s24, s13
	s_mov_b32 s13, 0
	s_waitcnt_depctr 0xfff
	v_mul_f32_e32 v1, 0x4f7ffffe, v1
	v_cvt_u32_f32_e32 v1, v1
	s_delay_alu instid0(VALU_DEP_1) | instskip(NEXT) | instid1(VALU_DEP_1)
	v_readfirstlane_b32 s4, v1
	s_mul_i32 s6, s6, s4
	s_delay_alu instid0(SALU_CYCLE_1) | instskip(NEXT) | instid1(SALU_CYCLE_1)
	s_mul_hi_u32 s2, s4, s6
	s_add_i32 s4, s4, s2
	s_delay_alu instid0(SALU_CYCLE_1) | instskip(NEXT) | instid1(SALU_CYCLE_1)
	s_mul_hi_u32 s2, s24, s4
	s_mul_i32 s3, s2, s10
	s_add_i32 s4, s2, 1
	s_sub_i32 s3, s24, s3
	s_delay_alu instid0(SALU_CYCLE_1)
	s_sub_i32 s6, s3, s10
	s_cmp_ge_u32 s3, s10
	s_cselect_b32 s2, s4, s2
	s_cselect_b32 s3, s6, s3
	s_add_i32 s4, s2, 1
	s_cmp_ge_u32 s3, s10
	s_cselect_b32 s12, s4, s2
	s_delay_alu instid0(SALU_CYCLE_1)
	s_cmp_ge_u32 s12, s5
	s_cbranch_scc1 .LBB223_32
; %bb.1:
	s_clause 0x1
	s_load_b128 s[4:7], s[0:1], 0x1d0
	s_load_b32 s15, s[0:1], 0x198
	s_lshl_b64 s[2:3], s[12:13], 2
	s_mov_b64 s[18:19], s[12:13]
	s_waitcnt lgkmcnt(0)
	s_add_u32 s4, s4, s2
	s_addc_u32 s5, s5, s3
	s_cmp_lt_i32 s15, 2
	s_mov_b64 s[2:3], 0
	s_cbranch_scc1 .LBB223_9
; %bb.2:
	s_mov_b32 s14, 0
	s_add_i32 s2, s15, -1
	s_mov_b32 s3, s14
	s_add_i32 s13, s15, 1
	s_lshl_b64 s[2:3], s[2:3], 3
	s_delay_alu instid0(SALU_CYCLE_1)
	s_add_u32 s2, s2, s0
	s_addc_u32 s3, s3, s1
	s_add_u32 s16, s2, 8
	s_addc_u32 s17, s3, 0
	s_mov_b64 s[2:3], 0
.LBB223_3:                              ; =>This Inner Loop Header: Depth=1
	s_load_b64 s[20:21], s[16:17], 0x0
	s_waitcnt lgkmcnt(0)
	s_or_b64 s[22:23], s[18:19], s[20:21]
	s_delay_alu instid0(SALU_CYCLE_1) | instskip(NEXT) | instid1(SALU_CYCLE_1)
	s_mov_b32 s15, s23
                                        ; implicit-def: $sgpr22_sgpr23
	s_cmp_lg_u64 s[14:15], 0
	s_mov_b32 s15, -1
	s_cbranch_scc0 .LBB223_5
; %bb.4:                                ;   in Loop: Header=BB223_3 Depth=1
	v_cvt_f32_u32_e32 v1, s20
	v_cvt_f32_u32_e32 v2, s21
	s_sub_u32 s23, 0, s20
	s_subb_u32 s25, 0, s21
	s_waitcnt_depctr 0xfff
	v_fmac_f32_e32 v1, 0x4f800000, v2
	s_delay_alu instid0(VALU_DEP_1) | instskip(SKIP_2) | instid1(VALU_DEP_1)
	v_rcp_f32_e32 v1, v1
	s_waitcnt_depctr 0xfff
	v_mul_f32_e32 v1, 0x5f7ffffc, v1
	v_mul_f32_e32 v2, 0x2f800000, v1
	s_delay_alu instid0(VALU_DEP_1) | instskip(NEXT) | instid1(VALU_DEP_1)
	v_trunc_f32_e32 v2, v2
	v_fmac_f32_e32 v1, 0xcf800000, v2
	v_cvt_u32_f32_e32 v2, v2
	s_delay_alu instid0(VALU_DEP_2) | instskip(NEXT) | instid1(VALU_DEP_2)
	v_cvt_u32_f32_e32 v1, v1
	v_readfirstlane_b32 s15, v2
	s_delay_alu instid0(VALU_DEP_2) | instskip(NEXT) | instid1(VALU_DEP_2)
	v_readfirstlane_b32 s22, v1
	s_mul_i32 s26, s23, s15
	s_delay_alu instid0(VALU_DEP_1)
	s_mul_hi_u32 s28, s23, s22
	s_mul_i32 s27, s25, s22
	s_add_i32 s26, s28, s26
	s_mul_i32 s29, s23, s22
	s_add_i32 s26, s26, s27
	s_mul_hi_u32 s28, s22, s29
	s_mul_hi_u32 s30, s15, s29
	s_mul_i32 s27, s15, s29
	s_mul_hi_u32 s29, s22, s26
	s_mul_i32 s22, s22, s26
	s_mul_hi_u32 s31, s15, s26
	s_add_u32 s22, s28, s22
	s_addc_u32 s28, 0, s29
	s_add_u32 s22, s22, s27
	s_mul_i32 s26, s15, s26
	s_addc_u32 s22, s28, s30
	s_addc_u32 s27, s31, 0
	s_add_u32 s22, s22, s26
	s_addc_u32 s26, 0, s27
	v_add_co_u32 v1, s22, v1, s22
	s_delay_alu instid0(VALU_DEP_1) | instskip(SKIP_1) | instid1(VALU_DEP_1)
	s_cmp_lg_u32 s22, 0
	s_addc_u32 s15, s15, s26
	v_readfirstlane_b32 s22, v1
	s_mul_i32 s26, s23, s15
	s_delay_alu instid0(VALU_DEP_1)
	s_mul_hi_u32 s27, s23, s22
	s_mul_i32 s25, s25, s22
	s_add_i32 s26, s27, s26
	s_mul_i32 s23, s23, s22
	s_add_i32 s26, s26, s25
	s_mul_hi_u32 s27, s15, s23
	s_mul_i32 s28, s15, s23
	s_mul_hi_u32 s23, s22, s23
	s_mul_hi_u32 s29, s22, s26
	s_mul_i32 s22, s22, s26
	s_mul_hi_u32 s25, s15, s26
	s_add_u32 s22, s23, s22
	s_addc_u32 s23, 0, s29
	s_add_u32 s22, s22, s28
	s_mul_i32 s26, s15, s26
	s_addc_u32 s22, s23, s27
	s_addc_u32 s23, s25, 0
	s_add_u32 s22, s22, s26
	s_addc_u32 s23, 0, s23
	v_add_co_u32 v1, s22, v1, s22
	s_delay_alu instid0(VALU_DEP_1) | instskip(SKIP_1) | instid1(VALU_DEP_1)
	s_cmp_lg_u32 s22, 0
	s_addc_u32 s15, s15, s23
	v_readfirstlane_b32 s22, v1
	s_mul_i32 s25, s18, s15
	s_mul_hi_u32 s23, s18, s15
	s_mul_hi_u32 s26, s19, s15
	s_mul_i32 s15, s19, s15
	s_mul_hi_u32 s27, s18, s22
	s_mul_hi_u32 s28, s19, s22
	s_mul_i32 s22, s19, s22
	s_add_u32 s25, s27, s25
	s_addc_u32 s23, 0, s23
	s_add_u32 s22, s25, s22
	s_addc_u32 s22, s23, s28
	s_addc_u32 s23, s26, 0
	s_add_u32 s22, s22, s15
	s_addc_u32 s23, 0, s23
	s_mul_hi_u32 s15, s20, s22
	s_mul_i32 s26, s20, s23
	s_mul_i32 s27, s20, s22
	s_add_i32 s15, s15, s26
	v_sub_co_u32 v1, s26, s18, s27
	s_mul_i32 s25, s21, s22
	s_delay_alu instid0(SALU_CYCLE_1) | instskip(NEXT) | instid1(VALU_DEP_1)
	s_add_i32 s15, s15, s25
	v_sub_co_u32 v2, s27, v1, s20
	s_sub_i32 s25, s19, s15
	s_cmp_lg_u32 s26, 0
	s_subb_u32 s25, s25, s21
	s_cmp_lg_u32 s27, 0
	v_readfirstlane_b32 s27, v2
	s_subb_u32 s25, s25, 0
	s_delay_alu instid0(SALU_CYCLE_1) | instskip(SKIP_1) | instid1(VALU_DEP_1)
	s_cmp_ge_u32 s25, s21
	s_cselect_b32 s28, -1, 0
	s_cmp_ge_u32 s27, s20
	s_cselect_b32 s27, -1, 0
	s_cmp_eq_u32 s25, s21
	s_cselect_b32 s25, s27, s28
	s_add_u32 s27, s22, 1
	s_addc_u32 s28, s23, 0
	s_add_u32 s29, s22, 2
	s_addc_u32 s30, s23, 0
	s_cmp_lg_u32 s25, 0
	s_cselect_b32 s25, s29, s27
	s_cselect_b32 s27, s30, s28
	s_cmp_lg_u32 s26, 0
	v_readfirstlane_b32 s26, v1
	s_subb_u32 s15, s19, s15
	s_delay_alu instid0(SALU_CYCLE_1) | instskip(SKIP_1) | instid1(VALU_DEP_1)
	s_cmp_ge_u32 s15, s21
	s_cselect_b32 s28, -1, 0
	s_cmp_ge_u32 s26, s20
	s_cselect_b32 s26, -1, 0
	s_cmp_eq_u32 s15, s21
	s_cselect_b32 s15, s26, s28
	s_delay_alu instid0(SALU_CYCLE_1)
	s_cmp_lg_u32 s15, 0
	s_mov_b32 s15, 0
	s_cselect_b32 s23, s27, s23
	s_cselect_b32 s22, s25, s22
.LBB223_5:                              ;   in Loop: Header=BB223_3 Depth=1
	s_and_not1_b32 vcc_lo, exec_lo, s15
	s_cbranch_vccnz .LBB223_7
; %bb.6:                                ;   in Loop: Header=BB223_3 Depth=1
	v_cvt_f32_u32_e32 v1, s20
	s_sub_i32 s22, 0, s20
	s_waitcnt_depctr 0xfff
	v_rcp_iflag_f32_e32 v1, v1
	s_waitcnt_depctr 0xfff
	v_mul_f32_e32 v1, 0x4f7ffffe, v1
	s_delay_alu instid0(VALU_DEP_1) | instskip(NEXT) | instid1(VALU_DEP_1)
	v_cvt_u32_f32_e32 v1, v1
	v_readfirstlane_b32 s15, v1
	s_delay_alu instid0(VALU_DEP_1) | instskip(NEXT) | instid1(SALU_CYCLE_1)
	s_mul_i32 s22, s22, s15
	s_mul_hi_u32 s22, s15, s22
	s_delay_alu instid0(SALU_CYCLE_1) | instskip(NEXT) | instid1(SALU_CYCLE_1)
	s_add_i32 s15, s15, s22
	s_mul_hi_u32 s15, s18, s15
	s_delay_alu instid0(SALU_CYCLE_1) | instskip(SKIP_2) | instid1(SALU_CYCLE_1)
	s_mul_i32 s22, s15, s20
	s_add_i32 s23, s15, 1
	s_sub_i32 s22, s18, s22
	s_sub_i32 s25, s22, s20
	s_cmp_ge_u32 s22, s20
	s_cselect_b32 s15, s23, s15
	s_cselect_b32 s22, s25, s22
	s_add_i32 s23, s15, 1
	s_cmp_ge_u32 s22, s20
	s_cselect_b32 s22, s23, s15
	s_mov_b32 s23, s14
.LBB223_7:                              ;   in Loop: Header=BB223_3 Depth=1
	s_load_b64 s[26:27], s[16:17], 0xc8
	s_mul_i32 s15, s22, s21
	s_mul_hi_u32 s21, s22, s20
	s_mul_i32 s25, s23, s20
	s_add_i32 s15, s21, s15
	s_mul_i32 s20, s22, s20
	s_add_i32 s15, s15, s25
	s_sub_u32 s18, s18, s20
	s_subb_u32 s15, s19, s15
	s_waitcnt lgkmcnt(0)
	s_mul_i32 s15, s26, s15
	s_mul_hi_u32 s19, s26, s18
	s_mul_i32 s20, s27, s18
	s_add_i32 s15, s19, s15
	s_mul_i32 s18, s26, s18
	s_add_i32 s15, s15, s20
	s_add_u32 s2, s18, s2
	s_addc_u32 s3, s15, s3
	s_add_i32 s13, s13, -1
	s_add_u32 s16, s16, -8
	s_addc_u32 s17, s17, -1
	s_cmp_gt_u32 s13, 2
	s_cbranch_scc0 .LBB223_10
; %bb.8:                                ;   in Loop: Header=BB223_3 Depth=1
	s_mov_b64 s[18:19], s[22:23]
	s_branch .LBB223_3
.LBB223_9:
	s_mov_b64 s[22:23], s[18:19]
.LBB223_10:
	s_load_b32 s13, s[4:5], 0x0
	v_cmp_gt_u32_e32 vcc_lo, 0x100, v0
	v_lshlrev_b32_e32 v1, 2, v0
	s_and_saveexec_b32 s4, vcc_lo
	s_cbranch_execz .LBB223_12
; %bb.11:
	v_mov_b32_e32 v2, 0
	ds_store_b32 v1, v2
.LBB223_12:
	s_or_b32 exec_lo, exec_lo, s4
	s_load_b32 s14, s[0:1], 0x1a0
	s_mul_i32 s4, s12, s10
	s_waitcnt lgkmcnt(0)
	s_sub_i32 s4, s24, s4
	s_barrier
	s_mul_i32 s5, s9, s4
	s_add_i32 s4, s4, 1
	s_lshl_b32 s12, s5, 8
	buffer_gl0_inv
	s_sub_i32 s5, s14, s12
	s_delay_alu instid0(SALU_CYCLE_1) | instskip(SKIP_4) | instid1(VALU_DEP_1)
	s_add_u32 s5, s5, 0xff
	s_addc_u32 s15, 0, 0
	s_cmp_lt_u32 s4, s10
	v_alignbit_b32 v2, s15, s5, 8
	s_mov_b32 s10, 0
	v_readfirstlane_b32 s5, v2
	s_delay_alu instid0(VALU_DEP_1) | instskip(NEXT) | instid1(SALU_CYCLE_1)
	s_cselect_b32 s9, s9, s5
	s_cmp_lt_i32 s9, 1
	s_cbranch_scc1 .LBB223_28
; %bb.13:
	s_clause 0x2
	s_load_b64 s[16:17], s[0:1], 0xd0
	s_load_b64 s[4:5], s[0:1], 0x1b8
	;; [unrolled: 1-line block ×3, first 2 shown]
	v_add_nc_u32_e32 v2, s12, v0
	s_waitcnt lgkmcnt(0)
	s_mul_i32 s15, s16, s23
	s_mul_hi_u32 s18, s16, s22
	s_mul_i32 s17, s17, s22
	s_add_i32 s15, s18, s15
	s_mul_i32 s16, s16, s22
	s_add_i32 s17, s15, s17
	s_delay_alu instid0(SALU_CYCLE_1) | instskip(NEXT) | instid1(SALU_CYCLE_1)
	s_lshl_b64 s[16:17], s[16:17], 1
	s_add_u32 s15, s0, s16
	s_addc_u32 s16, s1, s17
	s_lshl_b64 s[0:1], s[2:3], 1
	s_delay_alu instid0(SALU_CYCLE_1)
	s_add_u32 s2, s15, s0
	s_addc_u32 s3, s16, s1
	s_and_b32 s1, s8, 0xff
	s_cmp_eq_u32 s9, 1
	s_cbranch_scc1 .LBB223_23
; %bb.14:
	v_dual_mov_b32 v3, 1 :: v_dual_mov_b32 v4, 0x8000
	v_mov_b32_e32 v5, v2
	s_and_b32 s8, s9, 0x7ffffffe
	s_branch .LBB223_16
.LBB223_15:                             ;   in Loop: Header=BB223_16 Depth=1
	s_or_b32 exec_lo, exec_lo, s12
	v_add_nc_u32_e32 v5, 0x200, v5
	s_add_i32 s10, s10, 2
	s_delay_alu instid0(SALU_CYCLE_1)
	s_cmp_eq_u32 s8, s10
	s_cbranch_scc1 .LBB223_22
.LBB223_16:                             ; =>This Inner Loop Header: Depth=1
	s_mov_b32 s12, exec_lo
	s_delay_alu instid0(VALU_DEP_1)
	v_cmpx_gt_u32_e64 s14, v5
	s_cbranch_execz .LBB223_19
; %bb.17:                               ;   in Loop: Header=BB223_16 Depth=1
	v_mad_u64_u32 v[6:7], null, v5, s4, 0
	s_delay_alu instid0(VALU_DEP_1) | instskip(NEXT) | instid1(VALU_DEP_1)
	v_mad_u64_u32 v[8:9], null, v5, s5, v[7:8]
	v_mov_b32_e32 v7, v8
	s_delay_alu instid0(VALU_DEP_1) | instskip(NEXT) | instid1(VALU_DEP_1)
	v_lshlrev_b64 v[6:7], 1, v[6:7]
	v_add_co_u32 v6, s0, s2, v6
	s_delay_alu instid0(VALU_DEP_1)
	v_add_co_ci_u32_e64 v7, s0, s3, v7, s0
	global_load_u16 v6, v[6:7], off
	s_waitcnt vmcnt(0)
	v_cmp_lt_i16_e64 s0, -1, v6
	v_and_b32_e32 v7, 0xffff, v6
	v_lshlrev_b32_e32 v6, 16, v6
	s_delay_alu instid0(VALU_DEP_3) | instskip(NEXT) | instid1(VALU_DEP_2)
	v_cndmask_b32_e64 v8, 0xffff, v4, s0
	v_cmp_o_f32_e64 s0, v6, v6
	s_delay_alu instid0(VALU_DEP_2) | instskip(NEXT) | instid1(VALU_DEP_1)
	v_xor_b32_e32 v7, v8, v7
	v_cndmask_b32_e64 v6, 0xffff, v7, s0
	s_delay_alu instid0(VALU_DEP_1) | instskip(NEXT) | instid1(VALU_DEP_1)
	v_xor_b32_e32 v7, s13, v6
	v_and_b32_e32 v7, s11, v7
	s_delay_alu instid0(VALU_DEP_1) | instskip(NEXT) | instid1(VALU_DEP_1)
	v_cmp_eq_u32_e64 s0, 0, v7
	s_and_b32 exec_lo, exec_lo, s0
	s_cbranch_execz .LBB223_19
; %bb.18:                               ;   in Loop: Header=BB223_16 Depth=1
	v_bfe_u32 v6, v6, s1, 8
	s_delay_alu instid0(VALU_DEP_1)
	v_lshlrev_b32_e32 v6, 2, v6
	ds_add_u32 v6, v3
.LBB223_19:                             ;   in Loop: Header=BB223_16 Depth=1
	s_or_b32 exec_lo, exec_lo, s12
	v_add_nc_u32_e32 v6, 0x100, v5
	s_mov_b32 s12, exec_lo
	s_delay_alu instid0(VALU_DEP_1)
	v_cmpx_gt_u32_e64 s14, v6
	s_cbranch_execz .LBB223_15
; %bb.20:                               ;   in Loop: Header=BB223_16 Depth=1
	v_mad_u64_u32 v[7:8], null, v6, s4, 0
	s_delay_alu instid0(VALU_DEP_1) | instskip(NEXT) | instid1(VALU_DEP_1)
	v_mad_u64_u32 v[9:10], null, v6, s5, v[8:9]
	v_mov_b32_e32 v8, v9
	s_delay_alu instid0(VALU_DEP_1) | instskip(NEXT) | instid1(VALU_DEP_1)
	v_lshlrev_b64 v[6:7], 1, v[7:8]
	v_add_co_u32 v6, s0, s2, v6
	s_delay_alu instid0(VALU_DEP_1)
	v_add_co_ci_u32_e64 v7, s0, s3, v7, s0
	global_load_u16 v6, v[6:7], off
	s_waitcnt vmcnt(0)
	v_and_b32_e32 v7, 0xffff, v6
	v_cmp_lt_i16_e64 s0, -1, v6
	v_lshlrev_b32_e32 v6, 16, v6
	s_delay_alu instid0(VALU_DEP_2) | instskip(NEXT) | instid1(VALU_DEP_2)
	v_cndmask_b32_e64 v8, 0xffff, v4, s0
	v_cmp_o_f32_e64 s0, v6, v6
	s_delay_alu instid0(VALU_DEP_2) | instskip(NEXT) | instid1(VALU_DEP_1)
	v_xor_b32_e32 v7, v8, v7
	v_cndmask_b32_e64 v6, 0xffff, v7, s0
	s_delay_alu instid0(VALU_DEP_1) | instskip(NEXT) | instid1(VALU_DEP_1)
	v_xor_b32_e32 v7, s13, v6
	v_and_b32_e32 v7, s11, v7
	s_delay_alu instid0(VALU_DEP_1) | instskip(NEXT) | instid1(VALU_DEP_1)
	v_cmp_eq_u32_e64 s0, 0, v7
	s_and_b32 exec_lo, exec_lo, s0
	s_cbranch_execz .LBB223_15
; %bb.21:                               ;   in Loop: Header=BB223_16 Depth=1
	v_bfe_u32 v6, v6, s1, 8
	s_delay_alu instid0(VALU_DEP_1)
	v_lshlrev_b32_e32 v6, 2, v6
	ds_add_u32 v6, v3
	s_branch .LBB223_15
.LBB223_22:
	s_lshl_b32 s10, s8, 8
.LBB223_23:
	s_bitcmp0_b32 s9, 0
	s_cbranch_scc1 .LBB223_28
; %bb.24:
	v_add_nc_u32_e32 v2, s10, v2
	s_mov_b32 s8, exec_lo
	s_delay_alu instid0(VALU_DEP_1)
	v_cmpx_gt_u32_e64 s14, v2
	s_cbranch_execz .LBB223_27
; %bb.25:
	v_mad_u64_u32 v[3:4], null, v2, s4, 0
	s_delay_alu instid0(VALU_DEP_1) | instskip(NEXT) | instid1(VALU_DEP_1)
	v_mad_u64_u32 v[5:6], null, v2, s5, v[4:5]
	v_mov_b32_e32 v4, v5
	s_delay_alu instid0(VALU_DEP_1) | instskip(NEXT) | instid1(VALU_DEP_1)
	v_lshlrev_b64 v[2:3], 1, v[3:4]
	v_add_co_u32 v2, s0, s2, v2
	s_delay_alu instid0(VALU_DEP_1)
	v_add_co_ci_u32_e64 v3, s0, s3, v3, s0
	global_load_u16 v2, v[2:3], off
	v_mov_b32_e32 v3, 0x8000
	s_waitcnt vmcnt(0)
	v_cmp_lt_i16_e64 s0, -1, v2
	v_and_b32_e32 v4, 0xffff, v2
	v_lshlrev_b32_e32 v2, 16, v2
	s_delay_alu instid0(VALU_DEP_3) | instskip(NEXT) | instid1(VALU_DEP_2)
	v_cndmask_b32_e64 v3, 0xffff, v3, s0
	v_cmp_o_f32_e64 s0, v2, v2
	s_delay_alu instid0(VALU_DEP_2) | instskip(NEXT) | instid1(VALU_DEP_1)
	v_xor_b32_e32 v3, v3, v4
	v_cndmask_b32_e64 v2, 0xffff, v3, s0
	s_delay_alu instid0(VALU_DEP_1) | instskip(NEXT) | instid1(VALU_DEP_1)
	v_xor_b32_e32 v3, s13, v2
	v_and_b32_e32 v3, s11, v3
	s_delay_alu instid0(VALU_DEP_1) | instskip(NEXT) | instid1(VALU_DEP_1)
	v_cmp_eq_u32_e64 s0, 0, v3
	s_and_b32 exec_lo, exec_lo, s0
	s_cbranch_execz .LBB223_27
; %bb.26:
	v_bfe_u32 v2, v2, s1, 8
	s_delay_alu instid0(VALU_DEP_1)
	v_dual_mov_b32 v3, 1 :: v_dual_lshlrev_b32 v2, 2, v2
	ds_add_u32 v2, v3
.LBB223_27:
	s_or_b32 exec_lo, exec_lo, s8
.LBB223_28:
	v_mov_b32_e32 v2, 0
	s_waitcnt lgkmcnt(0)
	s_barrier
	buffer_gl0_inv
	s_and_saveexec_b32 s0, vcc_lo
	s_cbranch_execz .LBB223_30
; %bb.29:
	ds_load_b32 v2, v1
.LBB223_30:
	s_or_b32 exec_lo, exec_lo, s0
	s_and_saveexec_b32 s0, vcc_lo
	s_cbranch_execz .LBB223_32
; %bb.31:
	v_lshl_or_b32 v0, s24, 8, v0
	v_mov_b32_e32 v1, 0
	s_delay_alu instid0(VALU_DEP_1) | instskip(NEXT) | instid1(VALU_DEP_1)
	v_lshlrev_b64 v[0:1], 1, v[0:1]
	v_add_co_u32 v0, vcc_lo, s6, v0
	s_delay_alu instid0(VALU_DEP_2)
	v_add_co_ci_u32_e32 v1, vcc_lo, s7, v1, vcc_lo
	s_waitcnt lgkmcnt(0)
	global_store_b16 v[0:1], v2, off
.LBB223_32:
	s_nop 0
	s_sendmsg sendmsg(MSG_DEALLOC_VGPRS)
	s_endpgm
	.section	.rodata,"a",@progbits
	.p2align	6, 0x0
	.amdhsa_kernel _ZN2at6native6mbtopk23computeBlockDigitCountsIN3c108BFloat16EmjLin1EEEvNS_4cuda6detail10TensorInfoIKT_T0_EEjPjjSA_iijT1_PSD_Ps
		.amdhsa_group_segment_fixed_size 1024
		.amdhsa_private_segment_fixed_size 0
		.amdhsa_kernarg_size 736
		.amdhsa_user_sgpr_count 13
		.amdhsa_user_sgpr_dispatch_ptr 0
		.amdhsa_user_sgpr_queue_ptr 0
		.amdhsa_user_sgpr_kernarg_segment_ptr 1
		.amdhsa_user_sgpr_dispatch_id 0
		.amdhsa_user_sgpr_private_segment_size 0
		.amdhsa_wavefront_size32 1
		.amdhsa_uses_dynamic_stack 0
		.amdhsa_enable_private_segment 0
		.amdhsa_system_sgpr_workgroup_id_x 1
		.amdhsa_system_sgpr_workgroup_id_y 1
		.amdhsa_system_sgpr_workgroup_id_z 1
		.amdhsa_system_sgpr_workgroup_info 0
		.amdhsa_system_vgpr_workitem_id 0
		.amdhsa_next_free_vgpr 11
		.amdhsa_next_free_sgpr 32
		.amdhsa_reserve_vcc 1
		.amdhsa_float_round_mode_32 0
		.amdhsa_float_round_mode_16_64 0
		.amdhsa_float_denorm_mode_32 3
		.amdhsa_float_denorm_mode_16_64 3
		.amdhsa_dx10_clamp 1
		.amdhsa_ieee_mode 1
		.amdhsa_fp16_overflow 0
		.amdhsa_workgroup_processor_mode 1
		.amdhsa_memory_ordered 1
		.amdhsa_forward_progress 0
		.amdhsa_shared_vgpr_count 0
		.amdhsa_exception_fp_ieee_invalid_op 0
		.amdhsa_exception_fp_denorm_src 0
		.amdhsa_exception_fp_ieee_div_zero 0
		.amdhsa_exception_fp_ieee_overflow 0
		.amdhsa_exception_fp_ieee_underflow 0
		.amdhsa_exception_fp_ieee_inexact 0
		.amdhsa_exception_int_div_zero 0
	.end_amdhsa_kernel
	.section	.text._ZN2at6native6mbtopk23computeBlockDigitCountsIN3c108BFloat16EmjLin1EEEvNS_4cuda6detail10TensorInfoIKT_T0_EEjPjjSA_iijT1_PSD_Ps,"axG",@progbits,_ZN2at6native6mbtopk23computeBlockDigitCountsIN3c108BFloat16EmjLin1EEEvNS_4cuda6detail10TensorInfoIKT_T0_EEjPjjSA_iijT1_PSD_Ps,comdat
.Lfunc_end223:
	.size	_ZN2at6native6mbtopk23computeBlockDigitCountsIN3c108BFloat16EmjLin1EEEvNS_4cuda6detail10TensorInfoIKT_T0_EEjPjjSA_iijT1_PSD_Ps, .Lfunc_end223-_ZN2at6native6mbtopk23computeBlockDigitCountsIN3c108BFloat16EmjLin1EEEvNS_4cuda6detail10TensorInfoIKT_T0_EEjPjjSA_iijT1_PSD_Ps
                                        ; -- End function
	.section	.AMDGPU.csdata,"",@progbits
; Kernel info:
; codeLenInByte = 2180
; NumSgprs: 34
; NumVgprs: 11
; ScratchSize: 0
; MemoryBound: 0
; FloatMode: 240
; IeeeMode: 1
; LDSByteSize: 1024 bytes/workgroup (compile time only)
; SGPRBlocks: 4
; VGPRBlocks: 1
; NumSGPRsForWavesPerEU: 34
; NumVGPRsForWavesPerEU: 11
; Occupancy: 16
; WaveLimiterHint : 0
; COMPUTE_PGM_RSRC2:SCRATCH_EN: 0
; COMPUTE_PGM_RSRC2:USER_SGPR: 13
; COMPUTE_PGM_RSRC2:TRAP_HANDLER: 0
; COMPUTE_PGM_RSRC2:TGID_X_EN: 1
; COMPUTE_PGM_RSRC2:TGID_Y_EN: 1
; COMPUTE_PGM_RSRC2:TGID_Z_EN: 1
; COMPUTE_PGM_RSRC2:TIDIG_COMP_CNT: 0
	.section	.text._ZN2at6native6mbtopk10gatherTopKIN3c108BFloat16EmLin1EEEvNS_4cuda6detail10TensorInfoIKT_T0_EESA_SA_bjSA_NS7_IS8_SA_EESA_NS7_IlSA_EESA_jjPS8_PjSF_j,"axG",@progbits,_ZN2at6native6mbtopk10gatherTopKIN3c108BFloat16EmLin1EEEvNS_4cuda6detail10TensorInfoIKT_T0_EESA_SA_bjSA_NS7_IS8_SA_EESA_NS7_IlSA_EESA_jjPS8_PjSF_j,comdat
	.protected	_ZN2at6native6mbtopk10gatherTopKIN3c108BFloat16EmLin1EEEvNS_4cuda6detail10TensorInfoIKT_T0_EESA_SA_bjSA_NS7_IS8_SA_EESA_NS7_IlSA_EESA_jjPS8_PjSF_j ; -- Begin function _ZN2at6native6mbtopk10gatherTopKIN3c108BFloat16EmLin1EEEvNS_4cuda6detail10TensorInfoIKT_T0_EESA_SA_bjSA_NS7_IS8_SA_EESA_NS7_IlSA_EESA_jjPS8_PjSF_j
	.globl	_ZN2at6native6mbtopk10gatherTopKIN3c108BFloat16EmLin1EEEvNS_4cuda6detail10TensorInfoIKT_T0_EESA_SA_bjSA_NS7_IS8_SA_EESA_NS7_IlSA_EESA_jjPS8_PjSF_j
	.p2align	8
	.type	_ZN2at6native6mbtopk10gatherTopKIN3c108BFloat16EmLin1EEEvNS_4cuda6detail10TensorInfoIKT_T0_EESA_SA_bjSA_NS7_IS8_SA_EESA_NS7_IlSA_EESA_jjPS8_PjSF_j,@function
_ZN2at6native6mbtopk10gatherTopKIN3c108BFloat16EmLin1EEEvNS_4cuda6detail10TensorInfoIKT_T0_EESA_SA_bjSA_NS7_IS8_SA_EESA_NS7_IlSA_EESA_jjPS8_PjSF_j: ; @_ZN2at6native6mbtopk10gatherTopKIN3c108BFloat16EmLin1EEEvNS_4cuda6detail10TensorInfoIKT_T0_EESA_SA_bjSA_NS7_IS8_SA_EESA_NS7_IlSA_EESA_jjPS8_PjSF_j
; %bb.0:
	s_clause 0x1
	s_load_b64 s[2:3], s[0:1], 0x538
	s_load_b32 s4, s[0:1], 0x530
	s_waitcnt lgkmcnt(0)
	s_mul_i32 s3, s3, s15
	s_delay_alu instid0(SALU_CYCLE_1) | instskip(NEXT) | instid1(SALU_CYCLE_1)
	s_add_i32 s3, s3, s14
	s_mul_i32 s3, s3, s2
	s_delay_alu instid0(SALU_CYCLE_1) | instskip(NEXT) | instid1(SALU_CYCLE_1)
	s_add_i32 s3, s3, s13
	s_cmp_ge_u32 s3, s4
	s_cbranch_scc1 .LBB224_67
; %bb.1:
	s_load_b64 s[16:17], s[0:1], 0x510
	s_waitcnt lgkmcnt(0)
	v_cvt_f32_u32_e32 v1, s17
	s_sub_i32 s4, 0, s17
	s_lshl_b32 s33, s16, 8
	s_delay_alu instid0(VALU_DEP_1) | instskip(SKIP_2) | instid1(VALU_DEP_1)
	v_rcp_iflag_f32_e32 v1, v1
	s_waitcnt_depctr 0xfff
	v_mul_f32_e32 v1, 0x4f7ffffe, v1
	v_cvt_u32_f32_e32 v1, v1
	s_delay_alu instid0(VALU_DEP_1) | instskip(NEXT) | instid1(VALU_DEP_1)
	v_readfirstlane_b32 s2, v1
	s_mul_i32 s4, s4, s2
	s_delay_alu instid0(SALU_CYCLE_1) | instskip(NEXT) | instid1(SALU_CYCLE_1)
	s_mul_hi_u32 s4, s2, s4
	s_add_i32 s2, s2, s4
	s_load_b128 s[4:7], s[0:1], 0x1a0
	s_mul_hi_u32 s2, s3, s2
	s_delay_alu instid0(SALU_CYCLE_1) | instskip(SKIP_2) | instid1(SALU_CYCLE_1)
	s_mul_i32 s8, s2, s17
	s_add_i32 s9, s2, 1
	s_sub_i32 s8, s3, s8
	s_sub_i32 s10, s8, s17
	s_cmp_ge_u32 s8, s17
	s_cselect_b32 s2, s9, s2
	s_cselect_b32 s8, s10, s8
	s_add_i32 s9, s2, 1
	s_cmp_ge_u32 s8, s17
	s_cselect_b32 s2, s9, s2
	s_delay_alu instid0(SALU_CYCLE_1) | instskip(NEXT) | instid1(SALU_CYCLE_1)
	s_mul_i32 s20, s2, s17
	s_sub_i32 s50, s3, s20
	s_delay_alu instid0(SALU_CYCLE_1) | instskip(NEXT) | instid1(SALU_CYCLE_1)
	s_add_i32 s3, s50, 1
	s_cmp_lt_u32 s3, s17
	s_mov_b32 s3, 0
	s_cbranch_scc1 .LBB224_3
; %bb.2:
	s_mul_i32 s8, s50, s33
	s_waitcnt lgkmcnt(0)
	s_sub_u32 s8, s4, s8
	s_subb_u32 s9, s5, 0
	s_add_u32 s8, s8, 0xff
	s_addc_u32 s9, s9, 0
	s_delay_alu instid0(SALU_CYCLE_1) | instskip(NEXT) | instid1(SALU_CYCLE_1)
	s_ashr_i32 s10, s9, 31
	s_lshr_b32 s10, s10, 24
	s_delay_alu instid0(SALU_CYCLE_1) | instskip(SKIP_1) | instid1(SALU_CYCLE_1)
	s_add_u32 s8, s8, s10
	s_addc_u32 s9, s9, 0
	v_alignbit_b32 v1, s9, s8, 8
	s_delay_alu instid0(VALU_DEP_1)
	v_readfirstlane_b32 s16, v1
.LBB224_3:
	s_load_b32 s9, s[0:1], 0x198
	s_mov_b64 s[18:19], 0
	s_mov_b64 s[22:23], s[2:3]
	s_waitcnt lgkmcnt(0)
	s_cmp_lt_i32 s9, 2
	s_cbranch_scc1 .LBB224_11
; %bb.4:
	s_mov_b32 s8, 0
	s_add_i32 s10, s9, -1
	s_mov_b32 s11, s8
	s_add_i32 s21, s9, 1
	s_lshl_b64 s[10:11], s[10:11], 3
	s_mov_b64 s[12:13], s[2:3]
	s_add_u32 s9, s10, s0
	s_addc_u32 s11, s11, s1
	s_add_u32 s10, s9, 8
	s_addc_u32 s11, s11, 0
.LBB224_5:                              ; =>This Inner Loop Header: Depth=1
	s_load_b64 s[14:15], s[10:11], 0x0
	s_waitcnt lgkmcnt(0)
	s_or_b64 s[22:23], s[12:13], s[14:15]
	s_delay_alu instid0(SALU_CYCLE_1) | instskip(NEXT) | instid1(SALU_CYCLE_1)
	s_mov_b32 s9, s23
                                        ; implicit-def: $sgpr22_sgpr23
	s_cmp_lg_u64 s[8:9], 0
	s_mov_b32 s9, -1
	s_cbranch_scc0 .LBB224_7
; %bb.6:                                ;   in Loop: Header=BB224_5 Depth=1
	v_cvt_f32_u32_e32 v1, s14
	v_cvt_f32_u32_e32 v2, s15
	s_sub_u32 s23, 0, s14
	s_subb_u32 s24, 0, s15
	s_waitcnt_depctr 0xfff
	v_fmac_f32_e32 v1, 0x4f800000, v2
	s_delay_alu instid0(VALU_DEP_1) | instskip(SKIP_2) | instid1(VALU_DEP_1)
	v_rcp_f32_e32 v1, v1
	s_waitcnt_depctr 0xfff
	v_mul_f32_e32 v1, 0x5f7ffffc, v1
	v_mul_f32_e32 v2, 0x2f800000, v1
	s_delay_alu instid0(VALU_DEP_1) | instskip(NEXT) | instid1(VALU_DEP_1)
	v_trunc_f32_e32 v2, v2
	v_fmac_f32_e32 v1, 0xcf800000, v2
	v_cvt_u32_f32_e32 v2, v2
	s_delay_alu instid0(VALU_DEP_2) | instskip(NEXT) | instid1(VALU_DEP_2)
	v_cvt_u32_f32_e32 v1, v1
	v_readfirstlane_b32 s9, v2
	s_delay_alu instid0(VALU_DEP_2) | instskip(NEXT) | instid1(VALU_DEP_2)
	v_readfirstlane_b32 s22, v1
	s_mul_i32 s25, s23, s9
	s_delay_alu instid0(VALU_DEP_1)
	s_mul_hi_u32 s27, s23, s22
	s_mul_i32 s26, s24, s22
	s_add_i32 s25, s27, s25
	s_mul_i32 s28, s23, s22
	s_add_i32 s25, s25, s26
	s_mul_hi_u32 s27, s22, s28
	s_mul_hi_u32 s29, s9, s28
	s_mul_i32 s26, s9, s28
	s_mul_hi_u32 s28, s22, s25
	s_mul_i32 s22, s22, s25
	s_mul_hi_u32 s30, s9, s25
	s_add_u32 s22, s27, s22
	s_addc_u32 s27, 0, s28
	s_add_u32 s22, s22, s26
	s_mul_i32 s25, s9, s25
	s_addc_u32 s22, s27, s29
	s_addc_u32 s26, s30, 0
	s_add_u32 s22, s22, s25
	s_addc_u32 s25, 0, s26
	v_add_co_u32 v1, s22, v1, s22
	s_delay_alu instid0(VALU_DEP_1) | instskip(SKIP_1) | instid1(VALU_DEP_1)
	s_cmp_lg_u32 s22, 0
	s_addc_u32 s9, s9, s25
	v_readfirstlane_b32 s22, v1
	s_mul_i32 s25, s23, s9
	s_delay_alu instid0(VALU_DEP_1)
	s_mul_hi_u32 s26, s23, s22
	s_mul_i32 s24, s24, s22
	s_add_i32 s25, s26, s25
	s_mul_i32 s23, s23, s22
	s_add_i32 s25, s25, s24
	s_mul_hi_u32 s26, s9, s23
	s_mul_i32 s27, s9, s23
	s_mul_hi_u32 s23, s22, s23
	s_mul_hi_u32 s28, s22, s25
	s_mul_i32 s22, s22, s25
	s_mul_hi_u32 s24, s9, s25
	s_add_u32 s22, s23, s22
	s_addc_u32 s23, 0, s28
	s_add_u32 s22, s22, s27
	s_mul_i32 s25, s9, s25
	s_addc_u32 s22, s23, s26
	s_addc_u32 s23, s24, 0
	s_add_u32 s22, s22, s25
	s_addc_u32 s23, 0, s23
	v_add_co_u32 v1, s22, v1, s22
	s_delay_alu instid0(VALU_DEP_1) | instskip(SKIP_1) | instid1(VALU_DEP_1)
	s_cmp_lg_u32 s22, 0
	s_addc_u32 s9, s9, s23
	v_readfirstlane_b32 s22, v1
	s_mul_i32 s24, s12, s9
	s_mul_hi_u32 s23, s12, s9
	s_mul_hi_u32 s25, s13, s9
	s_mul_i32 s9, s13, s9
	s_mul_hi_u32 s26, s12, s22
	s_mul_hi_u32 s27, s13, s22
	s_mul_i32 s22, s13, s22
	s_add_u32 s24, s26, s24
	s_addc_u32 s23, 0, s23
	s_add_u32 s22, s24, s22
	s_addc_u32 s22, s23, s27
	s_addc_u32 s23, s25, 0
	s_add_u32 s22, s22, s9
	s_addc_u32 s23, 0, s23
	s_mul_hi_u32 s9, s14, s22
	s_mul_i32 s25, s14, s23
	s_mul_i32 s26, s14, s22
	s_add_i32 s9, s9, s25
	v_sub_co_u32 v1, s25, s12, s26
	s_mul_i32 s24, s15, s22
	s_delay_alu instid0(SALU_CYCLE_1) | instskip(NEXT) | instid1(VALU_DEP_1)
	s_add_i32 s9, s9, s24
	v_sub_co_u32 v2, s26, v1, s14
	s_sub_i32 s24, s13, s9
	s_cmp_lg_u32 s25, 0
	s_subb_u32 s24, s24, s15
	s_cmp_lg_u32 s26, 0
	v_readfirstlane_b32 s26, v2
	s_subb_u32 s24, s24, 0
	s_delay_alu instid0(SALU_CYCLE_1) | instskip(SKIP_1) | instid1(VALU_DEP_1)
	s_cmp_ge_u32 s24, s15
	s_cselect_b32 s27, -1, 0
	s_cmp_ge_u32 s26, s14
	s_cselect_b32 s26, -1, 0
	s_cmp_eq_u32 s24, s15
	s_cselect_b32 s24, s26, s27
	s_add_u32 s26, s22, 1
	s_addc_u32 s27, s23, 0
	s_add_u32 s28, s22, 2
	s_addc_u32 s29, s23, 0
	s_cmp_lg_u32 s24, 0
	s_cselect_b32 s24, s28, s26
	s_cselect_b32 s26, s29, s27
	s_cmp_lg_u32 s25, 0
	v_readfirstlane_b32 s25, v1
	s_subb_u32 s9, s13, s9
	s_delay_alu instid0(SALU_CYCLE_1) | instskip(SKIP_1) | instid1(VALU_DEP_1)
	s_cmp_ge_u32 s9, s15
	s_cselect_b32 s27, -1, 0
	s_cmp_ge_u32 s25, s14
	s_cselect_b32 s25, -1, 0
	s_cmp_eq_u32 s9, s15
	s_cselect_b32 s9, s25, s27
	s_delay_alu instid0(SALU_CYCLE_1)
	s_cmp_lg_u32 s9, 0
	s_mov_b32 s9, 0
	s_cselect_b32 s23, s26, s23
	s_cselect_b32 s22, s24, s22
.LBB224_7:                              ;   in Loop: Header=BB224_5 Depth=1
	s_and_not1_b32 vcc_lo, exec_lo, s9
	s_cbranch_vccnz .LBB224_9
; %bb.8:                                ;   in Loop: Header=BB224_5 Depth=1
	v_cvt_f32_u32_e32 v1, s14
	s_sub_i32 s22, 0, s14
	s_waitcnt_depctr 0xfff
	v_rcp_iflag_f32_e32 v1, v1
	s_waitcnt_depctr 0xfff
	v_mul_f32_e32 v1, 0x4f7ffffe, v1
	s_delay_alu instid0(VALU_DEP_1) | instskip(NEXT) | instid1(VALU_DEP_1)
	v_cvt_u32_f32_e32 v1, v1
	v_readfirstlane_b32 s9, v1
	s_delay_alu instid0(VALU_DEP_1) | instskip(NEXT) | instid1(SALU_CYCLE_1)
	s_mul_i32 s22, s22, s9
	s_mul_hi_u32 s22, s9, s22
	s_delay_alu instid0(SALU_CYCLE_1) | instskip(NEXT) | instid1(SALU_CYCLE_1)
	s_add_i32 s9, s9, s22
	s_mul_hi_u32 s9, s12, s9
	s_delay_alu instid0(SALU_CYCLE_1) | instskip(SKIP_2) | instid1(SALU_CYCLE_1)
	s_mul_i32 s22, s9, s14
	s_add_i32 s23, s9, 1
	s_sub_i32 s22, s12, s22
	s_sub_i32 s24, s22, s14
	s_cmp_ge_u32 s22, s14
	s_cselect_b32 s9, s23, s9
	s_cselect_b32 s22, s24, s22
	s_add_i32 s23, s9, 1
	s_cmp_ge_u32 s22, s14
	s_cselect_b32 s22, s23, s9
	s_mov_b32 s23, s8
.LBB224_9:                              ;   in Loop: Header=BB224_5 Depth=1
	s_load_b64 s[24:25], s[10:11], 0xc8
	s_mul_i32 s9, s22, s15
	s_mul_hi_u32 s15, s22, s14
	s_mul_i32 s26, s23, s14
	s_add_i32 s9, s15, s9
	s_mul_i32 s14, s22, s14
	s_add_i32 s9, s9, s26
	s_sub_u32 s12, s12, s14
	s_subb_u32 s9, s13, s9
	s_waitcnt lgkmcnt(0)
	s_mul_i32 s9, s24, s9
	s_mul_hi_u32 s13, s24, s12
	s_mul_i32 s14, s25, s12
	s_add_i32 s9, s13, s9
	s_mul_i32 s12, s24, s12
	s_add_i32 s9, s9, s14
	s_add_u32 s18, s12, s18
	s_addc_u32 s19, s9, s19
	s_add_i32 s21, s21, -1
	s_add_u32 s10, s10, -8
	s_addc_u32 s11, s11, -1
	s_cmp_gt_u32 s21, 2
	s_cbranch_scc0 .LBB224_11
; %bb.10:                               ;   in Loop: Header=BB224_5 Depth=1
	s_mov_b64 s[12:13], s[22:23]
	s_branch .LBB224_5
.LBB224_11:
	s_clause 0x1
	s_load_b32 s11, s[0:1], 0x358
	s_load_b64 s[24:25], s[0:1], 0xd0
	s_add_u32 s8, s0, 0x1c0
	s_addc_u32 s9, s1, 0
	s_mov_b64 s[26:27], 0
	s_mov_b64 s[28:29], s[2:3]
	s_waitcnt lgkmcnt(0)
	s_cmp_lt_i32 s11, 2
	s_cbranch_scc1 .LBB224_19
; %bb.12:
	s_mov_b32 s10, 0
	s_add_i32 s12, s11, -1
	s_mov_b32 s13, s10
	s_add_i32 s21, s11, 1
	s_lshl_b64 s[12:13], s[12:13], 3
	s_mov_b64 s[14:15], s[2:3]
	s_add_u32 s11, s12, s8
	s_addc_u32 s13, s13, s9
	s_add_u32 s12, s11, 8
	s_addc_u32 s13, s13, 0
.LBB224_13:                             ; =>This Inner Loop Header: Depth=1
	s_load_b64 s[30:31], s[12:13], 0x0
	s_waitcnt lgkmcnt(0)
	s_or_b64 s[28:29], s[14:15], s[30:31]
	s_delay_alu instid0(SALU_CYCLE_1) | instskip(NEXT) | instid1(SALU_CYCLE_1)
	s_mov_b32 s11, s29
                                        ; implicit-def: $sgpr28_sgpr29
	s_cmp_lg_u64 s[10:11], 0
	s_mov_b32 s11, -1
	s_cbranch_scc0 .LBB224_15
; %bb.14:                               ;   in Loop: Header=BB224_13 Depth=1
	v_cvt_f32_u32_e32 v1, s30
	v_cvt_f32_u32_e32 v2, s31
	s_sub_u32 s29, 0, s30
	s_subb_u32 s34, 0, s31
	s_waitcnt_depctr 0xfff
	v_fmac_f32_e32 v1, 0x4f800000, v2
	s_delay_alu instid0(VALU_DEP_1) | instskip(SKIP_2) | instid1(VALU_DEP_1)
	v_rcp_f32_e32 v1, v1
	s_waitcnt_depctr 0xfff
	v_mul_f32_e32 v1, 0x5f7ffffc, v1
	v_mul_f32_e32 v2, 0x2f800000, v1
	s_delay_alu instid0(VALU_DEP_1) | instskip(NEXT) | instid1(VALU_DEP_1)
	v_trunc_f32_e32 v2, v2
	v_fmac_f32_e32 v1, 0xcf800000, v2
	v_cvt_u32_f32_e32 v2, v2
	s_delay_alu instid0(VALU_DEP_2) | instskip(NEXT) | instid1(VALU_DEP_2)
	v_cvt_u32_f32_e32 v1, v1
	v_readfirstlane_b32 s11, v2
	s_delay_alu instid0(VALU_DEP_2) | instskip(NEXT) | instid1(VALU_DEP_2)
	v_readfirstlane_b32 s28, v1
	s_mul_i32 s35, s29, s11
	s_delay_alu instid0(VALU_DEP_1)
	s_mul_hi_u32 s37, s29, s28
	s_mul_i32 s36, s34, s28
	s_add_i32 s35, s37, s35
	s_mul_i32 s38, s29, s28
	s_add_i32 s35, s35, s36
	s_mul_hi_u32 s37, s28, s38
	s_mul_hi_u32 s39, s11, s38
	s_mul_i32 s36, s11, s38
	s_mul_hi_u32 s38, s28, s35
	s_mul_i32 s28, s28, s35
	s_mul_hi_u32 s40, s11, s35
	s_add_u32 s28, s37, s28
	s_addc_u32 s37, 0, s38
	s_add_u32 s28, s28, s36
	s_mul_i32 s35, s11, s35
	s_addc_u32 s28, s37, s39
	s_addc_u32 s36, s40, 0
	s_add_u32 s28, s28, s35
	s_addc_u32 s35, 0, s36
	v_add_co_u32 v1, s28, v1, s28
	s_delay_alu instid0(VALU_DEP_1) | instskip(SKIP_1) | instid1(VALU_DEP_1)
	s_cmp_lg_u32 s28, 0
	s_addc_u32 s11, s11, s35
	v_readfirstlane_b32 s28, v1
	s_mul_i32 s35, s29, s11
	s_delay_alu instid0(VALU_DEP_1)
	s_mul_hi_u32 s36, s29, s28
	s_mul_i32 s34, s34, s28
	s_add_i32 s35, s36, s35
	s_mul_i32 s29, s29, s28
	s_add_i32 s35, s35, s34
	s_mul_hi_u32 s36, s11, s29
	s_mul_i32 s37, s11, s29
	s_mul_hi_u32 s29, s28, s29
	s_mul_hi_u32 s38, s28, s35
	s_mul_i32 s28, s28, s35
	s_mul_hi_u32 s34, s11, s35
	s_add_u32 s28, s29, s28
	s_addc_u32 s29, 0, s38
	s_add_u32 s28, s28, s37
	s_mul_i32 s35, s11, s35
	s_addc_u32 s28, s29, s36
	s_addc_u32 s29, s34, 0
	s_add_u32 s28, s28, s35
	s_addc_u32 s29, 0, s29
	v_add_co_u32 v1, s28, v1, s28
	s_delay_alu instid0(VALU_DEP_1) | instskip(SKIP_1) | instid1(VALU_DEP_1)
	s_cmp_lg_u32 s28, 0
	s_addc_u32 s11, s11, s29
	v_readfirstlane_b32 s28, v1
	s_mul_i32 s34, s14, s11
	s_mul_hi_u32 s29, s14, s11
	s_mul_hi_u32 s35, s15, s11
	s_mul_i32 s11, s15, s11
	s_mul_hi_u32 s36, s14, s28
	s_mul_hi_u32 s37, s15, s28
	s_mul_i32 s28, s15, s28
	s_add_u32 s34, s36, s34
	s_addc_u32 s29, 0, s29
	s_add_u32 s28, s34, s28
	s_addc_u32 s28, s29, s37
	s_addc_u32 s29, s35, 0
	s_add_u32 s28, s28, s11
	s_addc_u32 s29, 0, s29
	s_mul_hi_u32 s11, s30, s28
	s_mul_i32 s35, s30, s29
	s_mul_i32 s36, s30, s28
	s_add_i32 s11, s11, s35
	v_sub_co_u32 v1, s35, s14, s36
	s_mul_i32 s34, s31, s28
	s_delay_alu instid0(SALU_CYCLE_1) | instskip(NEXT) | instid1(VALU_DEP_1)
	s_add_i32 s11, s11, s34
	v_sub_co_u32 v2, s36, v1, s30
	s_sub_i32 s34, s15, s11
	s_cmp_lg_u32 s35, 0
	s_subb_u32 s34, s34, s31
	s_cmp_lg_u32 s36, 0
	v_readfirstlane_b32 s36, v2
	s_subb_u32 s34, s34, 0
	s_delay_alu instid0(SALU_CYCLE_1) | instskip(SKIP_1) | instid1(VALU_DEP_1)
	s_cmp_ge_u32 s34, s31
	s_cselect_b32 s37, -1, 0
	s_cmp_ge_u32 s36, s30
	s_cselect_b32 s36, -1, 0
	s_cmp_eq_u32 s34, s31
	s_cselect_b32 s34, s36, s37
	s_add_u32 s36, s28, 1
	s_addc_u32 s37, s29, 0
	s_add_u32 s38, s28, 2
	s_addc_u32 s39, s29, 0
	s_cmp_lg_u32 s34, 0
	s_cselect_b32 s34, s38, s36
	s_cselect_b32 s36, s39, s37
	s_cmp_lg_u32 s35, 0
	v_readfirstlane_b32 s35, v1
	s_subb_u32 s11, s15, s11
	s_delay_alu instid0(SALU_CYCLE_1) | instskip(SKIP_1) | instid1(VALU_DEP_1)
	s_cmp_ge_u32 s11, s31
	s_cselect_b32 s37, -1, 0
	s_cmp_ge_u32 s35, s30
	s_cselect_b32 s35, -1, 0
	s_cmp_eq_u32 s11, s31
	s_cselect_b32 s11, s35, s37
	s_delay_alu instid0(SALU_CYCLE_1)
	s_cmp_lg_u32 s11, 0
	s_mov_b32 s11, 0
	s_cselect_b32 s29, s36, s29
	s_cselect_b32 s28, s34, s28
.LBB224_15:                             ;   in Loop: Header=BB224_13 Depth=1
	s_and_not1_b32 vcc_lo, exec_lo, s11
	s_cbranch_vccnz .LBB224_17
; %bb.16:                               ;   in Loop: Header=BB224_13 Depth=1
	v_cvt_f32_u32_e32 v1, s30
	s_sub_i32 s28, 0, s30
	s_waitcnt_depctr 0xfff
	v_rcp_iflag_f32_e32 v1, v1
	s_waitcnt_depctr 0xfff
	v_mul_f32_e32 v1, 0x4f7ffffe, v1
	s_delay_alu instid0(VALU_DEP_1) | instskip(NEXT) | instid1(VALU_DEP_1)
	v_cvt_u32_f32_e32 v1, v1
	v_readfirstlane_b32 s11, v1
	s_delay_alu instid0(VALU_DEP_1) | instskip(NEXT) | instid1(SALU_CYCLE_1)
	s_mul_i32 s28, s28, s11
	s_mul_hi_u32 s28, s11, s28
	s_delay_alu instid0(SALU_CYCLE_1) | instskip(NEXT) | instid1(SALU_CYCLE_1)
	s_add_i32 s11, s11, s28
	s_mul_hi_u32 s11, s14, s11
	s_delay_alu instid0(SALU_CYCLE_1) | instskip(SKIP_2) | instid1(SALU_CYCLE_1)
	s_mul_i32 s28, s11, s30
	s_add_i32 s29, s11, 1
	s_sub_i32 s28, s14, s28
	s_sub_i32 s34, s28, s30
	s_cmp_ge_u32 s28, s30
	s_cselect_b32 s11, s29, s11
	s_cselect_b32 s28, s34, s28
	s_add_i32 s29, s11, 1
	s_cmp_ge_u32 s28, s30
	s_cselect_b32 s28, s29, s11
	s_mov_b32 s29, s10
.LBB224_17:                             ;   in Loop: Header=BB224_13 Depth=1
	s_load_b64 s[34:35], s[12:13], 0xc8
	s_mul_i32 s11, s28, s31
	s_mul_hi_u32 s31, s28, s30
	s_mul_i32 s36, s29, s30
	s_add_i32 s11, s31, s11
	s_mul_i32 s30, s28, s30
	s_add_i32 s11, s11, s36
	s_sub_u32 s14, s14, s30
	s_subb_u32 s11, s15, s11
	s_waitcnt lgkmcnt(0)
	s_mul_i32 s11, s34, s11
	s_mul_hi_u32 s15, s34, s14
	s_mul_i32 s30, s35, s14
	s_add_i32 s11, s15, s11
	s_mul_i32 s14, s34, s14
	s_add_i32 s11, s11, s30
	s_add_u32 s26, s14, s26
	s_addc_u32 s27, s11, s27
	s_add_i32 s21, s21, -1
	s_add_u32 s12, s12, -8
	s_addc_u32 s13, s13, -1
	s_cmp_gt_u32 s21, 2
	s_cbranch_scc0 .LBB224_19
; %bb.18:                               ;   in Loop: Header=BB224_13 Depth=1
	s_mov_b64 s[14:15], s[28:29]
	s_branch .LBB224_13
.LBB224_19:
	s_clause 0x1
	s_load_b32 s11, s[0:1], 0x500
	s_load_b64 s[30:31], s[8:9], 0xd0
	s_add_u32 s9, s0, 0x368
	s_addc_u32 s10, s1, 0
	s_mov_b64 s[34:35], 0
	s_waitcnt lgkmcnt(0)
	s_cmp_lt_i32 s11, 2
	s_cbranch_scc1 .LBB224_27
; %bb.20:
	s_mov_b32 s8, 0
	s_add_i32 s12, s11, -1
	s_mov_b32 s13, s8
	s_add_i32 s21, s11, 1
	s_lshl_b64 s[12:13], s[12:13], 3
	s_delay_alu instid0(SALU_CYCLE_1)
	s_add_u32 s9, s12, s9
	s_addc_u32 s11, s13, s10
	s_add_u32 s10, s9, 8
	s_addc_u32 s11, s11, 0
	s_mov_b64 s[12:13], s[2:3]
.LBB224_21:                             ; =>This Inner Loop Header: Depth=1
	s_load_b64 s[14:15], s[10:11], 0x0
	s_waitcnt lgkmcnt(0)
	s_or_b64 s[36:37], s[12:13], s[14:15]
	s_delay_alu instid0(SALU_CYCLE_1) | instskip(NEXT) | instid1(SALU_CYCLE_1)
	s_mov_b32 s9, s37
                                        ; implicit-def: $sgpr36_sgpr37
	s_cmp_lg_u64 s[8:9], 0
	s_mov_b32 s9, -1
	s_cbranch_scc0 .LBB224_23
; %bb.22:                               ;   in Loop: Header=BB224_21 Depth=1
	v_cvt_f32_u32_e32 v1, s14
	v_cvt_f32_u32_e32 v2, s15
	s_sub_u32 s37, 0, s14
	s_subb_u32 s38, 0, s15
	s_waitcnt_depctr 0xfff
	v_fmac_f32_e32 v1, 0x4f800000, v2
	s_delay_alu instid0(VALU_DEP_1) | instskip(SKIP_2) | instid1(VALU_DEP_1)
	v_rcp_f32_e32 v1, v1
	s_waitcnt_depctr 0xfff
	v_mul_f32_e32 v1, 0x5f7ffffc, v1
	v_mul_f32_e32 v2, 0x2f800000, v1
	s_delay_alu instid0(VALU_DEP_1) | instskip(NEXT) | instid1(VALU_DEP_1)
	v_trunc_f32_e32 v2, v2
	v_fmac_f32_e32 v1, 0xcf800000, v2
	v_cvt_u32_f32_e32 v2, v2
	s_delay_alu instid0(VALU_DEP_2) | instskip(NEXT) | instid1(VALU_DEP_2)
	v_cvt_u32_f32_e32 v1, v1
	v_readfirstlane_b32 s9, v2
	s_delay_alu instid0(VALU_DEP_2) | instskip(NEXT) | instid1(VALU_DEP_2)
	v_readfirstlane_b32 s36, v1
	s_mul_i32 s39, s37, s9
	s_delay_alu instid0(VALU_DEP_1)
	s_mul_hi_u32 s41, s37, s36
	s_mul_i32 s40, s38, s36
	s_add_i32 s39, s41, s39
	s_mul_i32 s42, s37, s36
	s_add_i32 s39, s39, s40
	s_mul_hi_u32 s41, s36, s42
	s_mul_hi_u32 s43, s9, s42
	s_mul_i32 s40, s9, s42
	s_mul_hi_u32 s42, s36, s39
	s_mul_i32 s36, s36, s39
	s_mul_hi_u32 s44, s9, s39
	s_add_u32 s36, s41, s36
	s_addc_u32 s41, 0, s42
	s_add_u32 s36, s36, s40
	s_mul_i32 s39, s9, s39
	s_addc_u32 s36, s41, s43
	s_addc_u32 s40, s44, 0
	s_add_u32 s36, s36, s39
	s_addc_u32 s39, 0, s40
	v_add_co_u32 v1, s36, v1, s36
	s_delay_alu instid0(VALU_DEP_1) | instskip(SKIP_1) | instid1(VALU_DEP_1)
	s_cmp_lg_u32 s36, 0
	s_addc_u32 s9, s9, s39
	v_readfirstlane_b32 s36, v1
	s_mul_i32 s39, s37, s9
	s_delay_alu instid0(VALU_DEP_1)
	s_mul_hi_u32 s40, s37, s36
	s_mul_i32 s38, s38, s36
	s_add_i32 s39, s40, s39
	s_mul_i32 s37, s37, s36
	s_add_i32 s39, s39, s38
	s_mul_hi_u32 s40, s9, s37
	s_mul_i32 s41, s9, s37
	s_mul_hi_u32 s37, s36, s37
	s_mul_hi_u32 s42, s36, s39
	s_mul_i32 s36, s36, s39
	s_mul_hi_u32 s38, s9, s39
	s_add_u32 s36, s37, s36
	s_addc_u32 s37, 0, s42
	s_add_u32 s36, s36, s41
	s_mul_i32 s39, s9, s39
	s_addc_u32 s36, s37, s40
	s_addc_u32 s37, s38, 0
	s_add_u32 s36, s36, s39
	s_addc_u32 s37, 0, s37
	v_add_co_u32 v1, s36, v1, s36
	s_delay_alu instid0(VALU_DEP_1) | instskip(SKIP_1) | instid1(VALU_DEP_1)
	s_cmp_lg_u32 s36, 0
	s_addc_u32 s9, s9, s37
	v_readfirstlane_b32 s36, v1
	s_mul_i32 s38, s12, s9
	s_mul_hi_u32 s37, s12, s9
	s_mul_hi_u32 s39, s13, s9
	s_mul_i32 s9, s13, s9
	s_mul_hi_u32 s40, s12, s36
	s_mul_hi_u32 s41, s13, s36
	s_mul_i32 s36, s13, s36
	s_add_u32 s38, s40, s38
	s_addc_u32 s37, 0, s37
	s_add_u32 s36, s38, s36
	s_addc_u32 s36, s37, s41
	s_addc_u32 s37, s39, 0
	s_add_u32 s36, s36, s9
	s_addc_u32 s37, 0, s37
	s_mul_hi_u32 s9, s14, s36
	s_mul_i32 s39, s14, s37
	s_mul_i32 s40, s14, s36
	s_add_i32 s9, s9, s39
	v_sub_co_u32 v1, s39, s12, s40
	s_mul_i32 s38, s15, s36
	s_delay_alu instid0(SALU_CYCLE_1) | instskip(NEXT) | instid1(VALU_DEP_1)
	s_add_i32 s9, s9, s38
	v_sub_co_u32 v2, s40, v1, s14
	s_sub_i32 s38, s13, s9
	s_cmp_lg_u32 s39, 0
	s_subb_u32 s38, s38, s15
	s_cmp_lg_u32 s40, 0
	v_readfirstlane_b32 s40, v2
	s_subb_u32 s38, s38, 0
	s_delay_alu instid0(SALU_CYCLE_1) | instskip(SKIP_1) | instid1(VALU_DEP_1)
	s_cmp_ge_u32 s38, s15
	s_cselect_b32 s41, -1, 0
	s_cmp_ge_u32 s40, s14
	s_cselect_b32 s40, -1, 0
	s_cmp_eq_u32 s38, s15
	s_cselect_b32 s38, s40, s41
	s_add_u32 s40, s36, 1
	s_addc_u32 s41, s37, 0
	s_add_u32 s42, s36, 2
	s_addc_u32 s43, s37, 0
	s_cmp_lg_u32 s38, 0
	s_cselect_b32 s38, s42, s40
	s_cselect_b32 s40, s43, s41
	s_cmp_lg_u32 s39, 0
	v_readfirstlane_b32 s39, v1
	s_subb_u32 s9, s13, s9
	s_delay_alu instid0(SALU_CYCLE_1) | instskip(SKIP_1) | instid1(VALU_DEP_1)
	s_cmp_ge_u32 s9, s15
	s_cselect_b32 s41, -1, 0
	s_cmp_ge_u32 s39, s14
	s_cselect_b32 s39, -1, 0
	s_cmp_eq_u32 s9, s15
	s_cselect_b32 s9, s39, s41
	s_delay_alu instid0(SALU_CYCLE_1)
	s_cmp_lg_u32 s9, 0
	s_mov_b32 s9, 0
	s_cselect_b32 s37, s40, s37
	s_cselect_b32 s36, s38, s36
.LBB224_23:                             ;   in Loop: Header=BB224_21 Depth=1
	s_and_not1_b32 vcc_lo, exec_lo, s9
	s_cbranch_vccnz .LBB224_25
; %bb.24:                               ;   in Loop: Header=BB224_21 Depth=1
	v_cvt_f32_u32_e32 v1, s14
	s_sub_i32 s36, 0, s14
	s_waitcnt_depctr 0xfff
	v_rcp_iflag_f32_e32 v1, v1
	s_waitcnt_depctr 0xfff
	v_mul_f32_e32 v1, 0x4f7ffffe, v1
	s_delay_alu instid0(VALU_DEP_1) | instskip(NEXT) | instid1(VALU_DEP_1)
	v_cvt_u32_f32_e32 v1, v1
	v_readfirstlane_b32 s9, v1
	s_delay_alu instid0(VALU_DEP_1) | instskip(NEXT) | instid1(SALU_CYCLE_1)
	s_mul_i32 s36, s36, s9
	s_mul_hi_u32 s36, s9, s36
	s_delay_alu instid0(SALU_CYCLE_1) | instskip(NEXT) | instid1(SALU_CYCLE_1)
	s_add_i32 s9, s9, s36
	s_mul_hi_u32 s9, s12, s9
	s_delay_alu instid0(SALU_CYCLE_1) | instskip(SKIP_2) | instid1(SALU_CYCLE_1)
	s_mul_i32 s36, s9, s14
	s_add_i32 s37, s9, 1
	s_sub_i32 s36, s12, s36
	s_sub_i32 s38, s36, s14
	s_cmp_ge_u32 s36, s14
	s_cselect_b32 s9, s37, s9
	s_cselect_b32 s36, s38, s36
	s_add_i32 s37, s9, 1
	s_cmp_ge_u32 s36, s14
	s_cselect_b32 s36, s37, s9
	s_mov_b32 s37, s8
.LBB224_25:                             ;   in Loop: Header=BB224_21 Depth=1
	s_load_b64 s[38:39], s[10:11], 0xc8
	s_mul_i32 s9, s36, s15
	s_mul_hi_u32 s15, s36, s14
	s_mul_i32 s40, s37, s14
	s_add_i32 s9, s15, s9
	s_mul_i32 s14, s36, s14
	s_add_i32 s9, s9, s40
	s_sub_u32 s12, s12, s14
	s_subb_u32 s9, s13, s9
	s_waitcnt lgkmcnt(0)
	s_mul_i32 s9, s38, s9
	s_mul_hi_u32 s13, s38, s12
	s_mul_i32 s14, s39, s12
	s_add_i32 s9, s13, s9
	s_mul_i32 s12, s38, s12
	s_add_i32 s9, s9, s14
	s_add_u32 s34, s12, s34
	s_addc_u32 s35, s9, s35
	s_add_i32 s21, s21, -1
	s_add_u32 s10, s10, -8
	s_addc_u32 s11, s11, -1
	s_cmp_gt_u32 s21, 2
	s_cbranch_scc0 .LBB224_28
; %bb.26:                               ;   in Loop: Header=BB224_21 Depth=1
	s_mov_b64 s[12:13], s[36:37]
	s_branch .LBB224_21
.LBB224_27:
	s_mov_b64 s[36:37], s[2:3]
.LBB224_28:
	s_load_b128 s[8:11], s[0:1], 0x518
	s_lshl_b64 s[2:3], s[2:3], 1
	v_mov_b32_e32 v1, 0
	s_mov_b32 s21, 0
	s_waitcnt lgkmcnt(0)
	s_add_u32 s2, s8, s2
	s_addc_u32 s3, s9, s3
	global_load_u16 v1, v1, s[2:3]
	s_clause 0x3
	s_load_b64 s[42:43], s[0:1], 0x0
	s_load_b64 s[40:41], s[0:1], 0x1c0
	;; [unrolled: 1-line block ×4, first 2 shown]
	v_cmp_ne_u32_e64 s2, 0, v0
	v_cmp_eq_u32_e64 s3, 0, v0
	s_waitcnt vmcnt(0)
	v_readfirstlane_b32 s51, v1
	s_delay_alu instid0(VALU_DEP_2)
	s_and_saveexec_b32 s52, s3
	s_cbranch_execz .LBB224_44
; %bb.29:
	s_load_b64 s[44:45], s[0:1], 0x528
	s_lshl_b64 s[46:47], s[20:21], 2
	s_mov_b32 s20, 0
	s_add_u32 s12, s10, s46
	s_addc_u32 s13, s11, s47
	s_mov_b32 s53, 0
	s_waitcnt lgkmcnt(0)
	s_add_u32 s14, s44, s46
	s_addc_u32 s15, s45, s47
	s_cmp_lt_u32 s17, 4
	s_cbranch_scc1 .LBB224_41
; %bb.30:
	s_mov_b32 s54, 0
.LBB224_31:                             ; =>This Inner Loop Header: Depth=1
	s_add_u32 s12, s10, s46
	s_addc_u32 s13, s11, s47
	s_add_u32 s48, s44, s46
	s_load_b128 s[12:15], s[12:13], 0x0
	s_addc_u32 s49, s45, s47
	s_cmp_ge_u32 s54, s50
	s_cbranch_scc0 .LBB224_38
; %bb.32:                               ;   in Loop: Header=BB224_31 Depth=1
	s_add_i32 s55, s54, 1
	s_delay_alu instid0(SALU_CYCLE_1)
	s_cmp_ge_u32 s55, s50
	s_cbranch_scc0 .LBB224_39
.LBB224_33:                             ;   in Loop: Header=BB224_31 Depth=1
	s_add_i32 s55, s55, 1
	s_delay_alu instid0(SALU_CYCLE_1)
	s_cmp_ge_u32 s55, s50
	s_cbranch_scc0 .LBB224_40
.LBB224_34:                             ;   in Loop: Header=BB224_31 Depth=1
	s_add_i32 s55, s55, 1
	s_delay_alu instid0(SALU_CYCLE_1)
	s_cmp_ge_u32 s55, s50
	s_cbranch_scc1 .LBB224_36
.LBB224_35:                             ;   in Loop: Header=BB224_31 Depth=1
	s_load_b32 s48, s[48:49], 0xc
	s_waitcnt lgkmcnt(0)
	s_add_i32 s21, s21, s15
	s_add_i32 s20, s48, s20
.LBB224_36:                             ;   in Loop: Header=BB224_31 Depth=1
	s_waitcnt lgkmcnt(0)
	s_add_i32 s12, s12, s53
	s_delay_alu instid0(SALU_CYCLE_1) | instskip(NEXT) | instid1(SALU_CYCLE_1)
	s_add_i32 s12, s12, s13
	s_add_i32 s12, s12, s14
	s_delay_alu instid0(SALU_CYCLE_1)
	s_add_i32 s53, s12, s15
	s_add_u32 s10, s10, 16
	s_addc_u32 s11, s11, 0
	s_add_u32 s44, s44, 16
	s_addc_u32 s45, s45, 0
	s_add_i32 s49, s55, 4
	s_add_u32 s14, s44, s46
	s_addc_u32 s15, s45, s47
	s_add_u32 s12, s10, s46
	s_addc_u32 s13, s11, s47
	s_add_i32 s48, s55, 1
	s_cmp_ge_u32 s49, s17
	s_cbranch_scc1 .LBB224_42
; %bb.37:                               ;   in Loop: Header=BB224_31 Depth=1
	s_mov_b32 s54, s48
	s_branch .LBB224_31
.LBB224_38:                             ;   in Loop: Header=BB224_31 Depth=1
	s_load_b32 s55, s[48:49], 0x0
	s_waitcnt lgkmcnt(0)
	s_add_i32 s21, s12, s21
	s_add_i32 s20, s55, s20
	;; [unrolled: 1-line block ×3, first 2 shown]
	s_delay_alu instid0(SALU_CYCLE_1)
	s_cmp_ge_u32 s55, s50
	s_cbranch_scc1 .LBB224_33
.LBB224_39:                             ;   in Loop: Header=BB224_31 Depth=1
	s_load_b32 s56, s[48:49], 0x4
	s_waitcnt lgkmcnt(0)
	s_add_i32 s21, s21, s13
	s_add_i32 s20, s56, s20
	;; [unrolled: 1-line block ×3, first 2 shown]
	s_delay_alu instid0(SALU_CYCLE_1)
	s_cmp_ge_u32 s55, s50
	s_cbranch_scc1 .LBB224_34
.LBB224_40:                             ;   in Loop: Header=BB224_31 Depth=1
	s_load_b32 s56, s[48:49], 0x8
	s_waitcnt lgkmcnt(0)
	s_add_i32 s21, s21, s14
	s_add_i32 s20, s56, s20
	;; [unrolled: 1-line block ×3, first 2 shown]
	s_delay_alu instid0(SALU_CYCLE_1)
	s_cmp_ge_u32 s55, s50
	s_cbranch_scc0 .LBB224_35
	s_branch .LBB224_36
.LBB224_41:
	s_mov_b32 s10, 0
	s_delay_alu instid0(SALU_CYCLE_1)
	s_cmp_ge_u32 s10, s17
	s_cbranch_scc0 .LBB224_65
	s_branch .LBB224_43
.LBB224_42:
	s_add_i32 s10, s54, 4
	s_delay_alu instid0(SALU_CYCLE_1)
	s_cmp_ge_u32 s10, s17
	s_cbranch_scc0 .LBB224_65
.LBB224_43:
	v_dual_mov_b32 v1, s20 :: v_dual_mov_b32 v2, s53
	v_dual_mov_b32 v3, s21 :: v_dual_mov_b32 v4, 0
	ds_store_b96 v4, v[1:3] offset:1056
.LBB224_44:
	s_or_b32 exec_lo, exec_lo, s52
	s_cmp_eq_u32 s16, 0
	s_waitcnt lgkmcnt(0)
	s_barrier
	buffer_gl0_inv
	s_cbranch_scc1 .LBB224_67
; %bb.45:
	s_mul_i32 s10, s30, s29
	s_mul_hi_u32 s11, s30, s28
	s_mul_hi_u32 s12, s24, s22
	s_add_i32 s10, s11, s10
	s_mul_i32 s11, s24, s23
	s_mul_i32 s13, s31, s28
	s_add_i32 s12, s12, s11
	s_mul_i32 s14, s25, s22
	s_add_i32 s11, s10, s13
	s_add_i32 s13, s12, s14
	s_mul_i32 s10, s38, s37
	s_mul_hi_u32 s14, s38, s36
	s_mul_i32 s12, s24, s22
	s_add_i32 s10, s14, s10
	s_mul_i32 s14, s39, s36
	s_lshl_b64 s[12:13], s[12:13], 1
	s_add_i32 s21, s10, s14
	s_add_u32 s14, s42, s12
	s_addc_u32 s15, s43, s13
	s_lshl_b64 s[12:13], s[18:19], 1
	s_mul_i32 s10, s30, s28
	s_add_u32 s14, s14, s12
	s_addc_u32 s15, s15, s13
	s_lshl_b64 s[10:11], s[10:11], 1
	v_dual_mov_b32 v5, 0 :: v_dual_add_nc_u32 v10, -1, v0
	s_add_u32 s12, s40, s10
	s_addc_u32 s13, s41, s11
	s_lshl_b64 s[10:11], s[26:27], 1
	s_mul_i32 s20, s38, s36
	s_add_u32 s17, s12, s10
	s_addc_u32 s18, s13, s11
	s_lshl_b64 s[10:11], s[20:21], 3
	ds_load_b96 v[1:3], v5 offset:1056
	s_add_u32 s10, s8, s10
	s_addc_u32 s11, s9, s11
	s_lshl_b64 s[8:9], s[34:35], 3
	v_lshrrev_b32_e32 v4, 5, v0
	s_add_u32 s19, s10, s8
	s_addc_u32 s20, s11, s9
	s_sext_i32_i16 s9, s51
	s_and_b32 s8, 0xffff, s51
	s_cmp_gt_i32 s9, -1
	s_mov_b32 s9, 0x8000
	v_mov_b32_e32 v14, 0x8000
	s_cselect_b32 s9, s9, 0xffff
	s_lshl_b32 s10, s51, 16
	s_xor_b32 s8, s9, s8
	v_cmp_o_f32_e64 s10, s10, s10
	v_add_lshl_u32 v8, v4, v0, 2
	v_lshrrev_b32_e32 v4, 2, v0
	v_lshrrev_b32_e32 v11, 5, v10
	v_mbcnt_lo_u32_b32 v9, -1, 0
	s_and_b32 s9, s10, exec_lo
	s_cselect_b32 s21, s8, 0xffff
	s_clause 0x3
	s_load_b32 s22, s[0:1], 0x1b0
	s_load_b64 s[8:9], s[0:1], 0x1b8
	s_load_b64 s[10:11], s[0:1], 0x360
	;; [unrolled: 1-line block ×3, first 2 shown]
	s_waitcnt lgkmcnt(0)
	v_add_nc_u32_e32 v1, v1, v2
	v_lshlrev_b32_e32 v2, 3, v0
	v_cmp_gt_u32_e64 s0, 32, v0
	v_add_lshl_u32 v10, v11, v10, 2
	v_bfe_i32 v12, v9, 4, 1
	v_mad_u64_u32 v[6:7], null, s50, s33, v[0:1]
	v_add_lshl_u32 v0, v4, v2, 2
	v_and_b32_e32 v11, 15, v9
	v_add_nc_u32_e32 v13, -1, v9
                                        ; implicit-def: $vgpr15
	s_delay_alu instid0(VALU_DEP_4)
	v_mov_b32_e32 v4, v6
	s_bitcmp1_b32 s22, 0
	s_cselect_b32 s1, -1, 0
	s_branch .LBB224_48
.LBB224_46:                             ;   in Loop: Header=BB224_48 Depth=1
	s_or_b32 exec_lo, exec_lo, s22
	v_add_nc_u32_e32 v1, v2, v1
.LBB224_47:                             ;   in Loop: Header=BB224_48 Depth=1
	v_add_nc_u32_e32 v3, v16, v3
	v_add_nc_u32_e32 v4, 0x100, v4
	s_add_i32 s16, s16, -1
	s_delay_alu instid0(SALU_CYCLE_1)
	s_cmp_lg_u32 s16, 0
	s_cbranch_scc0 .LBB224_67
.LBB224_48:                             ; =>This Inner Loop Header: Depth=1
	v_mov_b32_e32 v2, v5
	v_mov_b32_e32 v6, v5
	s_mov_b32 s22, exec_lo
	v_cmpx_gt_u64_e64 s[4:5], v[4:5]
	s_cbranch_execz .LBB224_50
; %bb.49:                               ;   in Loop: Header=BB224_48 Depth=1
	v_mad_u64_u32 v[6:7], null, v4, s8, 0
	s_delay_alu instid0(VALU_DEP_1) | instskip(NEXT) | instid1(VALU_DEP_1)
	v_mov_b32_e32 v2, v7
	v_mad_u64_u32 v[15:16], null, v4, s9, v[2:3]
	s_delay_alu instid0(VALU_DEP_1) | instskip(NEXT) | instid1(VALU_DEP_1)
	v_mov_b32_e32 v7, v15
	v_lshlrev_b64 v[6:7], 1, v[6:7]
	s_delay_alu instid0(VALU_DEP_1) | instskip(NEXT) | instid1(VALU_DEP_2)
	v_add_co_u32 v6, vcc_lo, s14, v6
	v_add_co_ci_u32_e32 v7, vcc_lo, s15, v7, vcc_lo
	global_load_u16 v15, v[6:7], off
	s_waitcnt vmcnt(0)
	v_and_b32_e32 v2, 0xffff, v15
	v_cmp_lt_i16_e32 vcc_lo, -1, v15
	v_dual_cndmask_b32 v6, 0xffff, v14 :: v_dual_lshlrev_b32 v7, 16, v15
	s_delay_alu instid0(VALU_DEP_1) | instskip(NEXT) | instid1(VALU_DEP_2)
	v_cmp_o_f32_e32 vcc_lo, v7, v7
	v_xor_b32_e32 v2, v6, v2
	s_delay_alu instid0(VALU_DEP_1) | instskip(NEXT) | instid1(VALU_DEP_1)
	v_cndmask_b32_e32 v6, 0xffff, v2, vcc_lo
	v_cmp_lt_u32_e32 vcc_lo, s21, v6
	v_cndmask_b32_e64 v2, 0, 1, vcc_lo
	v_cmp_gt_u32_e32 vcc_lo, s21, v6
	v_cndmask_b32_e64 v7, 0, 1, vcc_lo
	v_cmp_eq_u32_e32 vcc_lo, s21, v6
	s_delay_alu instid0(VALU_DEP_2) | instskip(SKIP_1) | instid1(VALU_DEP_2)
	v_cndmask_b32_e64 v2, v7, v2, s1
	v_cndmask_b32_e64 v6, 0, 1, vcc_lo
	v_and_b32_e32 v2, 1, v2
.LBB224_50:                             ;   in Loop: Header=BB224_48 Depth=1
	s_or_b32 exec_lo, exec_lo, s22
	ds_store_b32 v8, v2
	s_waitcnt lgkmcnt(0)
	s_waitcnt_vscnt null, 0x0
	s_barrier
	buffer_gl0_inv
	s_and_saveexec_b32 s22, s0
	s_cbranch_execz .LBB224_52
; %bb.51:                               ;   in Loop: Header=BB224_48 Depth=1
	ds_load_2addr_b32 v[16:17], v0 offset1:1
	ds_load_2addr_b32 v[18:19], v0 offset0:2 offset1:3
	ds_load_2addr_b32 v[20:21], v0 offset0:4 offset1:5
	;; [unrolled: 1-line block ×3, first 2 shown]
	v_cmp_ne_u32_e32 vcc_lo, 0, v11
	; wave barrier
	s_waitcnt lgkmcnt(3)
	v_add_nc_u32_e32 v7, v17, v16
	s_waitcnt lgkmcnt(2)
	s_delay_alu instid0(VALU_DEP_1) | instskip(SKIP_1) | instid1(VALU_DEP_1)
	v_add3_u32 v7, v7, v18, v19
	s_waitcnt lgkmcnt(1)
	v_add3_u32 v7, v7, v20, v21
	s_waitcnt lgkmcnt(0)
	s_delay_alu instid0(VALU_DEP_1) | instskip(NEXT) | instid1(VALU_DEP_1)
	v_add3_u32 v7, v7, v22, v23
	v_mov_b32_dpp v17, v7 row_shr:1 row_mask:0xf bank_mask:0xf
	s_delay_alu instid0(VALU_DEP_1) | instskip(SKIP_1) | instid1(VALU_DEP_2)
	v_cndmask_b32_e32 v17, 0, v17, vcc_lo
	v_cmp_lt_u32_e32 vcc_lo, 1, v11
	v_add_nc_u32_e32 v7, v17, v7
	s_delay_alu instid0(VALU_DEP_1) | instskip(NEXT) | instid1(VALU_DEP_1)
	v_mov_b32_dpp v17, v7 row_shr:2 row_mask:0xf bank_mask:0xf
	v_cndmask_b32_e32 v17, 0, v17, vcc_lo
	v_cmp_lt_u32_e32 vcc_lo, 3, v11
	s_delay_alu instid0(VALU_DEP_2) | instskip(NEXT) | instid1(VALU_DEP_1)
	v_add_nc_u32_e32 v7, v7, v17
	v_mov_b32_dpp v17, v7 row_shr:4 row_mask:0xf bank_mask:0xf
	s_delay_alu instid0(VALU_DEP_1) | instskip(SKIP_1) | instid1(VALU_DEP_2)
	v_cndmask_b32_e32 v17, 0, v17, vcc_lo
	v_cmp_lt_u32_e32 vcc_lo, 7, v11
	v_add_nc_u32_e32 v7, v7, v17
	s_delay_alu instid0(VALU_DEP_1) | instskip(NEXT) | instid1(VALU_DEP_1)
	v_mov_b32_dpp v17, v7 row_shr:8 row_mask:0xf bank_mask:0xf
	v_cndmask_b32_e32 v17, 0, v17, vcc_lo
	v_cmp_gt_i32_e32 vcc_lo, 0, v13
	s_delay_alu instid0(VALU_DEP_2)
	v_add_nc_u32_e32 v7, v7, v17
	v_cndmask_b32_e32 v18, v13, v9, vcc_lo
	ds_swizzle_b32 v17, v7 offset:swizzle(BROADCAST,32,15)
	v_lshlrev_b32_e32 v18, 2, v18
	s_waitcnt lgkmcnt(0)
	v_and_b32_e32 v17, v12, v17
	s_delay_alu instid0(VALU_DEP_1) | instskip(SKIP_3) | instid1(VALU_DEP_1)
	v_add_nc_u32_e32 v7, v7, v17
	ds_bpermute_b32 v7, v18, v7
	s_waitcnt lgkmcnt(0)
	v_add_nc_u32_e32 v7, v7, v16
	v_cndmask_b32_e64 v7, v7, v2, s3
	ds_store_b32 v0, v7
	; wave barrier
	ds_load_2addr_b32 v[16:17], v0 offset0:1 offset1:2
	ds_load_2addr_b32 v[18:19], v0 offset0:3 offset1:4
	;; [unrolled: 1-line block ×3, first 2 shown]
	ds_load_b32 v22, v0 offset:28
	s_waitcnt lgkmcnt(3)
	v_add_nc_u32_e32 v7, v16, v7
	s_delay_alu instid0(VALU_DEP_1) | instskip(SKIP_1) | instid1(VALU_DEP_1)
	v_add_nc_u32_e32 v16, v17, v7
	s_waitcnt lgkmcnt(2)
	v_add_nc_u32_e32 v17, v18, v16
	s_delay_alu instid0(VALU_DEP_1) | instskip(SKIP_1) | instid1(VALU_DEP_1)
	v_add_nc_u32_e32 v18, v19, v17
	;; [unrolled: 4-line block ×3, first 2 shown]
	s_waitcnt lgkmcnt(0)
	v_add_nc_u32_e32 v21, v22, v20
	ds_store_2addr_b32 v0, v7, v16 offset0:1 offset1:2
	ds_store_2addr_b32 v0, v17, v18 offset0:3 offset1:4
	;; [unrolled: 1-line block ×3, first 2 shown]
	ds_store_b32 v0, v21 offset:28
.LBB224_52:                             ;   in Loop: Header=BB224_48 Depth=1
	s_or_b32 exec_lo, exec_lo, s22
	v_mov_b32_e32 v7, 0
	s_waitcnt lgkmcnt(0)
	s_barrier
	buffer_gl0_inv
	s_and_saveexec_b32 s22, s2
	s_cbranch_execz .LBB224_54
; %bb.53:                               ;   in Loop: Header=BB224_48 Depth=1
	ds_load_b32 v7, v10
.LBB224_54:                             ;   in Loop: Header=BB224_48 Depth=1
	s_or_b32 exec_lo, exec_lo, s22
	ds_load_b32 v16, v5 offset:1048
	s_mov_b32 s22, exec_lo
	s_waitcnt lgkmcnt(0)
	s_barrier
	buffer_gl0_inv
	v_cmpx_ne_u32_e32 0, v2
	s_cbranch_execz .LBB224_56
; %bb.55:                               ;   in Loop: Header=BB224_48 Depth=1
	v_add_nc_u32_e32 v23, v7, v3
	s_delay_alu instid0(VALU_DEP_1) | instskip(NEXT) | instid1(VALU_DEP_1)
	v_mad_u64_u32 v[17:18], null, v23, s10, 0
	v_mov_b32_e32 v2, v18
	v_mad_u64_u32 v[19:20], null, v23, s12, 0
	s_delay_alu instid0(VALU_DEP_1) | instskip(NEXT) | instid1(VALU_DEP_3)
	v_mov_b32_e32 v7, v20
	v_mad_u64_u32 v[20:21], null, v23, s11, v[2:3]
	s_delay_alu instid0(VALU_DEP_2) | instskip(NEXT) | instid1(VALU_DEP_2)
	v_mad_u64_u32 v[21:22], null, v23, s13, v[7:8]
	v_mov_b32_e32 v18, v20
	s_delay_alu instid0(VALU_DEP_2) | instskip(NEXT) | instid1(VALU_DEP_2)
	v_mov_b32_e32 v20, v21
	v_lshlrev_b64 v[17:18], 1, v[17:18]
	s_delay_alu instid0(VALU_DEP_2) | instskip(NEXT) | instid1(VALU_DEP_2)
	v_lshlrev_b64 v[19:20], 3, v[19:20]
	v_add_co_u32 v17, vcc_lo, s17, v17
	s_delay_alu instid0(VALU_DEP_3) | instskip(NEXT) | instid1(VALU_DEP_3)
	v_add_co_ci_u32_e32 v18, vcc_lo, s18, v18, vcc_lo
	v_add_co_u32 v19, vcc_lo, s19, v19
	s_delay_alu instid0(VALU_DEP_4)
	v_add_co_ci_u32_e32 v20, vcc_lo, s20, v20, vcc_lo
	global_store_b16 v[17:18], v15, off
	global_store_b64 v[19:20], v[4:5], off
.LBB224_56:                             ;   in Loop: Header=BB224_48 Depth=1
	s_or_b32 exec_lo, exec_lo, s22
	v_mov_b32_e32 v2, v5
	s_delay_alu instid0(VALU_DEP_1)
	v_cmp_le_u64_e32 vcc_lo, s[6:7], v[1:2]
	s_cbranch_vccnz .LBB224_47
; %bb.57:                               ;   in Loop: Header=BB224_48 Depth=1
	ds_store_b32 v8, v6
	s_waitcnt lgkmcnt(0)
	s_waitcnt_vscnt null, 0x0
	s_barrier
	buffer_gl0_inv
	s_and_saveexec_b32 s22, s0
	s_cbranch_execz .LBB224_59
; %bb.58:                               ;   in Loop: Header=BB224_48 Depth=1
	ds_load_2addr_b32 v[17:18], v0 offset1:1
	ds_load_2addr_b32 v[19:20], v0 offset0:2 offset1:3
	ds_load_2addr_b32 v[21:22], v0 offset0:4 offset1:5
	ds_load_2addr_b32 v[23:24], v0 offset0:6 offset1:7
	v_cmp_ne_u32_e32 vcc_lo, 0, v11
	; wave barrier
	s_waitcnt lgkmcnt(3)
	v_add_nc_u32_e32 v2, v18, v17
	s_waitcnt lgkmcnt(2)
	s_delay_alu instid0(VALU_DEP_1) | instskip(SKIP_1) | instid1(VALU_DEP_1)
	v_add3_u32 v2, v2, v19, v20
	s_waitcnt lgkmcnt(1)
	v_add3_u32 v2, v2, v21, v22
	s_waitcnt lgkmcnt(0)
	s_delay_alu instid0(VALU_DEP_1) | instskip(NEXT) | instid1(VALU_DEP_1)
	v_add3_u32 v2, v2, v23, v24
	v_mov_b32_dpp v7, v2 row_shr:1 row_mask:0xf bank_mask:0xf
	s_delay_alu instid0(VALU_DEP_1) | instskip(SKIP_1) | instid1(VALU_DEP_2)
	v_cndmask_b32_e32 v7, 0, v7, vcc_lo
	v_cmp_lt_u32_e32 vcc_lo, 1, v11
	v_add_nc_u32_e32 v2, v7, v2
	s_delay_alu instid0(VALU_DEP_1) | instskip(NEXT) | instid1(VALU_DEP_1)
	v_mov_b32_dpp v7, v2 row_shr:2 row_mask:0xf bank_mask:0xf
	v_cndmask_b32_e32 v7, 0, v7, vcc_lo
	v_cmp_lt_u32_e32 vcc_lo, 3, v11
	s_delay_alu instid0(VALU_DEP_2) | instskip(NEXT) | instid1(VALU_DEP_1)
	v_add_nc_u32_e32 v2, v2, v7
	v_mov_b32_dpp v7, v2 row_shr:4 row_mask:0xf bank_mask:0xf
	s_delay_alu instid0(VALU_DEP_1) | instskip(SKIP_1) | instid1(VALU_DEP_2)
	v_cndmask_b32_e32 v7, 0, v7, vcc_lo
	v_cmp_lt_u32_e32 vcc_lo, 7, v11
	v_add_nc_u32_e32 v2, v2, v7
	s_delay_alu instid0(VALU_DEP_1) | instskip(NEXT) | instid1(VALU_DEP_1)
	v_mov_b32_dpp v7, v2 row_shr:8 row_mask:0xf bank_mask:0xf
	v_cndmask_b32_e32 v7, 0, v7, vcc_lo
	v_cmp_gt_i32_e32 vcc_lo, 0, v13
	v_cndmask_b32_e32 v18, v13, v9, vcc_lo
	s_delay_alu instid0(VALU_DEP_1) | instskip(NEXT) | instid1(VALU_DEP_4)
	v_lshlrev_b32_e32 v18, 2, v18
	v_add_nc_u32_e32 v2, v2, v7
	ds_swizzle_b32 v7, v2 offset:swizzle(BROADCAST,32,15)
	s_waitcnt lgkmcnt(0)
	v_and_b32_e32 v7, v12, v7
	s_delay_alu instid0(VALU_DEP_1) | instskip(SKIP_3) | instid1(VALU_DEP_1)
	v_add_nc_u32_e32 v2, v2, v7
	ds_bpermute_b32 v2, v18, v2
	s_waitcnt lgkmcnt(0)
	v_add_nc_u32_e32 v2, v2, v17
	v_cndmask_b32_e64 v2, v2, v6, s3
	ds_store_b32 v0, v2
	; wave barrier
	ds_load_2addr_b32 v[17:18], v0 offset0:1 offset1:2
	ds_load_2addr_b32 v[19:20], v0 offset0:3 offset1:4
	;; [unrolled: 1-line block ×3, first 2 shown]
	ds_load_b32 v7, v0 offset:28
	s_waitcnt lgkmcnt(3)
	v_add_nc_u32_e32 v2, v17, v2
	s_delay_alu instid0(VALU_DEP_1) | instskip(SKIP_1) | instid1(VALU_DEP_1)
	v_add_nc_u32_e32 v17, v18, v2
	s_waitcnt lgkmcnt(2)
	v_add_nc_u32_e32 v18, v19, v17
	s_delay_alu instid0(VALU_DEP_1) | instskip(SKIP_1) | instid1(VALU_DEP_1)
	v_add_nc_u32_e32 v19, v20, v18
	;; [unrolled: 4-line block ×3, first 2 shown]
	s_waitcnt lgkmcnt(0)
	v_add_nc_u32_e32 v7, v7, v21
	ds_store_2addr_b32 v0, v2, v17 offset0:1 offset1:2
	ds_store_2addr_b32 v0, v18, v19 offset0:3 offset1:4
	ds_store_2addr_b32 v0, v20, v21 offset0:5 offset1:6
	ds_store_b32 v0, v7 offset:28
.LBB224_59:                             ;   in Loop: Header=BB224_48 Depth=1
	s_or_b32 exec_lo, exec_lo, s22
	v_mov_b32_e32 v7, 0
	s_waitcnt lgkmcnt(0)
	s_barrier
	buffer_gl0_inv
	s_and_saveexec_b32 s22, s2
	s_cbranch_execz .LBB224_61
; %bb.60:                               ;   in Loop: Header=BB224_48 Depth=1
	ds_load_b32 v7, v10
.LBB224_61:                             ;   in Loop: Header=BB224_48 Depth=1
	s_or_b32 exec_lo, exec_lo, s22
	ds_load_b32 v2, v5 offset:1048
	s_mov_b32 s22, exec_lo
	s_waitcnt lgkmcnt(0)
	s_barrier
	buffer_gl0_inv
	v_cmpx_ne_u32_e32 0, v6
	s_cbranch_execz .LBB224_46
; %bb.62:                               ;   in Loop: Header=BB224_48 Depth=1
	v_dual_mov_b32 v7, v5 :: v_dual_add_nc_u32 v6, v7, v1
	s_delay_alu instid0(VALU_DEP_1)
	v_cmp_gt_u64_e32 vcc_lo, s[6:7], v[6:7]
	s_and_b32 exec_lo, exec_lo, vcc_lo
	s_cbranch_execz .LBB224_46
; %bb.63:                               ;   in Loop: Header=BB224_48 Depth=1
	v_mad_u64_u32 v[17:18], null, v6, s10, 0
	v_mad_u64_u32 v[19:20], null, v6, s12, 0
	s_delay_alu instid0(VALU_DEP_1) | instskip(NEXT) | instid1(VALU_DEP_1)
	v_dual_mov_b32 v7, v18 :: v_dual_mov_b32 v18, v20
	v_mad_u64_u32 v[20:21], null, v6, s11, v[7:8]
	s_delay_alu instid0(VALU_DEP_2) | instskip(NEXT) | instid1(VALU_DEP_2)
	v_mad_u64_u32 v[21:22], null, v6, s13, v[18:19]
	v_mov_b32_e32 v18, v20
	s_delay_alu instid0(VALU_DEP_2) | instskip(NEXT) | instid1(VALU_DEP_2)
	v_mov_b32_e32 v20, v21
	v_lshlrev_b64 v[6:7], 1, v[17:18]
	s_delay_alu instid0(VALU_DEP_2) | instskip(NEXT) | instid1(VALU_DEP_2)
	v_lshlrev_b64 v[17:18], 3, v[19:20]
	v_add_co_u32 v6, vcc_lo, s17, v6
	s_delay_alu instid0(VALU_DEP_3) | instskip(NEXT) | instid1(VALU_DEP_3)
	v_add_co_ci_u32_e32 v7, vcc_lo, s18, v7, vcc_lo
	v_add_co_u32 v17, vcc_lo, s19, v17
	s_delay_alu instid0(VALU_DEP_4)
	v_add_co_ci_u32_e32 v18, vcc_lo, s20, v18, vcc_lo
	global_store_b16 v[6:7], v15, off
	global_store_b64 v[17:18], v[4:5], off
	s_branch .LBB224_46
	.p2align	6
.LBB224_64:                             ;   in Loop: Header=BB224_65 Depth=1
	s_add_u32 s12, s12, 4
	s_addc_u32 s13, s13, 0
	s_waitcnt lgkmcnt(0)
	s_add_i32 s53, s11, s53
	s_add_u32 s14, s14, 4
	s_addc_u32 s15, s15, 0
	s_add_i32 s10, s10, 1
	s_delay_alu instid0(SALU_CYCLE_1)
	s_cmp_lt_u32 s10, s17
	s_cbranch_scc0 .LBB224_43
.LBB224_65:                             ; =>This Inner Loop Header: Depth=1
	s_load_b32 s11, s[12:13], 0x0
	s_cmp_ge_u32 s10, s50
	s_cbranch_scc1 .LBB224_64
; %bb.66:                               ;   in Loop: Header=BB224_65 Depth=1
	s_load_b32 s44, s[14:15], 0x0
	s_waitcnt lgkmcnt(0)
	s_add_i32 s21, s11, s21
	s_add_i32 s20, s44, s20
	s_branch .LBB224_64
.LBB224_67:
	s_nop 0
	s_sendmsg sendmsg(MSG_DEALLOC_VGPRS)
	s_endpgm
	.section	.rodata,"a",@progbits
	.p2align	6, 0x0
	.amdhsa_kernel _ZN2at6native6mbtopk10gatherTopKIN3c108BFloat16EmLin1EEEvNS_4cuda6detail10TensorInfoIKT_T0_EESA_SA_bjSA_NS7_IS8_SA_EESA_NS7_IlSA_EESA_jjPS8_PjSF_j
		.amdhsa_group_segment_fixed_size 1068
		.amdhsa_private_segment_fixed_size 0
		.amdhsa_kernarg_size 1592
		.amdhsa_user_sgpr_count 13
		.amdhsa_user_sgpr_dispatch_ptr 0
		.amdhsa_user_sgpr_queue_ptr 0
		.amdhsa_user_sgpr_kernarg_segment_ptr 1
		.amdhsa_user_sgpr_dispatch_id 0
		.amdhsa_user_sgpr_private_segment_size 0
		.amdhsa_wavefront_size32 1
		.amdhsa_uses_dynamic_stack 0
		.amdhsa_enable_private_segment 0
		.amdhsa_system_sgpr_workgroup_id_x 1
		.amdhsa_system_sgpr_workgroup_id_y 1
		.amdhsa_system_sgpr_workgroup_id_z 1
		.amdhsa_system_sgpr_workgroup_info 0
		.amdhsa_system_vgpr_workitem_id 0
		.amdhsa_next_free_vgpr 25
		.amdhsa_next_free_sgpr 57
		.amdhsa_reserve_vcc 1
		.amdhsa_float_round_mode_32 0
		.amdhsa_float_round_mode_16_64 0
		.amdhsa_float_denorm_mode_32 3
		.amdhsa_float_denorm_mode_16_64 3
		.amdhsa_dx10_clamp 1
		.amdhsa_ieee_mode 1
		.amdhsa_fp16_overflow 0
		.amdhsa_workgroup_processor_mode 1
		.amdhsa_memory_ordered 1
		.amdhsa_forward_progress 0
		.amdhsa_shared_vgpr_count 0
		.amdhsa_exception_fp_ieee_invalid_op 0
		.amdhsa_exception_fp_denorm_src 0
		.amdhsa_exception_fp_ieee_div_zero 0
		.amdhsa_exception_fp_ieee_overflow 0
		.amdhsa_exception_fp_ieee_underflow 0
		.amdhsa_exception_fp_ieee_inexact 0
		.amdhsa_exception_int_div_zero 0
	.end_amdhsa_kernel
	.section	.text._ZN2at6native6mbtopk10gatherTopKIN3c108BFloat16EmLin1EEEvNS_4cuda6detail10TensorInfoIKT_T0_EESA_SA_bjSA_NS7_IS8_SA_EESA_NS7_IlSA_EESA_jjPS8_PjSF_j,"axG",@progbits,_ZN2at6native6mbtopk10gatherTopKIN3c108BFloat16EmLin1EEEvNS_4cuda6detail10TensorInfoIKT_T0_EESA_SA_bjSA_NS7_IS8_SA_EESA_NS7_IlSA_EESA_jjPS8_PjSF_j,comdat
.Lfunc_end224:
	.size	_ZN2at6native6mbtopk10gatherTopKIN3c108BFloat16EmLin1EEEvNS_4cuda6detail10TensorInfoIKT_T0_EESA_SA_bjSA_NS7_IS8_SA_EESA_NS7_IlSA_EESA_jjPS8_PjSF_j, .Lfunc_end224-_ZN2at6native6mbtopk10gatherTopKIN3c108BFloat16EmLin1EEEvNS_4cuda6detail10TensorInfoIKT_T0_EESA_SA_bjSA_NS7_IS8_SA_EESA_NS7_IlSA_EESA_jjPS8_PjSF_j
                                        ; -- End function
	.section	.AMDGPU.csdata,"",@progbits
; Kernel info:
; codeLenInByte = 5516
; NumSgprs: 59
; NumVgprs: 25
; ScratchSize: 0
; MemoryBound: 0
; FloatMode: 240
; IeeeMode: 1
; LDSByteSize: 1068 bytes/workgroup (compile time only)
; SGPRBlocks: 7
; VGPRBlocks: 3
; NumSGPRsForWavesPerEU: 59
; NumVGPRsForWavesPerEU: 25
; Occupancy: 16
; WaveLimiterHint : 1
; COMPUTE_PGM_RSRC2:SCRATCH_EN: 0
; COMPUTE_PGM_RSRC2:USER_SGPR: 13
; COMPUTE_PGM_RSRC2:TRAP_HANDLER: 0
; COMPUTE_PGM_RSRC2:TGID_X_EN: 1
; COMPUTE_PGM_RSRC2:TGID_Y_EN: 1
; COMPUTE_PGM_RSRC2:TGID_Z_EN: 1
; COMPUTE_PGM_RSRC2:TIDIG_COMP_CNT: 0
	.section	.text._ZN2at6native6sbtopk10gatherTopKIN3c108BFloat16EmLin1ELb0EEEvNS_4cuda6detail10TensorInfoIKT_T0_EESA_SA_bSA_SA_NS7_IS8_SA_EESA_NS7_IlSA_EESA_PS8_,"axG",@progbits,_ZN2at6native6sbtopk10gatherTopKIN3c108BFloat16EmLin1ELb0EEEvNS_4cuda6detail10TensorInfoIKT_T0_EESA_SA_bSA_SA_NS7_IS8_SA_EESA_NS7_IlSA_EESA_PS8_,comdat
	.protected	_ZN2at6native6sbtopk10gatherTopKIN3c108BFloat16EmLin1ELb0EEEvNS_4cuda6detail10TensorInfoIKT_T0_EESA_SA_bSA_SA_NS7_IS8_SA_EESA_NS7_IlSA_EESA_PS8_ ; -- Begin function _ZN2at6native6sbtopk10gatherTopKIN3c108BFloat16EmLin1ELb0EEEvNS_4cuda6detail10TensorInfoIKT_T0_EESA_SA_bSA_SA_NS7_IS8_SA_EESA_NS7_IlSA_EESA_PS8_
	.globl	_ZN2at6native6sbtopk10gatherTopKIN3c108BFloat16EmLin1ELb0EEEvNS_4cuda6detail10TensorInfoIKT_T0_EESA_SA_bSA_SA_NS7_IS8_SA_EESA_NS7_IlSA_EESA_PS8_
	.p2align	8
	.type	_ZN2at6native6sbtopk10gatherTopKIN3c108BFloat16EmLin1ELb0EEEvNS_4cuda6detail10TensorInfoIKT_T0_EESA_SA_bSA_SA_NS7_IS8_SA_EESA_NS7_IlSA_EESA_PS8_,@function
_ZN2at6native6sbtopk10gatherTopKIN3c108BFloat16EmLin1ELb0EEEvNS_4cuda6detail10TensorInfoIKT_T0_EESA_SA_bSA_SA_NS7_IS8_SA_EESA_NS7_IlSA_EESA_PS8_: ; @_ZN2at6native6sbtopk10gatherTopKIN3c108BFloat16EmLin1ELb0EEEvNS_4cuda6detail10TensorInfoIKT_T0_EESA_SA_bSA_SA_NS7_IS8_SA_EESA_NS7_IlSA_EESA_PS8_
; %bb.0:
	s_clause 0x1
	s_load_b64 s[10:11], s[0:1], 0x520
	s_load_b128 s[28:31], s[0:1], 0x1b8
	s_add_u32 s8, s0, 0x520
	s_addc_u32 s9, s1, 0
	s_mov_b32 s5, 0
	s_waitcnt lgkmcnt(0)
	s_mul_i32 s2, s11, s15
	s_delay_alu instid0(SALU_CYCLE_1) | instskip(NEXT) | instid1(SALU_CYCLE_1)
	s_add_i32 s2, s2, s14
	s_mul_i32 s2, s2, s10
	s_delay_alu instid0(SALU_CYCLE_1) | instskip(NEXT) | instid1(SALU_CYCLE_1)
	s_add_i32 s4, s2, s13
	v_cmp_ge_u64_e64 s2, s[4:5], s[28:29]
	s_delay_alu instid0(VALU_DEP_1)
	s_and_b32 vcc_lo, exec_lo, s2
	s_cbranch_vccnz .LBB225_564
; %bb.1:
	s_load_b32 s11, s[0:1], 0x198
	s_mov_b64 s[2:3], 0
	s_mov_b64 s[6:7], s[4:5]
	s_waitcnt lgkmcnt(0)
	s_cmp_lt_i32 s11, 2
	s_cbranch_scc1 .LBB225_9
; %bb.2:
	s_mov_b32 s14, 0
	s_add_i32 s2, s11, -1
	s_mov_b32 s3, s14
	s_add_i32 s11, s11, 1
	s_lshl_b64 s[6:7], s[2:3], 3
	s_mov_b64 s[2:3], 0
	s_add_u32 s6, s6, s0
	s_addc_u32 s7, s7, s1
	s_add_u32 s16, s6, 8
	s_addc_u32 s17, s7, 0
	s_mov_b64 s[18:19], s[4:5]
.LBB225_3:                              ; =>This Inner Loop Header: Depth=1
	s_load_b64 s[20:21], s[16:17], 0x0
	s_mov_b32 s12, -1
	s_waitcnt lgkmcnt(0)
	s_or_b64 s[6:7], s[18:19], s[20:21]
	s_delay_alu instid0(SALU_CYCLE_1) | instskip(NEXT) | instid1(SALU_CYCLE_1)
	s_mov_b32 s15, s7
                                        ; implicit-def: $sgpr6_sgpr7
	s_cmp_lg_u64 s[14:15], 0
	s_cbranch_scc0 .LBB225_5
; %bb.4:                                ;   in Loop: Header=BB225_3 Depth=1
	v_cvt_f32_u32_e32 v1, s20
	v_cvt_f32_u32_e32 v2, s21
	s_sub_u32 s12, 0, s20
	s_subb_u32 s15, 0, s21
	s_waitcnt_depctr 0xfff
	v_fmac_f32_e32 v1, 0x4f800000, v2
	s_delay_alu instid0(VALU_DEP_1) | instskip(SKIP_2) | instid1(VALU_DEP_1)
	v_rcp_f32_e32 v1, v1
	s_waitcnt_depctr 0xfff
	v_mul_f32_e32 v1, 0x5f7ffffc, v1
	v_mul_f32_e32 v2, 0x2f800000, v1
	s_delay_alu instid0(VALU_DEP_1) | instskip(NEXT) | instid1(VALU_DEP_1)
	v_trunc_f32_e32 v2, v2
	v_fmac_f32_e32 v1, 0xcf800000, v2
	v_cvt_u32_f32_e32 v2, v2
	s_delay_alu instid0(VALU_DEP_2) | instskip(NEXT) | instid1(VALU_DEP_2)
	v_cvt_u32_f32_e32 v1, v1
	v_readfirstlane_b32 s6, v2
	s_delay_alu instid0(VALU_DEP_2) | instskip(NEXT) | instid1(VALU_DEP_2)
	v_readfirstlane_b32 s7, v1
	s_mul_i32 s22, s12, s6
	s_delay_alu instid0(VALU_DEP_1)
	s_mul_hi_u32 s24, s12, s7
	s_mul_i32 s23, s15, s7
	s_add_i32 s22, s24, s22
	s_mul_i32 s25, s12, s7
	s_add_i32 s22, s22, s23
	s_mul_hi_u32 s24, s7, s25
	s_mul_hi_u32 s26, s6, s25
	s_mul_i32 s23, s6, s25
	s_mul_hi_u32 s25, s7, s22
	s_mul_i32 s7, s7, s22
	s_mul_hi_u32 s27, s6, s22
	s_add_u32 s7, s24, s7
	s_addc_u32 s24, 0, s25
	s_add_u32 s7, s7, s23
	s_mul_i32 s22, s6, s22
	s_addc_u32 s7, s24, s26
	s_addc_u32 s23, s27, 0
	s_add_u32 s7, s7, s22
	s_addc_u32 s22, 0, s23
	v_add_co_u32 v1, s7, v1, s7
	s_delay_alu instid0(VALU_DEP_1) | instskip(SKIP_1) | instid1(VALU_DEP_1)
	s_cmp_lg_u32 s7, 0
	s_addc_u32 s6, s6, s22
	v_readfirstlane_b32 s7, v1
	s_mul_i32 s22, s12, s6
	s_delay_alu instid0(VALU_DEP_1)
	s_mul_hi_u32 s23, s12, s7
	s_mul_i32 s15, s15, s7
	s_add_i32 s22, s23, s22
	s_mul_i32 s12, s12, s7
	s_add_i32 s22, s22, s15
	s_mul_hi_u32 s23, s6, s12
	s_mul_i32 s24, s6, s12
	s_mul_hi_u32 s12, s7, s12
	s_mul_hi_u32 s25, s7, s22
	s_mul_i32 s7, s7, s22
	s_mul_hi_u32 s15, s6, s22
	s_add_u32 s7, s12, s7
	s_addc_u32 s12, 0, s25
	s_add_u32 s7, s7, s24
	s_mul_i32 s22, s6, s22
	s_addc_u32 s7, s12, s23
	s_addc_u32 s12, s15, 0
	s_add_u32 s7, s7, s22
	s_addc_u32 s12, 0, s12
	v_add_co_u32 v1, s7, v1, s7
	s_delay_alu instid0(VALU_DEP_1) | instskip(SKIP_1) | instid1(VALU_DEP_1)
	s_cmp_lg_u32 s7, 0
	s_addc_u32 s6, s6, s12
	v_readfirstlane_b32 s7, v1
	s_mul_i32 s15, s18, s6
	s_mul_hi_u32 s12, s18, s6
	s_mul_hi_u32 s22, s19, s6
	s_mul_i32 s6, s19, s6
	s_mul_hi_u32 s23, s18, s7
	s_mul_hi_u32 s24, s19, s7
	s_mul_i32 s7, s19, s7
	s_add_u32 s15, s23, s15
	s_addc_u32 s12, 0, s12
	s_add_u32 s7, s15, s7
	s_addc_u32 s7, s12, s24
	s_addc_u32 s12, s22, 0
	s_add_u32 s6, s7, s6
	s_addc_u32 s7, 0, s12
	s_mul_hi_u32 s12, s20, s6
	s_mul_i32 s22, s20, s7
	s_mul_i32 s23, s20, s6
	s_add_i32 s12, s12, s22
	v_sub_co_u32 v1, s22, s18, s23
	s_mul_i32 s15, s21, s6
	s_delay_alu instid0(SALU_CYCLE_1) | instskip(NEXT) | instid1(VALU_DEP_1)
	s_add_i32 s12, s12, s15
	v_sub_co_u32 v2, s23, v1, s20
	s_sub_i32 s15, s19, s12
	s_cmp_lg_u32 s22, 0
	s_subb_u32 s15, s15, s21
	s_cmp_lg_u32 s23, 0
	v_readfirstlane_b32 s23, v2
	s_subb_u32 s15, s15, 0
	s_delay_alu instid0(SALU_CYCLE_1) | instskip(SKIP_1) | instid1(VALU_DEP_1)
	s_cmp_ge_u32 s15, s21
	s_cselect_b32 s24, -1, 0
	s_cmp_ge_u32 s23, s20
	s_cselect_b32 s23, -1, 0
	s_cmp_eq_u32 s15, s21
	s_cselect_b32 s15, s23, s24
	s_add_u32 s23, s6, 1
	s_addc_u32 s24, s7, 0
	s_add_u32 s25, s6, 2
	s_addc_u32 s26, s7, 0
	s_cmp_lg_u32 s15, 0
	s_cselect_b32 s15, s25, s23
	s_cselect_b32 s23, s26, s24
	s_cmp_lg_u32 s22, 0
	v_readfirstlane_b32 s22, v1
	s_subb_u32 s12, s19, s12
	s_delay_alu instid0(SALU_CYCLE_1) | instskip(SKIP_1) | instid1(VALU_DEP_1)
	s_cmp_ge_u32 s12, s21
	s_cselect_b32 s24, -1, 0
	s_cmp_ge_u32 s22, s20
	s_cselect_b32 s22, -1, 0
	s_cmp_eq_u32 s12, s21
	s_cselect_b32 s12, s22, s24
	s_delay_alu instid0(SALU_CYCLE_1)
	s_cmp_lg_u32 s12, 0
	s_mov_b32 s12, 0
	s_cselect_b32 s7, s23, s7
	s_cselect_b32 s6, s15, s6
.LBB225_5:                              ;   in Loop: Header=BB225_3 Depth=1
	s_and_not1_b32 vcc_lo, exec_lo, s12
	s_cbranch_vccnz .LBB225_7
; %bb.6:                                ;   in Loop: Header=BB225_3 Depth=1
	v_cvt_f32_u32_e32 v1, s20
	s_sub_i32 s7, 0, s20
	s_waitcnt_depctr 0xfff
	v_rcp_iflag_f32_e32 v1, v1
	s_waitcnt_depctr 0xfff
	v_mul_f32_e32 v1, 0x4f7ffffe, v1
	s_delay_alu instid0(VALU_DEP_1) | instskip(NEXT) | instid1(VALU_DEP_1)
	v_cvt_u32_f32_e32 v1, v1
	v_readfirstlane_b32 s6, v1
	s_delay_alu instid0(VALU_DEP_1) | instskip(NEXT) | instid1(SALU_CYCLE_1)
	s_mul_i32 s7, s7, s6
	s_mul_hi_u32 s7, s6, s7
	s_delay_alu instid0(SALU_CYCLE_1) | instskip(NEXT) | instid1(SALU_CYCLE_1)
	s_add_i32 s6, s6, s7
	s_mul_hi_u32 s6, s18, s6
	s_delay_alu instid0(SALU_CYCLE_1) | instskip(SKIP_2) | instid1(SALU_CYCLE_1)
	s_mul_i32 s7, s6, s20
	s_add_i32 s12, s6, 1
	s_sub_i32 s7, s18, s7
	s_sub_i32 s15, s7, s20
	s_cmp_ge_u32 s7, s20
	s_cselect_b32 s6, s12, s6
	s_cselect_b32 s7, s15, s7
	s_add_i32 s12, s6, 1
	s_cmp_ge_u32 s7, s20
	s_mov_b32 s7, s14
	s_cselect_b32 s6, s12, s6
.LBB225_7:                              ;   in Loop: Header=BB225_3 Depth=1
	s_load_b64 s[22:23], s[16:17], 0xc8
	s_mul_i32 s12, s6, s21
	s_mul_hi_u32 s15, s6, s20
	s_mul_i32 s21, s7, s20
	s_add_i32 s12, s15, s12
	s_mul_i32 s15, s6, s20
	s_add_i32 s12, s12, s21
	s_sub_u32 s15, s18, s15
	s_subb_u32 s12, s19, s12
	s_waitcnt lgkmcnt(0)
	s_mul_i32 s12, s22, s12
	s_mul_hi_u32 s18, s22, s15
	s_mul_i32 s19, s23, s15
	s_add_i32 s12, s18, s12
	s_mul_i32 s15, s22, s15
	s_add_i32 s12, s12, s19
	s_add_u32 s2, s15, s2
	s_addc_u32 s3, s12, s3
	s_add_i32 s11, s11, -1
	s_add_u32 s16, s16, -8
	s_addc_u32 s17, s17, -1
	s_cmp_gt_u32 s11, 2
	s_cbranch_scc0 .LBB225_9
; %bb.8:                                ;   in Loop: Header=BB225_3 Depth=1
	s_mov_b64 s[18:19], s[6:7]
	s_branch .LBB225_3
.LBB225_9:
	s_clause 0x1
	s_load_b32 s11, s[0:1], 0x360
	s_load_b64 s[14:15], s[0:1], 0xd0
	s_add_u32 s16, s0, 0x1c8
	s_addc_u32 s17, s1, 0
	s_mov_b64 s[28:29], 0
	s_mov_b64 s[40:41], s[4:5]
	s_waitcnt lgkmcnt(0)
	s_cmp_lt_i32 s11, 2
	s_cbranch_scc1 .LBB225_17
; %bb.10:
	s_mov_b32 s18, 0
	s_add_i32 s20, s11, -1
	s_mov_b32 s21, s18
	s_add_i32 s11, s11, 1
	s_lshl_b64 s[20:21], s[20:21], 3
	s_mov_b64 s[22:23], s[4:5]
	s_add_u32 s12, s20, s16
	s_addc_u32 s19, s21, s17
	s_add_u32 s20, s12, 8
	s_addc_u32 s21, s19, 0
.LBB225_11:                             ; =>This Inner Loop Header: Depth=1
	s_load_b64 s[24:25], s[20:21], 0x0
	s_mov_b32 s12, -1
                                        ; implicit-def: $sgpr40_sgpr41
	s_waitcnt lgkmcnt(0)
	s_or_b64 s[26:27], s[22:23], s[24:25]
	s_delay_alu instid0(SALU_CYCLE_1) | instskip(NEXT) | instid1(SALU_CYCLE_1)
	s_mov_b32 s19, s27
	s_cmp_lg_u64 s[18:19], 0
	s_cbranch_scc0 .LBB225_13
; %bb.12:                               ;   in Loop: Header=BB225_11 Depth=1
	v_cvt_f32_u32_e32 v1, s24
	v_cvt_f32_u32_e32 v2, s25
	s_sub_u32 s26, 0, s24
	s_subb_u32 s27, 0, s25
	s_waitcnt_depctr 0xfff
	v_fmac_f32_e32 v1, 0x4f800000, v2
	s_delay_alu instid0(VALU_DEP_1) | instskip(SKIP_2) | instid1(VALU_DEP_1)
	v_rcp_f32_e32 v1, v1
	s_waitcnt_depctr 0xfff
	v_mul_f32_e32 v1, 0x5f7ffffc, v1
	v_mul_f32_e32 v2, 0x2f800000, v1
	s_delay_alu instid0(VALU_DEP_1) | instskip(NEXT) | instid1(VALU_DEP_1)
	v_trunc_f32_e32 v2, v2
	v_fmac_f32_e32 v1, 0xcf800000, v2
	v_cvt_u32_f32_e32 v2, v2
	s_delay_alu instid0(VALU_DEP_2) | instskip(NEXT) | instid1(VALU_DEP_2)
	v_cvt_u32_f32_e32 v1, v1
	v_readfirstlane_b32 s12, v2
	s_delay_alu instid0(VALU_DEP_2) | instskip(NEXT) | instid1(VALU_DEP_2)
	v_readfirstlane_b32 s19, v1
	s_mul_i32 s33, s26, s12
	s_delay_alu instid0(VALU_DEP_1)
	s_mul_hi_u32 s35, s26, s19
	s_mul_i32 s34, s27, s19
	s_add_i32 s33, s35, s33
	s_mul_i32 s36, s26, s19
	s_add_i32 s33, s33, s34
	s_mul_hi_u32 s35, s19, s36
	s_mul_hi_u32 s37, s12, s36
	s_mul_i32 s34, s12, s36
	s_mul_hi_u32 s36, s19, s33
	s_mul_i32 s19, s19, s33
	s_mul_hi_u32 s38, s12, s33
	s_add_u32 s19, s35, s19
	s_addc_u32 s35, 0, s36
	s_add_u32 s19, s19, s34
	s_mul_i32 s33, s12, s33
	s_addc_u32 s19, s35, s37
	s_addc_u32 s34, s38, 0
	s_add_u32 s19, s19, s33
	s_addc_u32 s33, 0, s34
	v_add_co_u32 v1, s19, v1, s19
	s_delay_alu instid0(VALU_DEP_1) | instskip(SKIP_1) | instid1(VALU_DEP_1)
	s_cmp_lg_u32 s19, 0
	s_addc_u32 s12, s12, s33
	v_readfirstlane_b32 s19, v1
	s_mul_i32 s33, s26, s12
	s_delay_alu instid0(VALU_DEP_1)
	s_mul_hi_u32 s34, s26, s19
	s_mul_i32 s27, s27, s19
	s_add_i32 s33, s34, s33
	s_mul_i32 s26, s26, s19
	s_add_i32 s33, s33, s27
	s_mul_hi_u32 s34, s12, s26
	s_mul_i32 s35, s12, s26
	s_mul_hi_u32 s26, s19, s26
	s_mul_hi_u32 s36, s19, s33
	s_mul_i32 s19, s19, s33
	s_mul_hi_u32 s27, s12, s33
	s_add_u32 s19, s26, s19
	s_addc_u32 s26, 0, s36
	s_add_u32 s19, s19, s35
	s_mul_i32 s33, s12, s33
	s_addc_u32 s19, s26, s34
	s_addc_u32 s26, s27, 0
	s_add_u32 s19, s19, s33
	s_addc_u32 s26, 0, s26
	v_add_co_u32 v1, s19, v1, s19
	s_delay_alu instid0(VALU_DEP_1) | instskip(SKIP_1) | instid1(VALU_DEP_1)
	s_cmp_lg_u32 s19, 0
	s_addc_u32 s12, s12, s26
	v_readfirstlane_b32 s19, v1
	s_mul_i32 s27, s22, s12
	s_mul_hi_u32 s26, s22, s12
	s_mul_hi_u32 s33, s23, s12
	s_mul_i32 s12, s23, s12
	s_mul_hi_u32 s34, s22, s19
	s_mul_hi_u32 s35, s23, s19
	s_mul_i32 s19, s23, s19
	s_add_u32 s27, s34, s27
	s_addc_u32 s26, 0, s26
	s_add_u32 s19, s27, s19
	s_addc_u32 s19, s26, s35
	s_addc_u32 s26, s33, 0
	s_add_u32 s19, s19, s12
	s_addc_u32 s26, 0, s26
	s_mul_hi_u32 s12, s24, s19
	s_mul_i32 s33, s24, s26
	s_mul_i32 s34, s24, s19
	s_add_i32 s12, s12, s33
	v_sub_co_u32 v1, s33, s22, s34
	s_mul_i32 s27, s25, s19
	s_delay_alu instid0(SALU_CYCLE_1) | instskip(NEXT) | instid1(VALU_DEP_1)
	s_add_i32 s12, s12, s27
	v_sub_co_u32 v2, s34, v1, s24
	s_sub_i32 s27, s23, s12
	s_cmp_lg_u32 s33, 0
	s_subb_u32 s27, s27, s25
	s_cmp_lg_u32 s34, 0
	v_readfirstlane_b32 s34, v2
	s_subb_u32 s27, s27, 0
	s_delay_alu instid0(SALU_CYCLE_1) | instskip(SKIP_1) | instid1(VALU_DEP_1)
	s_cmp_ge_u32 s27, s25
	s_cselect_b32 s35, -1, 0
	s_cmp_ge_u32 s34, s24
	s_cselect_b32 s34, -1, 0
	s_cmp_eq_u32 s27, s25
	s_cselect_b32 s27, s34, s35
	s_add_u32 s34, s19, 1
	s_addc_u32 s35, s26, 0
	s_add_u32 s36, s19, 2
	s_addc_u32 s37, s26, 0
	s_cmp_lg_u32 s27, 0
	s_cselect_b32 s27, s36, s34
	s_cselect_b32 s34, s37, s35
	s_cmp_lg_u32 s33, 0
	v_readfirstlane_b32 s33, v1
	s_subb_u32 s12, s23, s12
	s_delay_alu instid0(SALU_CYCLE_1) | instskip(SKIP_1) | instid1(VALU_DEP_1)
	s_cmp_ge_u32 s12, s25
	s_cselect_b32 s35, -1, 0
	s_cmp_ge_u32 s33, s24
	s_cselect_b32 s33, -1, 0
	s_cmp_eq_u32 s12, s25
	s_cselect_b32 s12, s33, s35
	s_delay_alu instid0(SALU_CYCLE_1)
	s_cmp_lg_u32 s12, 0
	s_mov_b32 s12, 0
	s_cselect_b32 s41, s34, s26
	s_cselect_b32 s40, s27, s19
.LBB225_13:                             ;   in Loop: Header=BB225_11 Depth=1
	s_and_not1_b32 vcc_lo, exec_lo, s12
	s_cbranch_vccnz .LBB225_15
; %bb.14:                               ;   in Loop: Header=BB225_11 Depth=1
	v_cvt_f32_u32_e32 v1, s24
	s_sub_i32 s19, 0, s24
	s_mov_b32 s41, s18
	s_waitcnt_depctr 0xfff
	v_rcp_iflag_f32_e32 v1, v1
	s_waitcnt_depctr 0xfff
	v_mul_f32_e32 v1, 0x4f7ffffe, v1
	s_delay_alu instid0(VALU_DEP_1) | instskip(NEXT) | instid1(VALU_DEP_1)
	v_cvt_u32_f32_e32 v1, v1
	v_readfirstlane_b32 s12, v1
	s_delay_alu instid0(VALU_DEP_1) | instskip(NEXT) | instid1(SALU_CYCLE_1)
	s_mul_i32 s19, s19, s12
	s_mul_hi_u32 s19, s12, s19
	s_delay_alu instid0(SALU_CYCLE_1) | instskip(NEXT) | instid1(SALU_CYCLE_1)
	s_add_i32 s12, s12, s19
	s_mul_hi_u32 s12, s22, s12
	s_delay_alu instid0(SALU_CYCLE_1) | instskip(SKIP_2) | instid1(SALU_CYCLE_1)
	s_mul_i32 s19, s12, s24
	s_add_i32 s26, s12, 1
	s_sub_i32 s19, s22, s19
	s_sub_i32 s27, s19, s24
	s_cmp_ge_u32 s19, s24
	s_cselect_b32 s12, s26, s12
	s_cselect_b32 s19, s27, s19
	s_add_i32 s26, s12, 1
	s_cmp_ge_u32 s19, s24
	s_cselect_b32 s40, s26, s12
.LBB225_15:                             ;   in Loop: Header=BB225_11 Depth=1
	s_load_b64 s[26:27], s[20:21], 0xc8
	s_mul_i32 s12, s40, s25
	s_mul_hi_u32 s19, s40, s24
	s_mul_i32 s25, s41, s24
	s_add_i32 s12, s19, s12
	s_mul_i32 s19, s40, s24
	s_add_i32 s12, s12, s25
	s_sub_u32 s19, s22, s19
	s_subb_u32 s12, s23, s12
	s_waitcnt lgkmcnt(0)
	s_mul_i32 s12, s26, s12
	s_mul_hi_u32 s22, s26, s19
	s_mul_i32 s23, s27, s19
	s_add_i32 s12, s22, s12
	s_mul_i32 s19, s26, s19
	s_add_i32 s12, s12, s23
	s_add_u32 s28, s19, s28
	s_addc_u32 s29, s12, s29
	s_add_i32 s11, s11, -1
	s_add_u32 s20, s20, -8
	s_addc_u32 s21, s21, -1
	s_cmp_gt_u32 s11, 2
	s_cbranch_scc0 .LBB225_17
; %bb.16:                               ;   in Loop: Header=BB225_11 Depth=1
	s_mov_b64 s[22:23], s[40:41]
	s_branch .LBB225_11
.LBB225_17:
	s_clause 0x1
	s_load_b32 s11, s[0:1], 0x508
	s_load_b64 s[16:17], s[16:17], 0xd0
                                        ; implicit-def: $vgpr51 : SGPR spill to VGPR lane
	s_add_u32 s12, s0, 0x370
	s_mov_b64 s[44:45], 0
	s_waitcnt lgkmcnt(0)
	v_writelane_b32 v51, s16, 0
	v_writelane_b32 v51, s17, 1
	s_addc_u32 s17, s1, 0
	s_cmp_lt_i32 s11, 2
	s_cbranch_scc1 .LBB225_25
; %bb.18:
	s_mov_b32 s16, 0
	s_add_i32 s18, s11, -1
	s_mov_b32 s19, s16
	s_add_i32 s11, s11, 1
	s_lshl_b64 s[18:19], s[18:19], 3
	s_delay_alu instid0(SALU_CYCLE_1)
	s_add_u32 s12, s18, s12
	s_addc_u32 s17, s19, s17
	s_add_u32 s18, s12, 8
	s_addc_u32 s19, s17, 0
.LBB225_19:                             ; =>This Inner Loop Header: Depth=1
	s_load_b64 s[20:21], s[18:19], 0x0
	s_mov_b32 s12, -1
                                        ; implicit-def: $sgpr52_sgpr53
	s_waitcnt lgkmcnt(0)
	s_or_b64 s[22:23], s[4:5], s[20:21]
	s_delay_alu instid0(SALU_CYCLE_1) | instskip(NEXT) | instid1(SALU_CYCLE_1)
	s_mov_b32 s17, s23
	s_cmp_lg_u64 s[16:17], 0
	s_cbranch_scc0 .LBB225_21
; %bb.20:                               ;   in Loop: Header=BB225_19 Depth=1
	v_cvt_f32_u32_e32 v1, s20
	v_cvt_f32_u32_e32 v2, s21
	s_sub_u32 s22, 0, s20
	s_subb_u32 s23, 0, s21
	s_waitcnt_depctr 0xfff
	v_fmac_f32_e32 v1, 0x4f800000, v2
	s_delay_alu instid0(VALU_DEP_1) | instskip(SKIP_2) | instid1(VALU_DEP_1)
	v_rcp_f32_e32 v1, v1
	s_waitcnt_depctr 0xfff
	v_mul_f32_e32 v1, 0x5f7ffffc, v1
	v_mul_f32_e32 v2, 0x2f800000, v1
	s_delay_alu instid0(VALU_DEP_1) | instskip(NEXT) | instid1(VALU_DEP_1)
	v_trunc_f32_e32 v2, v2
	v_fmac_f32_e32 v1, 0xcf800000, v2
	v_cvt_u32_f32_e32 v2, v2
	s_delay_alu instid0(VALU_DEP_2) | instskip(NEXT) | instid1(VALU_DEP_2)
	v_cvt_u32_f32_e32 v1, v1
	v_readfirstlane_b32 s12, v2
	s_delay_alu instid0(VALU_DEP_2) | instskip(NEXT) | instid1(VALU_DEP_2)
	v_readfirstlane_b32 s17, v1
	s_mul_i32 s24, s22, s12
	s_delay_alu instid0(VALU_DEP_1)
	s_mul_hi_u32 s26, s22, s17
	s_mul_i32 s25, s23, s17
	s_add_i32 s24, s26, s24
	s_mul_i32 s27, s22, s17
	s_add_i32 s24, s24, s25
	s_mul_hi_u32 s26, s17, s27
	s_mul_hi_u32 s33, s12, s27
	s_mul_i32 s25, s12, s27
	s_mul_hi_u32 s27, s17, s24
	s_mul_i32 s17, s17, s24
	s_mul_hi_u32 s34, s12, s24
	s_add_u32 s17, s26, s17
	s_addc_u32 s26, 0, s27
	s_add_u32 s17, s17, s25
	s_mul_i32 s24, s12, s24
	s_addc_u32 s17, s26, s33
	s_addc_u32 s25, s34, 0
	s_add_u32 s17, s17, s24
	s_addc_u32 s24, 0, s25
	v_add_co_u32 v1, s17, v1, s17
	s_delay_alu instid0(VALU_DEP_1) | instskip(SKIP_1) | instid1(VALU_DEP_1)
	s_cmp_lg_u32 s17, 0
	s_addc_u32 s12, s12, s24
	v_readfirstlane_b32 s17, v1
	s_mul_i32 s24, s22, s12
	s_delay_alu instid0(VALU_DEP_1)
	s_mul_hi_u32 s25, s22, s17
	s_mul_i32 s23, s23, s17
	s_add_i32 s24, s25, s24
	s_mul_i32 s22, s22, s17
	s_add_i32 s24, s24, s23
	s_mul_hi_u32 s25, s12, s22
	s_mul_i32 s26, s12, s22
	s_mul_hi_u32 s22, s17, s22
	s_mul_hi_u32 s27, s17, s24
	s_mul_i32 s17, s17, s24
	s_mul_hi_u32 s23, s12, s24
	s_add_u32 s17, s22, s17
	s_addc_u32 s22, 0, s27
	s_add_u32 s17, s17, s26
	s_mul_i32 s24, s12, s24
	s_addc_u32 s17, s22, s25
	s_addc_u32 s22, s23, 0
	s_add_u32 s17, s17, s24
	s_addc_u32 s22, 0, s22
	v_add_co_u32 v1, s17, v1, s17
	s_delay_alu instid0(VALU_DEP_1) | instskip(SKIP_1) | instid1(VALU_DEP_1)
	s_cmp_lg_u32 s17, 0
	s_addc_u32 s12, s12, s22
	v_readfirstlane_b32 s17, v1
	s_mul_i32 s23, s4, s12
	s_mul_hi_u32 s22, s4, s12
	s_mul_hi_u32 s24, s5, s12
	s_mul_i32 s12, s5, s12
	s_mul_hi_u32 s25, s4, s17
	s_mul_hi_u32 s26, s5, s17
	s_mul_i32 s17, s5, s17
	s_add_u32 s23, s25, s23
	s_addc_u32 s22, 0, s22
	s_add_u32 s17, s23, s17
	s_addc_u32 s17, s22, s26
	s_addc_u32 s22, s24, 0
	s_add_u32 s17, s17, s12
	s_addc_u32 s22, 0, s22
	s_mul_hi_u32 s12, s20, s17
	s_mul_i32 s24, s20, s22
	s_mul_i32 s25, s20, s17
	s_add_i32 s12, s12, s24
	v_sub_co_u32 v1, s24, s4, s25
	s_mul_i32 s23, s21, s17
	s_delay_alu instid0(SALU_CYCLE_1) | instskip(NEXT) | instid1(VALU_DEP_1)
	s_add_i32 s12, s12, s23
	v_sub_co_u32 v2, s25, v1, s20
	s_sub_i32 s23, s5, s12
	s_cmp_lg_u32 s24, 0
	s_subb_u32 s23, s23, s21
	s_cmp_lg_u32 s25, 0
	v_readfirstlane_b32 s25, v2
	s_subb_u32 s23, s23, 0
	s_delay_alu instid0(SALU_CYCLE_1) | instskip(SKIP_1) | instid1(VALU_DEP_1)
	s_cmp_ge_u32 s23, s21
	s_cselect_b32 s26, -1, 0
	s_cmp_ge_u32 s25, s20
	s_cselect_b32 s25, -1, 0
	s_cmp_eq_u32 s23, s21
	s_cselect_b32 s23, s25, s26
	s_add_u32 s25, s17, 1
	s_addc_u32 s26, s22, 0
	s_add_u32 s27, s17, 2
	s_addc_u32 s33, s22, 0
	s_cmp_lg_u32 s23, 0
	s_cselect_b32 s23, s27, s25
	s_cselect_b32 s25, s33, s26
	s_cmp_lg_u32 s24, 0
	v_readfirstlane_b32 s24, v1
	s_subb_u32 s12, s5, s12
	s_delay_alu instid0(SALU_CYCLE_1) | instskip(SKIP_1) | instid1(VALU_DEP_1)
	s_cmp_ge_u32 s12, s21
	s_cselect_b32 s26, -1, 0
	s_cmp_ge_u32 s24, s20
	s_cselect_b32 s24, -1, 0
	s_cmp_eq_u32 s12, s21
	s_cselect_b32 s12, s24, s26
	s_delay_alu instid0(SALU_CYCLE_1)
	s_cmp_lg_u32 s12, 0
	s_mov_b32 s12, 0
	s_cselect_b32 s53, s25, s22
	s_cselect_b32 s52, s23, s17
.LBB225_21:                             ;   in Loop: Header=BB225_19 Depth=1
	s_and_not1_b32 vcc_lo, exec_lo, s12
	s_cbranch_vccnz .LBB225_23
; %bb.22:                               ;   in Loop: Header=BB225_19 Depth=1
	v_cvt_f32_u32_e32 v1, s20
	s_sub_i32 s17, 0, s20
	s_mov_b32 s53, s16
	s_waitcnt_depctr 0xfff
	v_rcp_iflag_f32_e32 v1, v1
	s_waitcnt_depctr 0xfff
	v_mul_f32_e32 v1, 0x4f7ffffe, v1
	s_delay_alu instid0(VALU_DEP_1) | instskip(NEXT) | instid1(VALU_DEP_1)
	v_cvt_u32_f32_e32 v1, v1
	v_readfirstlane_b32 s12, v1
	s_delay_alu instid0(VALU_DEP_1) | instskip(NEXT) | instid1(SALU_CYCLE_1)
	s_mul_i32 s17, s17, s12
	s_mul_hi_u32 s17, s12, s17
	s_delay_alu instid0(SALU_CYCLE_1) | instskip(NEXT) | instid1(SALU_CYCLE_1)
	s_add_i32 s12, s12, s17
	s_mul_hi_u32 s12, s4, s12
	s_delay_alu instid0(SALU_CYCLE_1) | instskip(SKIP_2) | instid1(SALU_CYCLE_1)
	s_mul_i32 s17, s12, s20
	s_add_i32 s22, s12, 1
	s_sub_i32 s17, s4, s17
	s_sub_i32 s23, s17, s20
	s_cmp_ge_u32 s17, s20
	s_cselect_b32 s12, s22, s12
	s_cselect_b32 s17, s23, s17
	s_add_i32 s22, s12, 1
	s_cmp_ge_u32 s17, s20
	s_cselect_b32 s52, s22, s12
.LBB225_23:                             ;   in Loop: Header=BB225_19 Depth=1
	s_load_b64 s[22:23], s[18:19], 0xc8
	s_mul_i32 s12, s52, s21
	s_mul_hi_u32 s17, s52, s20
	s_mul_i32 s21, s53, s20
	s_add_i32 s12, s17, s12
	s_mul_i32 s17, s52, s20
	s_add_i32 s12, s12, s21
	s_sub_u32 s4, s4, s17
	s_subb_u32 s5, s5, s12
	s_waitcnt lgkmcnt(0)
	s_mul_i32 s5, s22, s5
	s_mul_hi_u32 s12, s22, s4
	s_mul_i32 s17, s23, s4
	s_add_i32 s5, s12, s5
	s_mul_i32 s4, s22, s4
	s_add_i32 s5, s5, s17
	s_add_u32 s44, s4, s44
	s_addc_u32 s45, s5, s45
	s_add_i32 s11, s11, -1
	s_add_u32 s18, s18, -8
	s_addc_u32 s19, s19, -1
	s_cmp_gt_u32 s11, 2
	s_cbranch_scc0 .LBB225_26
; %bb.24:                               ;   in Loop: Header=BB225_19 Depth=1
	s_mov_b64 s[4:5], s[52:53]
	s_branch .LBB225_19
.LBB225_25:
	s_mov_b64 s[52:53], s[4:5]
.LBB225_26:
	s_clause 0x2
	s_load_b128 s[36:39], s[0:1], 0x1a0
	s_load_b64 s[16:17], s[0:1], 0x0
	s_load_b64 s[4:5], s[0:1], 0x1c8
	s_mov_b32 s61, 0
	s_waitcnt lgkmcnt(0)
	v_writelane_b32 v51, s4, 2
	v_writelane_b32 v51, s5, 3
	s_load_b64 s[4:5], s[0:1], 0x370
	s_waitcnt lgkmcnt(0)
	v_writelane_b32 v51, s4, 4
	v_writelane_b32 v51, s5, 5
	v_cmp_eq_u32_e64 s5, 0, v0
	s_delay_alu instid0(VALU_DEP_1)
	s_and_saveexec_b32 s4, s5
	s_cbranch_execz .LBB225_28
; %bb.27:
	v_dual_mov_b32 v1, 0 :: v_dual_mov_b32 v4, s37
	s_delay_alu instid0(VALU_DEP_1)
	v_dual_mov_b32 v3, s36 :: v_dual_mov_b32 v2, v1
	ds_store_b32 v1, v1 offset:5144
	ds_store_b128 v1, v[1:4] offset:5120
.LBB225_28:
	s_or_b32 exec_lo, exec_lo, s4
	s_mul_i32 s7, s14, s7
	s_mul_hi_u32 s11, s14, s6
	s_load_b32 s4, s[0:1], 0x1b0
	s_mul_i32 s12, s15, s6
	s_add_i32 s7, s11, s7
	s_mul_i32 s6, s14, s6
	s_add_i32 s7, s7, s12
	v_lshlrev_b32_e32 v45, 3, v0
	s_waitcnt lgkmcnt(0)
	s_lshl_b64 s[18:19], s[6:7], 1
	s_barrier
	buffer_gl0_inv
	s_load_b32 s7, s[8:9], 0xc
	v_or_b32_e32 v24, 2, v45
	s_lshl_b64 s[48:49], s[2:3], 1
	s_add_u32 s14, s16, s18
	s_addc_u32 s15, s17, s19
	v_mbcnt_lo_u32_b32 v41, -1, 0
	v_mad_u64_u32 v[20:21], null, s30, v24, s[14:15]
	v_mad_u64_u32 v[2:3], null, v0, s30, 0
	s_add_u32 s80, s14, s48
	s_addc_u32 s81, s15, s49
	s_bitcmp1_b32 s4, 0
	v_cmp_gt_u32_e32 vcc_lo, 32, v0
	s_delay_alu instid0(VALU_DEP_3)
	v_mov_b32_e32 v8, v21
	v_cmp_gt_i32_e64 s4, 4, v41
	v_or_b32_e32 v9, 6, v45
	v_or_b32_e32 v12, 4, v45
	v_lshrrev_b32_e32 v6, 3, v0
	s_cselect_b32 s88, -1, 0
	s_waitcnt lgkmcnt(0)
	s_and_b32 s33, s7, 0xffff
	v_dual_mov_b32 v1, v3 :: v_dual_lshlrev_b32 v14, 2, v0
	s_xor_b32 s82, s88, -1
	s_and_b32 s83, vcc_lo, s4
	s_bfe_u32 s11, s7, 0xb0005
	v_mad_u64_u32 v[16:17], null, s30, v9, s[14:15]
	v_mad_u64_u32 v[18:19], null, s30, v12, s[14:15]
	s_add_u32 s85, s33, -1
	v_dual_mov_b32 v13, 0 :: v_dual_and_b32 v42, 0x7c, v6
	s_addc_u32 s86, 0, -1
	v_lshlrev_b64 v[6:7], v41, -1
	s_add_u32 s87, s85, s36
	s_addc_u32 s27, s86, s37
	v_mad_u64_u32 v[3:4], null, v0, s31, v[1:2]
	s_cmp_lt_u32 s13, s10
	v_lshlrev_b32_e32 v43, 1, v0
	s_cselect_b32 s10, 12, 18
	v_not_b32_e32 v40, v6
	v_dual_mov_b32 v6, v17 :: v_dual_mov_b32 v7, v19
	v_mov_b32_e32 v50, 0
	s_add_u32 s62, s8, s10
	s_addc_u32 s63, s9, 0
	s_add_i32 s8, s11, -1
	s_bfe_u32 s3, s33, 0x30005
	s_cmp_gt_u32 s8, 6
	v_lshlrev_b64 v[4:5], 1, v[2:3]
	v_mad_u64_u32 v[21:22], null, s31, v9, v[6:7]
	s_cselect_b32 s89, -1, 0
	s_and_b32 s90, s11, 0x7f8
	v_mad_u64_u32 v[22:23], null, s31, v12, v[7:8]
	s_cmp_lg_u32 s3, 0
	v_lshlrev_b64 v[2:3], 3, v[2:3]
	v_cmp_gt_u16_e64 s91, s7, 31
	s_cselect_b32 s92, -1, 0
	s_add_u32 s7, s18, s48
	s_addc_u32 s8, s19, s49
	v_add_co_u32 v10, vcc_lo, s80, v4
	v_mad_u64_u32 v[6:7], null, s31, v24, v[8:9]
	s_add_u32 s64, s16, s7
	v_writelane_b32 v51, s3, 6
	s_addc_u32 s65, s17, s8
	s_lshl_b64 s[66:67], s[30:31], 1
	s_lshl_b64 s[68:69], s[30:31], 3
	s_lshl_b32 s93, s33, 1
	v_dual_mov_b32 v1, v13 :: v_dual_add_nc_u32 v44, 0xc00, v43
	v_add_co_ci_u32_e32 v11, vcc_lo, s81, v5, vcc_lo
	s_add_u32 s7, s16, s48
	v_mov_b32_e32 v19, v22
	v_add_co_u32 v22, vcc_lo, s14, v2
	s_addc_u32 s8, s17, s49
	s_add_u32 s7, s7, s18
	v_add_co_ci_u32_e32 v23, vcc_lo, s15, v3, vcc_lo
	v_writelane_b32 v51, s18, 7
	s_addc_u32 s11, s8, s19
	v_add_co_u32 v24, vcc_lo, s7, v4
	v_cmp_lt_u64_e64 s84, 0x600, s[36:37]
	v_cmp_gt_u64_e64 s4, s[36:37], v[0:1]
	v_dual_mov_b32 v15, v13 :: v_dual_mov_b32 v26, s38
	s_mul_i32 s9, s31, s33
	s_mul_hi_u32 s10, s30, s33
	v_cmp_eq_u32_e64 s2, 0, v41
	v_cmp_gt_u32_e64 s6, 2, v0
	v_dual_mov_b32 v17, v21 :: v_dual_mov_b32 v48, 0
	v_mov_b32_e32 v21, v6
	v_lshl_or_b32 v46, v41, 3, 0xc00
	v_add_co_ci_u32_e32 v25, vcc_lo, s11, v5, vcc_lo
	v_mov_b32_e32 v27, s39
	v_mov_b32_e32 v47, 0x8000
	;; [unrolled: 1-line block ×3, first 2 shown]
	s_add_i32 s9, s10, s9
	s_mul_i32 s8, s30, s33
	s_mov_b32 s94, 14
	s_lshl_b64 s[34:35], s[8:9], 1
	s_movk_i32 s96, 0x3f80
	s_mov_b32 s95, 0
	s_mov_b32 s98, 0
	v_writelane_b32 v51, s19, 8
                                        ; implicit-def: $sgpr97
                                        ; implicit-def: $sgpr101
                                        ; implicit-def: $sgpr100
                                        ; implicit-def: $sgpr102
                                        ; implicit-def: $sgpr99
                                        ; implicit-def: $sgpr103
                                        ; implicit-def: $vcc_hi
                                        ; implicit-def: $sgpr104
                                        ; implicit-def: $sgpr54
                                        ; implicit-def: $sgpr55
	s_branch .LBB225_31
.LBB225_29:                             ;   in Loop: Header=BB225_31 Depth=1
	s_or_b32 exec_lo, exec_lo, s10
	v_dual_mov_b32 v48, v29 :: v_dual_mov_b32 v49, v28
	v_dual_mov_b32 v27, v3 :: v_dual_mov_b32 v26, v2
	v_mov_b32_e32 v50, v6
	s_and_not1_b32 s3, s55, exec_lo
	s_and_b32 s9, s9, exec_lo
	s_and_not1_b32 s54, s54, exec_lo
	s_or_b32 s55, s3, s9
	s_and_not1_b32 s104, s104, exec_lo
	s_and_not1_b32 vcc_hi, vcc_hi, exec_lo
	s_and_not1_b32 s103, s103, exec_lo
	s_or_not1_b32 s8, s8, exec_lo
.LBB225_30:                             ;   in Loop: Header=BB225_31 Depth=1
	s_or_b32 exec_lo, exec_lo, s7
	s_delay_alu instid0(SALU_CYCLE_1) | instskip(NEXT) | instid1(SALU_CYCLE_1)
	s_and_b32 s7, exec_lo, s8
	s_or_b32 s95, s7, s95
	s_and_not1_b32 s7, s99, exec_lo
	s_and_b32 s8, s55, exec_lo
	s_and_not1_b32 s9, s102, exec_lo
	s_or_b32 s99, s7, s8
	s_and_b32 s7, s54, exec_lo
	s_and_not1_b32 s8, s100, exec_lo
	s_and_b32 s10, s104, exec_lo
	s_or_b32 s102, s9, s7
	s_or_b32 s100, s8, s10
	s_and_not1_b32 s7, s101, exec_lo
	s_and_b32 s8, vcc_hi, exec_lo
	s_and_not1_b32 s9, s97, exec_lo
	s_and_b32 s10, s103, exec_lo
	s_or_b32 s101, s7, s8
	s_or_b32 s97, s9, s10
	s_and_not1_b32 exec_lo, exec_lo, s95
	s_cbranch_execz .LBB225_500
.LBB225_31:                             ; =>This Loop Header: Depth=1
                                        ;     Child Loop BB225_36 Depth 2
                                        ;     Child Loop BB225_54 Depth 2
	;; [unrolled: 1-line block ×24, first 2 shown]
	ds_load_b128 v[2:5], v13 offset:5120
	s_waitcnt lgkmcnt(0)
	v_readfirstlane_b32 s71, v3
	v_readfirstlane_b32 s70, v2
	s_delay_alu instid0(VALU_DEP_1)
	s_cmp_lg_u64 s[70:71], 0
	s_cbranch_scc1 .LBB225_61
; %bb.32:                               ;   in Loop: Header=BB225_31 Depth=1
	s_and_b32 vcc_lo, exec_lo, s84
	s_cbranch_vccz .LBB225_44
; %bb.33:                               ;   in Loop: Header=BB225_31 Depth=1
	v_cmp_gt_u64_e32 vcc_lo, 0x601, v[4:5]
	s_mov_b32 s9, 0
	s_mov_b32 s7, 0
	s_cbranch_vccz .LBB225_45
; %bb.34:                               ;   in Loop: Header=BB225_31 Depth=1
	global_load_u16 v6, v13, s[62:63]
	global_load_u16 v7, v[10:11], off
	s_mov_b32 s11, 0
	s_waitcnt vmcnt(1)
	v_readfirstlane_b32 s7, v6
	v_and_b32_e32 v6, 0xffff, v6
	s_delay_alu instid0(VALU_DEP_2) | instskip(NEXT) | instid1(SALU_CYCLE_1)
	s_and_b32 s7, 0xffff, s7
	v_add_nc_u32_e32 v8, s7, v0
	s_mul_i32 s8, s67, s7
	s_mul_hi_u32 s10, s66, s7
	s_mul_i32 s12, s66, s7
	s_add_i32 s10, s10, s8
	v_mad_u64_u32 v[2:3], null, s66, v8, s[64:65]
	s_delay_alu instid0(VALU_DEP_1) | instskip(NEXT) | instid1(VALU_DEP_1)
	v_mad_u64_u32 v[4:5], null, s67, v8, v[3:4]
	v_mov_b32_e32 v3, v4
	v_dual_mov_b32 v5, v1 :: v_dual_mov_b32 v4, v0
	s_branch .LBB225_36
.LBB225_35:                             ;   in Loop: Header=BB225_36 Depth=2
	s_or_b32 exec_lo, exec_lo, s8
	v_add_co_u32 v2, vcc_lo, v2, s12
	v_add_co_ci_u32_e32 v3, vcc_lo, s10, v3, vcc_lo
	v_mov_b32_e32 v7, v8
	s_and_not1_b32 exec_lo, exec_lo, s11
	s_cbranch_execz .LBB225_46
.LBB225_36:                             ;   Parent Loop BB225_31 Depth=1
                                        ; =>  This Inner Loop Header: Depth=2
	s_delay_alu instid0(VALU_DEP_1) | instskip(NEXT) | instid1(VALU_DEP_2)
	v_add_co_u32 v4, vcc_lo, v4, v6
	v_add_co_ci_u32_e32 v5, vcc_lo, 0, v5, vcc_lo
	s_waitcnt lgkmcnt(0)
	v_dual_mov_b32 v9, 0 :: v_dual_mov_b32 v8, 0
	s_mov_b32 s8, exec_lo
	s_delay_alu instid0(VALU_DEP_2)
	v_cmp_le_u64_e32 vcc_lo, s[36:37], v[4:5]
	v_cmpx_gt_u64_e64 s[36:37], v[4:5]
	s_cbranch_execz .LBB225_38
; %bb.37:                               ;   in Loop: Header=BB225_36 Depth=2
	global_load_u16 v8, v[2:3], off
.LBB225_38:                             ;   in Loop: Header=BB225_36 Depth=2
	s_or_b32 exec_lo, exec_lo, s8
	s_waitcnt vmcnt(0)
	v_cmp_lt_i16_e64 s7, -1, v7
	v_and_b32_e32 v12, 0xffff, v7
	v_lshlrev_b32_e32 v29, 16, v7
	s_delay_alu instid0(VALU_DEP_3) | instskip(NEXT) | instid1(VALU_DEP_2)
	v_cndmask_b32_e64 v28, 0xffff, v47, s7
	v_cmp_o_f32_e64 s7, v29, v29
	s_delay_alu instid0(VALU_DEP_2) | instskip(NEXT) | instid1(VALU_DEP_1)
	v_xor_b32_e32 v12, v28, v12
	v_cndmask_b32_e64 v12, 0xffff, v12, s7
	s_delay_alu instid0(VALU_DEP_1) | instskip(NEXT) | instid1(VALU_DEP_1)
	v_and_b32_e32 v12, v12, v48
	v_cmp_eq_u32_e64 s7, v12, v49
	s_delay_alu instid0(VALU_DEP_1) | instskip(SKIP_1) | instid1(SALU_CYCLE_1)
	s_cmp_lg_u32 s7, 0
	s_cselect_b32 s8, -1, 0
	s_and_b32 s8, s2, s8
	s_delay_alu instid0(SALU_CYCLE_1)
	s_and_saveexec_b32 s13, s8
	s_cbranch_execz .LBB225_42
; %bb.39:                               ;   in Loop: Header=BB225_36 Depth=2
	s_mov_b32 s16, exec_lo
	s_bcnt1_i32_b32 s14, s7
	v_mbcnt_lo_u32_b32 v9, s16, 0
	s_mov_b32 s15, exec_lo
                                        ; implicit-def: $vgpr12
	s_delay_alu instid0(VALU_DEP_1)
	v_cmpx_eq_u32_e32 0, v9
	s_cbranch_execz .LBB225_41
; %bb.40:                               ;   in Loop: Header=BB225_36 Depth=2
	s_bcnt1_i32_b32 s8, s16
	s_delay_alu instid0(SALU_CYCLE_1) | instskip(NEXT) | instid1(SALU_CYCLE_1)
	s_mul_i32 s8, s14, s8
	v_mov_b32_e32 v12, s8
	ds_add_rtn_u32 v12, v13, v12 offset:5144
.LBB225_41:                             ;   in Loop: Header=BB225_36 Depth=2
	s_or_b32 exec_lo, exec_lo, s15
	s_waitcnt lgkmcnt(0)
	v_readfirstlane_b32 s8, v12
	s_delay_alu instid0(VALU_DEP_1)
	v_mad_u32_u24 v9, s14, v9, s8
.LBB225_42:                             ;   in Loop: Header=BB225_36 Depth=2
	s_or_b32 exec_lo, exec_lo, s13
	ds_bpermute_b32 v9, v13, v9
	s_and_b32 s8, exec_lo, vcc_lo
	s_delay_alu instid0(SALU_CYCLE_1)
	s_or_b32 s11, s8, s11
	s_and_saveexec_b32 s8, s7
	s_cbranch_execz .LBB225_35
; %bb.43:                               ;   in Loop: Header=BB225_36 Depth=2
	v_and_b32_e32 v12, s7, v40
	s_delay_alu instid0(VALU_DEP_1) | instskip(NEXT) | instid1(VALU_DEP_1)
	v_bcnt_u32_b32 v12, v12, 0
	v_lshlrev_b32_e32 v12, 1, v12
	s_waitcnt lgkmcnt(0)
	s_delay_alu instid0(VALU_DEP_1)
	v_lshl_add_u32 v9, v9, 1, v12
	ds_store_b16 v9, v7
	s_branch .LBB225_35
.LBB225_44:                             ;   in Loop: Header=BB225_31 Depth=1
	s_mov_b32 s7, 0
                                        ; implicit-def: $sgpr70_sgpr71
	s_cbranch_execnz .LBB225_49
	s_branch .LBB225_59
.LBB225_45:                             ;   in Loop: Header=BB225_31 Depth=1
	s_mov_b64 s[70:71], 0
	s_and_b32 vcc_lo, exec_lo, s9
	s_cbranch_vccnz .LBB225_49
	s_branch .LBB225_59
.LBB225_46:                             ;   in Loop: Header=BB225_31 Depth=1
	s_or_b32 exec_lo, exec_lo, s11
	s_waitcnt lgkmcnt(0)
	s_barrier
	buffer_gl0_inv
	s_and_saveexec_b32 s7, s5
	s_cbranch_execz .LBB225_48
; %bb.47:                               ;   in Loop: Header=BB225_31 Depth=1
	ds_load_b32 v2, v13 offset:5144
	s_waitcnt lgkmcnt(0)
	v_ashrrev_i32_e32 v3, 31, v2
	ds_store_b64 v13, v[2:3] offset:5120
.LBB225_48:                             ;   in Loop: Header=BB225_31 Depth=1
	s_or_b32 exec_lo, exec_lo, s7
	s_waitcnt lgkmcnt(0)
	s_mov_b32 s7, -1
	s_barrier
	s_mov_b64 s[70:71], 0
	s_and_b32 vcc_lo, exec_lo, s9
	s_cbranch_vccz .LBB225_59
.LBB225_49:                             ;   in Loop: Header=BB225_31 Depth=1
	v_mov_b32_e32 v6, 0
	s_and_saveexec_b32 s7, s4
	s_cbranch_execz .LBB225_51
; %bb.50:                               ;   in Loop: Header=BB225_31 Depth=1
	global_load_u16 v6, v[10:11], off
.LBB225_51:                             ;   in Loop: Header=BB225_31 Depth=1
	s_or_b32 exec_lo, exec_lo, s7
	s_and_saveexec_b32 s8, s4
	s_cbranch_execz .LBB225_56
; %bb.52:                               ;   in Loop: Header=BB225_31 Depth=1
	global_load_u16 v8, v13, s[62:63]
	s_mov_b32 s12, 0
	s_waitcnt vmcnt(0)
	v_readfirstlane_b32 s7, v8
	v_and_b32_e32 v8, 0xffff, v8
	s_delay_alu instid0(VALU_DEP_2) | instskip(NEXT) | instid1(SALU_CYCLE_1)
	s_and_b32 s7, 0xffff, s7
	v_add_nc_u32_e32 v7, s7, v0
	s_mul_i32 s10, s67, s7
	s_mul_hi_u32 s11, s66, s7
	s_lshl_b32 s9, s7, 1
	s_add_i32 s10, s11, s10
	v_mad_u64_u32 v[2:3], null, s66, v7, s[64:65]
	s_mul_i32 s11, s66, s7
	s_delay_alu instid0(VALU_DEP_1) | instskip(SKIP_1) | instid1(VALU_DEP_2)
	v_mad_u64_u32 v[4:5], null, s67, v7, v[3:4]
	v_mov_b32_e32 v7, v43
	v_mov_b32_e32 v3, v4
	v_dual_mov_b32 v5, v1 :: v_dual_mov_b32 v4, v0
	s_branch .LBB225_54
	.p2align	6
.LBB225_53:                             ;   in Loop: Header=BB225_54 Depth=2
	s_or_b32 exec_lo, exec_lo, s13
	s_delay_alu instid0(SALU_CYCLE_1)
	s_and_b32 s7, exec_lo, vcc_lo
	v_add_co_u32 v2, vcc_lo, v2, s11
	ds_store_b16 v7, v6
	s_waitcnt vmcnt(0)
	v_dual_mov_b32 v6, v9 :: v_dual_add_nc_u32 v7, s9, v7
	v_add_co_ci_u32_e32 v3, vcc_lo, s10, v3, vcc_lo
	s_or_b32 s12, s7, s12
	s_delay_alu instid0(SALU_CYCLE_1)
	s_and_not1_b32 exec_lo, exec_lo, s12
	s_cbranch_execz .LBB225_56
.LBB225_54:                             ;   Parent Loop BB225_31 Depth=1
                                        ; =>  This Inner Loop Header: Depth=2
	s_delay_alu instid0(VALU_DEP_1) | instskip(NEXT) | instid1(VALU_DEP_2)
	v_add_co_u32 v4, vcc_lo, v4, v8
	v_add_co_ci_u32_e32 v5, vcc_lo, 0, v5, vcc_lo
	v_mov_b32_e32 v9, 0
	s_mov_b32 s13, exec_lo
	s_delay_alu instid0(VALU_DEP_2)
	v_cmp_le_u64_e32 vcc_lo, s[36:37], v[4:5]
	v_cmpx_gt_u64_e64 s[36:37], v[4:5]
	s_cbranch_execz .LBB225_53
; %bb.55:                               ;   in Loop: Header=BB225_54 Depth=2
	global_load_u16 v9, v[2:3], off
	s_branch .LBB225_53
.LBB225_56:                             ;   in Loop: Header=BB225_31 Depth=1
	s_or_b32 exec_lo, exec_lo, s8
	s_waitcnt vmcnt(0) lgkmcnt(0)
	s_barrier
	buffer_gl0_inv
	s_and_saveexec_b32 s7, s5
	s_cbranch_execz .LBB225_58
; %bb.57:                               ;   in Loop: Header=BB225_31 Depth=1
	v_dual_mov_b32 v2, s36 :: v_dual_mov_b32 v3, s37
	ds_store_b64 v13, v[2:3] offset:5120
.LBB225_58:                             ;   in Loop: Header=BB225_31 Depth=1
	s_or_b32 exec_lo, exec_lo, s7
	s_mov_b32 s7, -1
	s_waitcnt lgkmcnt(0)
	s_barrier
                                        ; implicit-def: $sgpr70_sgpr71
.LBB225_59:                             ;   in Loop: Header=BB225_31 Depth=1
	s_and_b32 vcc_lo, exec_lo, s7
	s_cbranch_vccz .LBB225_61
; %bb.60:                               ;   in Loop: Header=BB225_31 Depth=1
	buffer_gl0_inv
	ds_load_b64 v[2:3], v13 offset:5120
	s_waitcnt lgkmcnt(0)
	v_readfirstlane_b32 s70, v2
.LBB225_61:                             ;   in Loop: Header=BB225_31 Depth=1
	s_delay_alu instid0(VALU_DEP_1)
	s_cmp_lt_i32 s70, 1
	s_cbranch_scc0 .LBB225_76
; %bb.62:                               ;   in Loop: Header=BB225_31 Depth=1
	global_load_u16 v2, v13, s[62:63]
	s_mov_b32 s8, s61
	s_mov_b32 s9, s37
	s_waitcnt vmcnt(0)
	v_readfirstlane_b32 s7, v2
	s_delay_alu instid0(VALU_DEP_1) | instskip(NEXT) | instid1(SALU_CYCLE_1)
	s_and_b32 s26, s7, 0xffff
	s_lshl_b32 s46, s26, 2
	s_cmp_lg_u64 s[8:9], 0
	s_cbranch_scc0 .LBB225_96
; %bb.63:                               ;   in Loop: Header=BB225_31 Depth=1
	v_cvt_f32_u32_e32 v2, s46
	s_sub_u32 s9, 0, s46
	s_subb_u32 s10, 0, 0
	s_delay_alu instid0(VALU_DEP_1) | instskip(NEXT) | instid1(VALU_DEP_1)
	v_fmac_f32_e64 v2, 0, 0x4f800000
	v_rcp_f32_e32 v2, v2
	s_waitcnt_depctr 0xfff
	v_mul_f32_e32 v2, 0x5f7ffffc, v2
	s_delay_alu instid0(VALU_DEP_1) | instskip(NEXT) | instid1(VALU_DEP_1)
	v_mul_f32_e32 v3, 0x2f800000, v2
	v_trunc_f32_e32 v3, v3
	s_delay_alu instid0(VALU_DEP_1) | instskip(SKIP_1) | instid1(VALU_DEP_2)
	v_fmac_f32_e32 v2, 0xcf800000, v3
	v_cvt_u32_f32_e32 v3, v3
	v_cvt_u32_f32_e32 v2, v2
	s_delay_alu instid0(VALU_DEP_2) | instskip(NEXT) | instid1(VALU_DEP_2)
	v_readfirstlane_b32 s7, v3
	v_readfirstlane_b32 s8, v2
	s_delay_alu instid0(VALU_DEP_2) | instskip(NEXT) | instid1(VALU_DEP_1)
	s_mul_i32 s11, s9, s7
	s_mul_hi_u32 s13, s9, s8
	s_mul_i32 s12, s10, s8
	s_add_i32 s11, s13, s11
	s_mul_i32 s14, s9, s8
	s_add_i32 s11, s11, s12
	s_mul_hi_u32 s13, s8, s14
	s_mul_hi_u32 s15, s7, s14
	s_mul_i32 s12, s7, s14
	s_mul_hi_u32 s14, s8, s11
	s_mul_i32 s8, s8, s11
	s_mul_hi_u32 s16, s7, s11
	s_add_u32 s8, s13, s8
	s_addc_u32 s13, 0, s14
	s_add_u32 s8, s8, s12
	s_mul_i32 s11, s7, s11
	s_addc_u32 s8, s13, s15
	s_addc_u32 s12, s16, 0
	s_add_u32 s8, s8, s11
	s_addc_u32 s11, 0, s12
	v_add_co_u32 v2, s8, v2, s8
	s_delay_alu instid0(VALU_DEP_1) | instskip(SKIP_1) | instid1(VALU_DEP_1)
	s_cmp_lg_u32 s8, 0
	s_addc_u32 s7, s7, s11
	v_readfirstlane_b32 s8, v2
	s_mul_i32 s11, s9, s7
	s_delay_alu instid0(VALU_DEP_1)
	s_mul_hi_u32 s12, s9, s8
	s_mul_i32 s10, s10, s8
	s_add_i32 s11, s12, s11
	s_mul_i32 s9, s9, s8
	s_add_i32 s11, s11, s10
	s_mul_hi_u32 s12, s7, s9
	s_mul_i32 s13, s7, s9
	s_mul_hi_u32 s9, s8, s9
	s_mul_hi_u32 s14, s8, s11
	s_mul_i32 s8, s8, s11
	s_mul_hi_u32 s10, s7, s11
	s_add_u32 s8, s9, s8
	s_addc_u32 s9, 0, s14
	s_add_u32 s8, s8, s13
	s_mul_i32 s11, s7, s11
	s_addc_u32 s8, s9, s12
	s_addc_u32 s9, s10, 0
	s_add_u32 s8, s8, s11
	s_addc_u32 s9, 0, s9
	v_add_co_u32 v2, s8, v2, s8
	s_delay_alu instid0(VALU_DEP_1) | instskip(SKIP_1) | instid1(VALU_DEP_1)
	s_cmp_lg_u32 s8, 0
	s_addc_u32 s7, s7, s9
	v_readfirstlane_b32 s8, v2
	s_mul_i32 s10, s36, s7
	s_mul_hi_u32 s9, s36, s7
	s_mul_hi_u32 s11, s37, s7
	s_mul_i32 s7, s37, s7
	s_mul_hi_u32 s12, s36, s8
	s_mul_hi_u32 s13, s37, s8
	s_mul_i32 s8, s37, s8
	s_add_u32 s10, s12, s10
	s_addc_u32 s9, 0, s9
	s_add_u32 s8, s10, s8
	s_addc_u32 s8, s9, s13
	s_addc_u32 s9, s11, 0
	s_add_u32 s7, s8, s7
	s_addc_u32 s8, 0, s9
	s_mul_hi_u32 s9, s46, s7
	s_mul_i32 s7, s46, s7
	s_mul_i32 s8, s46, s8
	v_sub_co_u32 v2, s7, s36, s7
	s_add_i32 s9, s9, s8
	s_cmp_lg_u32 s7, 0
	s_delay_alu instid0(VALU_DEP_1) | instskip(SKIP_2) | instid1(VALU_DEP_1)
	v_sub_co_u32 v3, s7, v2, s46
	s_subb_u32 s8, s37, s9
	s_cmp_lg_u32 s7, 0
	v_cmp_le_u32_e32 vcc_lo, s46, v3
	v_sub_co_u32 v4, s7, v3, s46
	s_subb_u32 s9, s8, 0
	s_cmp_lg_u32 s7, 0
	v_cndmask_b32_e64 v5, 0, -1, vcc_lo
	s_subb_u32 s7, s9, 0
	s_cmp_eq_u32 s9, 0
	v_mov_b32_e32 v7, s7
	s_cselect_b32 vcc_lo, -1, 0
	s_cmp_eq_u32 s8, 0
	v_cndmask_b32_e32 v5, -1, v5, vcc_lo
	v_cmp_le_u32_e32 vcc_lo, s46, v2
	s_cselect_b32 s7, -1, 0
	v_cndmask_b32_e64 v6, 0, -1, vcc_lo
	s_delay_alu instid0(VALU_DEP_3) | instskip(NEXT) | instid1(VALU_DEP_2)
	v_cmp_ne_u32_e32 vcc_lo, 0, v5
	v_cndmask_b32_e64 v5, -1, v6, s7
	v_cndmask_b32_e32 v6, s9, v7, vcc_lo
	v_cndmask_b32_e32 v4, v3, v4, vcc_lo
	s_delay_alu instid0(VALU_DEP_3) | instskip(NEXT) | instid1(VALU_DEP_3)
	v_cmp_ne_u32_e32 vcc_lo, 0, v5
	v_cndmask_b32_e32 v3, s8, v6, vcc_lo
	s_delay_alu instid0(VALU_DEP_3)
	v_cndmask_b32_e32 v2, v2, v4, vcc_lo
	s_cbranch_execnz .LBB225_65
.LBB225_64:                             ;   in Loop: Header=BB225_31 Depth=1
	v_cvt_f32_u32_e32 v2, s46
	s_sub_i32 s7, 0, s46
	s_delay_alu instid0(VALU_DEP_1) | instskip(SKIP_2) | instid1(VALU_DEP_1)
	v_rcp_iflag_f32_e32 v2, v2
	s_waitcnt_depctr 0xfff
	v_mul_f32_e32 v2, 0x4f7ffffe, v2
	v_cvt_u32_f32_e32 v2, v2
	s_delay_alu instid0(VALU_DEP_1) | instskip(NEXT) | instid1(VALU_DEP_1)
	v_mul_lo_u32 v3, s7, v2
	v_mul_hi_u32 v3, v2, v3
	s_delay_alu instid0(VALU_DEP_1) | instskip(NEXT) | instid1(VALU_DEP_1)
	v_add_nc_u32_e32 v2, v2, v3
	v_mul_hi_u32 v2, s36, v2
	s_delay_alu instid0(VALU_DEP_1) | instskip(NEXT) | instid1(VALU_DEP_1)
	v_mul_lo_u32 v2, v2, s46
	v_sub_nc_u32_e32 v2, s36, v2
	s_delay_alu instid0(VALU_DEP_1) | instskip(SKIP_1) | instid1(VALU_DEP_2)
	v_subrev_nc_u32_e32 v3, s46, v2
	v_cmp_le_u32_e32 vcc_lo, s46, v2
	v_cndmask_b32_e32 v2, v2, v3, vcc_lo
	s_delay_alu instid0(VALU_DEP_1) | instskip(SKIP_1) | instid1(VALU_DEP_2)
	v_subrev_nc_u32_e32 v3, s46, v2
	v_cmp_le_u32_e32 vcc_lo, s46, v2
	v_cndmask_b32_e32 v12, v2, v3, vcc_lo
	s_delay_alu instid0(VALU_DEP_1)
	v_dual_mov_b32 v2, v12 :: v_dual_mov_b32 v3, v13
.LBB225_65:                             ;   in Loop: Header=BB225_31 Depth=1
	s_delay_alu instid0(VALU_DEP_1) | instskip(NEXT) | instid1(VALU_DEP_2)
	v_sub_co_u32 v28, vcc_lo, s36, v2
	v_sub_co_ci_u32_e32 v29, vcc_lo, s37, v3, vcc_lo
	v_mov_b32_e32 v2, 0
	v_mov_b32_e32 v3, 0
	s_mov_b64 s[72:73], 0
	s_mov_b32 s47, exec_lo
	s_delay_alu instid0(VALU_DEP_1)
	v_dual_mov_b32 v5, v3 :: v_dual_mov_b32 v4, v2
	v_dual_mov_b32 v7, v3 :: v_dual_mov_b32 v6, v2
	;; [unrolled: 1-line block ×3, first 2 shown]
	v_cmpx_gt_u64_e64 v[28:29], v[14:15]
	s_cbranch_execz .LBB225_69
; %bb.66:                               ;   in Loop: Header=BB225_31 Depth=1
	v_dual_mov_b32 v31, v23 :: v_dual_mov_b32 v30, v22
	v_dual_mov_b32 v33, v21 :: v_dual_mov_b32 v32, v20
	;; [unrolled: 1-line block ×5, first 2 shown]
	s_mul_i32 s7, s69, s26
	s_mul_hi_u32 s8, s68, s26
	s_and_b32 s58, s94, 0xfe
	s_add_i32 s59, s8, s7
	s_mul_i32 s60, s68, s26
	s_mov_b32 s71, 0
	s_mov_b64 s[74:75], 0
	s_mov_b64 s[76:77], 0
	s_mov_b64 s[78:79], 0
.LBB225_67:                             ;   Parent Loop BB225_31 Depth=1
                                        ; =>  This Inner Loop Header: Depth=2
	v_add_co_u32 v2, vcc_lo, v30, s48
	v_add_co_ci_u32_e32 v3, vcc_lo, s49, v31, vcc_lo
	global_load_u16 v4, v[2:3], off
	v_add_co_u32 v2, vcc_lo, v32, s48
	v_add_co_ci_u32_e32 v3, vcc_lo, s49, v33, vcc_lo
	global_load_u16 v5, v[2:3], off
	;; [unrolled: 3-line block ×4, first 2 shown]
	s_waitcnt vmcnt(3)
	v_cmp_lt_i16_e64 s10, -1, v4
	s_waitcnt vmcnt(2)
	v_lshlrev_b32_e32 v3, 16, v5
	s_delay_alu instid0(VALU_DEP_1) | instskip(SKIP_2) | instid1(VALU_DEP_1)
	v_cmp_o_f32_e32 vcc_lo, v3, v3
	s_waitcnt vmcnt(1)
	v_lshlrev_b32_e32 v3, 16, v6
	v_cmp_o_f32_e64 s7, v3, v3
	s_waitcnt vmcnt(0)
	v_lshlrev_b32_e32 v3, 16, v2
	s_delay_alu instid0(VALU_DEP_1) | instskip(SKIP_1) | instid1(VALU_DEP_1)
	v_cmp_o_f32_e64 s8, v3, v3
	v_lshlrev_b32_e32 v3, 16, v4
	v_cmp_o_f32_e64 s9, v3, v3
	v_and_b32_e32 v3, 0xffff, v4
	v_cndmask_b32_e64 v4, 0xffff, v47, s10
	v_cmp_lt_i16_e64 s10, -1, v5
	s_delay_alu instid0(VALU_DEP_2) | instskip(SKIP_1) | instid1(VALU_DEP_3)
	v_xor_b32_e32 v3, v4, v3
	v_and_b32_e32 v4, 0xffff, v5
	v_cndmask_b32_e64 v5, 0xffff, v47, s10
	v_cmp_lt_i16_e64 s10, -1, v6
	s_delay_alu instid0(VALU_DEP_4) | instskip(NEXT) | instid1(VALU_DEP_3)
	v_cndmask_b32_e64 v3, 0xffff, v3, s9
	v_xor_b32_e32 v4, v5, v4
	v_and_b32_e32 v5, 0xffff, v6
	s_delay_alu instid0(VALU_DEP_4) | instskip(SKIP_3) | instid1(VALU_DEP_4)
	v_cndmask_b32_e64 v6, 0xffff, v47, s10
	v_cmp_lt_i16_e64 s10, -1, v2
	v_and_b32_e32 v2, 0xffff, v2
	v_cndmask_b32_e32 v4, 0xffff, v4, vcc_lo
	v_xor_b32_e32 v5, v6, v5
	s_delay_alu instid0(VALU_DEP_4) | instskip(NEXT) | instid1(VALU_DEP_2)
	v_cndmask_b32_e64 v6, 0xffff, v47, s10
	v_cndmask_b32_e64 v5, 0xffff, v5, s7
	s_delay_alu instid0(VALU_DEP_2) | instskip(SKIP_2) | instid1(VALU_DEP_3)
	v_xor_b32_e32 v2, v6, v2
	v_and_b32_e32 v6, v3, v48
	v_bfe_u32 v3, v3, s58, 2
	v_cndmask_b32_e64 v2, 0xffff, v2, s8
	s_delay_alu instid0(VALU_DEP_3) | instskip(SKIP_1) | instid1(VALU_DEP_4)
	v_cmp_eq_u32_e64 s9, v6, v49
	v_and_b32_e32 v6, v4, v48
	v_cmp_eq_u32_e64 s10, 0, v3
	v_cmp_eq_u32_e64 s11, 1, v3
	;; [unrolled: 1-line block ×4, first 2 shown]
	v_cmp_eq_u32_e32 vcc_lo, v6, v49
	v_and_b32_e32 v6, v5, v48
	v_bfe_u32 v3, v4, s58, 2
	s_and_b32 s10, s9, s10
	s_delay_alu instid0(VALU_DEP_2)
	v_cmp_eq_u32_e64 s7, v6, v49
	v_and_b32_e32 v6, v2, v48
	v_bfe_u32 v2, v2, s58, 2
	v_cmp_eq_u32_e64 s14, 0, v3
	v_cmp_eq_u32_e64 s15, 1, v3
	;; [unrolled: 1-line block ×4, first 2 shown]
	v_bfe_u32 v3, v5, s58, 2
	v_cmp_eq_u32_e64 s22, 0, v2
	v_cmp_eq_u32_e64 s23, 1, v2
	;; [unrolled: 1-line block ×4, first 2 shown]
	v_cndmask_b32_e64 v2, 0, 1, s10
	v_cmp_eq_u32_e64 s18, 0, v3
	s_and_b32 s14, vcc_lo, s14
	v_cmp_eq_u32_e64 s8, v6, v49
	v_cmp_eq_u32_e64 s19, 1, v3
	v_cmp_ne_u32_e64 s10, 0, v2
	v_cndmask_b32_e64 v2, 0, 1, s14
	s_and_b32 s18, s7, s18
	s_and_b32 s22, s8, s22
	v_cmp_eq_u32_e64 s20, 2, v3
	s_bcnt1_i32_b32 s10, s10
	v_cmp_ne_u32_e64 s14, 0, v2
	v_cndmask_b32_e64 v2, 0, 1, s18
	v_cmp_eq_u32_e64 s21, 3, v3
	s_delay_alu instid0(VALU_DEP_3) | instskip(NEXT) | instid1(VALU_DEP_2)
	s_bcnt1_i32_b32 s14, s14
	v_cmp_ne_u32_e64 s18, 0, v2
	v_cndmask_b32_e64 v2, 0, 1, s22
	s_add_i32 s10, s14, s10
	s_delay_alu instid0(VALU_DEP_2) | instskip(NEXT) | instid1(VALU_DEP_1)
	s_bcnt1_i32_b32 s18, s18
	v_cmp_ne_u32_e64 s22, 0, v2
	s_add_i32 s10, s10, s18
	s_delay_alu instid0(VALU_DEP_1) | instskip(NEXT) | instid1(SALU_CYCLE_1)
	s_bcnt1_i32_b32 s22, s22
	s_add_i32 s10, s10, s22
	s_delay_alu instid0(SALU_CYCLE_1)
	s_add_u32 s78, s78, s10
	s_addc_u32 s79, s79, 0
	s_and_b32 s10, s9, s11
	s_and_b32 s11, vcc_lo, s15
	v_cndmask_b32_e64 v2, 0, 1, s10
	s_and_b32 s14, s7, s19
	s_and_b32 s15, s8, s23
	s_delay_alu instid0(VALU_DEP_1) | instskip(SKIP_1) | instid1(VALU_DEP_2)
	v_cmp_ne_u32_e64 s10, 0, v2
	v_cndmask_b32_e64 v2, 0, 1, s11
	s_bcnt1_i32_b32 s10, s10
	s_delay_alu instid0(VALU_DEP_1) | instskip(SKIP_1) | instid1(VALU_DEP_2)
	v_cmp_ne_u32_e64 s11, 0, v2
	v_cndmask_b32_e64 v2, 0, 1, s14
	s_bcnt1_i32_b32 s11, s11
	s_delay_alu instid0(VALU_DEP_1) | instskip(SKIP_2) | instid1(VALU_DEP_2)
	v_cmp_ne_u32_e64 s14, 0, v2
	v_cndmask_b32_e64 v2, 0, 1, s15
	s_add_i32 s10, s11, s10
	s_bcnt1_i32_b32 s14, s14
	s_delay_alu instid0(VALU_DEP_1) | instskip(SKIP_1) | instid1(VALU_DEP_1)
	v_cmp_ne_u32_e64 s15, 0, v2
	s_add_i32 s10, s10, s14
	s_bcnt1_i32_b32 s15, s15
	s_delay_alu instid0(SALU_CYCLE_1) | instskip(NEXT) | instid1(SALU_CYCLE_1)
	s_add_i32 s10, s10, s15
	s_add_u32 s76, s76, s10
	s_addc_u32 s77, s77, 0
	s_and_b32 s10, s9, s12
	s_and_b32 s11, vcc_lo, s16
	v_cndmask_b32_e64 v2, 0, 1, s10
	s_and_b32 s12, s7, s20
	s_and_b32 s14, s8, s24
	v_dual_mov_b32 v4, s76 :: v_dual_mov_b32 v5, s77
	s_delay_alu instid0(VALU_DEP_2) | instskip(SKIP_1) | instid1(VALU_DEP_2)
	v_cmp_ne_u32_e64 s10, 0, v2
	v_cndmask_b32_e64 v2, 0, 1, s11
	s_bcnt1_i32_b32 s10, s10
	s_delay_alu instid0(VALU_DEP_1) | instskip(SKIP_1) | instid1(VALU_DEP_2)
	v_cmp_ne_u32_e64 s11, 0, v2
	v_cndmask_b32_e64 v2, 0, 1, s12
	s_bcnt1_i32_b32 s11, s11
	s_delay_alu instid0(VALU_DEP_1) | instskip(SKIP_3) | instid1(VALU_DEP_3)
	v_cmp_ne_u32_e64 s12, 0, v2
	v_cndmask_b32_e64 v2, 0, 1, s14
	s_add_i32 s10, s11, s10
	v_add_co_u32 v36, s11, v36, s60
	s_bcnt1_i32_b32 s12, s12
	s_delay_alu instid0(VALU_DEP_2) | instskip(SKIP_2) | instid1(VALU_DEP_2)
	v_cmp_ne_u32_e64 s14, 0, v2
	s_add_i32 s10, s10, s12
	v_add_co_u32 v34, s12, v34, s60
	s_bcnt1_i32_b32 s14, s14
	s_delay_alu instid0(SALU_CYCLE_1)
	s_add_i32 s10, s10, s14
	v_add_co_u32 v30, s14, v30, s60
	s_add_u32 s74, s74, s10
	s_addc_u32 s75, s75, 0
	s_and_b32 s9, s9, s13
	s_and_b32 s10, vcc_lo, s17
	v_cndmask_b32_e64 v2, 0, 1, s9
	s_and_b32 s7, s7, s21
	s_and_b32 s8, s8, s25
	v_add_co_u32 v32, s13, v32, s60
	s_delay_alu instid0(VALU_DEP_2) | instskip(SKIP_2) | instid1(VALU_DEP_1)
	v_cmp_ne_u32_e64 s9, 0, v2
	v_cndmask_b32_e64 v2, 0, 1, s10
	v_add_co_u32 v38, s10, v38, s46
	v_add_co_ci_u32_e64 v39, s10, 0, v39, s10
	s_delay_alu instid0(VALU_DEP_3) | instskip(SKIP_4) | instid1(VALU_DEP_2)
	v_cmp_ne_u32_e32 vcc_lo, 0, v2
	v_cndmask_b32_e64 v2, 0, 1, s7
	v_add_co_ci_u32_e64 v37, s10, s59, v37, s11
	s_bcnt1_i32_b32 s9, s9
	s_bcnt1_i32_b32 s11, vcc_lo
	v_cmp_ne_u32_e64 s7, 0, v2
	v_cndmask_b32_e64 v2, 0, 1, s8
	s_add_i32 s9, s11, s9
	v_add_co_ci_u32_e64 v35, s10, s59, v35, s12
	s_delay_alu instid0(VALU_DEP_3) | instskip(NEXT) | instid1(VALU_DEP_2)
	s_bcnt1_i32_b32 s7, s7
	v_cmp_ne_u32_e64 s8, 0, v2
	s_add_i32 s7, s9, s7
	v_add_co_ci_u32_e64 v33, s10, s59, v33, s13
	v_add_co_ci_u32_e64 v31, s10, s59, v31, s14
	s_delay_alu instid0(VALU_DEP_3)
	s_bcnt1_i32_b32 s8, s8
	v_cmp_ge_u64_e64 s10, v[38:39], v[28:29]
	s_add_i32 s7, s7, s8
	v_mov_b32_e32 v2, s78
	s_add_u32 s72, s72, s7
	s_addc_u32 s73, s73, 0
	v_mov_b32_e32 v6, s74
	v_dual_mov_b32 v8, s72 :: v_dual_mov_b32 v9, s73
	v_mov_b32_e32 v3, s79
	v_mov_b32_e32 v7, s75
	s_or_b32 s71, s10, s71
	s_delay_alu instid0(SALU_CYCLE_1)
	s_and_not1_b32 exec_lo, exec_lo, s71
	s_cbranch_execnz .LBB225_67
; %bb.68:                               ;   in Loop: Header=BB225_31 Depth=1
	s_or_b32 exec_lo, exec_lo, s71
.LBB225_69:                             ;   in Loop: Header=BB225_31 Depth=1
	s_delay_alu instid0(SALU_CYCLE_1) | instskip(SKIP_3) | instid1(VALU_DEP_2)
	s_or_b32 exec_lo, exec_lo, s47
	v_add_co_u32 v28, vcc_lo, v28, v0
	v_add_co_ci_u32_e32 v29, vcc_lo, 0, v29, vcc_lo
	v_mov_b32_e32 v30, 0
	v_cmp_gt_u64_e32 vcc_lo, s[36:37], v[28:29]
	s_and_saveexec_b32 s8, vcc_lo
	s_cbranch_execz .LBB225_71
; %bb.70:                               ;   in Loop: Header=BB225_31 Depth=1
	v_mul_lo_u32 v12, v29, s30
	v_mul_lo_u32 v32, v28, s31
	v_mad_u64_u32 v[30:31], null, v28, s30, 0
	s_delay_alu instid0(VALU_DEP_1) | instskip(NEXT) | instid1(VALU_DEP_1)
	v_add3_u32 v31, v31, v32, v12
	v_lshlrev_b64 v[30:31], 1, v[30:31]
	s_delay_alu instid0(VALU_DEP_1) | instskip(NEXT) | instid1(VALU_DEP_1)
	v_add_co_u32 v30, s7, s80, v30
	v_add_co_ci_u32_e64 v31, s7, s81, v31, s7
	global_load_u16 v30, v[30:31], off
.LBB225_71:                             ;   in Loop: Header=BB225_31 Depth=1
	s_or_b32 exec_lo, exec_lo, s8
	s_and_saveexec_b32 s11, vcc_lo
	s_cbranch_execz .LBB225_78
; %bb.72:                               ;   in Loop: Header=BB225_31 Depth=1
	s_and_b32 s13, s94, 0xfe
	s_mov_b32 s12, 0
	s_branch .LBB225_74
.LBB225_73:                             ;   in Loop: Header=BB225_74 Depth=2
	s_or_b32 exec_lo, exec_lo, s8
	s_waitcnt vmcnt(0)
	v_cmp_lt_i16_e64 s7, -1, v30
	v_and_b32_e32 v31, 0xffff, v30
	v_lshlrev_b32_e32 v30, 16, v30
	s_and_b32 s9, exec_lo, vcc_lo
	s_delay_alu instid0(SALU_CYCLE_1) | instskip(SKIP_1) | instid1(VALU_DEP_2)
	s_or_b32 s12, s9, s12
	v_cndmask_b32_e64 v32, 0xffff, v47, s7
	v_cmp_o_f32_e64 s7, v30, v30
	s_delay_alu instid0(VALU_DEP_2) | instskip(NEXT) | instid1(VALU_DEP_1)
	v_xor_b32_e32 v31, v32, v31
	v_cndmask_b32_e64 v30, 0xffff, v31, s7
	s_delay_alu instid0(VALU_DEP_1) | instskip(SKIP_1) | instid1(VALU_DEP_2)
	v_and_b32_e32 v31, v30, v48
	v_bfe_u32 v30, v30, s13, 2
	v_cmp_eq_u32_e64 s7, v31, v49
	s_delay_alu instid0(VALU_DEP_2) | instskip(SKIP_2) | instid1(VALU_DEP_3)
	v_cmp_eq_u32_e64 s8, 0, v30
	v_cmp_eq_u32_e32 vcc_lo, 1, v30
	v_cmp_eq_u32_e64 s9, 2, v30
	s_and_b32 s8, s7, s8
	s_delay_alu instid0(SALU_CYCLE_1) | instskip(SKIP_4) | instid1(SALU_CYCLE_1)
	v_cndmask_b32_e64 v31, 0, 1, s8
	s_and_b32 s8, s7, vcc_lo
	v_cmp_eq_u32_e32 vcc_lo, 3, v30
	v_cndmask_b32_e64 v32, 0, 1, s8
	s_and_b32 s8, s7, s9
	v_cndmask_b32_e64 v33, 0, 1, s8
	v_cmp_ne_u32_e64 s8, 0, v31
	s_delay_alu instid0(VALU_DEP_3) | instskip(SKIP_1) | instid1(SALU_CYCLE_1)
	v_cmp_ne_u32_e64 s9, 0, v32
	s_and_b32 s7, s7, vcc_lo
	v_cndmask_b32_e64 v30, 0, 1, s7
	s_delay_alu instid0(VALU_DEP_3)
	s_bcnt1_i32_b32 s7, s8
	v_cmp_ne_u32_e64 s10, 0, v33
	v_add_co_u32 v2, vcc_lo, v2, s7
	s_bcnt1_i32_b32 s8, s9
	v_add_co_ci_u32_e32 v3, vcc_lo, 0, v3, vcc_lo
	v_add_co_u32 v4, vcc_lo, v4, s8
	v_add_co_ci_u32_e32 v5, vcc_lo, 0, v5, vcc_lo
	s_bcnt1_i32_b32 s9, s10
	v_cmp_ne_u32_e32 vcc_lo, 0, v30
	v_mov_b32_e32 v30, v12
	v_add_co_u32 v6, s7, v6, s9
	s_delay_alu instid0(VALU_DEP_1) | instskip(SKIP_1) | instid1(SALU_CYCLE_1)
	v_add_co_ci_u32_e64 v7, s7, 0, v7, s7
	s_bcnt1_i32_b32 s7, vcc_lo
	v_add_co_u32 v8, vcc_lo, v8, s7
	v_add_co_ci_u32_e32 v9, vcc_lo, 0, v9, vcc_lo
	s_and_not1_b32 exec_lo, exec_lo, s12
	s_cbranch_execz .LBB225_77
.LBB225_74:                             ;   Parent Loop BB225_31 Depth=1
                                        ; =>  This Inner Loop Header: Depth=2
	v_add_co_u32 v28, vcc_lo, v28, s26
	v_add_co_ci_u32_e32 v29, vcc_lo, 0, v29, vcc_lo
	v_mov_b32_e32 v12, 0
	s_mov_b32 s8, exec_lo
	s_delay_alu instid0(VALU_DEP_2)
	v_cmp_le_u64_e32 vcc_lo, s[36:37], v[28:29]
	v_cmpx_gt_u64_e64 s[36:37], v[28:29]
	s_cbranch_execz .LBB225_73
; %bb.75:                               ;   in Loop: Header=BB225_74 Depth=2
	v_mul_lo_u32 v12, v29, s30
	v_mul_lo_u32 v33, v28, s31
	v_mad_u64_u32 v[31:32], null, v28, s30, 0
	s_delay_alu instid0(VALU_DEP_1) | instskip(NEXT) | instid1(VALU_DEP_1)
	v_add3_u32 v32, v32, v33, v12
	v_lshlrev_b64 v[31:32], 1, v[31:32]
	s_delay_alu instid0(VALU_DEP_1) | instskip(NEXT) | instid1(VALU_DEP_1)
	v_add_co_u32 v31, s7, s80, v31
	v_add_co_ci_u32_e64 v32, s7, s81, v32, s7
	global_load_u16 v12, v[31:32], off
	s_branch .LBB225_73
.LBB225_76:                             ;   in Loop: Header=BB225_31 Depth=1
                                        ; implicit-def: $vgpr8_vgpr9
                                        ; implicit-def: $vgpr4_vgpr5
	s_cbranch_execnz .LBB225_79
	s_branch .LBB225_88
.LBB225_77:                             ;   in Loop: Header=BB225_31 Depth=1
	s_or_b32 exec_lo, exec_lo, s12
.LBB225_78:                             ;   in Loop: Header=BB225_31 Depth=1
	s_delay_alu instid0(SALU_CYCLE_1)
	s_or_b32 exec_lo, exec_lo, s11
	s_branch .LBB225_88
.LBB225_79:                             ;   in Loop: Header=BB225_31 Depth=1
	global_load_u16 v8, v13, s[62:63]
	s_mov_b64 s[72:73], 0
	s_mov_b32 s47, exec_lo
	s_waitcnt vmcnt(0)
	v_readfirstlane_b32 s7, v8
	v_and_b32_e32 v30, 0xffff, v8
	s_delay_alu instid0(VALU_DEP_2) | instskip(NEXT) | instid1(SALU_CYCLE_1)
	s_and_b32 s7, 0xffff, s7
	s_lshl_b32 s46, s7, 2
	s_delay_alu instid0(SALU_CYCLE_1) | instskip(SKIP_1) | instid1(VALU_DEP_1)
	v_cvt_f32_u32_e32 v2, s46
	s_sub_i32 s8, 0, s46
	v_rcp_iflag_f32_e32 v2, v2
	s_waitcnt_depctr 0xfff
	v_mul_f32_e32 v2, 0x4f7ffffe, v2
	s_delay_alu instid0(VALU_DEP_1) | instskip(NEXT) | instid1(VALU_DEP_1)
	v_cvt_u32_f32_e32 v2, v2
	v_readfirstlane_b32 s7, v2
	v_mov_b32_e32 v2, 0
	v_mov_b32_e32 v3, 0
	s_delay_alu instid0(VALU_DEP_3) | instskip(NEXT) | instid1(VALU_DEP_1)
	s_mul_i32 s8, s8, s7
	v_dual_mov_b32 v5, v3 :: v_dual_mov_b32 v4, v2
	s_mul_hi_u32 s8, s7, s8
	v_dual_mov_b32 v7, v3 :: v_dual_mov_b32 v6, v2
	s_add_i32 s7, s7, s8
	v_dual_mov_b32 v9, v3 :: v_dual_mov_b32 v8, v2
	s_mul_hi_u32 s7, s70, s7
	s_delay_alu instid0(SALU_CYCLE_1) | instskip(NEXT) | instid1(SALU_CYCLE_1)
	s_mul_i32 s7, s7, s46
	s_sub_i32 s7, s70, s7
	s_delay_alu instid0(SALU_CYCLE_1) | instskip(SKIP_2) | instid1(SALU_CYCLE_1)
	s_sub_i32 s8, s7, s46
	s_cmp_ge_u32 s7, s46
	s_cselect_b32 s7, s8, s7
	s_sub_i32 s8, s7, s46
	s_cmp_ge_u32 s7, s46
	s_cselect_b32 s7, s8, s7
	s_delay_alu instid0(SALU_CYCLE_1) | instskip(NEXT) | instid1(SALU_CYCLE_1)
	s_sub_i32 s60, s70, s7
	v_cmpx_gt_u32_e64 s60, v14
	s_cbranch_execz .LBB225_83
; %bb.80:                               ;   in Loop: Header=BB225_31 Depth=1
	v_dual_mov_b32 v31, v45 :: v_dual_lshlrev_b32 v12, 3, v30
	v_dual_mov_b32 v29, v15 :: v_dual_mov_b32 v28, v14
	s_and_b32 s58, s94, 0xfe
	s_mov_b32 s59, 0
	s_mov_b64 s[74:75], 0
	s_mov_b64 s[76:77], 0
	;; [unrolled: 1-line block ×3, first 2 shown]
.LBB225_81:                             ;   Parent Loop BB225_31 Depth=1
                                        ; =>  This Inner Loop Header: Depth=2
	ds_load_b64 v[2:3], v31
	v_add_co_u32 v28, s10, v28, s46
	s_delay_alu instid0(VALU_DEP_1) | instskip(NEXT) | instid1(VALU_DEP_1)
	v_add_co_ci_u32_e64 v29, s10, 0, v29, s10
	v_cmp_le_u64_e64 s10, s[60:61], v[28:29]
	s_waitcnt lgkmcnt(0)
	v_lshrrev_b32_e32 v4, 16, v2
	v_lshrrev_b32_e32 v5, 16, v3
	v_cmp_lt_i16_e32 vcc_lo, -1, v2
	v_cmp_lt_i16_e64 s7, -1, v3
	v_lshlrev_b32_e32 v7, 16, v3
	v_and_b32_e32 v9, 0xffff, v3
	v_and_b32_e32 v3, 0xffff0000, v3
	;; [unrolled: 1-line block ×3, first 2 shown]
	v_lshlrev_b32_e32 v8, 16, v2
	v_and_b32_e32 v2, 0xffff0000, v2
	v_cmp_o_f32_e64 s8, v7, v7
	v_cmp_o_f32_e64 s11, v3, v3
	v_cndmask_b32_e32 v3, 0xffff, v47, vcc_lo
	v_cmp_lt_i16_e32 vcc_lo, -1, v4
	v_cmp_o_f32_e64 s12, v2, v2
	v_cndmask_b32_e64 v2, 0xffff, v47, s7
	v_cmp_lt_i16_e64 s7, -1, v5
	v_cmp_o_f32_e64 s9, v8, v8
	v_add_nc_u32_e32 v31, v31, v12
	v_xor_b32_e32 v3, v3, v6
	v_cndmask_b32_e32 v6, 0xffff, v47, vcc_lo
	v_xor_b32_e32 v2, v2, v9
	v_cndmask_b32_e64 v7, 0xffff, v47, s7
	s_delay_alu instid0(VALU_DEP_4) | instskip(NEXT) | instid1(VALU_DEP_4)
	v_cndmask_b32_e64 v3, 0xffff, v3, s9
	v_xor_b32_e32 v4, v6, v4
	s_delay_alu instid0(VALU_DEP_4) | instskip(NEXT) | instid1(VALU_DEP_4)
	v_cndmask_b32_e64 v2, 0xffff, v2, s8
	v_xor_b32_e32 v5, v7, v5
	s_delay_alu instid0(VALU_DEP_4) | instskip(NEXT) | instid1(VALU_DEP_4)
	v_and_b32_e32 v6, v3, v48
	v_cndmask_b32_e64 v4, 0xffff, v4, s12
	s_delay_alu instid0(VALU_DEP_4) | instskip(NEXT) | instid1(VALU_DEP_4)
	v_and_b32_e32 v7, v2, v48
	v_cndmask_b32_e64 v5, 0xffff, v5, s11
	v_bfe_u32 v3, v3, s58, 2
	v_cmp_eq_u32_e32 vcc_lo, v6, v49
	v_and_b32_e32 v6, v4, v48
	v_bfe_u32 v4, v4, s58, 2
	v_bfe_u32 v2, v2, s58, 2
	v_cmp_eq_u32_e64 s7, v7, v49
	v_and_b32_e32 v7, v5, v48
	v_bfe_u32 v5, v5, s58, 2
	v_cmp_eq_u32_e64 s8, 0, v3
	v_cmp_eq_u32_e64 s17, v6, v49
	v_cmp_eq_u32_e64 s19, 0, v4
	v_cmp_eq_u32_e64 s9, 0, v2
	v_cmp_eq_u32_e64 s18, v7, v49
	v_cmp_eq_u32_e64 s20, 0, v5
	s_and_b32 s25, vcc_lo, s8
	s_and_b32 s19, s17, s19
	v_cmp_eq_u32_e64 s12, 1, v2
	v_cmp_eq_u32_e64 s14, 2, v2
	;; [unrolled: 1-line block ×3, first 2 shown]
	s_and_b32 s26, s7, s9
	v_cmp_eq_u32_e64 s8, 1, v4
	v_cmp_eq_u32_e64 s21, 2, v4
	;; [unrolled: 1-line block ×3, first 2 shown]
	v_cndmask_b32_e64 v2, 0, 1, s25
	v_cndmask_b32_e64 v4, 0, 1, s19
	v_cmp_eq_u32_e64 s11, 1, v3
	v_cmp_eq_u32_e64 s13, 2, v3
	;; [unrolled: 1-line block ×3, first 2 shown]
	v_cndmask_b32_e64 v3, 0, 1, s26
	s_and_b32 s20, s18, s20
	v_cmp_eq_u32_e64 s9, 1, v5
	v_cmp_eq_u32_e64 s22, 2, v5
	;; [unrolled: 1-line block ×3, first 2 shown]
	v_cndmask_b32_e64 v5, 0, 1, s20
	v_cmp_ne_u32_e64 s19, 0, v2
	v_cmp_ne_u32_e64 s25, 0, v4
	;; [unrolled: 1-line block ×3, first 2 shown]
	s_delay_alu instid0(VALU_DEP_4) | instskip(NEXT) | instid1(VALU_DEP_4)
	v_cmp_ne_u32_e64 s26, 0, v5
	s_bcnt1_i32_b32 s19, s19
	s_delay_alu instid0(VALU_DEP_3) | instskip(NEXT) | instid1(VALU_DEP_2)
	s_bcnt1_i32_b32 s25, s25
	s_bcnt1_i32_b32 s20, s20
	s_add_i32 s19, s25, s19
	s_bcnt1_i32_b32 s26, s26
	s_add_i32 s19, s19, s20
	s_delay_alu instid0(SALU_CYCLE_1) | instskip(NEXT) | instid1(SALU_CYCLE_1)
	s_add_i32 s19, s19, s26
	s_add_u32 s78, s78, s19
	s_addc_u32 s79, s79, 0
	s_and_b32 s11, vcc_lo, s11
	s_and_b32 s8, s17, s8
	s_and_b32 s12, s7, s12
	v_cndmask_b32_e64 v2, 0, 1, s11
	v_cndmask_b32_e64 v3, 0, 1, s8
	s_and_b32 s9, s18, s9
	v_cndmask_b32_e64 v4, 0, 1, s12
	v_cndmask_b32_e64 v5, 0, 1, s9
	v_cmp_ne_u32_e64 s8, 0, v2
	v_cmp_ne_u32_e64 s9, 0, v3
	s_delay_alu instid0(VALU_DEP_4) | instskip(NEXT) | instid1(VALU_DEP_4)
	v_cmp_ne_u32_e64 s11, 0, v4
	v_cmp_ne_u32_e64 s12, 0, v5
	s_delay_alu instid0(VALU_DEP_4) | instskip(NEXT) | instid1(VALU_DEP_3)
	s_bcnt1_i32_b32 s8, s8
	s_bcnt1_i32_b32 s9, s9
	s_delay_alu instid0(VALU_DEP_2) | instskip(SKIP_3) | instid1(SALU_CYCLE_1)
	s_bcnt1_i32_b32 s11, s11
	s_add_i32 s8, s9, s8
	s_bcnt1_i32_b32 s12, s12
	s_add_i32 s8, s8, s11
	s_add_i32 s8, s8, s12
	s_delay_alu instid0(SALU_CYCLE_1)
	s_add_u32 s76, s76, s8
	s_addc_u32 s77, s77, 0
	s_and_b32 s8, vcc_lo, s13
	s_and_b32 s9, s17, s21
	s_and_b32 s11, s7, s14
	v_cndmask_b32_e64 v2, 0, 1, s8
	v_cndmask_b32_e64 v3, 0, 1, s9
	s_and_b32 s12, s18, s22
	v_cndmask_b32_e64 v4, 0, 1, s11
	v_cndmask_b32_e64 v5, 0, 1, s12
	v_cmp_ne_u32_e64 s8, 0, v2
	v_cmp_ne_u32_e64 s9, 0, v3
	s_delay_alu instid0(VALU_DEP_4) | instskip(NEXT) | instid1(VALU_DEP_4)
	v_cmp_ne_u32_e64 s11, 0, v4
	v_cmp_ne_u32_e64 s12, 0, v5
	s_delay_alu instid0(VALU_DEP_4) | instskip(NEXT) | instid1(VALU_DEP_3)
	s_bcnt1_i32_b32 s8, s8
	s_bcnt1_i32_b32 s9, s9
	s_delay_alu instid0(VALU_DEP_2) | instskip(SKIP_3) | instid1(SALU_CYCLE_1)
	s_bcnt1_i32_b32 s11, s11
	s_add_i32 s8, s9, s8
	s_bcnt1_i32_b32 s12, s12
	s_add_i32 s8, s8, s11
	s_add_i32 s8, s8, s12
	s_delay_alu instid0(SALU_CYCLE_1)
	s_add_u32 s74, s74, s8
	s_addc_u32 s75, s75, 0
	s_and_b32 s8, vcc_lo, s15
	s_and_b32 s9, s17, s23
	s_and_b32 s7, s7, s16
	v_cndmask_b32_e64 v2, 0, 1, s8
	v_cndmask_b32_e64 v3, 0, 1, s9
	s_and_b32 s11, s18, s24
	v_cndmask_b32_e64 v4, 0, 1, s7
	v_cndmask_b32_e64 v5, 0, 1, s11
	v_cmp_ne_u32_e32 vcc_lo, 0, v2
	v_cmp_ne_u32_e64 s7, 0, v3
	v_mov_b32_e32 v2, s78
	v_cmp_ne_u32_e64 s8, 0, v4
	v_cmp_ne_u32_e64 s9, 0, v5
	s_bcnt1_i32_b32 s11, vcc_lo
	s_bcnt1_i32_b32 s7, s7
	v_mov_b32_e32 v4, s76
	s_bcnt1_i32_b32 s8, s8
	s_add_i32 s7, s7, s11
	s_bcnt1_i32_b32 s9, s9
	s_add_i32 s7, s7, s8
	v_mov_b32_e32 v6, s74
	s_add_i32 s7, s7, s9
	v_mov_b32_e32 v3, s79
	s_add_u32 s72, s72, s7
	s_addc_u32 s73, s73, 0
	s_delay_alu instid0(SALU_CYCLE_1) | instskip(SKIP_3) | instid1(SALU_CYCLE_1)
	v_dual_mov_b32 v8, s72 :: v_dual_mov_b32 v9, s73
	v_mov_b32_e32 v5, s77
	v_mov_b32_e32 v7, s75
	s_or_b32 s59, s10, s59
	s_and_not1_b32 exec_lo, exec_lo, s59
	s_cbranch_execnz .LBB225_81
; %bb.82:                               ;   in Loop: Header=BB225_31 Depth=1
	s_or_b32 exec_lo, exec_lo, s59
.LBB225_83:                             ;   in Loop: Header=BB225_31 Depth=1
	s_delay_alu instid0(SALU_CYCLE_1) | instskip(SKIP_2) | instid1(VALU_DEP_1)
	s_or_b32 exec_lo, exec_lo, s47
	v_add_nc_u32_e32 v12, s60, v0
	s_mov_b32 s14, exec_lo
	v_cmpx_gt_u32_e64 s70, v12
	s_cbranch_execz .LBB225_87
; %bb.84:                               ;   in Loop: Header=BB225_31 Depth=1
	v_dual_mov_b32 v29, v13 :: v_dual_lshlrev_b32 v32, 1, v30
	v_dual_mov_b32 v28, v12 :: v_dual_lshlrev_b32 v31, 1, v12
	s_mov_b32 s13, 0
	s_and_b32 s12, s70, 0x7fffffff
	s_and_b32 s16, s94, 0xfe
	s_mov_b32 s15, s13
.LBB225_85:                             ;   Parent Loop BB225_31 Depth=1
                                        ; =>  This Inner Loop Header: Depth=2
	ds_load_u16 v12, v31
	v_add_co_u32 v28, vcc_lo, v28, v30
	v_add_co_ci_u32_e32 v29, vcc_lo, 0, v29, vcc_lo
	v_add_nc_u32_e32 v31, v31, v32
	s_delay_alu instid0(VALU_DEP_2) | instskip(SKIP_4) | instid1(VALU_DEP_3)
	v_cmp_le_u64_e32 vcc_lo, s[12:13], v[28:29]
	s_waitcnt lgkmcnt(0)
	v_cmp_lt_i16_e64 s7, -1, v12
	v_and_b32_e32 v33, 0xffff, v12
	v_lshlrev_b32_e32 v12, 16, v12
	v_cndmask_b32_e64 v34, 0xffff, v47, s7
	s_delay_alu instid0(VALU_DEP_2) | instskip(NEXT) | instid1(VALU_DEP_2)
	v_cmp_o_f32_e64 s7, v12, v12
	v_xor_b32_e32 v33, v34, v33
	s_delay_alu instid0(VALU_DEP_1) | instskip(NEXT) | instid1(VALU_DEP_1)
	v_cndmask_b32_e64 v12, 0xffff, v33, s7
	v_and_b32_e32 v33, v12, v48
	v_bfe_u32 v12, v12, s16, 2
	s_delay_alu instid0(VALU_DEP_2) | instskip(NEXT) | instid1(VALU_DEP_2)
	v_cmp_eq_u32_e64 s7, v33, v49
	v_cmp_eq_u32_e64 s8, 0, v12
	;; [unrolled: 1-line block ×5, first 2 shown]
	s_delay_alu instid0(VALU_DEP_4) | instskip(NEXT) | instid1(SALU_CYCLE_1)
	s_and_b32 s8, s7, s8
	v_cndmask_b32_e64 v12, 0, 1, s8
	s_and_b32 s8, s7, s9
	s_delay_alu instid0(SALU_CYCLE_1)
	v_cndmask_b32_e64 v33, 0, 1, s8
	s_and_b32 s8, s7, s10
	s_and_b32 s7, s7, s11
	v_cndmask_b32_e64 v34, 0, 1, s8
	v_cndmask_b32_e64 v35, 0, 1, s7
	v_cmp_ne_u32_e64 s7, 0, v12
	v_cmp_ne_u32_e64 s8, 0, v33
	s_delay_alu instid0(VALU_DEP_4) | instskip(NEXT) | instid1(VALU_DEP_4)
	v_cmp_ne_u32_e64 s9, 0, v34
	v_cmp_ne_u32_e64 s10, 0, v35
	s_delay_alu instid0(VALU_DEP_4) | instskip(NEXT) | instid1(VALU_DEP_3)
	s_bcnt1_i32_b32 s7, s7
	s_bcnt1_i32_b32 s8, s8
	v_add_co_u32 v2, s7, v2, s7
	s_delay_alu instid0(VALU_DEP_1)
	v_add_co_ci_u32_e64 v3, s7, 0, v3, s7
	v_add_co_u32 v4, s7, v4, s8
	s_bcnt1_i32_b32 s9, s9
	v_add_co_ci_u32_e64 v5, s7, 0, v5, s7
	v_add_co_u32 v6, s7, v6, s9
	s_bcnt1_i32_b32 s10, s10
	v_add_co_ci_u32_e64 v7, s7, 0, v7, s7
	v_add_co_u32 v8, s7, v8, s10
	s_delay_alu instid0(VALU_DEP_1) | instskip(SKIP_1) | instid1(SALU_CYCLE_1)
	v_add_co_ci_u32_e64 v9, s7, 0, v9, s7
	s_or_b32 s15, vcc_lo, s15
	s_and_not1_b32 exec_lo, exec_lo, s15
	s_cbranch_execnz .LBB225_85
; %bb.86:                               ;   in Loop: Header=BB225_31 Depth=1
	s_or_b32 exec_lo, exec_lo, s15
.LBB225_87:                             ;   in Loop: Header=BB225_31 Depth=1
	s_delay_alu instid0(SALU_CYCLE_1)
	s_or_b32 exec_lo, exec_lo, s14
.LBB225_88:                             ;   in Loop: Header=BB225_31 Depth=1
	s_lshl_b32 s7, s98, 7
	s_and_saveexec_b32 s8, s2
	s_cbranch_execz .LBB225_90
; %bb.89:                               ;   in Loop: Header=BB225_31 Depth=1
	v_or_b32_e32 v12, s7, v42
	s_delay_alu instid0(VALU_DEP_1)
	v_lshlrev_b32_e32 v12, 3, v12
	ds_store_b128 v12, v[2:5] offset:3072
	ds_store_b128 v12, v[6:9] offset:3088
.LBB225_90:                             ;   in Loop: Header=BB225_31 Depth=1
	s_or_b32 exec_lo, exec_lo, s8
	s_waitcnt vmcnt(0) lgkmcnt(0)
	s_barrier
	buffer_gl0_inv
	s_and_saveexec_b32 s8, s83
	s_cbranch_execz .LBB225_101
; %bb.91:                               ;   in Loop: Header=BB225_31 Depth=1
	v_mov_b32_e32 v2, 0
	v_mov_b32_e32 v3, 0
	s_and_not1_b32 vcc_lo, exec_lo, s91
	s_cbranch_vccnz .LBB225_100
; %bb.92:                               ;   in Loop: Header=BB225_31 Depth=1
	v_mov_b32_e32 v2, 0
	v_mov_b32_e32 v3, 0
	s_and_not1_b32 vcc_lo, exec_lo, s89
	s_cbranch_vccnz .LBB225_97
; %bb.93:                               ;   in Loop: Header=BB225_31 Depth=1
	v_lshl_add_u32 v4, s98, 10, v46
	s_mov_b32 s9, 0
	s_set_inst_prefetch_distance 0x1
	.p2align	6
.LBB225_94:                             ;   Parent Loop BB225_31 Depth=1
                                        ; =>  This Inner Loop Header: Depth=2
	ds_load_2addr_b64 v[5:8], v4 offset1:4
	ds_load_2addr_b64 v[28:31], v4 offset0:8 offset1:12
	ds_load_2addr_b64 v[32:35], v4 offset0:16 offset1:20
	s_add_i32 s9, s9, 8
	s_delay_alu instid0(SALU_CYCLE_1) | instskip(SKIP_3) | instid1(VALU_DEP_2)
	s_cmp_eq_u32 s90, s9
	s_waitcnt lgkmcnt(2)
	v_add_co_u32 v2, vcc_lo, v5, v2
	v_add_co_ci_u32_e32 v3, vcc_lo, v6, v3, vcc_lo
	v_add_co_u32 v2, vcc_lo, v7, v2
	s_delay_alu instid0(VALU_DEP_2)
	v_add_co_ci_u32_e32 v3, vcc_lo, v8, v3, vcc_lo
	ds_load_2addr_b64 v[5:8], v4 offset0:24 offset1:28
	s_waitcnt lgkmcnt(2)
	v_add_co_u32 v2, vcc_lo, v28, v2
	v_add_co_ci_u32_e32 v3, vcc_lo, v29, v3, vcc_lo
	v_add_nc_u32_e32 v4, 0x100, v4
	s_delay_alu instid0(VALU_DEP_3) | instskip(NEXT) | instid1(VALU_DEP_3)
	v_add_co_u32 v2, vcc_lo, v30, v2
	v_add_co_ci_u32_e32 v3, vcc_lo, v31, v3, vcc_lo
	s_waitcnt lgkmcnt(1)
	s_delay_alu instid0(VALU_DEP_2) | instskip(NEXT) | instid1(VALU_DEP_2)
	v_add_co_u32 v2, vcc_lo, v32, v2
	v_add_co_ci_u32_e32 v3, vcc_lo, v33, v3, vcc_lo
	s_delay_alu instid0(VALU_DEP_2) | instskip(NEXT) | instid1(VALU_DEP_2)
	v_add_co_u32 v2, vcc_lo, v34, v2
	v_add_co_ci_u32_e32 v3, vcc_lo, v35, v3, vcc_lo
	s_waitcnt lgkmcnt(0)
	s_delay_alu instid0(VALU_DEP_2) | instskip(NEXT) | instid1(VALU_DEP_2)
	v_add_co_u32 v2, vcc_lo, v5, v2
	v_add_co_ci_u32_e32 v3, vcc_lo, v6, v3, vcc_lo
	s_delay_alu instid0(VALU_DEP_2) | instskip(NEXT) | instid1(VALU_DEP_2)
	v_add_co_u32 v2, vcc_lo, v7, v2
	v_add_co_ci_u32_e32 v3, vcc_lo, v8, v3, vcc_lo
	s_cbranch_scc0 .LBB225_94
; %bb.95:                               ;   in Loop: Header=BB225_31 Depth=1
	s_set_inst_prefetch_distance 0x2
	s_mov_b32 s9, s90
	s_and_not1_b32 vcc_lo, exec_lo, s92
	s_cbranch_vccz .LBB225_98
	s_branch .LBB225_100
.LBB225_96:                             ;   in Loop: Header=BB225_31 Depth=1
                                        ; implicit-def: $vgpr2_vgpr3
	s_branch .LBB225_64
.LBB225_97:                             ;   in Loop: Header=BB225_31 Depth=1
	s_mov_b32 s9, 0
	s_and_not1_b32 vcc_lo, exec_lo, s92
	s_cbranch_vccnz .LBB225_100
.LBB225_98:                             ;   in Loop: Header=BB225_31 Depth=1
	s_lshl_b32 s10, s98, 10
	s_lshl_b32 s9, s9, 5
	s_delay_alu instid0(SALU_CYCLE_1)
	v_add3_u32 v4, s10, s9, v46
	v_readlane_b32 s9, v51, 6
.LBB225_99:                             ;   Parent Loop BB225_31 Depth=1
                                        ; =>  This Inner Loop Header: Depth=2
	ds_load_b64 v[5:6], v4
	v_add_nc_u32_e32 v4, 32, v4
	s_add_i32 s9, s9, -1
	s_delay_alu instid0(SALU_CYCLE_1)
	s_cmp_lg_u32 s9, 0
	s_waitcnt lgkmcnt(0)
	v_add_co_u32 v2, vcc_lo, v5, v2
	v_add_co_ci_u32_e32 v3, vcc_lo, v6, v3, vcc_lo
	s_cbranch_scc1 .LBB225_99
.LBB225_100:                            ;   in Loop: Header=BB225_31 Depth=1
	v_add_lshl_u32 v4, s7, v41, 3
	ds_store_b64 v4, v[2:3] offset:3072
.LBB225_101:                            ;   in Loop: Header=BB225_31 Depth=1
	s_or_b32 exec_lo, exec_lo, s8
	s_lshl_b32 s7, s7, 3
	s_waitcnt lgkmcnt(0)
	v_mov_b32_e32 v6, s7
	s_barrier
	buffer_gl0_inv
	s_and_b32 s22, s94, 0xfe
	v_cmp_eq_u64_e64 s7, 1, v[26:27]
	ds_load_b128 v[2:5], v6 offset:3072
	ds_load_b128 v[6:9], v6 offset:3088
	s_lshl_b32 s20, 3, s22
	s_and_not1_b32 vcc_lo, exec_lo, s82
	s_not_b32 s21, s20
	s_waitcnt lgkmcnt(1)
	v_readfirstlane_b32 s11, v3
	v_readfirstlane_b32 s10, v2
	;; [unrolled: 1-line block ×4, first 2 shown]
	s_waitcnt lgkmcnt(0)
	v_readfirstlane_b32 s15, v7
	v_readfirstlane_b32 s14, v6
	;; [unrolled: 1-line block ×4, first 2 shown]
	s_cbranch_vccnz .LBB225_117
; %bb.102:                              ;   in Loop: Header=BB225_31 Depth=1
	s_cmp_eq_u64 s[10:11], 1
	v_dual_mov_b32 v28, v49 :: v_dual_mov_b32 v29, v48
	v_mov_b32_e32 v6, v50
	s_cselect_b32 s8, -1, 0
                                        ; implicit-def: $sgpr23
                                        ; implicit-def: $sgpr70
                                        ; implicit-def: $sgpr60
	s_delay_alu instid0(SALU_CYCLE_1)
	s_and_b32 s46, s8, s7
	s_mov_b32 s8, -1
	s_and_saveexec_b32 s24, s46
	s_cbranch_execz .LBB225_136
; %bb.103:                              ;   in Loop: Header=BB225_31 Depth=1
	ds_load_b64 v[2:3], v13 offset:5120
	s_waitcnt lgkmcnt(0)
	s_barrier
	buffer_gl0_inv
	v_readfirstlane_b32 s18, v2
	v_readfirstlane_b32 s19, v3
	s_and_saveexec_b32 s8, s6
	s_cbranch_execz .LBB225_105
; %bb.104:                              ;   in Loop: Header=BB225_31 Depth=1
	ds_store_b16 v44, v13
.LBB225_105:                            ;   in Loop: Header=BB225_31 Depth=1
	s_or_b32 exec_lo, exec_lo, s8
	v_and_b32_e32 v28, s21, v49
	v_or_b32_e32 v29, s20, v48
	s_cmp_eq_u64 s[18:19], 0
	s_waitcnt lgkmcnt(0)
	s_barrier
	buffer_gl0_inv
	s_cbranch_scc1 .LBB225_119
; %bb.106:                              ;   in Loop: Header=BB225_31 Depth=1
	s_add_u32 s23, s85, s18
	s_addc_u32 s9, s86, s19
	s_mov_b32 s8, s61
	s_delay_alu instid0(SALU_CYCLE_1)
	s_cmp_lg_u64 s[8:9], 0
	s_cbranch_scc0 .LBB225_163
; %bb.107:                              ;   in Loop: Header=BB225_31 Depth=1
	v_cvt_f32_u32_e32 v2, s33
	s_sub_u32 s25, 0, s33
	s_subb_u32 s26, 0, 0
	s_delay_alu instid0(VALU_DEP_1) | instskip(NEXT) | instid1(VALU_DEP_1)
	v_fmac_f32_e64 v2, 0, 0x4f800000
	v_rcp_f32_e32 v2, v2
	s_waitcnt_depctr 0xfff
	v_mul_f32_e32 v2, 0x5f7ffffc, v2
	s_delay_alu instid0(VALU_DEP_1) | instskip(NEXT) | instid1(VALU_DEP_1)
	v_mul_f32_e32 v3, 0x2f800000, v2
	v_trunc_f32_e32 v3, v3
	s_delay_alu instid0(VALU_DEP_1) | instskip(SKIP_1) | instid1(VALU_DEP_2)
	v_fmac_f32_e32 v2, 0xcf800000, v3
	v_cvt_u32_f32_e32 v3, v3
	v_cvt_u32_f32_e32 v2, v2
	s_delay_alu instid0(VALU_DEP_2) | instskip(NEXT) | instid1(VALU_DEP_2)
	v_readfirstlane_b32 s3, v3
	v_readfirstlane_b32 s8, v2
	s_delay_alu instid0(VALU_DEP_2) | instskip(NEXT) | instid1(VALU_DEP_1)
	s_mul_i32 s42, s25, s3
	s_mul_hi_u32 s47, s25, s8
	s_mul_i32 s43, s26, s8
	s_add_i32 s42, s47, s42
	s_mul_i32 s50, s25, s8
	s_add_i32 s42, s42, s43
	s_mul_hi_u32 s47, s8, s50
	s_mul_hi_u32 s51, s3, s50
	s_mul_i32 s43, s3, s50
	s_mul_hi_u32 s50, s8, s42
	s_mul_i32 s8, s8, s42
	s_mul_hi_u32 s56, s3, s42
	s_add_u32 s8, s47, s8
	s_addc_u32 s47, 0, s50
	s_add_u32 s8, s8, s43
	s_mul_i32 s42, s3, s42
	s_addc_u32 s8, s47, s51
	s_addc_u32 s43, s56, 0
	s_add_u32 s8, s8, s42
	s_addc_u32 s42, 0, s43
	v_add_co_u32 v2, s8, v2, s8
	s_delay_alu instid0(VALU_DEP_1) | instskip(SKIP_1) | instid1(VALU_DEP_1)
	s_cmp_lg_u32 s8, 0
	s_addc_u32 s3, s3, s42
	v_readfirstlane_b32 s8, v2
	s_mul_i32 s42, s25, s3
	s_delay_alu instid0(VALU_DEP_1)
	s_mul_hi_u32 s43, s25, s8
	s_mul_i32 s26, s26, s8
	s_add_i32 s42, s43, s42
	s_mul_i32 s25, s25, s8
	s_add_i32 s42, s42, s26
	s_mul_hi_u32 s43, s3, s25
	s_mul_i32 s47, s3, s25
	s_mul_hi_u32 s25, s8, s25
	s_mul_hi_u32 s50, s8, s42
	s_mul_i32 s8, s8, s42
	s_mul_hi_u32 s26, s3, s42
	s_add_u32 s8, s25, s8
	s_addc_u32 s25, 0, s50
	s_add_u32 s8, s8, s47
	s_mul_i32 s42, s3, s42
	s_addc_u32 s8, s25, s43
	s_addc_u32 s25, s26, 0
	s_add_u32 s8, s8, s42
	s_addc_u32 s25, 0, s25
	v_add_co_u32 v2, s8, v2, s8
	s_delay_alu instid0(VALU_DEP_1) | instskip(SKIP_1) | instid1(VALU_DEP_1)
	s_cmp_lg_u32 s8, 0
	s_addc_u32 s3, s3, s25
	v_readfirstlane_b32 s8, v2
	s_mul_i32 s26, s23, s3
	s_mul_hi_u32 s25, s23, s3
	s_mul_hi_u32 s42, s9, s3
	s_mul_i32 s3, s9, s3
	s_mul_hi_u32 s43, s23, s8
	s_mul_hi_u32 s47, s9, s8
	s_mul_i32 s8, s9, s8
	s_add_u32 s26, s43, s26
	s_addc_u32 s25, 0, s25
	s_add_u32 s8, s26, s8
	s_addc_u32 s8, s25, s47
	s_addc_u32 s25, s42, 0
	s_add_u32 s3, s8, s3
	s_addc_u32 s8, 0, s25
	s_mul_hi_u32 s25, s33, s3
	s_mul_i32 s3, s33, s3
	s_mul_i32 s8, s33, s8
	v_sub_co_u32 v2, s3, s23, s3
	s_add_i32 s25, s25, s8
	s_cmp_lg_u32 s3, 0
	s_delay_alu instid0(VALU_DEP_1) | instskip(SKIP_2) | instid1(VALU_DEP_1)
	v_sub_co_u32 v3, s3, v2, s33
	s_subb_u32 s25, s9, s25
	s_cmp_lg_u32 s3, 0
	v_cmp_le_u32_e32 vcc_lo, s33, v3
	v_sub_co_u32 v4, s3, v3, s33
	s_subb_u32 s26, s25, 0
	s_cmp_lg_u32 s3, 0
	v_cndmask_b32_e64 v5, 0, -1, vcc_lo
	s_subb_u32 s3, s26, 0
	s_cmp_eq_u32 s26, 0
	v_mov_b32_e32 v7, s3
	s_cselect_b32 vcc_lo, -1, 0
	s_cmp_eq_u32 s25, 0
	v_cndmask_b32_e32 v5, -1, v5, vcc_lo
	v_cmp_le_u32_e32 vcc_lo, s33, v2
	s_cselect_b32 s8, -1, 0
	v_cndmask_b32_e64 v6, 0, -1, vcc_lo
	s_delay_alu instid0(VALU_DEP_3) | instskip(NEXT) | instid1(VALU_DEP_2)
	v_cmp_ne_u32_e32 vcc_lo, 0, v5
	v_cndmask_b32_e64 v5, -1, v6, s8
	v_cndmask_b32_e32 v6, s26, v7, vcc_lo
	v_cndmask_b32_e32 v4, v3, v4, vcc_lo
	s_delay_alu instid0(VALU_DEP_3) | instskip(NEXT) | instid1(VALU_DEP_3)
	v_cmp_ne_u32_e32 vcc_lo, 0, v5
	v_cndmask_b32_e32 v3, s25, v6, vcc_lo
	s_delay_alu instid0(VALU_DEP_3)
	v_cndmask_b32_e32 v2, v2, v4, vcc_lo
	s_cbranch_execnz .LBB225_109
.LBB225_108:                            ;   in Loop: Header=BB225_31 Depth=1
	v_cvt_f32_u32_e32 v2, s33
	s_sub_i32 s3, 0, s33
	s_delay_alu instid0(VALU_DEP_1) | instskip(SKIP_2) | instid1(VALU_DEP_1)
	v_rcp_iflag_f32_e32 v2, v2
	s_waitcnt_depctr 0xfff
	v_mul_f32_e32 v2, 0x4f7ffffe, v2
	v_cvt_u32_f32_e32 v2, v2
	s_delay_alu instid0(VALU_DEP_1) | instskip(NEXT) | instid1(VALU_DEP_1)
	v_mul_lo_u32 v3, s3, v2
	v_mul_hi_u32 v3, v2, v3
	s_delay_alu instid0(VALU_DEP_1) | instskip(NEXT) | instid1(VALU_DEP_1)
	v_add_nc_u32_e32 v2, v2, v3
	v_mul_hi_u32 v2, s23, v2
	s_delay_alu instid0(VALU_DEP_1) | instskip(NEXT) | instid1(VALU_DEP_1)
	v_mul_lo_u32 v2, v2, s33
	v_sub_nc_u32_e32 v2, s23, v2
	s_delay_alu instid0(VALU_DEP_1) | instskip(SKIP_1) | instid1(VALU_DEP_2)
	v_subrev_nc_u32_e32 v3, s33, v2
	v_cmp_le_u32_e32 vcc_lo, s33, v2
	v_cndmask_b32_e32 v2, v2, v3, vcc_lo
	s_delay_alu instid0(VALU_DEP_1) | instskip(SKIP_1) | instid1(VALU_DEP_2)
	v_subrev_nc_u32_e32 v3, s33, v2
	v_cmp_le_u32_e32 vcc_lo, s33, v2
	v_cndmask_b32_e32 v12, v2, v3, vcc_lo
	s_delay_alu instid0(VALU_DEP_1)
	v_dual_mov_b32 v2, v12 :: v_dual_mov_b32 v3, v13
.LBB225_109:                            ;   in Loop: Header=BB225_31 Depth=1
	s_delay_alu instid0(VALU_DEP_1) | instskip(NEXT) | instid1(VALU_DEP_2)
	v_sub_co_u32 v2, vcc_lo, s23, v2
	v_sub_co_ci_u32_e32 v3, vcc_lo, s9, v3, vcc_lo
	s_mov_b32 s8, 0
	s_mov_b32 s9, exec_lo
                                        ; implicit-def: $vgpr6
	s_delay_alu instid0(VALU_DEP_1)
	v_cmpx_gt_u64_e64 v[2:3], v[0:1]
	s_cbranch_execz .LBB225_121
; %bb.110:                              ;   in Loop: Header=BB225_31 Depth=1
	v_dual_mov_b32 v6, v43 :: v_dual_mov_b32 v5, v1
	v_mov_b32_e32 v4, v0
	s_mov_b32 s23, 0
                                        ; implicit-def: $sgpr25
	s_branch .LBB225_112
.LBB225_111:                            ;   in Loop: Header=BB225_112 Depth=2
	s_or_b32 exec_lo, exec_lo, s8
	s_waitcnt lgkmcnt(0)
	s_barrier
	buffer_gl0_inv
	ds_load_b32 v7, v13 offset:3072
	v_add_co_u32 v4, vcc_lo, v4, s33
	v_add_co_ci_u32_e32 v5, vcc_lo, 0, v5, vcc_lo
	v_add_nc_u32_e32 v6, s93, v6
	s_waitcnt lgkmcnt(0)
	s_barrier
	s_delay_alu instid0(VALU_DEP_2) | instskip(SKIP_2) | instid1(VALU_DEP_1)
	v_cmp_ge_u64_e32 vcc_lo, v[4:5], v[2:3]
	buffer_gl0_inv
	v_and_b32_e32 v8, 0x7fff, v7
	v_cmp_ne_u16_e64 s8, 0, v8
	s_delay_alu instid0(VALU_DEP_1) | instskip(NEXT) | instid1(SALU_CYCLE_1)
	s_or_b32 s3, vcc_lo, s8
	s_and_b32 s3, exec_lo, s3
	s_delay_alu instid0(SALU_CYCLE_1) | instskip(SKIP_2) | instid1(SALU_CYCLE_1)
	s_or_b32 s23, s3, s23
	s_and_not1_b32 s3, s25, exec_lo
	s_and_b32 s8, s8, exec_lo
	s_or_b32 s25, s3, s8
	s_and_not1_b32 exec_lo, exec_lo, s23
	s_cbranch_execz .LBB225_120
.LBB225_112:                            ;   Parent Loop BB225_31 Depth=1
                                        ; =>  This Inner Loop Header: Depth=2
	s_delay_alu instid0(VALU_DEP_1)
	v_cmp_gt_u64_e32 vcc_lo, s[18:19], v[4:5]
	v_mov_b32_e32 v7, 0
	s_and_saveexec_b32 s8, vcc_lo
	s_cbranch_execz .LBB225_114
; %bb.113:                              ;   in Loop: Header=BB225_112 Depth=2
	ds_load_u16 v7, v6
.LBB225_114:                            ;   in Loop: Header=BB225_112 Depth=2
	s_or_b32 exec_lo, exec_lo, s8
	s_and_saveexec_b32 s8, vcc_lo
	s_cbranch_execz .LBB225_111
; %bb.115:                              ;   in Loop: Header=BB225_112 Depth=2
	s_waitcnt lgkmcnt(0)
	v_cmp_lt_i16_e32 vcc_lo, -1, v7
	v_and_b32_e32 v8, 0xffff, v7
	v_lshlrev_b32_e32 v12, 16, v7
	v_cndmask_b32_e32 v9, 0xffff, v47, vcc_lo
	s_delay_alu instid0(VALU_DEP_2) | instskip(NEXT) | instid1(VALU_DEP_2)
	v_cmp_o_f32_e32 vcc_lo, v12, v12
	v_xor_b32_e32 v8, v9, v8
	s_delay_alu instid0(VALU_DEP_1) | instskip(NEXT) | instid1(VALU_DEP_1)
	v_cndmask_b32_e32 v8, 0xffff, v8, vcc_lo
	v_and_b32_e32 v8, v8, v29
	s_delay_alu instid0(VALU_DEP_1)
	v_cmp_eq_u32_e32 vcc_lo, v8, v28
	s_and_b32 exec_lo, exec_lo, vcc_lo
	s_cbranch_execz .LBB225_111
; %bb.116:                              ;   in Loop: Header=BB225_112 Depth=2
	v_perm_b32 v7, v7, s96, 0x5040100
	ds_store_b32 v13, v7 offset:3072
	s_branch .LBB225_111
.LBB225_117:                            ;   in Loop: Header=BB225_31 Depth=1
	s_mov_b32 s25, 0
	s_mov_b32 s24, 0
                                        ; implicit-def: $sgpr60
                                        ; implicit-def: $sgpr70
                                        ; implicit-def: $sgpr23
                                        ; implicit-def: $vgpr7
                                        ; implicit-def: $vgpr2_vgpr3
                                        ; implicit-def: $vgpr28
                                        ; implicit-def: $vgpr29
                                        ; implicit-def: $vgpr6
	s_cbranch_execnz .LBB225_300
.LBB225_118:                            ;   in Loop: Header=BB225_31 Depth=1
	s_mov_b32 s18, s23
	s_mov_b32 s19, s23
	s_and_saveexec_b32 s7, s25
	s_cbranch_execnz .LBB225_496
	s_branch .LBB225_497
.LBB225_119:                            ;   in Loop: Header=BB225_31 Depth=1
	s_mov_b32 s23, -1
	s_mov_b32 s8, 0
                                        ; implicit-def: $sgpr60
                                        ; implicit-def: $vgpr6
	s_mov_b32 s70, s23
	s_cbranch_execnz .LBB225_122
	s_branch .LBB225_135
.LBB225_120:                            ;   in Loop: Header=BB225_31 Depth=1
	s_or_b32 exec_lo, exec_lo, s23
	v_lshrrev_b32_e32 v6, 16, v7
	s_and_b32 s8, s25, exec_lo
.LBB225_121:                            ;   in Loop: Header=BB225_31 Depth=1
	s_or_b32 exec_lo, exec_lo, s9
	s_mov_b32 s60, -1
	s_mov_b32 s23, 0
	s_delay_alu instid0(SALU_CYCLE_1)
	s_mov_b32 s70, s23
	s_branch .LBB225_135
.LBB225_122:                            ;   in Loop: Header=BB225_31 Depth=1
	s_mov_b32 s26, s61
	s_delay_alu instid0(SALU_CYCLE_1)
	s_cmp_lg_u64 s[26:27], 0
	s_cbranch_scc0 .LBB225_164
; %bb.123:                              ;   in Loop: Header=BB225_31 Depth=1
	v_cvt_f32_u32_e32 v2, s33
	s_sub_u32 s9, 0, s33
	s_subb_u32 s18, 0, 0
	s_delay_alu instid0(VALU_DEP_1) | instskip(NEXT) | instid1(VALU_DEP_1)
	v_fmac_f32_e64 v2, 0, 0x4f800000
	v_rcp_f32_e32 v2, v2
	s_waitcnt_depctr 0xfff
	v_mul_f32_e32 v2, 0x5f7ffffc, v2
	s_delay_alu instid0(VALU_DEP_1) | instskip(NEXT) | instid1(VALU_DEP_1)
	v_mul_f32_e32 v3, 0x2f800000, v2
	v_trunc_f32_e32 v3, v3
	s_delay_alu instid0(VALU_DEP_1) | instskip(SKIP_1) | instid1(VALU_DEP_2)
	v_fmac_f32_e32 v2, 0xcf800000, v3
	v_cvt_u32_f32_e32 v3, v3
	v_cvt_u32_f32_e32 v2, v2
	s_delay_alu instid0(VALU_DEP_2) | instskip(NEXT) | instid1(VALU_DEP_2)
	v_readfirstlane_b32 s3, v3
	v_readfirstlane_b32 s8, v2
	s_delay_alu instid0(VALU_DEP_2) | instskip(NEXT) | instid1(VALU_DEP_1)
	s_mul_i32 s19, s9, s3
	s_mul_hi_u32 s25, s9, s8
	s_mul_i32 s23, s18, s8
	s_add_i32 s19, s25, s19
	s_mul_i32 s26, s9, s8
	s_add_i32 s19, s19, s23
	s_mul_hi_u32 s25, s8, s26
	s_mul_hi_u32 s42, s3, s26
	s_mul_i32 s23, s3, s26
	s_mul_hi_u32 s26, s8, s19
	s_mul_i32 s8, s8, s19
	s_mul_hi_u32 s43, s3, s19
	s_add_u32 s8, s25, s8
	s_addc_u32 s25, 0, s26
	s_add_u32 s8, s8, s23
	s_mul_i32 s19, s3, s19
	s_addc_u32 s8, s25, s42
	s_addc_u32 s23, s43, 0
	s_add_u32 s8, s8, s19
	s_addc_u32 s19, 0, s23
	v_add_co_u32 v2, s8, v2, s8
	s_delay_alu instid0(VALU_DEP_1) | instskip(SKIP_1) | instid1(VALU_DEP_1)
	s_cmp_lg_u32 s8, 0
	s_addc_u32 s3, s3, s19
	v_readfirstlane_b32 s8, v2
	s_mul_i32 s19, s9, s3
	s_delay_alu instid0(VALU_DEP_1)
	s_mul_hi_u32 s23, s9, s8
	s_mul_i32 s18, s18, s8
	s_add_i32 s19, s23, s19
	s_mul_i32 s9, s9, s8
	s_add_i32 s19, s19, s18
	s_mul_hi_u32 s23, s3, s9
	s_mul_i32 s25, s3, s9
	s_mul_hi_u32 s9, s8, s9
	s_mul_hi_u32 s26, s8, s19
	s_mul_i32 s8, s8, s19
	s_mul_hi_u32 s18, s3, s19
	s_add_u32 s8, s9, s8
	s_addc_u32 s9, 0, s26
	s_add_u32 s8, s8, s25
	s_mul_i32 s19, s3, s19
	s_addc_u32 s8, s9, s23
	s_addc_u32 s9, s18, 0
	s_add_u32 s8, s8, s19
	s_addc_u32 s9, 0, s9
	v_add_co_u32 v2, s8, v2, s8
	s_delay_alu instid0(VALU_DEP_1) | instskip(SKIP_1) | instid1(VALU_DEP_1)
	s_cmp_lg_u32 s8, 0
	s_addc_u32 s3, s3, s9
	v_readfirstlane_b32 s8, v2
	s_mul_i32 s18, s87, s3
	s_mul_hi_u32 s9, s87, s3
	s_mul_hi_u32 s19, s27, s3
	s_mul_i32 s3, s27, s3
	s_mul_hi_u32 s23, s87, s8
	s_mul_hi_u32 s25, s27, s8
	s_mul_i32 s8, s27, s8
	s_add_u32 s18, s23, s18
	s_addc_u32 s9, 0, s9
	s_add_u32 s8, s18, s8
	s_addc_u32 s8, s9, s25
	s_addc_u32 s9, s19, 0
	s_add_u32 s3, s8, s3
	s_addc_u32 s8, 0, s9
	s_mul_hi_u32 s9, s33, s3
	s_mul_i32 s3, s33, s3
	s_mul_i32 s8, s33, s8
	v_sub_co_u32 v2, s3, s87, s3
	s_add_i32 s9, s9, s8
	s_cmp_lg_u32 s3, 0
	s_delay_alu instid0(VALU_DEP_1) | instskip(SKIP_2) | instid1(VALU_DEP_1)
	v_sub_co_u32 v3, s3, v2, s33
	s_subb_u32 s9, s27, s9
	s_cmp_lg_u32 s3, 0
	v_cmp_le_u32_e32 vcc_lo, s33, v3
	v_sub_co_u32 v4, s3, v3, s33
	s_subb_u32 s18, s9, 0
	s_cmp_lg_u32 s3, 0
	v_cndmask_b32_e64 v5, 0, -1, vcc_lo
	s_subb_u32 s3, s18, 0
	s_cmp_eq_u32 s18, 0
	v_mov_b32_e32 v7, s3
	s_cselect_b32 vcc_lo, -1, 0
	s_cmp_eq_u32 s9, 0
	v_cndmask_b32_e32 v5, -1, v5, vcc_lo
	v_cmp_le_u32_e32 vcc_lo, s33, v2
	s_cselect_b32 s8, -1, 0
	v_cndmask_b32_e64 v6, 0, -1, vcc_lo
	s_delay_alu instid0(VALU_DEP_3) | instskip(NEXT) | instid1(VALU_DEP_2)
	v_cmp_ne_u32_e32 vcc_lo, 0, v5
	v_cndmask_b32_e64 v5, -1, v6, s8
	v_cndmask_b32_e32 v6, s18, v7, vcc_lo
	v_cndmask_b32_e32 v4, v3, v4, vcc_lo
	s_delay_alu instid0(VALU_DEP_3) | instskip(NEXT) | instid1(VALU_DEP_3)
	v_cmp_ne_u32_e32 vcc_lo, 0, v5
	v_cndmask_b32_e32 v3, s9, v6, vcc_lo
	s_delay_alu instid0(VALU_DEP_3)
	v_cndmask_b32_e32 v2, v2, v4, vcc_lo
	s_cbranch_execnz .LBB225_125
.LBB225_124:                            ;   in Loop: Header=BB225_31 Depth=1
	v_cvt_f32_u32_e32 v2, s33
	s_sub_i32 s3, 0, s33
	s_delay_alu instid0(VALU_DEP_1) | instskip(SKIP_2) | instid1(VALU_DEP_1)
	v_rcp_iflag_f32_e32 v2, v2
	s_waitcnt_depctr 0xfff
	v_mul_f32_e32 v2, 0x4f7ffffe, v2
	v_cvt_u32_f32_e32 v2, v2
	s_delay_alu instid0(VALU_DEP_1) | instskip(NEXT) | instid1(VALU_DEP_1)
	v_mul_lo_u32 v3, s3, v2
	v_mul_hi_u32 v3, v2, v3
	s_delay_alu instid0(VALU_DEP_1) | instskip(NEXT) | instid1(VALU_DEP_1)
	v_add_nc_u32_e32 v2, v2, v3
	v_mul_hi_u32 v2, s87, v2
	s_delay_alu instid0(VALU_DEP_1) | instskip(NEXT) | instid1(VALU_DEP_1)
	v_mul_lo_u32 v2, v2, s33
	v_sub_nc_u32_e32 v2, s87, v2
	s_delay_alu instid0(VALU_DEP_1) | instskip(SKIP_1) | instid1(VALU_DEP_2)
	v_subrev_nc_u32_e32 v3, s33, v2
	v_cmp_le_u32_e32 vcc_lo, s33, v2
	v_cndmask_b32_e32 v2, v2, v3, vcc_lo
	s_delay_alu instid0(VALU_DEP_1) | instskip(SKIP_1) | instid1(VALU_DEP_2)
	v_subrev_nc_u32_e32 v3, s33, v2
	v_cmp_le_u32_e32 vcc_lo, s33, v2
	v_cndmask_b32_e32 v12, v2, v3, vcc_lo
	s_delay_alu instid0(VALU_DEP_1)
	v_dual_mov_b32 v2, v12 :: v_dual_mov_b32 v3, v13
.LBB225_125:                            ;   in Loop: Header=BB225_31 Depth=1
	s_delay_alu instid0(VALU_DEP_1) | instskip(NEXT) | instid1(VALU_DEP_2)
	v_sub_co_u32 v2, vcc_lo, s87, v2
	v_sub_co_ci_u32_e32 v3, vcc_lo, s27, v3, vcc_lo
	s_mov_b32 s8, 0
	s_mov_b32 s9, exec_lo
                                        ; implicit-def: $vgpr6
	s_delay_alu instid0(VALU_DEP_1)
	v_cmpx_gt_u64_e64 v[2:3], v[0:1]
	s_cbranch_execz .LBB225_134
; %bb.126:                              ;   in Loop: Header=BB225_31 Depth=1
	v_dual_mov_b32 v4, v24 :: v_dual_mov_b32 v5, v25
	v_dual_mov_b32 v7, v1 :: v_dual_mov_b32 v6, v0
	s_mov_b32 s18, 0
                                        ; implicit-def: $sgpr19
	s_branch .LBB225_128
.LBB225_127:                            ;   in Loop: Header=BB225_128 Depth=2
	s_or_b32 exec_lo, exec_lo, s8
	s_waitcnt vmcnt(0) lgkmcnt(0)
	s_barrier
	buffer_gl0_inv
	ds_load_b32 v8, v13 offset:3072
	v_add_co_u32 v6, vcc_lo, v6, s33
	v_add_co_ci_u32_e32 v7, vcc_lo, 0, v7, vcc_lo
	s_waitcnt lgkmcnt(0)
	s_barrier
	buffer_gl0_inv
	v_cmp_ge_u64_e32 vcc_lo, v[6:7], v[2:3]
	v_and_b32_e32 v9, 0x7fff, v8
	s_delay_alu instid0(VALU_DEP_1) | instskip(NEXT) | instid1(VALU_DEP_1)
	v_cmp_ne_u16_e64 s8, 0, v9
	s_or_b32 s3, vcc_lo, s8
	v_add_co_u32 v4, vcc_lo, v4, s34
	s_and_b32 s3, exec_lo, s3
	v_add_co_ci_u32_e32 v5, vcc_lo, s35, v5, vcc_lo
	s_or_b32 s18, s3, s18
	s_and_not1_b32 s3, s19, exec_lo
	s_and_b32 s8, s8, exec_lo
	s_delay_alu instid0(SALU_CYCLE_1)
	s_or_b32 s19, s3, s8
	s_and_not1_b32 exec_lo, exec_lo, s18
	s_cbranch_execz .LBB225_133
.LBB225_128:                            ;   Parent Loop BB225_31 Depth=1
                                        ; =>  This Inner Loop Header: Depth=2
	s_delay_alu instid0(VALU_DEP_1)
	v_cmp_gt_u64_e32 vcc_lo, s[36:37], v[6:7]
	v_mov_b32_e32 v8, 0
	s_and_saveexec_b32 s8, vcc_lo
	s_cbranch_execz .LBB225_130
; %bb.129:                              ;   in Loop: Header=BB225_128 Depth=2
	global_load_u16 v8, v[4:5], off
.LBB225_130:                            ;   in Loop: Header=BB225_128 Depth=2
	s_or_b32 exec_lo, exec_lo, s8
	s_and_saveexec_b32 s8, vcc_lo
	s_cbranch_execz .LBB225_127
; %bb.131:                              ;   in Loop: Header=BB225_128 Depth=2
	s_waitcnt vmcnt(0)
	v_cmp_lt_i16_e32 vcc_lo, -1, v8
	v_dual_cndmask_b32 v12, 0xffff, v47 :: v_dual_and_b32 v9, 0xffff, v8
	s_delay_alu instid0(VALU_DEP_1) | instskip(SKIP_1) | instid1(VALU_DEP_1)
	v_xor_b32_e32 v9, v12, v9
	v_lshlrev_b32_e32 v30, 16, v8
	v_cmp_o_f32_e32 vcc_lo, v30, v30
	s_delay_alu instid0(VALU_DEP_3) | instskip(NEXT) | instid1(VALU_DEP_1)
	v_cndmask_b32_e32 v9, 0xffff, v9, vcc_lo
	v_and_b32_e32 v9, v9, v29
	s_delay_alu instid0(VALU_DEP_1)
	v_cmp_eq_u32_e32 vcc_lo, v9, v28
	s_and_b32 exec_lo, exec_lo, vcc_lo
	s_cbranch_execz .LBB225_127
; %bb.132:                              ;   in Loop: Header=BB225_128 Depth=2
	v_perm_b32 v8, v8, s96, 0x5040100
	ds_store_b32 v13, v8 offset:3072
	s_branch .LBB225_127
.LBB225_133:                            ;   in Loop: Header=BB225_31 Depth=1
	s_or_b32 exec_lo, exec_lo, s18
	v_lshrrev_b32_e32 v6, 16, v8
	s_and_b32 s8, s19, exec_lo
.LBB225_134:                            ;   in Loop: Header=BB225_31 Depth=1
	s_or_b32 exec_lo, exec_lo, s9
	s_mov_b32 s70, -1
	s_mov_b32 s23, 0
	s_mov_b32 s60, 0
.LBB225_135:                            ;   in Loop: Header=BB225_31 Depth=1
	s_or_not1_b32 s8, s8, exec_lo
.LBB225_136:                            ;   in Loop: Header=BB225_31 Depth=1
	s_or_b32 exec_lo, exec_lo, s24
	s_mov_b32 s71, 0
	s_mov_b32 s25, 0
	;; [unrolled: 1-line block ×3, first 2 shown]
                                        ; implicit-def: $vgpr7
                                        ; implicit-def: $vgpr2_vgpr3
	s_and_saveexec_b32 s72, s8
	s_cbranch_execz .LBB225_299
; %bb.137:                              ;   in Loop: Header=BB225_31 Depth=1
	v_dual_mov_b32 v2, 1 :: v_dual_mov_b32 v7, 1
	v_mov_b32_e32 v3, 0
	s_xor_b32 s3, s46, -1
	s_delay_alu instid0(SALU_CYCLE_1)
	s_and_saveexec_b32 s8, s3
	s_cbranch_execz .LBB225_147
; %bb.138:                              ;   in Loop: Header=BB225_31 Depth=1
                                        ; implicit-def: $sgpr19
                                        ; implicit-def: $sgpr9
	s_mov_b32 s3, exec_lo
	v_cmpx_ge_u64_e64 s[10:11], v[26:27]
	s_xor_b32 s18, exec_lo, s3
	s_cbranch_execz .LBB225_144
; %bb.139:                              ;   in Loop: Header=BB225_31 Depth=1
	ds_load_b64 v[2:3], v13 offset:5120
	s_waitcnt lgkmcnt(0)
	v_cmp_ne_u64_e32 vcc_lo, 0, v[2:3]
	s_cbranch_vccnz .LBB225_143
; %bb.140:                              ;   in Loop: Header=BB225_31 Depth=1
	s_and_saveexec_b32 s9, s5
	s_cbranch_execz .LBB225_142
; %bb.141:                              ;   in Loop: Header=BB225_31 Depth=1
	v_dual_mov_b32 v2, s10 :: v_dual_mov_b32 v3, s11
	ds_store_b64 v13, v[2:3] offset:5128
.LBB225_142:                            ;   in Loop: Header=BB225_31 Depth=1
	s_or_b32 exec_lo, exec_lo, s9
	s_waitcnt lgkmcnt(0)
	s_barrier
	buffer_gl0_inv
.LBB225_143:                            ;   in Loop: Header=BB225_31 Depth=1
	v_and_b32_e32 v28, s21, v28
	v_or_b32_e32 v29, s20, v29
	s_mov_b32 s9, 0
	s_mov_b32 s19, 8
.LBB225_144:                            ;   in Loop: Header=BB225_31 Depth=1
	s_or_saveexec_b32 s18, s18
	v_dual_mov_b32 v7, s19 :: v_dual_mov_b32 v2, v26
	v_mov_b32_e32 v3, v27
	s_xor_b32 exec_lo, exec_lo, s18
; %bb.145:                              ;   in Loop: Header=BB225_31 Depth=1
	v_sub_co_u32 v2, vcc_lo, v26, s10
	v_subrev_co_ci_u32_e32 v3, vcc_lo, s11, v27, vcc_lo
	v_mov_b32_e32 v7, 0
	s_or_b32 s9, s9, exec_lo
; %bb.146:                              ;   in Loop: Header=BB225_31 Depth=1
	s_or_b32 exec_lo, exec_lo, s18
	s_delay_alu instid0(SALU_CYCLE_1)
	s_and_b32 s24, s9, exec_lo
.LBB225_147:                            ;   in Loop: Header=BB225_31 Depth=1
	s_or_b32 exec_lo, exec_lo, s8
	s_mov_b32 s25, -1
                                        ; implicit-def: $sgpr9
                                        ; implicit-def: $sgpr18
                                        ; implicit-def: $sgpr19
	s_and_saveexec_b32 s3, s24
	s_delay_alu instid0(SALU_CYCLE_1)
	s_xor_b32 s24, exec_lo, s3
	s_cbranch_execz .LBB225_296
; %bb.148:                              ;   in Loop: Header=BB225_31 Depth=1
	v_cmp_eq_u64_e32 vcc_lo, 1, v[2:3]
	s_cmp_eq_u64 s[12:13], 1
                                        ; implicit-def: $sgpr25
                                        ; implicit-def: $sgpr74
                                        ; implicit-def: $sgpr73
	s_cselect_b32 s8, -1, 0
	s_delay_alu instid0(SALU_CYCLE_1)
	s_and_b32 s58, s8, vcc_lo
	s_mov_b32 s8, -1
	s_and_saveexec_b32 s46, s58
	s_cbranch_execz .LBB225_182
; %bb.149:                              ;   in Loop: Header=BB225_31 Depth=1
	ds_load_b64 v[4:5], v13 offset:5120
	s_waitcnt lgkmcnt(0)
	s_barrier
	buffer_gl0_inv
	v_readfirstlane_b32 s18, v4
	v_readfirstlane_b32 s19, v5
	s_and_saveexec_b32 s8, s6
	s_cbranch_execz .LBB225_151
; %bb.150:                              ;   in Loop: Header=BB225_31 Depth=1
	ds_store_b16 v44, v13
.LBB225_151:                            ;   in Loop: Header=BB225_31 Depth=1
	s_or_b32 exec_lo, exec_lo, s8
	s_lshl_b32 s8, 1, s22
	v_or_b32_e32 v29, s20, v29
	v_and_or_b32 v28, v28, s21, s8
	s_cmp_eq_u64 s[18:19], 0
	s_waitcnt lgkmcnt(0)
	s_barrier
	buffer_gl0_inv
	s_cbranch_scc1 .LBB225_165
; %bb.152:                              ;   in Loop: Header=BB225_31 Depth=1
	s_add_u32 s25, s85, s18
	s_addc_u32 s9, s86, s19
	s_mov_b32 s8, s61
	s_delay_alu instid0(SALU_CYCLE_1)
	s_cmp_lg_u64 s[8:9], 0
	s_cbranch_scc0 .LBB225_209
; %bb.153:                              ;   in Loop: Header=BB225_31 Depth=1
	v_cvt_f32_u32_e32 v4, s33
	s_sub_u32 s47, 0, s33
	s_subb_u32 s56, 0, 0
	s_delay_alu instid0(VALU_DEP_1) | instskip(NEXT) | instid1(VALU_DEP_1)
	v_fmac_f32_e64 v4, 0, 0x4f800000
	v_rcp_f32_e32 v4, v4
	s_waitcnt_depctr 0xfff
	v_mul_f32_e32 v4, 0x5f7ffffc, v4
	s_delay_alu instid0(VALU_DEP_1) | instskip(NEXT) | instid1(VALU_DEP_1)
	v_mul_f32_e32 v5, 0x2f800000, v4
	v_trunc_f32_e32 v5, v5
	s_delay_alu instid0(VALU_DEP_1) | instskip(SKIP_1) | instid1(VALU_DEP_2)
	v_fmac_f32_e32 v4, 0xcf800000, v5
	v_cvt_u32_f32_e32 v5, v5
	v_cvt_u32_f32_e32 v4, v4
	s_delay_alu instid0(VALU_DEP_2) | instskip(NEXT) | instid1(VALU_DEP_2)
	v_readfirstlane_b32 s8, v5
	v_readfirstlane_b32 s26, v4
	s_delay_alu instid0(VALU_DEP_2) | instskip(NEXT) | instid1(VALU_DEP_1)
	s_mul_i32 s57, s47, s8
	s_mul_hi_u32 s73, s47, s26
	s_mul_i32 s59, s56, s26
	s_add_i32 s57, s73, s57
	s_mul_i32 s74, s47, s26
	s_add_i32 s57, s57, s59
	s_mul_hi_u32 s73, s26, s74
	s_mul_hi_u32 s75, s8, s74
	s_mul_i32 s59, s8, s74
	s_mul_hi_u32 s74, s26, s57
	s_mul_i32 s26, s26, s57
	s_mul_hi_u32 s76, s8, s57
	s_add_u32 s26, s73, s26
	s_addc_u32 s73, 0, s74
	s_add_u32 s26, s26, s59
	s_mul_i32 s57, s8, s57
	s_addc_u32 s26, s73, s75
	s_addc_u32 s59, s76, 0
	s_add_u32 s26, s26, s57
	s_addc_u32 s57, 0, s59
	v_add_co_u32 v4, s26, v4, s26
	s_delay_alu instid0(VALU_DEP_1) | instskip(SKIP_1) | instid1(VALU_DEP_1)
	s_cmp_lg_u32 s26, 0
	s_addc_u32 s8, s8, s57
	v_readfirstlane_b32 s26, v4
	s_mul_i32 s57, s47, s8
	s_delay_alu instid0(VALU_DEP_1)
	s_mul_hi_u32 s59, s47, s26
	s_mul_i32 s56, s56, s26
	s_add_i32 s57, s59, s57
	s_mul_i32 s47, s47, s26
	s_add_i32 s57, s57, s56
	s_mul_hi_u32 s59, s8, s47
	s_mul_i32 s73, s8, s47
	s_mul_hi_u32 s47, s26, s47
	s_mul_hi_u32 s74, s26, s57
	s_mul_i32 s26, s26, s57
	s_mul_hi_u32 s56, s8, s57
	s_add_u32 s26, s47, s26
	s_addc_u32 s47, 0, s74
	s_add_u32 s26, s26, s73
	s_mul_i32 s57, s8, s57
	s_addc_u32 s26, s47, s59
	s_addc_u32 s47, s56, 0
	s_add_u32 s26, s26, s57
	s_addc_u32 s47, 0, s47
	v_add_co_u32 v4, s26, v4, s26
	s_delay_alu instid0(VALU_DEP_1) | instskip(SKIP_1) | instid1(VALU_DEP_1)
	s_cmp_lg_u32 s26, 0
	s_addc_u32 s8, s8, s47
	v_readfirstlane_b32 s26, v4
	s_mul_i32 s56, s25, s8
	s_mul_hi_u32 s47, s25, s8
	s_mul_hi_u32 s57, s9, s8
	s_mul_i32 s8, s9, s8
	s_mul_hi_u32 s59, s25, s26
	s_mul_hi_u32 s73, s9, s26
	s_mul_i32 s26, s9, s26
	s_add_u32 s56, s59, s56
	s_addc_u32 s47, 0, s47
	s_add_u32 s26, s56, s26
	s_addc_u32 s26, s47, s73
	s_addc_u32 s47, s57, 0
	s_add_u32 s8, s26, s8
	s_addc_u32 s26, 0, s47
	s_mul_hi_u32 s47, s33, s8
	s_mul_i32 s8, s33, s8
	s_mul_i32 s26, s33, s26
	v_sub_co_u32 v4, s8, s25, s8
	s_add_i32 s47, s47, s26
	s_cmp_lg_u32 s8, 0
	s_delay_alu instid0(VALU_DEP_1) | instskip(SKIP_3) | instid1(VALU_DEP_2)
	v_sub_co_u32 v5, s8, v4, s33
	s_subb_u32 s26, s9, s47
	s_cmp_lg_u32 s8, 0
	v_cmp_le_u32_e32 vcc_lo, s33, v4
	v_cmp_le_u32_e64 s8, s33, v5
	v_sub_co_u32 v6, s47, v5, s33
	s_subb_u32 s56, s26, 0
	s_cmp_lg_u32 s47, 0
	s_delay_alu instid0(VALU_DEP_2)
	v_cndmask_b32_e64 v7, 0, -1, s8
	s_subb_u32 s47, s56, 0
	s_cmp_eq_u32 s56, 0
	v_mov_b32_e32 v9, s47
	v_cndmask_b32_e64 v8, 0, -1, vcc_lo
	s_cselect_b32 vcc_lo, -1, 0
	s_cmp_eq_u32 s26, 0
	v_cndmask_b32_e32 v7, -1, v7, vcc_lo
	s_cselect_b32 vcc_lo, -1, 0
	v_cndmask_b32_e32 v8, -1, v8, vcc_lo
	s_delay_alu instid0(VALU_DEP_2) | instskip(NEXT) | instid1(VALU_DEP_2)
	v_cmp_ne_u32_e32 vcc_lo, 0, v7
	v_cmp_ne_u32_e64 s8, 0, v8
	v_cndmask_b32_e32 v7, s56, v9, vcc_lo
	v_cndmask_b32_e32 v6, v5, v6, vcc_lo
	s_delay_alu instid0(VALU_DEP_2) | instskip(NEXT) | instid1(VALU_DEP_2)
	v_cndmask_b32_e64 v5, s26, v7, s8
	v_cndmask_b32_e64 v4, v4, v6, s8
	s_cbranch_execnz .LBB225_155
.LBB225_154:                            ;   in Loop: Header=BB225_31 Depth=1
	v_cvt_f32_u32_e32 v4, s33
	s_sub_i32 s8, 0, s33
	s_delay_alu instid0(VALU_DEP_1) | instskip(SKIP_2) | instid1(VALU_DEP_1)
	v_rcp_iflag_f32_e32 v4, v4
	s_waitcnt_depctr 0xfff
	v_mul_f32_e32 v4, 0x4f7ffffe, v4
	v_cvt_u32_f32_e32 v4, v4
	s_delay_alu instid0(VALU_DEP_1) | instskip(NEXT) | instid1(VALU_DEP_1)
	v_mul_lo_u32 v5, s8, v4
	v_mul_hi_u32 v5, v4, v5
	s_delay_alu instid0(VALU_DEP_1) | instskip(NEXT) | instid1(VALU_DEP_1)
	v_add_nc_u32_e32 v4, v4, v5
	v_mul_hi_u32 v4, s25, v4
	s_delay_alu instid0(VALU_DEP_1) | instskip(NEXT) | instid1(VALU_DEP_1)
	v_mul_lo_u32 v4, v4, s33
	v_sub_nc_u32_e32 v4, s25, v4
	s_delay_alu instid0(VALU_DEP_1) | instskip(SKIP_1) | instid1(VALU_DEP_2)
	v_subrev_nc_u32_e32 v5, s33, v4
	v_cmp_le_u32_e32 vcc_lo, s33, v4
	v_cndmask_b32_e32 v4, v4, v5, vcc_lo
	s_delay_alu instid0(VALU_DEP_1) | instskip(SKIP_1) | instid1(VALU_DEP_2)
	v_subrev_nc_u32_e32 v5, s33, v4
	v_cmp_le_u32_e32 vcc_lo, s33, v4
	v_cndmask_b32_e32 v12, v4, v5, vcc_lo
	s_delay_alu instid0(VALU_DEP_1)
	v_dual_mov_b32 v4, v12 :: v_dual_mov_b32 v5, v13
.LBB225_155:                            ;   in Loop: Header=BB225_31 Depth=1
	s_delay_alu instid0(VALU_DEP_1) | instskip(NEXT) | instid1(VALU_DEP_2)
	v_sub_co_u32 v4, vcc_lo, s25, v4
	v_sub_co_ci_u32_e32 v5, vcc_lo, s9, v5, vcc_lo
	s_mov_b32 s8, 0
	s_mov_b32 s9, exec_lo
                                        ; implicit-def: $vgpr6
	s_delay_alu instid0(VALU_DEP_1)
	v_cmpx_gt_u64_e64 v[4:5], v[0:1]
	s_cbranch_execz .LBB225_167
; %bb.156:                              ;   in Loop: Header=BB225_31 Depth=1
	v_dual_mov_b32 v8, v43 :: v_dual_mov_b32 v7, v1
	v_mov_b32_e32 v6, v0
	s_mov_b32 s25, 0
                                        ; implicit-def: $sgpr26
	s_branch .LBB225_158
.LBB225_157:                            ;   in Loop: Header=BB225_158 Depth=2
	s_or_b32 exec_lo, exec_lo, s8
	s_waitcnt lgkmcnt(0)
	s_barrier
	buffer_gl0_inv
	ds_load_b32 v9, v13 offset:3072
	v_add_co_u32 v6, vcc_lo, v6, s33
	v_add_co_ci_u32_e32 v7, vcc_lo, 0, v7, vcc_lo
	v_add_nc_u32_e32 v8, s93, v8
	s_waitcnt lgkmcnt(0)
	s_barrier
	s_delay_alu instid0(VALU_DEP_2) | instskip(SKIP_2) | instid1(VALU_DEP_1)
	v_cmp_ge_u64_e32 vcc_lo, v[6:7], v[4:5]
	buffer_gl0_inv
	v_and_b32_e32 v12, 0x7fff, v9
	v_cmp_ne_u16_e64 s8, 0, v12
	s_delay_alu instid0(VALU_DEP_1) | instskip(NEXT) | instid1(SALU_CYCLE_1)
	s_or_b32 s47, vcc_lo, s8
	s_and_b32 s47, exec_lo, s47
	s_delay_alu instid0(SALU_CYCLE_1) | instskip(SKIP_2) | instid1(SALU_CYCLE_1)
	s_or_b32 s25, s47, s25
	s_and_not1_b32 s26, s26, exec_lo
	s_and_b32 s8, s8, exec_lo
	s_or_b32 s26, s26, s8
	s_and_not1_b32 exec_lo, exec_lo, s25
	s_cbranch_execz .LBB225_166
.LBB225_158:                            ;   Parent Loop BB225_31 Depth=1
                                        ; =>  This Inner Loop Header: Depth=2
	s_delay_alu instid0(VALU_DEP_1)
	v_cmp_gt_u64_e32 vcc_lo, s[18:19], v[6:7]
	v_mov_b32_e32 v9, 0
	s_and_saveexec_b32 s8, vcc_lo
	s_cbranch_execz .LBB225_160
; %bb.159:                              ;   in Loop: Header=BB225_158 Depth=2
	ds_load_u16 v9, v8
.LBB225_160:                            ;   in Loop: Header=BB225_158 Depth=2
	s_or_b32 exec_lo, exec_lo, s8
	s_and_saveexec_b32 s8, vcc_lo
	s_cbranch_execz .LBB225_157
; %bb.161:                              ;   in Loop: Header=BB225_158 Depth=2
	s_waitcnt lgkmcnt(0)
	v_cmp_lt_i16_e32 vcc_lo, -1, v9
	v_and_b32_e32 v12, 0xffff, v9
	v_dual_cndmask_b32 v30, 0xffff, v47 :: v_dual_lshlrev_b32 v31, 16, v9
	s_delay_alu instid0(VALU_DEP_1) | instskip(NEXT) | instid1(VALU_DEP_2)
	v_cmp_o_f32_e32 vcc_lo, v31, v31
	v_xor_b32_e32 v12, v30, v12
	s_delay_alu instid0(VALU_DEP_1) | instskip(NEXT) | instid1(VALU_DEP_1)
	v_cndmask_b32_e32 v12, 0xffff, v12, vcc_lo
	v_and_b32_e32 v12, v12, v29
	s_delay_alu instid0(VALU_DEP_1)
	v_cmp_eq_u32_e32 vcc_lo, v12, v28
	s_and_b32 exec_lo, exec_lo, vcc_lo
	s_cbranch_execz .LBB225_157
; %bb.162:                              ;   in Loop: Header=BB225_158 Depth=2
	v_perm_b32 v9, v9, s96, 0x5040100
	ds_store_b32 v13, v9 offset:3072
	s_branch .LBB225_157
.LBB225_163:                            ;   in Loop: Header=BB225_31 Depth=1
                                        ; implicit-def: $vgpr2_vgpr3
	s_branch .LBB225_108
.LBB225_164:                            ;   in Loop: Header=BB225_31 Depth=1
                                        ; implicit-def: $vgpr2_vgpr3
	s_branch .LBB225_124
.LBB225_165:                            ;   in Loop: Header=BB225_31 Depth=1
	s_mov_b32 s25, -1
	s_mov_b32 s8, 0
                                        ; implicit-def: $sgpr73
                                        ; implicit-def: $vgpr6
	s_mov_b32 s74, s25
	s_cbranch_execnz .LBB225_168
	s_branch .LBB225_181
.LBB225_166:                            ;   in Loop: Header=BB225_31 Depth=1
	s_or_b32 exec_lo, exec_lo, s25
	v_lshrrev_b32_e32 v6, 16, v9
	s_and_b32 s8, s26, exec_lo
.LBB225_167:                            ;   in Loop: Header=BB225_31 Depth=1
	s_or_b32 exec_lo, exec_lo, s9
	s_mov_b32 s73, -1
	s_mov_b32 s25, 0
	s_delay_alu instid0(SALU_CYCLE_1)
	s_mov_b32 s74, s25
	s_branch .LBB225_181
.LBB225_168:                            ;   in Loop: Header=BB225_31 Depth=1
	s_mov_b32 s26, s61
	s_delay_alu instid0(SALU_CYCLE_1)
	s_cmp_lg_u64 s[26:27], 0
	s_cbranch_scc0 .LBB225_210
; %bb.169:                              ;   in Loop: Header=BB225_31 Depth=1
	v_cvt_f32_u32_e32 v4, s33
	s_sub_u32 s18, 0, s33
	s_subb_u32 s19, 0, 0
	s_delay_alu instid0(VALU_DEP_1) | instskip(NEXT) | instid1(VALU_DEP_1)
	v_fmac_f32_e64 v4, 0, 0x4f800000
	v_rcp_f32_e32 v4, v4
	s_waitcnt_depctr 0xfff
	v_mul_f32_e32 v4, 0x5f7ffffc, v4
	s_delay_alu instid0(VALU_DEP_1) | instskip(NEXT) | instid1(VALU_DEP_1)
	v_mul_f32_e32 v5, 0x2f800000, v4
	v_trunc_f32_e32 v5, v5
	s_delay_alu instid0(VALU_DEP_1) | instskip(SKIP_1) | instid1(VALU_DEP_2)
	v_fmac_f32_e32 v4, 0xcf800000, v5
	v_cvt_u32_f32_e32 v5, v5
	v_cvt_u32_f32_e32 v4, v4
	s_delay_alu instid0(VALU_DEP_2) | instskip(NEXT) | instid1(VALU_DEP_2)
	v_readfirstlane_b32 s8, v5
	v_readfirstlane_b32 s9, v4
	s_delay_alu instid0(VALU_DEP_2) | instskip(NEXT) | instid1(VALU_DEP_1)
	s_mul_i32 s25, s18, s8
	s_mul_hi_u32 s47, s18, s9
	s_mul_i32 s26, s19, s9
	s_add_i32 s25, s47, s25
	s_mul_i32 s56, s18, s9
	s_add_i32 s25, s25, s26
	s_mul_hi_u32 s47, s9, s56
	s_mul_hi_u32 s57, s8, s56
	s_mul_i32 s26, s8, s56
	s_mul_hi_u32 s56, s9, s25
	s_mul_i32 s9, s9, s25
	s_mul_hi_u32 s59, s8, s25
	s_add_u32 s9, s47, s9
	s_addc_u32 s47, 0, s56
	s_add_u32 s9, s9, s26
	s_mul_i32 s25, s8, s25
	s_addc_u32 s9, s47, s57
	s_addc_u32 s26, s59, 0
	s_add_u32 s9, s9, s25
	s_addc_u32 s25, 0, s26
	v_add_co_u32 v4, s9, v4, s9
	s_delay_alu instid0(VALU_DEP_1) | instskip(SKIP_1) | instid1(VALU_DEP_1)
	s_cmp_lg_u32 s9, 0
	s_addc_u32 s8, s8, s25
	v_readfirstlane_b32 s9, v4
	s_mul_i32 s25, s18, s8
	s_delay_alu instid0(VALU_DEP_1)
	s_mul_hi_u32 s26, s18, s9
	s_mul_i32 s19, s19, s9
	s_add_i32 s25, s26, s25
	s_mul_i32 s18, s18, s9
	s_add_i32 s25, s25, s19
	s_mul_hi_u32 s26, s8, s18
	s_mul_i32 s47, s8, s18
	s_mul_hi_u32 s18, s9, s18
	s_mul_hi_u32 s56, s9, s25
	s_mul_i32 s9, s9, s25
	s_mul_hi_u32 s19, s8, s25
	s_add_u32 s9, s18, s9
	s_addc_u32 s18, 0, s56
	s_add_u32 s9, s9, s47
	s_mul_i32 s25, s8, s25
	s_addc_u32 s9, s18, s26
	s_addc_u32 s18, s19, 0
	s_add_u32 s9, s9, s25
	s_addc_u32 s18, 0, s18
	v_add_co_u32 v4, s9, v4, s9
	s_delay_alu instid0(VALU_DEP_1) | instskip(SKIP_1) | instid1(VALU_DEP_1)
	s_cmp_lg_u32 s9, 0
	s_addc_u32 s8, s8, s18
	v_readfirstlane_b32 s9, v4
	s_mul_i32 s19, s87, s8
	s_mul_hi_u32 s18, s87, s8
	s_mul_hi_u32 s25, s27, s8
	s_mul_i32 s8, s27, s8
	s_mul_hi_u32 s26, s87, s9
	s_mul_hi_u32 s47, s27, s9
	s_mul_i32 s9, s27, s9
	s_add_u32 s19, s26, s19
	s_addc_u32 s18, 0, s18
	s_add_u32 s9, s19, s9
	s_addc_u32 s9, s18, s47
	s_addc_u32 s18, s25, 0
	s_add_u32 s8, s9, s8
	s_addc_u32 s9, 0, s18
	s_mul_hi_u32 s18, s33, s8
	s_mul_i32 s8, s33, s8
	s_mul_i32 s9, s33, s9
	v_sub_co_u32 v4, s8, s87, s8
	s_add_i32 s18, s18, s9
	s_cmp_lg_u32 s8, 0
	s_delay_alu instid0(VALU_DEP_1) | instskip(SKIP_3) | instid1(VALU_DEP_2)
	v_sub_co_u32 v5, s8, v4, s33
	s_subb_u32 s9, s27, s18
	s_cmp_lg_u32 s8, 0
	v_cmp_le_u32_e32 vcc_lo, s33, v4
	v_cmp_le_u32_e64 s8, s33, v5
	v_sub_co_u32 v6, s18, v5, s33
	s_subb_u32 s19, s9, 0
	s_cmp_lg_u32 s18, 0
	s_delay_alu instid0(VALU_DEP_2)
	v_cndmask_b32_e64 v7, 0, -1, s8
	s_subb_u32 s18, s19, 0
	s_cmp_eq_u32 s19, 0
	v_mov_b32_e32 v9, s18
	v_cndmask_b32_e64 v8, 0, -1, vcc_lo
	s_cselect_b32 vcc_lo, -1, 0
	s_cmp_eq_u32 s9, 0
	v_cndmask_b32_e32 v7, -1, v7, vcc_lo
	s_cselect_b32 vcc_lo, -1, 0
	v_cndmask_b32_e32 v8, -1, v8, vcc_lo
	s_delay_alu instid0(VALU_DEP_2) | instskip(NEXT) | instid1(VALU_DEP_2)
	v_cmp_ne_u32_e32 vcc_lo, 0, v7
	v_cmp_ne_u32_e64 s8, 0, v8
	v_cndmask_b32_e32 v7, s19, v9, vcc_lo
	v_cndmask_b32_e32 v6, v5, v6, vcc_lo
	s_delay_alu instid0(VALU_DEP_2) | instskip(NEXT) | instid1(VALU_DEP_2)
	v_cndmask_b32_e64 v5, s9, v7, s8
	v_cndmask_b32_e64 v4, v4, v6, s8
	s_cbranch_execnz .LBB225_171
.LBB225_170:                            ;   in Loop: Header=BB225_31 Depth=1
	v_cvt_f32_u32_e32 v4, s33
	s_sub_i32 s8, 0, s33
	s_delay_alu instid0(VALU_DEP_1) | instskip(SKIP_2) | instid1(VALU_DEP_1)
	v_rcp_iflag_f32_e32 v4, v4
	s_waitcnt_depctr 0xfff
	v_mul_f32_e32 v4, 0x4f7ffffe, v4
	v_cvt_u32_f32_e32 v4, v4
	s_delay_alu instid0(VALU_DEP_1) | instskip(NEXT) | instid1(VALU_DEP_1)
	v_mul_lo_u32 v5, s8, v4
	v_mul_hi_u32 v5, v4, v5
	s_delay_alu instid0(VALU_DEP_1) | instskip(NEXT) | instid1(VALU_DEP_1)
	v_add_nc_u32_e32 v4, v4, v5
	v_mul_hi_u32 v4, s87, v4
	s_delay_alu instid0(VALU_DEP_1) | instskip(NEXT) | instid1(VALU_DEP_1)
	v_mul_lo_u32 v4, v4, s33
	v_sub_nc_u32_e32 v4, s87, v4
	s_delay_alu instid0(VALU_DEP_1) | instskip(SKIP_1) | instid1(VALU_DEP_2)
	v_subrev_nc_u32_e32 v5, s33, v4
	v_cmp_le_u32_e32 vcc_lo, s33, v4
	v_cndmask_b32_e32 v4, v4, v5, vcc_lo
	s_delay_alu instid0(VALU_DEP_1) | instskip(SKIP_1) | instid1(VALU_DEP_2)
	v_subrev_nc_u32_e32 v5, s33, v4
	v_cmp_le_u32_e32 vcc_lo, s33, v4
	v_cndmask_b32_e32 v12, v4, v5, vcc_lo
	s_delay_alu instid0(VALU_DEP_1)
	v_dual_mov_b32 v4, v12 :: v_dual_mov_b32 v5, v13
.LBB225_171:                            ;   in Loop: Header=BB225_31 Depth=1
	s_delay_alu instid0(VALU_DEP_1) | instskip(NEXT) | instid1(VALU_DEP_2)
	v_sub_co_u32 v4, vcc_lo, s87, v4
	v_sub_co_ci_u32_e32 v5, vcc_lo, s27, v5, vcc_lo
	s_mov_b32 s8, 0
	s_mov_b32 s9, exec_lo
                                        ; implicit-def: $vgpr6
	s_delay_alu instid0(VALU_DEP_1)
	v_cmpx_gt_u64_e64 v[4:5], v[0:1]
	s_cbranch_execz .LBB225_180
; %bb.172:                              ;   in Loop: Header=BB225_31 Depth=1
	v_dual_mov_b32 v6, v24 :: v_dual_mov_b32 v7, v25
	v_dual_mov_b32 v9, v1 :: v_dual_mov_b32 v8, v0
	s_mov_b32 s18, 0
                                        ; implicit-def: $sgpr19
	s_branch .LBB225_174
.LBB225_173:                            ;   in Loop: Header=BB225_174 Depth=2
	s_or_b32 exec_lo, exec_lo, s8
	s_waitcnt vmcnt(0) lgkmcnt(0)
	s_barrier
	buffer_gl0_inv
	ds_load_b32 v12, v13 offset:3072
	v_add_co_u32 v8, vcc_lo, v8, s33
	v_add_co_ci_u32_e32 v9, vcc_lo, 0, v9, vcc_lo
	s_waitcnt lgkmcnt(0)
	s_barrier
	buffer_gl0_inv
	v_cmp_ge_u64_e32 vcc_lo, v[8:9], v[4:5]
	v_and_b32_e32 v30, 0x7fff, v12
	s_delay_alu instid0(VALU_DEP_1) | instskip(NEXT) | instid1(VALU_DEP_1)
	v_cmp_ne_u16_e64 s8, 0, v30
	s_or_b32 s25, vcc_lo, s8
	v_add_co_u32 v6, vcc_lo, v6, s34
	s_and_b32 s25, exec_lo, s25
	v_add_co_ci_u32_e32 v7, vcc_lo, s35, v7, vcc_lo
	s_or_b32 s18, s25, s18
	s_and_not1_b32 s19, s19, exec_lo
	s_and_b32 s8, s8, exec_lo
	s_delay_alu instid0(SALU_CYCLE_1)
	s_or_b32 s19, s19, s8
	s_and_not1_b32 exec_lo, exec_lo, s18
	s_cbranch_execz .LBB225_179
.LBB225_174:                            ;   Parent Loop BB225_31 Depth=1
                                        ; =>  This Inner Loop Header: Depth=2
	s_delay_alu instid0(VALU_DEP_1)
	v_cmp_gt_u64_e32 vcc_lo, s[36:37], v[8:9]
	v_mov_b32_e32 v12, 0
	s_and_saveexec_b32 s8, vcc_lo
	s_cbranch_execz .LBB225_176
; %bb.175:                              ;   in Loop: Header=BB225_174 Depth=2
	global_load_u16 v12, v[6:7], off
.LBB225_176:                            ;   in Loop: Header=BB225_174 Depth=2
	s_or_b32 exec_lo, exec_lo, s8
	s_and_saveexec_b32 s8, vcc_lo
	s_cbranch_execz .LBB225_173
; %bb.177:                              ;   in Loop: Header=BB225_174 Depth=2
	s_waitcnt vmcnt(0)
	v_cmp_lt_i16_e32 vcc_lo, -1, v12
	v_and_b32_e32 v30, 0xffff, v12
	v_dual_cndmask_b32 v31, 0xffff, v47 :: v_dual_lshlrev_b32 v32, 16, v12
	s_delay_alu instid0(VALU_DEP_1) | instskip(NEXT) | instid1(VALU_DEP_2)
	v_cmp_o_f32_e32 vcc_lo, v32, v32
	v_xor_b32_e32 v30, v31, v30
	s_delay_alu instid0(VALU_DEP_1) | instskip(NEXT) | instid1(VALU_DEP_1)
	v_cndmask_b32_e32 v30, 0xffff, v30, vcc_lo
	v_and_b32_e32 v30, v30, v29
	s_delay_alu instid0(VALU_DEP_1)
	v_cmp_eq_u32_e32 vcc_lo, v30, v28
	s_and_b32 exec_lo, exec_lo, vcc_lo
	s_cbranch_execz .LBB225_173
; %bb.178:                              ;   in Loop: Header=BB225_174 Depth=2
	v_perm_b32 v12, v12, s96, 0x5040100
	ds_store_b32 v13, v12 offset:3072
	s_branch .LBB225_173
.LBB225_179:                            ;   in Loop: Header=BB225_31 Depth=1
	s_or_b32 exec_lo, exec_lo, s18
	v_lshrrev_b32_e32 v6, 16, v12
	s_and_b32 s8, s19, exec_lo
.LBB225_180:                            ;   in Loop: Header=BB225_31 Depth=1
	s_or_b32 exec_lo, exec_lo, s9
	s_mov_b32 s74, -1
	s_mov_b32 s25, 0
	s_mov_b32 s73, 0
.LBB225_181:                            ;   in Loop: Header=BB225_31 Depth=1
	s_or_not1_b32 s8, s8, exec_lo
.LBB225_182:                            ;   in Loop: Header=BB225_31 Depth=1
	s_or_b32 exec_lo, exec_lo, s46
	s_mov_b32 s26, 0
                                        ; implicit-def: $vgpr7
	s_and_saveexec_b32 s75, s8
	s_cbranch_execz .LBB225_295
; %bb.183:                              ;   in Loop: Header=BB225_31 Depth=1
	v_dual_mov_b32 v4, 1 :: v_dual_mov_b32 v7, 1
	v_mov_b32_e32 v5, 0
	s_xor_b32 s9, s58, -1
	s_delay_alu instid0(SALU_CYCLE_1)
	s_and_saveexec_b32 s8, s9
	s_cbranch_execz .LBB225_193
; %bb.184:                              ;   in Loop: Header=BB225_31 Depth=1
	s_mov_b32 s18, exec_lo
                                        ; implicit-def: $sgpr19
                                        ; implicit-def: $sgpr9
	v_cmpx_ge_u64_e64 s[12:13], v[2:3]
	s_xor_b32 s18, exec_lo, s18
	s_cbranch_execz .LBB225_190
; %bb.185:                              ;   in Loop: Header=BB225_31 Depth=1
	ds_load_b64 v[4:5], v13 offset:5120
	s_waitcnt lgkmcnt(0)
	v_cmp_ne_u64_e32 vcc_lo, 0, v[4:5]
	s_cbranch_vccnz .LBB225_189
; %bb.186:                              ;   in Loop: Header=BB225_31 Depth=1
	s_and_saveexec_b32 s9, s5
	s_cbranch_execz .LBB225_188
; %bb.187:                              ;   in Loop: Header=BB225_31 Depth=1
	v_dual_mov_b32 v4, s12 :: v_dual_mov_b32 v5, s13
	ds_store_b64 v13, v[4:5] offset:5128
.LBB225_188:                            ;   in Loop: Header=BB225_31 Depth=1
	s_or_b32 exec_lo, exec_lo, s9
	s_waitcnt lgkmcnt(0)
	s_barrier
	buffer_gl0_inv
.LBB225_189:                            ;   in Loop: Header=BB225_31 Depth=1
	s_lshl_b32 s9, 1, s22
	v_or_b32_e32 v29, s20, v29
	v_and_or_b32 v28, v28, s21, s9
	s_mov_b32 s9, 0
	s_mov_b32 s19, 8
.LBB225_190:                            ;   in Loop: Header=BB225_31 Depth=1
	s_or_saveexec_b32 s18, s18
	v_mov_b32_e32 v7, s19
	s_xor_b32 exec_lo, exec_lo, s18
; %bb.191:                              ;   in Loop: Header=BB225_31 Depth=1
	v_sub_co_u32 v2, vcc_lo, v2, s12
	v_subrev_co_ci_u32_e32 v3, vcc_lo, s13, v3, vcc_lo
	v_mov_b32_e32 v7, 0
	s_or_b32 s9, s9, exec_lo
; %bb.192:                              ;   in Loop: Header=BB225_31 Depth=1
	s_or_b32 exec_lo, exec_lo, s18
	s_delay_alu instid0(VALU_DEP_2)
	v_dual_mov_b32 v5, v3 :: v_dual_mov_b32 v4, v2
	s_and_b32 s26, s9, exec_lo
.LBB225_193:                            ;   in Loop: Header=BB225_31 Depth=1
	s_or_b32 exec_lo, exec_lo, s8
	s_mov_b32 s8, -1
                                        ; implicit-def: $sgpr9
                                        ; implicit-def: $sgpr18
                                        ; implicit-def: $sgpr19
	s_and_saveexec_b32 s76, s26
	s_cbranch_execz .LBB225_294
; %bb.194:                              ;   in Loop: Header=BB225_31 Depth=1
	v_cmp_eq_u64_e32 vcc_lo, 1, v[4:5]
	s_cmp_eq_u64 s[14:15], 1
                                        ; implicit-def: $sgpr77
                                        ; implicit-def: $sgpr79
                                        ; implicit-def: $sgpr78
	s_cselect_b32 s8, -1, 0
	s_delay_alu instid0(SALU_CYCLE_1)
	s_and_b32 s59, s8, vcc_lo
	s_mov_b32 s8, -1
	s_and_saveexec_b32 s46, s59
	s_cbranch_execz .LBB225_228
; %bb.195:                              ;   in Loop: Header=BB225_31 Depth=1
	ds_load_b64 v[2:3], v13 offset:5120
	s_waitcnt lgkmcnt(0)
	s_barrier
	buffer_gl0_inv
	v_readfirstlane_b32 s18, v2
	v_readfirstlane_b32 s19, v3
	s_and_saveexec_b32 s8, s6
	s_cbranch_execz .LBB225_197
; %bb.196:                              ;   in Loop: Header=BB225_31 Depth=1
	ds_store_b16 v44, v13
.LBB225_197:                            ;   in Loop: Header=BB225_31 Depth=1
	s_or_b32 exec_lo, exec_lo, s8
	s_lshl_b32 s8, 2, s22
	v_or_b32_e32 v29, s20, v29
	v_and_or_b32 v28, v28, s21, s8
	s_cmp_eq_u64 s[18:19], 0
	s_waitcnt lgkmcnt(0)
	s_barrier
	buffer_gl0_inv
	s_cbranch_scc1 .LBB225_211
; %bb.198:                              ;   in Loop: Header=BB225_31 Depth=1
	s_add_u32 s26, s85, s18
	s_addc_u32 s9, s86, s19
	s_mov_b32 s8, s61
	s_delay_alu instid0(SALU_CYCLE_1)
	s_cmp_lg_u64 s[8:9], 0
	s_cbranch_scc0 .LBB225_246
; %bb.199:                              ;   in Loop: Header=BB225_31 Depth=1
	v_cvt_f32_u32_e32 v2, s33
	s_sub_u32 s56, 0, s33
	s_subb_u32 s57, 0, 0
	s_delay_alu instid0(VALU_DEP_1) | instskip(NEXT) | instid1(VALU_DEP_1)
	v_fmac_f32_e64 v2, 0, 0x4f800000
	v_rcp_f32_e32 v2, v2
	s_waitcnt_depctr 0xfff
	v_mul_f32_e32 v2, 0x5f7ffffc, v2
	s_delay_alu instid0(VALU_DEP_1) | instskip(NEXT) | instid1(VALU_DEP_1)
	v_mul_f32_e32 v3, 0x2f800000, v2
	v_trunc_f32_e32 v3, v3
	s_delay_alu instid0(VALU_DEP_1) | instskip(SKIP_1) | instid1(VALU_DEP_2)
	v_fmac_f32_e32 v2, 0xcf800000, v3
	v_cvt_u32_f32_e32 v3, v3
	v_cvt_u32_f32_e32 v2, v2
	s_delay_alu instid0(VALU_DEP_2) | instskip(NEXT) | instid1(VALU_DEP_2)
	v_readfirstlane_b32 s8, v3
	v_readfirstlane_b32 s47, v2
	s_delay_alu instid0(VALU_DEP_2) | instskip(NEXT) | instid1(VALU_DEP_1)
	s_mul_i32 s58, s56, s8
	s_mul_hi_u32 s78, s56, s47
	s_mul_i32 s77, s57, s47
	s_add_i32 s58, s78, s58
	s_mul_i32 s79, s56, s47
	s_add_i32 s58, s58, s77
	s_mul_hi_u32 s78, s47, s79
	s_mul_hi_u32 vcc_lo, s8, s79
	s_mul_i32 s77, s8, s79
	s_mul_hi_u32 s79, s47, s58
	s_mul_i32 s47, s47, s58
	s_mul_hi_u32 s3, s8, s58
	s_add_u32 s47, s78, s47
	s_addc_u32 s78, 0, s79
	s_add_u32 s47, s47, s77
	s_mul_i32 s58, s8, s58
	s_addc_u32 s47, s78, vcc_lo
	s_addc_u32 s3, s3, 0
	s_add_u32 s47, s47, s58
	s_addc_u32 s3, 0, s3
	v_add_co_u32 v2, s47, v2, s47
	s_delay_alu instid0(VALU_DEP_1) | instskip(SKIP_1) | instid1(VALU_DEP_1)
	s_cmp_lg_u32 s47, 0
	s_addc_u32 s3, s8, s3
	v_readfirstlane_b32 s47, v2
	s_mul_i32 s8, s56, s3
	s_delay_alu instid0(VALU_DEP_1)
	s_mul_hi_u32 s58, s56, s47
	s_mul_i32 s57, s57, s47
	s_add_i32 s8, s58, s8
	s_mul_i32 s56, s56, s47
	s_add_i32 s8, s8, s57
	s_mul_hi_u32 s58, s3, s56
	s_mul_i32 s77, s3, s56
	s_mul_hi_u32 s56, s47, s56
	s_mul_hi_u32 s78, s47, s8
	s_mul_i32 s47, s47, s8
	s_mul_hi_u32 s57, s3, s8
	s_add_u32 s47, s56, s47
	s_addc_u32 s56, 0, s78
	s_add_u32 s47, s47, s77
	s_mul_i32 s8, s3, s8
	s_addc_u32 s47, s56, s58
	s_addc_u32 s56, s57, 0
	s_add_u32 s8, s47, s8
	s_addc_u32 s47, 0, s56
	v_add_co_u32 v2, s8, v2, s8
	s_delay_alu instid0(VALU_DEP_1) | instskip(SKIP_1) | instid1(VALU_DEP_1)
	s_cmp_lg_u32 s8, 0
	s_addc_u32 s3, s3, s47
	v_readfirstlane_b32 s8, v2
	s_mul_i32 s56, s26, s3
	s_mul_hi_u32 s47, s26, s3
	s_mul_hi_u32 s57, s9, s3
	s_mul_i32 s3, s9, s3
	s_mul_hi_u32 s58, s26, s8
	s_mul_hi_u32 s77, s9, s8
	s_mul_i32 s8, s9, s8
	s_add_u32 s56, s58, s56
	s_addc_u32 s47, 0, s47
	s_add_u32 s8, s56, s8
	s_addc_u32 s8, s47, s77
	s_addc_u32 s47, s57, 0
	s_add_u32 s3, s8, s3
	s_addc_u32 s8, 0, s47
	s_mul_hi_u32 s47, s33, s3
	s_mul_i32 s3, s33, s3
	s_mul_i32 s8, s33, s8
	v_sub_co_u32 v2, s3, s26, s3
	s_add_i32 s47, s47, s8
	s_cmp_lg_u32 s3, 0
	s_delay_alu instid0(VALU_DEP_1) | instskip(SKIP_3) | instid1(VALU_DEP_2)
	v_sub_co_u32 v3, s3, v2, s33
	s_subb_u32 s47, s9, s47
	s_cmp_lg_u32 s3, 0
	v_cmp_le_u32_e32 vcc_lo, s33, v2
	v_cmp_le_u32_e64 s8, s33, v3
	v_sub_co_u32 v6, s3, v3, s33
	s_subb_u32 s56, s47, 0
	s_cmp_lg_u32 s3, 0
	s_delay_alu instid0(VALU_DEP_2)
	v_cndmask_b32_e64 v7, 0, -1, s8
	s_subb_u32 s3, s56, 0
	s_cmp_eq_u32 s56, 0
	v_mov_b32_e32 v9, s3
	v_cndmask_b32_e64 v8, 0, -1, vcc_lo
	s_cselect_b32 vcc_lo, -1, 0
	s_cmp_eq_u32 s47, 0
	v_cndmask_b32_e32 v7, -1, v7, vcc_lo
	s_cselect_b32 vcc_lo, -1, 0
	v_cndmask_b32_e32 v8, -1, v8, vcc_lo
	s_delay_alu instid0(VALU_DEP_2) | instskip(NEXT) | instid1(VALU_DEP_2)
	v_cmp_ne_u32_e32 vcc_lo, 0, v7
	v_cmp_ne_u32_e64 s8, 0, v8
	v_cndmask_b32_e32 v7, s56, v9, vcc_lo
	v_cndmask_b32_e32 v6, v3, v6, vcc_lo
	s_delay_alu instid0(VALU_DEP_2) | instskip(NEXT) | instid1(VALU_DEP_2)
	v_cndmask_b32_e64 v3, s47, v7, s8
	v_cndmask_b32_e64 v2, v2, v6, s8
	s_cbranch_execnz .LBB225_201
.LBB225_200:                            ;   in Loop: Header=BB225_31 Depth=1
	v_cvt_f32_u32_e32 v2, s33
	s_sub_i32 s8, 0, s33
	s_delay_alu instid0(VALU_DEP_1) | instskip(SKIP_2) | instid1(VALU_DEP_1)
	v_rcp_iflag_f32_e32 v2, v2
	s_waitcnt_depctr 0xfff
	v_mul_f32_e32 v2, 0x4f7ffffe, v2
	v_cvt_u32_f32_e32 v2, v2
	s_delay_alu instid0(VALU_DEP_1) | instskip(NEXT) | instid1(VALU_DEP_1)
	v_mul_lo_u32 v3, s8, v2
	v_mul_hi_u32 v3, v2, v3
	s_delay_alu instid0(VALU_DEP_1) | instskip(NEXT) | instid1(VALU_DEP_1)
	v_add_nc_u32_e32 v2, v2, v3
	v_mul_hi_u32 v2, s26, v2
	s_delay_alu instid0(VALU_DEP_1) | instskip(NEXT) | instid1(VALU_DEP_1)
	v_mul_lo_u32 v2, v2, s33
	v_sub_nc_u32_e32 v2, s26, v2
	s_delay_alu instid0(VALU_DEP_1) | instskip(SKIP_1) | instid1(VALU_DEP_2)
	v_subrev_nc_u32_e32 v3, s33, v2
	v_cmp_le_u32_e32 vcc_lo, s33, v2
	v_cndmask_b32_e32 v2, v2, v3, vcc_lo
	s_delay_alu instid0(VALU_DEP_1) | instskip(SKIP_1) | instid1(VALU_DEP_2)
	v_subrev_nc_u32_e32 v3, s33, v2
	v_cmp_le_u32_e32 vcc_lo, s33, v2
	v_cndmask_b32_e32 v12, v2, v3, vcc_lo
	s_delay_alu instid0(VALU_DEP_1)
	v_dual_mov_b32 v2, v12 :: v_dual_mov_b32 v3, v13
.LBB225_201:                            ;   in Loop: Header=BB225_31 Depth=1
	s_delay_alu instid0(VALU_DEP_1) | instskip(NEXT) | instid1(VALU_DEP_2)
	v_sub_co_u32 v2, vcc_lo, s26, v2
	v_sub_co_ci_u32_e32 v3, vcc_lo, s9, v3, vcc_lo
	s_mov_b32 s8, 0
	s_mov_b32 s9, exec_lo
                                        ; implicit-def: $vgpr6
	s_delay_alu instid0(VALU_DEP_1)
	v_cmpx_gt_u64_e64 v[2:3], v[0:1]
	s_cbranch_execz .LBB225_213
; %bb.202:                              ;   in Loop: Header=BB225_31 Depth=1
	v_dual_mov_b32 v8, v43 :: v_dual_mov_b32 v7, v1
	v_mov_b32_e32 v6, v0
	s_mov_b32 s26, 0
                                        ; implicit-def: $sgpr47
	s_branch .LBB225_204
.LBB225_203:                            ;   in Loop: Header=BB225_204 Depth=2
	s_or_b32 exec_lo, exec_lo, s8
	s_waitcnt lgkmcnt(0)
	s_barrier
	buffer_gl0_inv
	ds_load_b32 v9, v13 offset:3072
	v_add_co_u32 v6, vcc_lo, v6, s33
	v_add_co_ci_u32_e32 v7, vcc_lo, 0, v7, vcc_lo
	v_add_nc_u32_e32 v8, s93, v8
	s_waitcnt lgkmcnt(0)
	s_barrier
	s_delay_alu instid0(VALU_DEP_2) | instskip(SKIP_2) | instid1(VALU_DEP_1)
	v_cmp_ge_u64_e32 vcc_lo, v[6:7], v[2:3]
	buffer_gl0_inv
	v_and_b32_e32 v12, 0x7fff, v9
	v_cmp_ne_u16_e64 s8, 0, v12
	s_delay_alu instid0(VALU_DEP_1) | instskip(NEXT) | instid1(SALU_CYCLE_1)
	s_or_b32 s3, vcc_lo, s8
	s_and_b32 s3, exec_lo, s3
	s_delay_alu instid0(SALU_CYCLE_1) | instskip(SKIP_2) | instid1(SALU_CYCLE_1)
	s_or_b32 s26, s3, s26
	s_and_not1_b32 s3, s47, exec_lo
	s_and_b32 s8, s8, exec_lo
	s_or_b32 s47, s3, s8
	s_and_not1_b32 exec_lo, exec_lo, s26
	s_cbranch_execz .LBB225_212
.LBB225_204:                            ;   Parent Loop BB225_31 Depth=1
                                        ; =>  This Inner Loop Header: Depth=2
	s_delay_alu instid0(VALU_DEP_1)
	v_cmp_gt_u64_e32 vcc_lo, s[18:19], v[6:7]
	v_mov_b32_e32 v9, 0
	s_and_saveexec_b32 s8, vcc_lo
	s_cbranch_execz .LBB225_206
; %bb.205:                              ;   in Loop: Header=BB225_204 Depth=2
	ds_load_u16 v9, v8
.LBB225_206:                            ;   in Loop: Header=BB225_204 Depth=2
	s_or_b32 exec_lo, exec_lo, s8
	s_and_saveexec_b32 s8, vcc_lo
	s_cbranch_execz .LBB225_203
; %bb.207:                              ;   in Loop: Header=BB225_204 Depth=2
	s_waitcnt lgkmcnt(0)
	v_cmp_lt_i16_e32 vcc_lo, -1, v9
	v_and_b32_e32 v12, 0xffff, v9
	v_dual_cndmask_b32 v30, 0xffff, v47 :: v_dual_lshlrev_b32 v31, 16, v9
	s_delay_alu instid0(VALU_DEP_1) | instskip(NEXT) | instid1(VALU_DEP_2)
	v_cmp_o_f32_e32 vcc_lo, v31, v31
	v_xor_b32_e32 v12, v30, v12
	s_delay_alu instid0(VALU_DEP_1) | instskip(NEXT) | instid1(VALU_DEP_1)
	v_cndmask_b32_e32 v12, 0xffff, v12, vcc_lo
	v_and_b32_e32 v12, v12, v29
	s_delay_alu instid0(VALU_DEP_1)
	v_cmp_eq_u32_e32 vcc_lo, v12, v28
	s_and_b32 exec_lo, exec_lo, vcc_lo
	s_cbranch_execz .LBB225_203
; %bb.208:                              ;   in Loop: Header=BB225_204 Depth=2
	v_perm_b32 v9, v9, s96, 0x5040100
	ds_store_b32 v13, v9 offset:3072
	s_branch .LBB225_203
.LBB225_209:                            ;   in Loop: Header=BB225_31 Depth=1
                                        ; implicit-def: $vgpr4_vgpr5
	s_branch .LBB225_154
.LBB225_210:                            ;   in Loop: Header=BB225_31 Depth=1
                                        ; implicit-def: $vgpr4_vgpr5
	s_branch .LBB225_170
.LBB225_211:                            ;   in Loop: Header=BB225_31 Depth=1
	s_mov_b32 s77, -1
	s_mov_b32 s8, 0
                                        ; implicit-def: $sgpr78
                                        ; implicit-def: $vgpr6
	s_mov_b32 s79, s77
	s_cbranch_execnz .LBB225_214
	s_branch .LBB225_227
.LBB225_212:                            ;   in Loop: Header=BB225_31 Depth=1
	s_or_b32 exec_lo, exec_lo, s26
	v_lshrrev_b32_e32 v6, 16, v9
	s_and_b32 s8, s47, exec_lo
.LBB225_213:                            ;   in Loop: Header=BB225_31 Depth=1
	s_or_b32 exec_lo, exec_lo, s9
	s_mov_b32 s78, -1
	s_mov_b32 s77, 0
	s_delay_alu instid0(SALU_CYCLE_1)
	s_mov_b32 s79, s77
	s_branch .LBB225_227
.LBB225_214:                            ;   in Loop: Header=BB225_31 Depth=1
	s_mov_b32 s26, s61
	s_delay_alu instid0(SALU_CYCLE_1)
	s_cmp_lg_u64 s[26:27], 0
	s_cbranch_scc0 .LBB225_247
; %bb.215:                              ;   in Loop: Header=BB225_31 Depth=1
	v_cvt_f32_u32_e32 v2, s33
	s_sub_u32 s9, 0, s33
	s_subb_u32 s18, 0, 0
	s_delay_alu instid0(VALU_DEP_1) | instskip(NEXT) | instid1(VALU_DEP_1)
	v_fmac_f32_e64 v2, 0, 0x4f800000
	v_rcp_f32_e32 v2, v2
	s_waitcnt_depctr 0xfff
	v_mul_f32_e32 v2, 0x5f7ffffc, v2
	s_delay_alu instid0(VALU_DEP_1) | instskip(NEXT) | instid1(VALU_DEP_1)
	v_mul_f32_e32 v3, 0x2f800000, v2
	v_trunc_f32_e32 v3, v3
	s_delay_alu instid0(VALU_DEP_1) | instskip(SKIP_1) | instid1(VALU_DEP_2)
	v_fmac_f32_e32 v2, 0xcf800000, v3
	v_cvt_u32_f32_e32 v3, v3
	v_cvt_u32_f32_e32 v2, v2
	s_delay_alu instid0(VALU_DEP_2) | instskip(NEXT) | instid1(VALU_DEP_2)
	v_readfirstlane_b32 s3, v3
	v_readfirstlane_b32 s8, v2
	s_delay_alu instid0(VALU_DEP_2) | instskip(NEXT) | instid1(VALU_DEP_1)
	s_mul_i32 s19, s9, s3
	s_mul_hi_u32 s47, s9, s8
	s_mul_i32 s26, s18, s8
	s_add_i32 s19, s47, s19
	s_mul_i32 s56, s9, s8
	s_add_i32 s19, s19, s26
	s_mul_hi_u32 s47, s8, s56
	s_mul_hi_u32 s57, s3, s56
	s_mul_i32 s26, s3, s56
	s_mul_hi_u32 s56, s8, s19
	s_mul_i32 s8, s8, s19
	s_mul_hi_u32 s58, s3, s19
	s_add_u32 s8, s47, s8
	s_addc_u32 s47, 0, s56
	s_add_u32 s8, s8, s26
	s_mul_i32 s19, s3, s19
	s_addc_u32 s8, s47, s57
	s_addc_u32 s26, s58, 0
	s_add_u32 s8, s8, s19
	s_addc_u32 s19, 0, s26
	v_add_co_u32 v2, s8, v2, s8
	s_delay_alu instid0(VALU_DEP_1) | instskip(SKIP_1) | instid1(VALU_DEP_1)
	s_cmp_lg_u32 s8, 0
	s_addc_u32 s3, s3, s19
	v_readfirstlane_b32 s8, v2
	s_mul_i32 s19, s9, s3
	s_delay_alu instid0(VALU_DEP_1)
	s_mul_hi_u32 s26, s9, s8
	s_mul_i32 s18, s18, s8
	s_add_i32 s19, s26, s19
	s_mul_i32 s9, s9, s8
	s_add_i32 s19, s19, s18
	s_mul_hi_u32 s26, s3, s9
	s_mul_i32 s47, s3, s9
	s_mul_hi_u32 s9, s8, s9
	s_mul_hi_u32 s56, s8, s19
	s_mul_i32 s8, s8, s19
	s_mul_hi_u32 s18, s3, s19
	s_add_u32 s8, s9, s8
	s_addc_u32 s9, 0, s56
	s_add_u32 s8, s8, s47
	s_mul_i32 s19, s3, s19
	s_addc_u32 s8, s9, s26
	s_addc_u32 s9, s18, 0
	s_add_u32 s8, s8, s19
	s_addc_u32 s9, 0, s9
	v_add_co_u32 v2, s8, v2, s8
	s_delay_alu instid0(VALU_DEP_1) | instskip(SKIP_1) | instid1(VALU_DEP_1)
	s_cmp_lg_u32 s8, 0
	s_addc_u32 s3, s3, s9
	v_readfirstlane_b32 s8, v2
	s_mul_i32 s18, s87, s3
	s_mul_hi_u32 s9, s87, s3
	s_mul_hi_u32 s19, s27, s3
	s_mul_i32 s3, s27, s3
	s_mul_hi_u32 s26, s87, s8
	s_mul_hi_u32 s47, s27, s8
	s_mul_i32 s8, s27, s8
	s_add_u32 s18, s26, s18
	s_addc_u32 s9, 0, s9
	s_add_u32 s8, s18, s8
	s_addc_u32 s8, s9, s47
	s_addc_u32 s9, s19, 0
	s_add_u32 s3, s8, s3
	s_addc_u32 s8, 0, s9
	s_mul_hi_u32 s9, s33, s3
	s_mul_i32 s3, s33, s3
	s_mul_i32 s8, s33, s8
	v_sub_co_u32 v2, s3, s87, s3
	s_add_i32 s9, s9, s8
	s_cmp_lg_u32 s3, 0
	s_delay_alu instid0(VALU_DEP_1) | instskip(SKIP_3) | instid1(VALU_DEP_2)
	v_sub_co_u32 v3, s3, v2, s33
	s_subb_u32 s9, s27, s9
	s_cmp_lg_u32 s3, 0
	v_cmp_le_u32_e32 vcc_lo, s33, v2
	v_cmp_le_u32_e64 s8, s33, v3
	v_sub_co_u32 v6, s3, v3, s33
	s_subb_u32 s18, s9, 0
	s_cmp_lg_u32 s3, 0
	s_delay_alu instid0(VALU_DEP_2)
	v_cndmask_b32_e64 v7, 0, -1, s8
	s_subb_u32 s3, s18, 0
	s_cmp_eq_u32 s18, 0
	v_mov_b32_e32 v9, s3
	v_cndmask_b32_e64 v8, 0, -1, vcc_lo
	s_cselect_b32 vcc_lo, -1, 0
	s_cmp_eq_u32 s9, 0
	v_cndmask_b32_e32 v7, -1, v7, vcc_lo
	s_cselect_b32 vcc_lo, -1, 0
	v_cndmask_b32_e32 v8, -1, v8, vcc_lo
	s_delay_alu instid0(VALU_DEP_2) | instskip(NEXT) | instid1(VALU_DEP_2)
	v_cmp_ne_u32_e32 vcc_lo, 0, v7
	v_cmp_ne_u32_e64 s8, 0, v8
	v_cndmask_b32_e32 v7, s18, v9, vcc_lo
	v_cndmask_b32_e32 v6, v3, v6, vcc_lo
	s_delay_alu instid0(VALU_DEP_2) | instskip(NEXT) | instid1(VALU_DEP_2)
	v_cndmask_b32_e64 v3, s9, v7, s8
	v_cndmask_b32_e64 v2, v2, v6, s8
	s_cbranch_execnz .LBB225_217
.LBB225_216:                            ;   in Loop: Header=BB225_31 Depth=1
	v_cvt_f32_u32_e32 v2, s33
	s_sub_i32 s3, 0, s33
	s_delay_alu instid0(VALU_DEP_1) | instskip(SKIP_2) | instid1(VALU_DEP_1)
	v_rcp_iflag_f32_e32 v2, v2
	s_waitcnt_depctr 0xfff
	v_mul_f32_e32 v2, 0x4f7ffffe, v2
	v_cvt_u32_f32_e32 v2, v2
	s_delay_alu instid0(VALU_DEP_1) | instskip(NEXT) | instid1(VALU_DEP_1)
	v_mul_lo_u32 v3, s3, v2
	v_mul_hi_u32 v3, v2, v3
	s_delay_alu instid0(VALU_DEP_1) | instskip(NEXT) | instid1(VALU_DEP_1)
	v_add_nc_u32_e32 v2, v2, v3
	v_mul_hi_u32 v2, s87, v2
	s_delay_alu instid0(VALU_DEP_1) | instskip(NEXT) | instid1(VALU_DEP_1)
	v_mul_lo_u32 v2, v2, s33
	v_sub_nc_u32_e32 v2, s87, v2
	s_delay_alu instid0(VALU_DEP_1) | instskip(SKIP_1) | instid1(VALU_DEP_2)
	v_subrev_nc_u32_e32 v3, s33, v2
	v_cmp_le_u32_e32 vcc_lo, s33, v2
	v_cndmask_b32_e32 v2, v2, v3, vcc_lo
	s_delay_alu instid0(VALU_DEP_1) | instskip(SKIP_1) | instid1(VALU_DEP_2)
	v_subrev_nc_u32_e32 v3, s33, v2
	v_cmp_le_u32_e32 vcc_lo, s33, v2
	v_cndmask_b32_e32 v12, v2, v3, vcc_lo
	s_delay_alu instid0(VALU_DEP_1)
	v_dual_mov_b32 v2, v12 :: v_dual_mov_b32 v3, v13
.LBB225_217:                            ;   in Loop: Header=BB225_31 Depth=1
	s_delay_alu instid0(VALU_DEP_1) | instskip(NEXT) | instid1(VALU_DEP_2)
	v_sub_co_u32 v2, vcc_lo, s87, v2
	v_sub_co_ci_u32_e32 v3, vcc_lo, s27, v3, vcc_lo
	s_mov_b32 s8, 0
	s_mov_b32 s9, exec_lo
                                        ; implicit-def: $vgpr6
	s_delay_alu instid0(VALU_DEP_1)
	v_cmpx_gt_u64_e64 v[2:3], v[0:1]
	s_cbranch_execz .LBB225_226
; %bb.218:                              ;   in Loop: Header=BB225_31 Depth=1
	v_dual_mov_b32 v6, v24 :: v_dual_mov_b32 v7, v25
	v_dual_mov_b32 v9, v1 :: v_dual_mov_b32 v8, v0
	s_mov_b32 s18, 0
                                        ; implicit-def: $sgpr19
	s_branch .LBB225_220
.LBB225_219:                            ;   in Loop: Header=BB225_220 Depth=2
	s_or_b32 exec_lo, exec_lo, s8
	s_waitcnt vmcnt(0) lgkmcnt(0)
	s_barrier
	buffer_gl0_inv
	ds_load_b32 v12, v13 offset:3072
	v_add_co_u32 v8, vcc_lo, v8, s33
	v_add_co_ci_u32_e32 v9, vcc_lo, 0, v9, vcc_lo
	s_waitcnt lgkmcnt(0)
	s_barrier
	buffer_gl0_inv
	v_cmp_ge_u64_e32 vcc_lo, v[8:9], v[2:3]
	v_and_b32_e32 v30, 0x7fff, v12
	s_delay_alu instid0(VALU_DEP_1) | instskip(NEXT) | instid1(VALU_DEP_1)
	v_cmp_ne_u16_e64 s8, 0, v30
	s_or_b32 s3, vcc_lo, s8
	v_add_co_u32 v6, vcc_lo, v6, s34
	s_and_b32 s3, exec_lo, s3
	v_add_co_ci_u32_e32 v7, vcc_lo, s35, v7, vcc_lo
	s_or_b32 s18, s3, s18
	s_and_not1_b32 s3, s19, exec_lo
	s_and_b32 s8, s8, exec_lo
	s_delay_alu instid0(SALU_CYCLE_1)
	s_or_b32 s19, s3, s8
	s_and_not1_b32 exec_lo, exec_lo, s18
	s_cbranch_execz .LBB225_225
.LBB225_220:                            ;   Parent Loop BB225_31 Depth=1
                                        ; =>  This Inner Loop Header: Depth=2
	s_delay_alu instid0(VALU_DEP_1)
	v_cmp_gt_u64_e32 vcc_lo, s[36:37], v[8:9]
	v_mov_b32_e32 v12, 0
	s_and_saveexec_b32 s8, vcc_lo
	s_cbranch_execz .LBB225_222
; %bb.221:                              ;   in Loop: Header=BB225_220 Depth=2
	global_load_u16 v12, v[6:7], off
.LBB225_222:                            ;   in Loop: Header=BB225_220 Depth=2
	s_or_b32 exec_lo, exec_lo, s8
	s_and_saveexec_b32 s8, vcc_lo
	s_cbranch_execz .LBB225_219
; %bb.223:                              ;   in Loop: Header=BB225_220 Depth=2
	s_waitcnt vmcnt(0)
	v_cmp_lt_i16_e32 vcc_lo, -1, v12
	v_and_b32_e32 v30, 0xffff, v12
	v_dual_cndmask_b32 v31, 0xffff, v47 :: v_dual_lshlrev_b32 v32, 16, v12
	s_delay_alu instid0(VALU_DEP_1) | instskip(NEXT) | instid1(VALU_DEP_2)
	v_cmp_o_f32_e32 vcc_lo, v32, v32
	v_xor_b32_e32 v30, v31, v30
	s_delay_alu instid0(VALU_DEP_1) | instskip(NEXT) | instid1(VALU_DEP_1)
	v_cndmask_b32_e32 v30, 0xffff, v30, vcc_lo
	v_and_b32_e32 v30, v30, v29
	s_delay_alu instid0(VALU_DEP_1)
	v_cmp_eq_u32_e32 vcc_lo, v30, v28
	s_and_b32 exec_lo, exec_lo, vcc_lo
	s_cbranch_execz .LBB225_219
; %bb.224:                              ;   in Loop: Header=BB225_220 Depth=2
	v_perm_b32 v12, v12, s96, 0x5040100
	ds_store_b32 v13, v12 offset:3072
	s_branch .LBB225_219
.LBB225_225:                            ;   in Loop: Header=BB225_31 Depth=1
	s_or_b32 exec_lo, exec_lo, s18
	v_lshrrev_b32_e32 v6, 16, v12
	s_and_b32 s8, s19, exec_lo
.LBB225_226:                            ;   in Loop: Header=BB225_31 Depth=1
	s_or_b32 exec_lo, exec_lo, s9
	s_mov_b32 s79, -1
	s_mov_b32 s77, 0
	s_mov_b32 s78, 0
.LBB225_227:                            ;   in Loop: Header=BB225_31 Depth=1
	s_or_not1_b32 s8, s8, exec_lo
.LBB225_228:                            ;   in Loop: Header=BB225_31 Depth=1
	s_or_b32 exec_lo, exec_lo, s46
	s_mov_b32 s26, 0
                                        ; implicit-def: $vgpr7
	s_and_saveexec_b32 s58, s8
	s_cbranch_execz .LBB225_293
; %bb.229:                              ;   in Loop: Header=BB225_31 Depth=1
	v_dual_mov_b32 v2, 1 :: v_dual_mov_b32 v7, 1
	v_mov_b32_e32 v3, 0
	s_xor_b32 s3, s59, -1
	s_delay_alu instid0(SALU_CYCLE_1)
	s_and_saveexec_b32 s8, s3
	s_cbranch_execz .LBB225_239
; %bb.230:                              ;   in Loop: Header=BB225_31 Depth=1
                                        ; implicit-def: $sgpr19
                                        ; implicit-def: $sgpr9
	s_mov_b32 s3, exec_lo
	v_cmpx_ge_u64_e64 s[14:15], v[4:5]
	s_xor_b32 s18, exec_lo, s3
	s_cbranch_execz .LBB225_236
; %bb.231:                              ;   in Loop: Header=BB225_31 Depth=1
	ds_load_b64 v[2:3], v13 offset:5120
	s_waitcnt lgkmcnt(0)
	v_cmp_ne_u64_e32 vcc_lo, 0, v[2:3]
	s_cbranch_vccnz .LBB225_235
; %bb.232:                              ;   in Loop: Header=BB225_31 Depth=1
	s_and_saveexec_b32 s9, s5
	s_cbranch_execz .LBB225_234
; %bb.233:                              ;   in Loop: Header=BB225_31 Depth=1
	v_dual_mov_b32 v2, s14 :: v_dual_mov_b32 v3, s15
	ds_store_b64 v13, v[2:3] offset:5128
.LBB225_234:                            ;   in Loop: Header=BB225_31 Depth=1
	s_or_b32 exec_lo, exec_lo, s9
	s_waitcnt lgkmcnt(0)
	s_barrier
	buffer_gl0_inv
.LBB225_235:                            ;   in Loop: Header=BB225_31 Depth=1
	s_lshl_b32 s3, 2, s22
	v_or_b32_e32 v29, s20, v29
	v_and_or_b32 v28, v28, s21, s3
	s_mov_b32 s9, 0
	s_mov_b32 s19, 8
.LBB225_236:                            ;   in Loop: Header=BB225_31 Depth=1
	s_or_saveexec_b32 s18, s18
	v_mov_b32_e32 v7, s19
	s_xor_b32 exec_lo, exec_lo, s18
; %bb.237:                              ;   in Loop: Header=BB225_31 Depth=1
	v_sub_co_u32 v4, vcc_lo, v4, s14
	v_subrev_co_ci_u32_e32 v5, vcc_lo, s15, v5, vcc_lo
	v_mov_b32_e32 v7, 0
	s_or_b32 s9, s9, exec_lo
; %bb.238:                              ;   in Loop: Header=BB225_31 Depth=1
	s_or_b32 exec_lo, exec_lo, s18
	s_delay_alu instid0(VALU_DEP_2)
	v_dual_mov_b32 v2, v4 :: v_dual_mov_b32 v3, v5
	s_and_b32 s26, s9, exec_lo
.LBB225_239:                            ;   in Loop: Header=BB225_31 Depth=1
	s_or_b32 exec_lo, exec_lo, s8
	s_mov_b32 s19, -1
                                        ; implicit-def: $sgpr8
                                        ; implicit-def: $sgpr18
                                        ; implicit-def: $sgpr9
	s_and_saveexec_b32 s59, s26
	s_cbranch_execz .LBB225_292
; %bb.240:                              ;   in Loop: Header=BB225_31 Depth=1
	v_cmp_eq_u64_e32 vcc_lo, 1, v[2:3]
	s_cmp_eq_u64 s[16:17], 1
	s_mov_b32 s26, -1
	s_cselect_b32 s3, -1, 0
                                        ; implicit-def: $sgpr8
                                        ; implicit-def: $sgpr18
                                        ; implicit-def: $sgpr9
	s_delay_alu instid0(SALU_CYCLE_1) | instskip(NEXT) | instid1(SALU_CYCLE_1)
	s_and_b32 s46, s3, vcc_lo
	s_and_saveexec_b32 s47, s46
	s_cbranch_execz .LBB225_279
; %bb.241:                              ;   in Loop: Header=BB225_31 Depth=1
	ds_load_b64 v[4:5], v13 offset:5120
	s_waitcnt lgkmcnt(0)
	s_barrier
	buffer_gl0_inv
	v_readfirstlane_b32 s18, v4
	v_readfirstlane_b32 s19, v5
	s_and_saveexec_b32 s8, s6
	s_cbranch_execz .LBB225_243
; %bb.242:                              ;   in Loop: Header=BB225_31 Depth=1
	ds_store_b16 v44, v13
.LBB225_243:                            ;   in Loop: Header=BB225_31 Depth=1
	s_or_b32 exec_lo, exec_lo, s8
	v_or_b32_e32 v28, s20, v28
	v_or_b32_e32 v29, s20, v29
	s_cmp_eq_u64 s[18:19], 0
	s_waitcnt lgkmcnt(0)
	s_barrier
	buffer_gl0_inv
	s_cbranch_scc1 .LBB225_248
; %bb.244:                              ;   in Loop: Header=BB225_31 Depth=1
	s_add_u32 s26, s85, s18
	s_addc_u32 s9, s86, s19
	s_mov_b32 s8, s61
	v_writelane_b32 v51, s88, 9
	s_cmp_lg_u64 s[8:9], 0
	s_cbranch_scc0 .LBB225_249
; %bb.245:                              ;   in Loop: Header=BB225_31 Depth=1
	v_cvt_f32_u32_e32 v4, s33
	s_sub_u32 s56, 0, s33
	s_subb_u32 s57, 0, 0
	s_delay_alu instid0(VALU_DEP_1) | instskip(NEXT) | instid1(VALU_DEP_1)
	v_fmac_f32_e64 v4, 0, 0x4f800000
	v_rcp_f32_e32 v4, v4
	s_waitcnt_depctr 0xfff
	v_mul_f32_e32 v4, 0x5f7ffffc, v4
	s_delay_alu instid0(VALU_DEP_1) | instskip(NEXT) | instid1(VALU_DEP_1)
	v_mul_f32_e32 v5, 0x2f800000, v4
	v_trunc_f32_e32 v5, v5
	s_delay_alu instid0(VALU_DEP_1) | instskip(SKIP_1) | instid1(VALU_DEP_2)
	v_fmac_f32_e32 v4, 0xcf800000, v5
	v_cvt_u32_f32_e32 v5, v5
	v_cvt_u32_f32_e32 v4, v4
	s_delay_alu instid0(VALU_DEP_2) | instskip(NEXT) | instid1(VALU_DEP_2)
	v_readfirstlane_b32 s3, v5
	v_readfirstlane_b32 s8, v4
	s_delay_alu instid0(VALU_DEP_2) | instskip(NEXT) | instid1(VALU_DEP_1)
	s_mul_i32 vcc_lo, s56, s3
	s_mul_hi_u32 s43, s56, s8
	s_mul_i32 s42, s57, s8
	s_add_i32 s43, s43, vcc_lo
	s_mul_i32 s50, s56, s8
	s_add_i32 s43, s43, s42
	s_mul_hi_u32 s51, s8, s50
	s_mul_hi_u32 vcc_lo, s3, s50
	s_mul_i32 s42, s3, s50
	s_mul_hi_u32 s50, s8, s43
	s_mul_i32 s8, s8, s43
	s_mul_hi_u32 s88, s3, s43
	s_add_u32 s8, s51, s8
	s_addc_u32 s50, 0, s50
	s_add_u32 s8, s8, s42
	s_mul_i32 s43, s3, s43
	s_addc_u32 s8, s50, vcc_lo
	s_addc_u32 s42, s88, 0
	s_add_u32 s8, s8, s43
	s_addc_u32 s42, 0, s42
	v_add_co_u32 v4, s8, v4, s8
	s_delay_alu instid0(VALU_DEP_1) | instskip(SKIP_1) | instid1(VALU_DEP_1)
	s_cmp_lg_u32 s8, 0
	s_addc_u32 s3, s3, s42
	v_readfirstlane_b32 s8, v4
	s_mul_i32 s42, s56, s3
	s_delay_alu instid0(VALU_DEP_1)
	s_mul_hi_u32 s43, s56, s8
	s_mul_i32 s57, s57, s8
	s_add_i32 s42, s43, s42
	s_mul_i32 s56, s56, s8
	s_add_i32 s42, s42, s57
	s_mul_hi_u32 s51, s8, s56
	s_mul_hi_u32 s57, s8, s42
	s_mul_i32 s8, s8, s42
	s_mul_i32 s50, s3, s56
	s_add_u32 s8, s51, s8
	s_mul_hi_u32 s43, s3, s56
	s_addc_u32 s51, 0, s57
	s_mul_hi_u32 s56, s3, s42
	s_add_u32 s8, s8, s50
	s_mul_i32 s42, s3, s42
	s_addc_u32 s8, s51, s43
	s_addc_u32 s43, s56, 0
	s_add_u32 s8, s8, s42
	s_addc_u32 s42, 0, s43
	v_add_co_u32 v4, s8, v4, s8
	s_delay_alu instid0(VALU_DEP_1) | instskip(SKIP_1) | instid1(VALU_DEP_1)
	s_cmp_lg_u32 s8, 0
	s_addc_u32 s3, s3, s42
	v_readfirstlane_b32 s8, v4
	s_mul_i32 s43, s26, s3
	s_mul_hi_u32 s42, s26, s3
	s_mul_hi_u32 s50, s9, s3
	s_mul_i32 s3, s9, s3
	s_mul_hi_u32 s51, s26, s8
	s_mul_hi_u32 s56, s9, s8
	s_mul_i32 s8, s9, s8
	s_add_u32 s43, s51, s43
	s_addc_u32 s42, 0, s42
	s_add_u32 s8, s43, s8
	s_addc_u32 s8, s42, s56
	s_addc_u32 s42, s50, 0
	s_add_u32 s3, s8, s3
	s_addc_u32 s8, 0, s42
	s_mul_hi_u32 s42, s33, s3
	s_mul_i32 s3, s33, s3
	s_mul_i32 s8, s33, s8
	v_sub_co_u32 v4, s3, s26, s3
	s_add_i32 s42, s42, s8
	s_cmp_lg_u32 s3, 0
	s_delay_alu instid0(VALU_DEP_1) | instskip(SKIP_3) | instid1(VALU_DEP_2)
	v_sub_co_u32 v5, s3, v4, s33
	s_subb_u32 s42, s9, s42
	s_cmp_lg_u32 s3, 0
	v_cmp_le_u32_e32 vcc_lo, s33, v4
	v_cmp_le_u32_e64 s8, s33, v5
	v_sub_co_u32 v6, s3, v5, s33
	s_subb_u32 s43, s42, 0
	s_cmp_lg_u32 s3, 0
	s_delay_alu instid0(VALU_DEP_2)
	v_cndmask_b32_e64 v7, 0, -1, s8
	s_subb_u32 s3, s43, 0
	s_cmp_eq_u32 s43, 0
	v_mov_b32_e32 v9, s3
	v_cndmask_b32_e64 v8, 0, -1, vcc_lo
	s_cselect_b32 vcc_lo, -1, 0
	s_cmp_eq_u32 s42, 0
	v_cndmask_b32_e32 v7, -1, v7, vcc_lo
	s_cselect_b32 vcc_lo, -1, 0
	v_cndmask_b32_e32 v8, -1, v8, vcc_lo
	s_delay_alu instid0(VALU_DEP_2) | instskip(NEXT) | instid1(VALU_DEP_2)
	v_cmp_ne_u32_e32 vcc_lo, 0, v7
	v_cmp_ne_u32_e64 s8, 0, v8
	v_cndmask_b32_e32 v7, s43, v9, vcc_lo
	v_cndmask_b32_e32 v6, v5, v6, vcc_lo
	s_delay_alu instid0(VALU_DEP_2) | instskip(NEXT) | instid1(VALU_DEP_2)
	v_cndmask_b32_e64 v5, s42, v7, s8
	v_cndmask_b32_e64 v4, v4, v6, s8
	s_mov_b32 s8, 0
	s_branch .LBB225_250
.LBB225_246:                            ;   in Loop: Header=BB225_31 Depth=1
                                        ; implicit-def: $vgpr2_vgpr3
	s_branch .LBB225_200
.LBB225_247:                            ;   in Loop: Header=BB225_31 Depth=1
                                        ; implicit-def: $vgpr2_vgpr3
	s_branch .LBB225_216
.LBB225_248:                            ;   in Loop: Header=BB225_31 Depth=1
	s_mov_b32 s8, -1
	s_mov_b32 s26, 0
                                        ; implicit-def: $sgpr9
                                        ; implicit-def: $vgpr6
	s_branch .LBB225_262
.LBB225_249:                            ;   in Loop: Header=BB225_31 Depth=1
	s_mov_b32 s8, -1
                                        ; implicit-def: $vgpr4_vgpr5
.LBB225_250:                            ;   in Loop: Header=BB225_31 Depth=1
	s_delay_alu instid0(SALU_CYCLE_1)
	s_and_not1_b32 vcc_lo, exec_lo, s8
	s_cbranch_vccnz .LBB225_252
; %bb.251:                              ;   in Loop: Header=BB225_31 Depth=1
	v_cvt_f32_u32_e32 v4, s33
	s_sub_i32 s3, 0, s33
	s_delay_alu instid0(VALU_DEP_1) | instskip(SKIP_2) | instid1(VALU_DEP_1)
	v_rcp_iflag_f32_e32 v4, v4
	s_waitcnt_depctr 0xfff
	v_mul_f32_e32 v4, 0x4f7ffffe, v4
	v_cvt_u32_f32_e32 v4, v4
	s_delay_alu instid0(VALU_DEP_1) | instskip(NEXT) | instid1(VALU_DEP_1)
	v_mul_lo_u32 v5, s3, v4
	v_mul_hi_u32 v5, v4, v5
	s_delay_alu instid0(VALU_DEP_1) | instskip(NEXT) | instid1(VALU_DEP_1)
	v_add_nc_u32_e32 v4, v4, v5
	v_mul_hi_u32 v4, s26, v4
	s_delay_alu instid0(VALU_DEP_1) | instskip(NEXT) | instid1(VALU_DEP_1)
	v_mul_lo_u32 v4, v4, s33
	v_sub_nc_u32_e32 v4, s26, v4
	s_delay_alu instid0(VALU_DEP_1) | instskip(SKIP_1) | instid1(VALU_DEP_2)
	v_subrev_nc_u32_e32 v5, s33, v4
	v_cmp_le_u32_e32 vcc_lo, s33, v4
	v_cndmask_b32_e32 v4, v4, v5, vcc_lo
	s_delay_alu instid0(VALU_DEP_1) | instskip(SKIP_1) | instid1(VALU_DEP_2)
	v_subrev_nc_u32_e32 v5, s33, v4
	v_cmp_le_u32_e32 vcc_lo, s33, v4
	v_cndmask_b32_e32 v12, v4, v5, vcc_lo
	s_delay_alu instid0(VALU_DEP_1)
	v_dual_mov_b32 v4, v12 :: v_dual_mov_b32 v5, v13
.LBB225_252:                            ;   in Loop: Header=BB225_31 Depth=1
	s_delay_alu instid0(VALU_DEP_1) | instskip(NEXT) | instid1(VALU_DEP_2)
	v_sub_co_u32 v4, vcc_lo, s26, v4
	v_sub_co_ci_u32_e32 v5, vcc_lo, s9, v5, vcc_lo
	s_mov_b32 s26, 0
	s_mov_b32 s9, exec_lo
                                        ; implicit-def: $vgpr6
	s_delay_alu instid0(VALU_DEP_1)
	v_cmpx_gt_u64_e64 v[4:5], v[0:1]
	v_readlane_b32 s88, v51, 9
	s_cbranch_execz .LBB225_261
; %bb.253:                              ;   in Loop: Header=BB225_31 Depth=1
	v_dual_mov_b32 v8, v43 :: v_dual_mov_b32 v7, v1
	v_mov_b32_e32 v6, v0
                                        ; implicit-def: $sgpr56
	s_branch .LBB225_255
.LBB225_254:                            ;   in Loop: Header=BB225_255 Depth=2
	s_or_b32 exec_lo, exec_lo, s8
	s_waitcnt lgkmcnt(0)
	s_barrier
	buffer_gl0_inv
	ds_load_b32 v9, v13 offset:3072
	v_add_co_u32 v6, vcc_lo, v6, s33
	v_add_co_ci_u32_e32 v7, vcc_lo, 0, v7, vcc_lo
	v_add_nc_u32_e32 v8, s93, v8
	s_waitcnt lgkmcnt(0)
	s_barrier
	s_delay_alu instid0(VALU_DEP_2) | instskip(SKIP_2) | instid1(VALU_DEP_1)
	v_cmp_ge_u64_e32 vcc_lo, v[6:7], v[4:5]
	buffer_gl0_inv
	v_and_b32_e32 v12, 0x7fff, v9
	v_cmp_ne_u16_e64 s8, 0, v12
	s_delay_alu instid0(VALU_DEP_1) | instskip(NEXT) | instid1(SALU_CYCLE_1)
	s_or_b32 s3, vcc_lo, s8
	s_and_b32 s3, exec_lo, s3
	s_delay_alu instid0(SALU_CYCLE_1) | instskip(SKIP_2) | instid1(SALU_CYCLE_1)
	s_or_b32 s26, s3, s26
	s_and_not1_b32 s3, s56, exec_lo
	s_and_b32 s8, s8, exec_lo
	s_or_b32 s56, s3, s8
	s_and_not1_b32 exec_lo, exec_lo, s26
	s_cbranch_execz .LBB225_260
.LBB225_255:                            ;   Parent Loop BB225_31 Depth=1
                                        ; =>  This Inner Loop Header: Depth=2
	s_delay_alu instid0(VALU_DEP_1)
	v_cmp_gt_u64_e32 vcc_lo, s[18:19], v[6:7]
	v_mov_b32_e32 v9, 0
	s_and_saveexec_b32 s8, vcc_lo
	s_cbranch_execz .LBB225_257
; %bb.256:                              ;   in Loop: Header=BB225_255 Depth=2
	ds_load_u16 v9, v8
.LBB225_257:                            ;   in Loop: Header=BB225_255 Depth=2
	s_or_b32 exec_lo, exec_lo, s8
	s_and_saveexec_b32 s8, vcc_lo
	s_cbranch_execz .LBB225_254
; %bb.258:                              ;   in Loop: Header=BB225_255 Depth=2
	s_waitcnt lgkmcnt(0)
	v_cmp_lt_i16_e32 vcc_lo, -1, v9
	v_and_b32_e32 v12, 0xffff, v9
	v_dual_cndmask_b32 v30, 0xffff, v47 :: v_dual_lshlrev_b32 v31, 16, v9
	s_delay_alu instid0(VALU_DEP_1) | instskip(NEXT) | instid1(VALU_DEP_2)
	v_cmp_o_f32_e32 vcc_lo, v31, v31
	v_xor_b32_e32 v12, v30, v12
	s_delay_alu instid0(VALU_DEP_1) | instskip(NEXT) | instid1(VALU_DEP_1)
	v_cndmask_b32_e32 v12, 0xffff, v12, vcc_lo
	v_and_b32_e32 v12, v12, v29
	s_delay_alu instid0(VALU_DEP_1)
	v_cmp_eq_u32_e32 vcc_lo, v12, v28
	s_and_b32 exec_lo, exec_lo, vcc_lo
	s_cbranch_execz .LBB225_254
; %bb.259:                              ;   in Loop: Header=BB225_255 Depth=2
	v_perm_b32 v9, v9, s96, 0x5040100
	ds_store_b32 v13, v9 offset:3072
	s_branch .LBB225_254
.LBB225_260:                            ;   in Loop: Header=BB225_31 Depth=1
	s_or_b32 exec_lo, exec_lo, s26
	v_lshrrev_b32_e32 v6, 16, v9
	s_and_b32 s26, s56, exec_lo
.LBB225_261:                            ;   in Loop: Header=BB225_31 Depth=1
	s_or_b32 exec_lo, exec_lo, s9
	s_mov_b32 s9, -1
	s_mov_b32 s8, 0
.LBB225_262:                            ;   in Loop: Header=BB225_31 Depth=1
	s_delay_alu instid0(SALU_CYCLE_1)
	s_and_b32 vcc_lo, exec_lo, s8
	s_mov_b32 s18, s8
	s_cbranch_vccz .LBB225_278
; %bb.263:                              ;   in Loop: Header=BB225_31 Depth=1
	s_mov_b32 s26, s61
	s_delay_alu instid0(SALU_CYCLE_1)
	s_cmp_lg_u64 s[26:27], 0
	s_cbranch_scc0 .LBB225_265
; %bb.264:                              ;   in Loop: Header=BB225_31 Depth=1
	v_cvt_f32_u32_e32 v4, s33
	s_sub_u32 s9, 0, s33
	s_subb_u32 s18, 0, 0
	s_delay_alu instid0(VALU_DEP_1) | instskip(NEXT) | instid1(VALU_DEP_1)
	v_fmac_f32_e64 v4, 0, 0x4f800000
	v_rcp_f32_e32 v4, v4
	s_waitcnt_depctr 0xfff
	v_mul_f32_e32 v4, 0x5f7ffffc, v4
	s_delay_alu instid0(VALU_DEP_1) | instskip(NEXT) | instid1(VALU_DEP_1)
	v_mul_f32_e32 v5, 0x2f800000, v4
	v_trunc_f32_e32 v5, v5
	s_delay_alu instid0(VALU_DEP_1) | instskip(SKIP_1) | instid1(VALU_DEP_2)
	v_fmac_f32_e32 v4, 0xcf800000, v5
	v_cvt_u32_f32_e32 v5, v5
	v_cvt_u32_f32_e32 v4, v4
	s_delay_alu instid0(VALU_DEP_2) | instskip(NEXT) | instid1(VALU_DEP_2)
	v_readfirstlane_b32 s3, v5
	v_readfirstlane_b32 s8, v4
	s_delay_alu instid0(VALU_DEP_2) | instskip(NEXT) | instid1(VALU_DEP_1)
	s_mul_i32 s19, s9, s3
	s_mul_hi_u32 s42, s9, s8
	s_mul_i32 s26, s18, s8
	s_add_i32 s19, s42, s19
	s_mul_i32 s43, s9, s8
	s_add_i32 s19, s19, s26
	s_mul_hi_u32 s42, s8, s43
	s_mul_hi_u32 s50, s3, s43
	s_mul_i32 s26, s3, s43
	s_mul_hi_u32 s43, s8, s19
	s_mul_i32 s8, s8, s19
	s_mul_hi_u32 s51, s3, s19
	s_add_u32 s8, s42, s8
	s_addc_u32 s42, 0, s43
	s_add_u32 s8, s8, s26
	s_mul_i32 s19, s3, s19
	s_addc_u32 s8, s42, s50
	s_addc_u32 s26, s51, 0
	s_add_u32 s8, s8, s19
	s_addc_u32 s19, 0, s26
	v_add_co_u32 v4, s8, v4, s8
	s_delay_alu instid0(VALU_DEP_1) | instskip(SKIP_1) | instid1(VALU_DEP_1)
	s_cmp_lg_u32 s8, 0
	s_addc_u32 s3, s3, s19
	v_readfirstlane_b32 s8, v4
	s_mul_i32 s19, s9, s3
	s_delay_alu instid0(VALU_DEP_1)
	s_mul_hi_u32 s26, s9, s8
	s_mul_i32 s18, s18, s8
	s_add_i32 s19, s26, s19
	s_mul_i32 s9, s9, s8
	s_add_i32 s19, s19, s18
	s_mul_hi_u32 s26, s3, s9
	s_mul_i32 s42, s3, s9
	s_mul_hi_u32 s9, s8, s9
	s_mul_hi_u32 s43, s8, s19
	s_mul_i32 s8, s8, s19
	s_mul_hi_u32 s18, s3, s19
	s_add_u32 s8, s9, s8
	s_addc_u32 s9, 0, s43
	s_add_u32 s8, s8, s42
	s_mul_i32 s19, s3, s19
	s_addc_u32 s8, s9, s26
	s_addc_u32 s9, s18, 0
	s_add_u32 s8, s8, s19
	s_addc_u32 s9, 0, s9
	v_add_co_u32 v4, s8, v4, s8
	s_delay_alu instid0(VALU_DEP_1) | instskip(SKIP_1) | instid1(VALU_DEP_1)
	s_cmp_lg_u32 s8, 0
	s_addc_u32 s3, s3, s9
	v_readfirstlane_b32 s8, v4
	s_mul_i32 s18, s87, s3
	s_mul_hi_u32 s9, s87, s3
	s_mul_hi_u32 s19, s27, s3
	s_mul_i32 s3, s27, s3
	s_mul_hi_u32 s26, s87, s8
	s_mul_hi_u32 s42, s27, s8
	s_mul_i32 s8, s27, s8
	s_add_u32 s18, s26, s18
	s_addc_u32 s9, 0, s9
	s_add_u32 s8, s18, s8
	s_addc_u32 s8, s9, s42
	s_addc_u32 s9, s19, 0
	s_add_u32 s3, s8, s3
	s_addc_u32 s8, 0, s9
	s_mul_hi_u32 s9, s33, s3
	s_mul_i32 s3, s33, s3
	s_mul_i32 s8, s33, s8
	v_sub_co_u32 v4, s3, s87, s3
	s_add_i32 s9, s9, s8
	s_cmp_lg_u32 s3, 0
	s_delay_alu instid0(VALU_DEP_1) | instskip(SKIP_3) | instid1(VALU_DEP_2)
	v_sub_co_u32 v5, s3, v4, s33
	s_subb_u32 s9, s27, s9
	s_cmp_lg_u32 s3, 0
	v_cmp_le_u32_e32 vcc_lo, s33, v4
	v_cmp_le_u32_e64 s8, s33, v5
	v_sub_co_u32 v6, s3, v5, s33
	s_subb_u32 s18, s9, 0
	s_cmp_lg_u32 s3, 0
	s_delay_alu instid0(VALU_DEP_2)
	v_cndmask_b32_e64 v7, 0, -1, s8
	s_subb_u32 s3, s18, 0
	s_cmp_eq_u32 s18, 0
	v_mov_b32_e32 v9, s3
	v_cndmask_b32_e64 v8, 0, -1, vcc_lo
	s_cselect_b32 vcc_lo, -1, 0
	s_cmp_eq_u32 s9, 0
	v_cndmask_b32_e32 v7, -1, v7, vcc_lo
	s_cselect_b32 vcc_lo, -1, 0
	v_cndmask_b32_e32 v8, -1, v8, vcc_lo
	s_delay_alu instid0(VALU_DEP_2) | instskip(NEXT) | instid1(VALU_DEP_2)
	v_cmp_ne_u32_e32 vcc_lo, 0, v7
	v_cmp_ne_u32_e64 s8, 0, v8
	v_cndmask_b32_e32 v7, s18, v9, vcc_lo
	v_cndmask_b32_e32 v6, v5, v6, vcc_lo
	s_delay_alu instid0(VALU_DEP_2) | instskip(NEXT) | instid1(VALU_DEP_2)
	v_cndmask_b32_e64 v5, s9, v7, s8
	v_cndmask_b32_e64 v4, v4, v6, s8
	s_mov_b32 s8, 0
	s_branch .LBB225_266
.LBB225_265:                            ;   in Loop: Header=BB225_31 Depth=1
	s_mov_b32 s8, -1
                                        ; implicit-def: $vgpr4_vgpr5
.LBB225_266:                            ;   in Loop: Header=BB225_31 Depth=1
	s_delay_alu instid0(SALU_CYCLE_1)
	s_and_not1_b32 vcc_lo, exec_lo, s8
	s_cbranch_vccnz .LBB225_268
; %bb.267:                              ;   in Loop: Header=BB225_31 Depth=1
	v_cvt_f32_u32_e32 v4, s33
	s_sub_i32 s3, 0, s33
	s_delay_alu instid0(VALU_DEP_1) | instskip(SKIP_2) | instid1(VALU_DEP_1)
	v_rcp_iflag_f32_e32 v4, v4
	s_waitcnt_depctr 0xfff
	v_mul_f32_e32 v4, 0x4f7ffffe, v4
	v_cvt_u32_f32_e32 v4, v4
	s_delay_alu instid0(VALU_DEP_1) | instskip(NEXT) | instid1(VALU_DEP_1)
	v_mul_lo_u32 v5, s3, v4
	v_mul_hi_u32 v5, v4, v5
	s_delay_alu instid0(VALU_DEP_1) | instskip(NEXT) | instid1(VALU_DEP_1)
	v_add_nc_u32_e32 v4, v4, v5
	v_mul_hi_u32 v4, s87, v4
	s_delay_alu instid0(VALU_DEP_1) | instskip(NEXT) | instid1(VALU_DEP_1)
	v_mul_lo_u32 v4, v4, s33
	v_sub_nc_u32_e32 v4, s87, v4
	s_delay_alu instid0(VALU_DEP_1) | instskip(SKIP_1) | instid1(VALU_DEP_2)
	v_subrev_nc_u32_e32 v5, s33, v4
	v_cmp_le_u32_e32 vcc_lo, s33, v4
	v_cndmask_b32_e32 v4, v4, v5, vcc_lo
	s_delay_alu instid0(VALU_DEP_1) | instskip(SKIP_1) | instid1(VALU_DEP_2)
	v_subrev_nc_u32_e32 v5, s33, v4
	v_cmp_le_u32_e32 vcc_lo, s33, v4
	v_cndmask_b32_e32 v12, v4, v5, vcc_lo
	s_delay_alu instid0(VALU_DEP_1)
	v_dual_mov_b32 v4, v12 :: v_dual_mov_b32 v5, v13
.LBB225_268:                            ;   in Loop: Header=BB225_31 Depth=1
	s_delay_alu instid0(VALU_DEP_1) | instskip(NEXT) | instid1(VALU_DEP_2)
	v_sub_co_u32 v4, vcc_lo, s87, v4
	v_sub_co_ci_u32_e32 v5, vcc_lo, s27, v5, vcc_lo
	s_mov_b32 s26, 0
	s_mov_b32 s9, exec_lo
                                        ; implicit-def: $vgpr6
	s_delay_alu instid0(VALU_DEP_1)
	v_cmpx_gt_u64_e64 v[4:5], v[0:1]
	s_cbranch_execz .LBB225_277
; %bb.269:                              ;   in Loop: Header=BB225_31 Depth=1
	v_dual_mov_b32 v6, v24 :: v_dual_mov_b32 v7, v25
	v_dual_mov_b32 v9, v1 :: v_dual_mov_b32 v8, v0
	s_mov_b32 s18, 0
                                        ; implicit-def: $sgpr19
	s_branch .LBB225_271
.LBB225_270:                            ;   in Loop: Header=BB225_271 Depth=2
	s_or_b32 exec_lo, exec_lo, s8
	s_waitcnt vmcnt(0) lgkmcnt(0)
	s_barrier
	buffer_gl0_inv
	ds_load_b32 v12, v13 offset:3072
	v_add_co_u32 v8, vcc_lo, v8, s33
	v_add_co_ci_u32_e32 v9, vcc_lo, 0, v9, vcc_lo
	s_waitcnt lgkmcnt(0)
	s_barrier
	buffer_gl0_inv
	v_cmp_ge_u64_e32 vcc_lo, v[8:9], v[4:5]
	v_and_b32_e32 v30, 0x7fff, v12
	s_delay_alu instid0(VALU_DEP_1) | instskip(NEXT) | instid1(VALU_DEP_1)
	v_cmp_ne_u16_e64 s8, 0, v30
	s_or_b32 s3, vcc_lo, s8
	v_add_co_u32 v6, vcc_lo, v6, s34
	s_and_b32 s3, exec_lo, s3
	v_add_co_ci_u32_e32 v7, vcc_lo, s35, v7, vcc_lo
	s_or_b32 s18, s3, s18
	s_and_not1_b32 s3, s19, exec_lo
	s_and_b32 s8, s8, exec_lo
	s_delay_alu instid0(SALU_CYCLE_1)
	s_or_b32 s19, s3, s8
	s_and_not1_b32 exec_lo, exec_lo, s18
	s_cbranch_execz .LBB225_276
.LBB225_271:                            ;   Parent Loop BB225_31 Depth=1
                                        ; =>  This Inner Loop Header: Depth=2
	s_delay_alu instid0(VALU_DEP_1)
	v_cmp_gt_u64_e32 vcc_lo, s[36:37], v[8:9]
	v_mov_b32_e32 v12, 0
	s_and_saveexec_b32 s8, vcc_lo
	s_cbranch_execz .LBB225_273
; %bb.272:                              ;   in Loop: Header=BB225_271 Depth=2
	global_load_u16 v12, v[6:7], off
.LBB225_273:                            ;   in Loop: Header=BB225_271 Depth=2
	s_or_b32 exec_lo, exec_lo, s8
	s_and_saveexec_b32 s8, vcc_lo
	s_cbranch_execz .LBB225_270
; %bb.274:                              ;   in Loop: Header=BB225_271 Depth=2
	s_waitcnt vmcnt(0)
	v_cmp_lt_i16_e32 vcc_lo, -1, v12
	v_and_b32_e32 v30, 0xffff, v12
	v_dual_cndmask_b32 v31, 0xffff, v47 :: v_dual_lshlrev_b32 v32, 16, v12
	s_delay_alu instid0(VALU_DEP_1) | instskip(NEXT) | instid1(VALU_DEP_2)
	v_cmp_o_f32_e32 vcc_lo, v32, v32
	v_xor_b32_e32 v30, v31, v30
	s_delay_alu instid0(VALU_DEP_1) | instskip(NEXT) | instid1(VALU_DEP_1)
	v_cndmask_b32_e32 v30, 0xffff, v30, vcc_lo
	v_and_b32_e32 v30, v30, v29
	s_delay_alu instid0(VALU_DEP_1)
	v_cmp_eq_u32_e32 vcc_lo, v30, v28
	s_and_b32 exec_lo, exec_lo, vcc_lo
	s_cbranch_execz .LBB225_270
; %bb.275:                              ;   in Loop: Header=BB225_271 Depth=2
	v_perm_b32 v12, v12, s96, 0x5040100
	ds_store_b32 v13, v12 offset:3072
	s_branch .LBB225_270
.LBB225_276:                            ;   in Loop: Header=BB225_31 Depth=1
	s_or_b32 exec_lo, exec_lo, s18
	v_lshrrev_b32_e32 v6, 16, v12
	s_and_b32 s26, s19, exec_lo
.LBB225_277:                            ;   in Loop: Header=BB225_31 Depth=1
	s_or_b32 exec_lo, exec_lo, s9
	s_mov_b32 s18, -1
	s_mov_b32 s8, 0
	s_mov_b32 s9, 0
.LBB225_278:                            ;   in Loop: Header=BB225_31 Depth=1
	s_or_not1_b32 s26, s26, exec_lo
.LBB225_279:                            ;   in Loop: Header=BB225_31 Depth=1
	s_or_b32 exec_lo, exec_lo, s47
	s_mov_b32 s47, 0
                                        ; implicit-def: $vgpr7
                                        ; implicit-def: $vgpr4_vgpr5
	s_and_saveexec_b32 s19, s26
	s_cbranch_execz .LBB225_291
; %bb.280:                              ;   in Loop: Header=BB225_31 Depth=1
	v_dual_mov_b32 v4, 1 :: v_dual_mov_b32 v7, 1
	v_mov_b32_e32 v5, 0
	s_xor_b32 s3, s46, -1
	s_delay_alu instid0(SALU_CYCLE_1)
	s_and_saveexec_b32 s26, s3
	s_cbranch_execz .LBB225_290
; %bb.281:                              ;   in Loop: Header=BB225_31 Depth=1
                                        ; implicit-def: $sgpr47
	s_mov_b32 s3, exec_lo
	v_cmpx_ge_u64_e64 s[16:17], v[2:3]
	s_xor_b32 s46, exec_lo, s3
	s_cbranch_execz .LBB225_287
; %bb.282:                              ;   in Loop: Header=BB225_31 Depth=1
	ds_load_b64 v[4:5], v13 offset:5120
	s_waitcnt lgkmcnt(0)
	v_cmp_ne_u64_e32 vcc_lo, 0, v[4:5]
	s_cbranch_vccnz .LBB225_286
; %bb.283:                              ;   in Loop: Header=BB225_31 Depth=1
	s_and_saveexec_b32 s47, s5
	s_cbranch_execz .LBB225_285
; %bb.284:                              ;   in Loop: Header=BB225_31 Depth=1
	v_dual_mov_b32 v4, s16 :: v_dual_mov_b32 v5, s17
	ds_store_b64 v13, v[4:5] offset:5128
.LBB225_285:                            ;   in Loop: Header=BB225_31 Depth=1
	s_or_b32 exec_lo, exec_lo, s47
	s_waitcnt lgkmcnt(0)
	s_barrier
	buffer_gl0_inv
.LBB225_286:                            ;   in Loop: Header=BB225_31 Depth=1
	v_or_b32_e32 v28, s20, v28
	v_or_b32_e32 v29, s20, v29
	s_mov_b32 s47, 8
.LBB225_287:                            ;   in Loop: Header=BB225_31 Depth=1
	s_or_saveexec_b32 s46, s46
	v_mov_b32_e32 v7, s47
	s_xor_b32 exec_lo, exec_lo, s46
; %bb.288:                              ;   in Loop: Header=BB225_31 Depth=1
	v_sub_co_u32 v2, vcc_lo, v2, s16
	v_subrev_co_ci_u32_e32 v3, vcc_lo, s17, v3, vcc_lo
	v_mov_b32_e32 v7, 8
; %bb.289:                              ;   in Loop: Header=BB225_31 Depth=1
	s_or_b32 exec_lo, exec_lo, s46
	s_delay_alu instid0(VALU_DEP_2)
	v_dual_mov_b32 v5, v3 :: v_dual_mov_b32 v4, v2
.LBB225_290:                            ;   in Loop: Header=BB225_31 Depth=1
	s_or_b32 exec_lo, exec_lo, s26
	s_delay_alu instid0(SALU_CYCLE_1)
	s_mov_b32 s47, exec_lo
.LBB225_291:                            ;   in Loop: Header=BB225_31 Depth=1
	s_or_b32 exec_lo, exec_lo, s19
	s_delay_alu instid0(VALU_DEP_1)
	v_dual_mov_b32 v2, v4 :: v_dual_mov_b32 v3, v5
	s_or_not1_b32 s19, s47, exec_lo
.LBB225_292:                            ;   in Loop: Header=BB225_31 Depth=1
	s_or_b32 exec_lo, exec_lo, s59
	s_delay_alu instid0(SALU_CYCLE_1)
	s_and_not1_b32 s3, s77, exec_lo
	s_and_b32 s8, s8, exec_lo
	v_dual_mov_b32 v5, v3 :: v_dual_mov_b32 v4, v2
	s_or_b32 s77, s3, s8
	s_and_not1_b32 s3, s79, exec_lo
	s_and_b32 s8, s18, exec_lo
	s_and_not1_b32 s18, s78, exec_lo
	s_and_b32 s9, s9, exec_lo
	s_or_b32 s79, s3, s8
	s_or_b32 s78, s18, s9
	s_and_b32 s26, s19, exec_lo
.LBB225_293:                            ;   in Loop: Header=BB225_31 Depth=1
	s_or_b32 exec_lo, exec_lo, s58
	s_delay_alu instid0(SALU_CYCLE_1)
	s_and_b32 s19, s77, exec_lo
	s_and_b32 s18, s79, exec_lo
	;; [unrolled: 1-line block ×3, first 2 shown]
	s_or_not1_b32 s8, s26, exec_lo
.LBB225_294:                            ;   in Loop: Header=BB225_31 Depth=1
	s_or_b32 exec_lo, exec_lo, s76
	s_delay_alu instid0(SALU_CYCLE_1)
	s_and_not1_b32 s25, s25, exec_lo
	s_and_b32 s19, s19, exec_lo
	v_dual_mov_b32 v2, v4 :: v_dual_mov_b32 v3, v5
	s_or_b32 s25, s25, s19
	s_and_not1_b32 s19, s74, exec_lo
	s_and_b32 s18, s18, exec_lo
	s_and_not1_b32 s26, s73, exec_lo
	s_and_b32 s9, s9, exec_lo
	s_or_b32 s74, s19, s18
	s_or_b32 s73, s26, s9
	s_and_b32 s26, s8, exec_lo
.LBB225_295:                            ;   in Loop: Header=BB225_31 Depth=1
	s_or_b32 exec_lo, exec_lo, s75
	s_delay_alu instid0(SALU_CYCLE_1)
	s_and_b32 s19, s25, exec_lo
	s_and_b32 s18, s74, exec_lo
	s_and_b32 s9, s73, exec_lo
	s_or_not1_b32 s25, s26, exec_lo
.LBB225_296:                            ;   in Loop: Header=BB225_31 Depth=1
	s_or_b32 exec_lo, exec_lo, s24
	s_mov_b32 s8, 0
	s_mov_b32 s24, 0
	s_and_saveexec_b32 s26, s25
	s_delay_alu instid0(SALU_CYCLE_1)
	s_xor_b32 s25, exec_lo, s26
; %bb.297:                              ;   in Loop: Header=BB225_31 Depth=1
	v_cmp_ne_u32_e32 vcc_lo, 8, v7
	v_cmp_eq_u32_e64 s8, 8, v7
	s_and_not1_b32 s19, s19, exec_lo
	s_and_not1_b32 s18, s18, exec_lo
	;; [unrolled: 1-line block ×3, first 2 shown]
	s_and_b32 s24, vcc_lo, exec_lo
	s_and_b32 s8, s8, exec_lo
; %bb.298:                              ;   in Loop: Header=BB225_31 Depth=1
	s_or_b32 exec_lo, exec_lo, s25
	s_delay_alu instid0(SALU_CYCLE_1)
	s_and_not1_b32 s23, s23, exec_lo
	s_and_b32 s19, s19, exec_lo
	s_and_b32 s18, s18, exec_lo
	s_or_b32 s23, s23, s19
	s_and_not1_b32 s19, s70, exec_lo
	s_and_not1_b32 s25, s60, exec_lo
	s_and_b32 s9, s9, exec_lo
	s_or_b32 s70, s19, s18
	s_or_b32 s60, s25, s9
	s_and_b32 s24, s24, exec_lo
	s_and_b32 s25, s8, exec_lo
.LBB225_299:                            ;   in Loop: Header=BB225_31 Depth=1
	s_or_b32 exec_lo, exec_lo, s72
	s_delay_alu instid0(SALU_CYCLE_1)
	s_and_b32 vcc_lo, exec_lo, s71
	s_cbranch_vccz .LBB225_118
.LBB225_300:                            ;   in Loop: Header=BB225_31 Depth=1
	s_cmp_eq_u64 s[16:17], 1
                                        ; implicit-def: $sgpr18
                                        ; implicit-def: $sgpr19
                                        ; implicit-def: $sgpr23
	s_cselect_b32 s8, -1, 0
	s_delay_alu instid0(SALU_CYCLE_1)
	s_and_b32 s46, s8, s7
	s_mov_b32 s7, -1
	s_and_saveexec_b32 s47, s46
	s_cbranch_execz .LBB225_332
; %bb.301:                              ;   in Loop: Header=BB225_31 Depth=1
	ds_load_b64 v[2:3], v13 offset:5120
	s_waitcnt lgkmcnt(0)
	s_barrier
	buffer_gl0_inv
	v_readfirstlane_b32 s8, v2
	v_readfirstlane_b32 s9, v3
	s_and_saveexec_b32 s7, s6
	s_cbranch_execz .LBB225_303
; %bb.302:                              ;   in Loop: Header=BB225_31 Depth=1
	ds_store_b16 v44, v13
.LBB225_303:                            ;   in Loop: Header=BB225_31 Depth=1
	s_or_b32 exec_lo, exec_lo, s7
	v_or_b32_e32 v49, s20, v49
	v_or_b32_e32 v48, s20, v48
	s_cmp_eq_u64 s[8:9], 0
	s_waitcnt lgkmcnt(0)
	s_barrier
	buffer_gl0_inv
	s_cbranch_scc1 .LBB225_315
; %bb.304:                              ;   in Loop: Header=BB225_31 Depth=1
	s_add_u32 s23, s85, s8
	s_addc_u32 s19, s86, s9
	s_mov_b32 s18, s61
	s_delay_alu instid0(SALU_CYCLE_1)
	s_cmp_lg_u64 s[18:19], 0
	s_cbranch_scc0 .LBB225_359
; %bb.305:                              ;   in Loop: Header=BB225_31 Depth=1
	v_cvt_f32_u32_e32 v2, s33
	s_sub_u32 s26, 0, s33
	s_subb_u32 s56, 0, 0
	s_delay_alu instid0(VALU_DEP_1) | instskip(NEXT) | instid1(VALU_DEP_1)
	v_fmac_f32_e64 v2, 0, 0x4f800000
	v_rcp_f32_e32 v2, v2
	s_waitcnt_depctr 0xfff
	v_mul_f32_e32 v2, 0x5f7ffffc, v2
	s_delay_alu instid0(VALU_DEP_1) | instskip(NEXT) | instid1(VALU_DEP_1)
	v_mul_f32_e32 v3, 0x2f800000, v2
	v_trunc_f32_e32 v3, v3
	s_delay_alu instid0(VALU_DEP_1) | instskip(SKIP_1) | instid1(VALU_DEP_2)
	v_fmac_f32_e32 v2, 0xcf800000, v3
	v_cvt_u32_f32_e32 v3, v3
	v_cvt_u32_f32_e32 v2, v2
	s_delay_alu instid0(VALU_DEP_2) | instskip(NEXT) | instid1(VALU_DEP_2)
	v_readfirstlane_b32 s7, v3
	v_readfirstlane_b32 s18, v2
	s_delay_alu instid0(VALU_DEP_2) | instskip(NEXT) | instid1(VALU_DEP_1)
	s_mul_i32 s57, s26, s7
	s_mul_hi_u32 s59, s26, s18
	s_mul_i32 s58, s56, s18
	s_add_i32 s57, s59, s57
	s_mul_i32 s60, s26, s18
	s_add_i32 s57, s57, s58
	s_mul_hi_u32 s59, s18, s60
	s_mul_hi_u32 s70, s7, s60
	s_mul_i32 s58, s7, s60
	s_mul_hi_u32 s60, s18, s57
	s_mul_i32 s18, s18, s57
	s_mul_hi_u32 s71, s7, s57
	s_add_u32 s18, s59, s18
	s_addc_u32 s59, 0, s60
	s_add_u32 s18, s18, s58
	s_mul_i32 s57, s7, s57
	s_addc_u32 s18, s59, s70
	s_addc_u32 s58, s71, 0
	s_add_u32 s18, s18, s57
	s_addc_u32 s57, 0, s58
	v_add_co_u32 v2, s18, v2, s18
	s_delay_alu instid0(VALU_DEP_1) | instskip(SKIP_1) | instid1(VALU_DEP_1)
	s_cmp_lg_u32 s18, 0
	s_addc_u32 s7, s7, s57
	v_readfirstlane_b32 s18, v2
	s_mul_i32 s57, s26, s7
	s_delay_alu instid0(VALU_DEP_1)
	s_mul_hi_u32 s58, s26, s18
	s_mul_i32 s56, s56, s18
	s_add_i32 s57, s58, s57
	s_mul_i32 s26, s26, s18
	s_add_i32 s57, s57, s56
	s_mul_hi_u32 s58, s7, s26
	s_mul_i32 s59, s7, s26
	s_mul_hi_u32 s26, s18, s26
	s_mul_hi_u32 s60, s18, s57
	s_mul_i32 s18, s18, s57
	s_mul_hi_u32 s56, s7, s57
	s_add_u32 s18, s26, s18
	s_addc_u32 s26, 0, s60
	s_add_u32 s18, s18, s59
	s_mul_i32 s57, s7, s57
	s_addc_u32 s18, s26, s58
	s_addc_u32 s26, s56, 0
	s_add_u32 s18, s18, s57
	s_addc_u32 s26, 0, s26
	v_add_co_u32 v2, s18, v2, s18
	s_delay_alu instid0(VALU_DEP_1) | instskip(SKIP_1) | instid1(VALU_DEP_1)
	s_cmp_lg_u32 s18, 0
	s_addc_u32 s7, s7, s26
	v_readfirstlane_b32 s18, v2
	s_mul_i32 s56, s23, s7
	s_mul_hi_u32 s26, s23, s7
	s_mul_hi_u32 s57, s19, s7
	s_mul_i32 s7, s19, s7
	s_mul_hi_u32 s58, s23, s18
	s_mul_hi_u32 s59, s19, s18
	s_mul_i32 s18, s19, s18
	s_add_u32 s56, s58, s56
	s_addc_u32 s26, 0, s26
	s_add_u32 s18, s56, s18
	s_addc_u32 s18, s26, s59
	s_addc_u32 s26, s57, 0
	s_add_u32 s7, s18, s7
	s_addc_u32 s18, 0, s26
	s_mul_hi_u32 s26, s33, s7
	s_mul_i32 s7, s33, s7
	s_mul_i32 s18, s33, s18
	v_sub_co_u32 v2, s7, s23, s7
	s_add_i32 s26, s26, s18
	s_cmp_lg_u32 s7, 0
	s_delay_alu instid0(VALU_DEP_1) | instskip(SKIP_2) | instid1(VALU_DEP_1)
	v_sub_co_u32 v3, s7, v2, s33
	s_subb_u32 s18, s19, s26
	s_cmp_lg_u32 s7, 0
	v_cmp_le_u32_e32 vcc_lo, s33, v3
	v_sub_co_u32 v4, s7, v3, s33
	s_subb_u32 s26, s18, 0
	s_cmp_lg_u32 s7, 0
	v_cndmask_b32_e64 v5, 0, -1, vcc_lo
	s_subb_u32 s7, s26, 0
	s_cmp_eq_u32 s26, 0
	v_mov_b32_e32 v7, s7
	s_cselect_b32 vcc_lo, -1, 0
	s_cmp_eq_u32 s18, 0
	v_cndmask_b32_e32 v5, -1, v5, vcc_lo
	v_cmp_le_u32_e32 vcc_lo, s33, v2
	s_cselect_b32 s7, -1, 0
	v_cndmask_b32_e64 v6, 0, -1, vcc_lo
	s_delay_alu instid0(VALU_DEP_3) | instskip(NEXT) | instid1(VALU_DEP_2)
	v_cmp_ne_u32_e32 vcc_lo, 0, v5
	v_cndmask_b32_e64 v5, -1, v6, s7
	v_cndmask_b32_e32 v6, s26, v7, vcc_lo
	v_cndmask_b32_e32 v4, v3, v4, vcc_lo
	s_delay_alu instid0(VALU_DEP_3) | instskip(NEXT) | instid1(VALU_DEP_3)
	v_cmp_ne_u32_e32 vcc_lo, 0, v5
	v_cndmask_b32_e32 v3, s18, v6, vcc_lo
	s_delay_alu instid0(VALU_DEP_3)
	v_cndmask_b32_e32 v2, v2, v4, vcc_lo
	s_cbranch_execnz .LBB225_307
.LBB225_306:                            ;   in Loop: Header=BB225_31 Depth=1
	v_cvt_f32_u32_e32 v2, s33
	s_sub_i32 s7, 0, s33
	s_delay_alu instid0(VALU_DEP_1) | instskip(SKIP_2) | instid1(VALU_DEP_1)
	v_rcp_iflag_f32_e32 v2, v2
	s_waitcnt_depctr 0xfff
	v_mul_f32_e32 v2, 0x4f7ffffe, v2
	v_cvt_u32_f32_e32 v2, v2
	s_delay_alu instid0(VALU_DEP_1) | instskip(NEXT) | instid1(VALU_DEP_1)
	v_mul_lo_u32 v3, s7, v2
	v_mul_hi_u32 v3, v2, v3
	s_delay_alu instid0(VALU_DEP_1) | instskip(NEXT) | instid1(VALU_DEP_1)
	v_add_nc_u32_e32 v2, v2, v3
	v_mul_hi_u32 v2, s23, v2
	s_delay_alu instid0(VALU_DEP_1) | instskip(NEXT) | instid1(VALU_DEP_1)
	v_mul_lo_u32 v2, v2, s33
	v_sub_nc_u32_e32 v2, s23, v2
	s_delay_alu instid0(VALU_DEP_1) | instskip(SKIP_1) | instid1(VALU_DEP_2)
	v_subrev_nc_u32_e32 v3, s33, v2
	v_cmp_le_u32_e32 vcc_lo, s33, v2
	v_cndmask_b32_e32 v2, v2, v3, vcc_lo
	s_delay_alu instid0(VALU_DEP_1) | instskip(SKIP_1) | instid1(VALU_DEP_2)
	v_subrev_nc_u32_e32 v3, s33, v2
	v_cmp_le_u32_e32 vcc_lo, s33, v2
	v_cndmask_b32_e32 v12, v2, v3, vcc_lo
	s_delay_alu instid0(VALU_DEP_1)
	v_dual_mov_b32 v2, v12 :: v_dual_mov_b32 v3, v13
.LBB225_307:                            ;   in Loop: Header=BB225_31 Depth=1
	s_delay_alu instid0(VALU_DEP_1) | instskip(NEXT) | instid1(VALU_DEP_2)
	v_sub_co_u32 v2, vcc_lo, s23, v2
	v_sub_co_ci_u32_e32 v3, vcc_lo, s19, v3, vcc_lo
	s_mov_b32 s7, 0
	s_mov_b32 s18, exec_lo
                                        ; implicit-def: $vgpr50
	s_delay_alu instid0(VALU_DEP_1)
	v_cmpx_gt_u64_e64 v[2:3], v[0:1]
	s_cbranch_execz .LBB225_317
; %bb.308:                              ;   in Loop: Header=BB225_31 Depth=1
	v_dual_mov_b32 v6, v43 :: v_dual_mov_b32 v5, v1
	v_mov_b32_e32 v4, v0
	s_mov_b32 s19, 0
                                        ; implicit-def: $sgpr23
	s_branch .LBB225_310
.LBB225_309:                            ;   in Loop: Header=BB225_310 Depth=2
	s_or_b32 exec_lo, exec_lo, s7
	s_waitcnt lgkmcnt(0)
	s_barrier
	buffer_gl0_inv
	ds_load_b32 v7, v13 offset:3072
	v_add_co_u32 v4, vcc_lo, v4, s33
	v_add_co_ci_u32_e32 v5, vcc_lo, 0, v5, vcc_lo
	v_add_nc_u32_e32 v6, s93, v6
	s_waitcnt lgkmcnt(0)
	s_barrier
	s_delay_alu instid0(VALU_DEP_2) | instskip(SKIP_2) | instid1(VALU_DEP_1)
	v_cmp_ge_u64_e32 vcc_lo, v[4:5], v[2:3]
	buffer_gl0_inv
	v_and_b32_e32 v8, 0x7fff, v7
	v_cmp_ne_u16_e64 s7, 0, v8
	s_delay_alu instid0(VALU_DEP_1) | instskip(NEXT) | instid1(SALU_CYCLE_1)
	s_or_b32 s26, vcc_lo, s7
	s_and_b32 s26, exec_lo, s26
	s_delay_alu instid0(SALU_CYCLE_1) | instskip(SKIP_2) | instid1(SALU_CYCLE_1)
	s_or_b32 s19, s26, s19
	s_and_not1_b32 s23, s23, exec_lo
	s_and_b32 s7, s7, exec_lo
	s_or_b32 s23, s23, s7
	s_and_not1_b32 exec_lo, exec_lo, s19
	s_cbranch_execz .LBB225_316
.LBB225_310:                            ;   Parent Loop BB225_31 Depth=1
                                        ; =>  This Inner Loop Header: Depth=2
	s_delay_alu instid0(VALU_DEP_1)
	v_cmp_gt_u64_e32 vcc_lo, s[8:9], v[4:5]
	v_mov_b32_e32 v7, 0
	s_and_saveexec_b32 s7, vcc_lo
	s_cbranch_execz .LBB225_312
; %bb.311:                              ;   in Loop: Header=BB225_310 Depth=2
	ds_load_u16 v7, v6
.LBB225_312:                            ;   in Loop: Header=BB225_310 Depth=2
	s_or_b32 exec_lo, exec_lo, s7
	s_and_saveexec_b32 s7, vcc_lo
	s_cbranch_execz .LBB225_309
; %bb.313:                              ;   in Loop: Header=BB225_310 Depth=2
	s_waitcnt lgkmcnt(0)
	v_cmp_lt_i16_e32 vcc_lo, -1, v7
	v_and_b32_e32 v8, 0xffff, v7
	v_lshlrev_b32_e32 v12, 16, v7
	v_cndmask_b32_e32 v9, 0xffff, v47, vcc_lo
	s_delay_alu instid0(VALU_DEP_2) | instskip(NEXT) | instid1(VALU_DEP_2)
	v_cmp_o_f32_e32 vcc_lo, v12, v12
	v_xor_b32_e32 v8, v9, v8
	s_delay_alu instid0(VALU_DEP_1) | instskip(NEXT) | instid1(VALU_DEP_1)
	v_cndmask_b32_e32 v8, 0xffff, v8, vcc_lo
	v_and_b32_e32 v8, v8, v48
	s_delay_alu instid0(VALU_DEP_1)
	v_cmp_eq_u32_e32 vcc_lo, v8, v49
	s_and_b32 exec_lo, exec_lo, vcc_lo
	s_cbranch_execz .LBB225_309
; %bb.314:                              ;   in Loop: Header=BB225_310 Depth=2
	v_perm_b32 v7, v7, s96, 0x5040100
	ds_store_b32 v13, v7 offset:3072
	s_branch .LBB225_309
.LBB225_315:                            ;   in Loop: Header=BB225_31 Depth=1
	s_mov_b32 s18, -1
	s_mov_b32 s7, 0
                                        ; implicit-def: $sgpr19
                                        ; implicit-def: $vgpr50
	s_mov_b32 s23, s18
	s_cbranch_execnz .LBB225_318
	s_branch .LBB225_331
.LBB225_316:                            ;   in Loop: Header=BB225_31 Depth=1
	s_or_b32 exec_lo, exec_lo, s19
	v_lshrrev_b32_e32 v50, 16, v7
	s_and_b32 s7, s23, exec_lo
.LBB225_317:                            ;   in Loop: Header=BB225_31 Depth=1
	s_or_b32 exec_lo, exec_lo, s18
	s_mov_b32 s18, 0
	s_mov_b32 s19, -1
	s_mov_b32 s23, s18
	s_branch .LBB225_331
.LBB225_318:                            ;   in Loop: Header=BB225_31 Depth=1
	s_mov_b32 s26, s61
	s_delay_alu instid0(SALU_CYCLE_1)
	s_cmp_lg_u64 s[26:27], 0
	s_cbranch_scc0 .LBB225_360
; %bb.319:                              ;   in Loop: Header=BB225_31 Depth=1
	v_cvt_f32_u32_e32 v2, s33
	s_sub_u32 s9, 0, s33
	s_subb_u32 s18, 0, 0
	s_delay_alu instid0(VALU_DEP_1) | instskip(NEXT) | instid1(VALU_DEP_1)
	v_fmac_f32_e64 v2, 0, 0x4f800000
	v_rcp_f32_e32 v2, v2
	s_waitcnt_depctr 0xfff
	v_mul_f32_e32 v2, 0x5f7ffffc, v2
	s_delay_alu instid0(VALU_DEP_1) | instskip(NEXT) | instid1(VALU_DEP_1)
	v_mul_f32_e32 v3, 0x2f800000, v2
	v_trunc_f32_e32 v3, v3
	s_delay_alu instid0(VALU_DEP_1) | instskip(SKIP_1) | instid1(VALU_DEP_2)
	v_fmac_f32_e32 v2, 0xcf800000, v3
	v_cvt_u32_f32_e32 v3, v3
	v_cvt_u32_f32_e32 v2, v2
	s_delay_alu instid0(VALU_DEP_2) | instskip(NEXT) | instid1(VALU_DEP_2)
	v_readfirstlane_b32 s7, v3
	v_readfirstlane_b32 s8, v2
	s_delay_alu instid0(VALU_DEP_2) | instskip(NEXT) | instid1(VALU_DEP_1)
	s_mul_i32 s19, s9, s7
	s_mul_hi_u32 s26, s9, s8
	s_mul_i32 s23, s18, s8
	s_add_i32 s19, s26, s19
	s_mul_i32 s56, s9, s8
	s_add_i32 s19, s19, s23
	s_mul_hi_u32 s26, s8, s56
	s_mul_hi_u32 s57, s7, s56
	s_mul_i32 s23, s7, s56
	s_mul_hi_u32 s56, s8, s19
	s_mul_i32 s8, s8, s19
	s_mul_hi_u32 s58, s7, s19
	s_add_u32 s8, s26, s8
	s_addc_u32 s26, 0, s56
	s_add_u32 s8, s8, s23
	s_mul_i32 s19, s7, s19
	s_addc_u32 s8, s26, s57
	s_addc_u32 s23, s58, 0
	s_add_u32 s8, s8, s19
	s_addc_u32 s19, 0, s23
	v_add_co_u32 v2, s8, v2, s8
	s_delay_alu instid0(VALU_DEP_1) | instskip(SKIP_1) | instid1(VALU_DEP_1)
	s_cmp_lg_u32 s8, 0
	s_addc_u32 s7, s7, s19
	v_readfirstlane_b32 s8, v2
	s_mul_i32 s19, s9, s7
	s_delay_alu instid0(VALU_DEP_1)
	s_mul_hi_u32 s23, s9, s8
	s_mul_i32 s18, s18, s8
	s_add_i32 s19, s23, s19
	s_mul_i32 s9, s9, s8
	s_add_i32 s19, s19, s18
	s_mul_hi_u32 s23, s7, s9
	s_mul_i32 s26, s7, s9
	s_mul_hi_u32 s9, s8, s9
	s_mul_hi_u32 s56, s8, s19
	s_mul_i32 s8, s8, s19
	s_mul_hi_u32 s18, s7, s19
	s_add_u32 s8, s9, s8
	s_addc_u32 s9, 0, s56
	s_add_u32 s8, s8, s26
	s_mul_i32 s19, s7, s19
	s_addc_u32 s8, s9, s23
	s_addc_u32 s9, s18, 0
	s_add_u32 s8, s8, s19
	s_addc_u32 s9, 0, s9
	v_add_co_u32 v2, s8, v2, s8
	s_delay_alu instid0(VALU_DEP_1) | instskip(SKIP_1) | instid1(VALU_DEP_1)
	s_cmp_lg_u32 s8, 0
	s_addc_u32 s7, s7, s9
	v_readfirstlane_b32 s8, v2
	s_mul_i32 s18, s87, s7
	s_mul_hi_u32 s9, s87, s7
	s_mul_hi_u32 s19, s27, s7
	s_mul_i32 s7, s27, s7
	s_mul_hi_u32 s23, s87, s8
	s_mul_hi_u32 s26, s27, s8
	s_mul_i32 s8, s27, s8
	s_add_u32 s18, s23, s18
	s_addc_u32 s9, 0, s9
	s_add_u32 s8, s18, s8
	s_addc_u32 s8, s9, s26
	s_addc_u32 s9, s19, 0
	s_add_u32 s7, s8, s7
	s_addc_u32 s8, 0, s9
	s_mul_hi_u32 s9, s33, s7
	s_mul_i32 s7, s33, s7
	s_mul_i32 s8, s33, s8
	v_sub_co_u32 v2, s7, s87, s7
	s_add_i32 s9, s9, s8
	s_cmp_lg_u32 s7, 0
	s_delay_alu instid0(VALU_DEP_1) | instskip(SKIP_2) | instid1(VALU_DEP_1)
	v_sub_co_u32 v3, s7, v2, s33
	s_subb_u32 s8, s27, s9
	s_cmp_lg_u32 s7, 0
	v_cmp_le_u32_e32 vcc_lo, s33, v3
	v_sub_co_u32 v4, s7, v3, s33
	s_subb_u32 s9, s8, 0
	s_cmp_lg_u32 s7, 0
	v_cndmask_b32_e64 v5, 0, -1, vcc_lo
	s_subb_u32 s7, s9, 0
	s_cmp_eq_u32 s9, 0
	v_mov_b32_e32 v7, s7
	s_cselect_b32 vcc_lo, -1, 0
	s_cmp_eq_u32 s8, 0
	v_cndmask_b32_e32 v5, -1, v5, vcc_lo
	v_cmp_le_u32_e32 vcc_lo, s33, v2
	s_cselect_b32 s7, -1, 0
	v_cndmask_b32_e64 v6, 0, -1, vcc_lo
	s_delay_alu instid0(VALU_DEP_3) | instskip(NEXT) | instid1(VALU_DEP_2)
	v_cmp_ne_u32_e32 vcc_lo, 0, v5
	v_cndmask_b32_e64 v5, -1, v6, s7
	v_cndmask_b32_e32 v6, s9, v7, vcc_lo
	v_cndmask_b32_e32 v4, v3, v4, vcc_lo
	s_delay_alu instid0(VALU_DEP_3) | instskip(NEXT) | instid1(VALU_DEP_3)
	v_cmp_ne_u32_e32 vcc_lo, 0, v5
	v_cndmask_b32_e32 v3, s8, v6, vcc_lo
	s_delay_alu instid0(VALU_DEP_3)
	v_cndmask_b32_e32 v2, v2, v4, vcc_lo
	s_cbranch_execnz .LBB225_321
.LBB225_320:                            ;   in Loop: Header=BB225_31 Depth=1
	v_cvt_f32_u32_e32 v2, s33
	s_sub_i32 s7, 0, s33
	s_delay_alu instid0(VALU_DEP_1) | instskip(SKIP_2) | instid1(VALU_DEP_1)
	v_rcp_iflag_f32_e32 v2, v2
	s_waitcnt_depctr 0xfff
	v_mul_f32_e32 v2, 0x4f7ffffe, v2
	v_cvt_u32_f32_e32 v2, v2
	s_delay_alu instid0(VALU_DEP_1) | instskip(NEXT) | instid1(VALU_DEP_1)
	v_mul_lo_u32 v3, s7, v2
	v_mul_hi_u32 v3, v2, v3
	s_delay_alu instid0(VALU_DEP_1) | instskip(NEXT) | instid1(VALU_DEP_1)
	v_add_nc_u32_e32 v2, v2, v3
	v_mul_hi_u32 v2, s87, v2
	s_delay_alu instid0(VALU_DEP_1) | instskip(NEXT) | instid1(VALU_DEP_1)
	v_mul_lo_u32 v2, v2, s33
	v_sub_nc_u32_e32 v2, s87, v2
	s_delay_alu instid0(VALU_DEP_1) | instskip(SKIP_1) | instid1(VALU_DEP_2)
	v_subrev_nc_u32_e32 v3, s33, v2
	v_cmp_le_u32_e32 vcc_lo, s33, v2
	v_cndmask_b32_e32 v2, v2, v3, vcc_lo
	s_delay_alu instid0(VALU_DEP_1) | instskip(SKIP_1) | instid1(VALU_DEP_2)
	v_subrev_nc_u32_e32 v3, s33, v2
	v_cmp_le_u32_e32 vcc_lo, s33, v2
	v_cndmask_b32_e32 v12, v2, v3, vcc_lo
	s_delay_alu instid0(VALU_DEP_1)
	v_dual_mov_b32 v2, v12 :: v_dual_mov_b32 v3, v13
.LBB225_321:                            ;   in Loop: Header=BB225_31 Depth=1
	s_delay_alu instid0(VALU_DEP_1) | instskip(NEXT) | instid1(VALU_DEP_2)
	v_sub_co_u32 v2, vcc_lo, s87, v2
	v_sub_co_ci_u32_e32 v3, vcc_lo, s27, v3, vcc_lo
	s_mov_b32 s7, 0
	s_mov_b32 s8, exec_lo
                                        ; implicit-def: $vgpr50
	s_delay_alu instid0(VALU_DEP_1)
	v_cmpx_gt_u64_e64 v[2:3], v[0:1]
	s_cbranch_execz .LBB225_330
; %bb.322:                              ;   in Loop: Header=BB225_31 Depth=1
	v_dual_mov_b32 v4, v24 :: v_dual_mov_b32 v5, v25
	v_dual_mov_b32 v7, v1 :: v_dual_mov_b32 v6, v0
	s_mov_b32 s9, 0
                                        ; implicit-def: $sgpr18
	s_branch .LBB225_324
.LBB225_323:                            ;   in Loop: Header=BB225_324 Depth=2
	s_or_b32 exec_lo, exec_lo, s7
	s_waitcnt vmcnt(0) lgkmcnt(0)
	s_barrier
	buffer_gl0_inv
	ds_load_b32 v8, v13 offset:3072
	v_add_co_u32 v6, vcc_lo, v6, s33
	v_add_co_ci_u32_e32 v7, vcc_lo, 0, v7, vcc_lo
	s_waitcnt lgkmcnt(0)
	s_barrier
	buffer_gl0_inv
	v_cmp_ge_u64_e32 vcc_lo, v[6:7], v[2:3]
	v_and_b32_e32 v9, 0x7fff, v8
	s_delay_alu instid0(VALU_DEP_1) | instskip(NEXT) | instid1(VALU_DEP_1)
	v_cmp_ne_u16_e64 s7, 0, v9
	s_or_b32 s19, vcc_lo, s7
	v_add_co_u32 v4, vcc_lo, v4, s34
	s_and_b32 s19, exec_lo, s19
	v_add_co_ci_u32_e32 v5, vcc_lo, s35, v5, vcc_lo
	s_or_b32 s9, s19, s9
	s_and_not1_b32 s18, s18, exec_lo
	s_and_b32 s7, s7, exec_lo
	s_delay_alu instid0(SALU_CYCLE_1)
	s_or_b32 s18, s18, s7
	s_and_not1_b32 exec_lo, exec_lo, s9
	s_cbranch_execz .LBB225_329
.LBB225_324:                            ;   Parent Loop BB225_31 Depth=1
                                        ; =>  This Inner Loop Header: Depth=2
	s_delay_alu instid0(VALU_DEP_1)
	v_cmp_gt_u64_e32 vcc_lo, s[36:37], v[6:7]
	v_mov_b32_e32 v8, 0
	s_and_saveexec_b32 s7, vcc_lo
	s_cbranch_execz .LBB225_326
; %bb.325:                              ;   in Loop: Header=BB225_324 Depth=2
	global_load_u16 v8, v[4:5], off
.LBB225_326:                            ;   in Loop: Header=BB225_324 Depth=2
	s_or_b32 exec_lo, exec_lo, s7
	s_and_saveexec_b32 s7, vcc_lo
	s_cbranch_execz .LBB225_323
; %bb.327:                              ;   in Loop: Header=BB225_324 Depth=2
	s_waitcnt vmcnt(0)
	v_cmp_lt_i16_e32 vcc_lo, -1, v8
	v_dual_cndmask_b32 v12, 0xffff, v47 :: v_dual_and_b32 v9, 0xffff, v8
	s_delay_alu instid0(VALU_DEP_1) | instskip(SKIP_1) | instid1(VALU_DEP_1)
	v_xor_b32_e32 v9, v12, v9
	v_lshlrev_b32_e32 v28, 16, v8
	v_cmp_o_f32_e32 vcc_lo, v28, v28
	s_delay_alu instid0(VALU_DEP_3) | instskip(NEXT) | instid1(VALU_DEP_1)
	v_cndmask_b32_e32 v9, 0xffff, v9, vcc_lo
	v_and_b32_e32 v9, v9, v48
	s_delay_alu instid0(VALU_DEP_1)
	v_cmp_eq_u32_e32 vcc_lo, v9, v49
	s_and_b32 exec_lo, exec_lo, vcc_lo
	s_cbranch_execz .LBB225_323
; %bb.328:                              ;   in Loop: Header=BB225_324 Depth=2
	v_perm_b32 v8, v8, s96, 0x5040100
	ds_store_b32 v13, v8 offset:3072
	s_branch .LBB225_323
.LBB225_329:                            ;   in Loop: Header=BB225_31 Depth=1
	s_or_b32 exec_lo, exec_lo, s9
	v_lshrrev_b32_e32 v50, 16, v8
	s_and_b32 s7, s18, exec_lo
.LBB225_330:                            ;   in Loop: Header=BB225_31 Depth=1
	s_or_b32 exec_lo, exec_lo, s8
	s_mov_b32 s19, 0
	s_mov_b32 s18, -1
	s_mov_b32 s23, 0
.LBB225_331:                            ;   in Loop: Header=BB225_31 Depth=1
	s_or_not1_b32 s7, s7, exec_lo
.LBB225_332:                            ;   in Loop: Header=BB225_31 Depth=1
	s_or_b32 exec_lo, exec_lo, s47
                                        ; implicit-def: $vgpr7
                                        ; implicit-def: $vgpr2_vgpr3
                                        ; implicit-def: $vgpr28
                                        ; implicit-def: $vgpr29
                                        ; implicit-def: $vgpr6
	s_and_saveexec_b32 s60, s7
	s_cbranch_execz .LBB225_495
; %bb.333:                              ;   in Loop: Header=BB225_31 Depth=1
	v_dual_mov_b32 v2, 1 :: v_dual_mov_b32 v7, 1
	v_mov_b32_e32 v3, 0
	s_xor_b32 s8, s46, -1
	s_mov_b32 s26, 0
	s_and_saveexec_b32 s7, s8
	s_cbranch_execz .LBB225_343
; %bb.334:                              ;   in Loop: Header=BB225_31 Depth=1
	s_mov_b32 s9, exec_lo
                                        ; implicit-def: $sgpr26
                                        ; implicit-def: $sgpr8
	v_cmpx_ge_u64_e64 s[16:17], v[26:27]
	s_xor_b32 s9, exec_lo, s9
	s_cbranch_execz .LBB225_340
; %bb.335:                              ;   in Loop: Header=BB225_31 Depth=1
	ds_load_b64 v[2:3], v13 offset:5120
	s_waitcnt lgkmcnt(0)
	v_cmp_ne_u64_e32 vcc_lo, 0, v[2:3]
	s_cbranch_vccnz .LBB225_339
; %bb.336:                              ;   in Loop: Header=BB225_31 Depth=1
	s_and_saveexec_b32 s8, s5
	s_cbranch_execz .LBB225_338
; %bb.337:                              ;   in Loop: Header=BB225_31 Depth=1
	v_dual_mov_b32 v2, s16 :: v_dual_mov_b32 v3, s17
	ds_store_b64 v13, v[2:3] offset:5128
.LBB225_338:                            ;   in Loop: Header=BB225_31 Depth=1
	s_or_b32 exec_lo, exec_lo, s8
	s_waitcnt lgkmcnt(0)
	s_barrier
	buffer_gl0_inv
.LBB225_339:                            ;   in Loop: Header=BB225_31 Depth=1
	v_or_b32_e32 v49, s20, v49
	v_or_b32_e32 v48, s20, v48
	s_mov_b32 s8, 0
	s_mov_b32 s26, 5
.LBB225_340:                            ;   in Loop: Header=BB225_31 Depth=1
	s_or_saveexec_b32 s9, s9
	v_mov_b32_e32 v7, s26
	s_xor_b32 exec_lo, exec_lo, s9
; %bb.341:                              ;   in Loop: Header=BB225_31 Depth=1
	v_sub_co_u32 v26, vcc_lo, v26, s16
	v_subrev_co_ci_u32_e32 v27, vcc_lo, s17, v27, vcc_lo
	v_mov_b32_e32 v7, 0
	s_or_b32 s8, s8, exec_lo
; %bb.342:                              ;   in Loop: Header=BB225_31 Depth=1
	s_or_b32 exec_lo, exec_lo, s9
	s_delay_alu instid0(VALU_DEP_2)
	v_dual_mov_b32 v2, v26 :: v_dual_mov_b32 v3, v27
	s_and_b32 s26, s8, exec_lo
.LBB225_343:                            ;   in Loop: Header=BB225_31 Depth=1
	s_or_b32 exec_lo, exec_lo, s7
	s_mov_b32 s17, -1
                                        ; implicit-def: $sgpr8
                                        ; implicit-def: $sgpr9
                                        ; implicit-def: $sgpr16
	s_and_saveexec_b32 s7, s26
	s_delay_alu instid0(SALU_CYCLE_1)
	s_xor_b32 s70, exec_lo, s7
	s_cbranch_execz .LBB225_492
; %bb.344:                              ;   in Loop: Header=BB225_31 Depth=1
	v_cmp_eq_u64_e32 vcc_lo, 1, v[2:3]
	s_cmp_eq_u64 s[14:15], 1
                                        ; implicit-def: $sgpr16
                                        ; implicit-def: $sgpr17
                                        ; implicit-def: $sgpr71
	s_cselect_b32 s7, -1, 0
	s_delay_alu instid0(SALU_CYCLE_1)
	s_and_b32 s46, s7, vcc_lo
	s_mov_b32 s7, -1
	s_and_saveexec_b32 s47, s46
	s_cbranch_execz .LBB225_378
; %bb.345:                              ;   in Loop: Header=BB225_31 Depth=1
	ds_load_b64 v[4:5], v13 offset:5120
	s_waitcnt lgkmcnt(0)
	s_barrier
	buffer_gl0_inv
	v_readfirstlane_b32 s8, v4
	v_readfirstlane_b32 s9, v5
	s_and_saveexec_b32 s7, s6
	s_cbranch_execz .LBB225_347
; %bb.346:                              ;   in Loop: Header=BB225_31 Depth=1
	ds_store_b16 v44, v13
.LBB225_347:                            ;   in Loop: Header=BB225_31 Depth=1
	s_or_b32 exec_lo, exec_lo, s7
	s_lshl_b32 s7, 2, s22
	v_or_b32_e32 v48, s20, v48
	v_and_or_b32 v49, v49, s21, s7
	s_cmp_eq_u64 s[8:9], 0
	s_waitcnt lgkmcnt(0)
	s_barrier
	buffer_gl0_inv
	s_cbranch_scc1 .LBB225_361
; %bb.348:                              ;   in Loop: Header=BB225_31 Depth=1
	s_add_u32 s26, s85, s8
	s_addc_u32 s17, s86, s9
	s_mov_b32 s16, s61
	s_delay_alu instid0(SALU_CYCLE_1)
	s_cmp_lg_u64 s[16:17], 0
	s_cbranch_scc0 .LBB225_405
; %bb.349:                              ;   in Loop: Header=BB225_31 Depth=1
	v_cvt_f32_u32_e32 v4, s33
	s_sub_u32 s56, 0, s33
	s_subb_u32 s57, 0, 0
	s_delay_alu instid0(VALU_DEP_1) | instskip(NEXT) | instid1(VALU_DEP_1)
	v_fmac_f32_e64 v4, 0, 0x4f800000
	v_rcp_f32_e32 v4, v4
	s_waitcnt_depctr 0xfff
	v_mul_f32_e32 v4, 0x5f7ffffc, v4
	s_delay_alu instid0(VALU_DEP_1) | instskip(NEXT) | instid1(VALU_DEP_1)
	v_mul_f32_e32 v5, 0x2f800000, v4
	v_trunc_f32_e32 v5, v5
	s_delay_alu instid0(VALU_DEP_1) | instskip(SKIP_1) | instid1(VALU_DEP_2)
	v_fmac_f32_e32 v4, 0xcf800000, v5
	v_cvt_u32_f32_e32 v5, v5
	v_cvt_u32_f32_e32 v4, v4
	s_delay_alu instid0(VALU_DEP_2) | instskip(NEXT) | instid1(VALU_DEP_2)
	v_readfirstlane_b32 s7, v5
	v_readfirstlane_b32 s16, v4
	s_delay_alu instid0(VALU_DEP_2) | instskip(NEXT) | instid1(VALU_DEP_1)
	s_mul_i32 s58, s56, s7
	s_mul_hi_u32 s71, s56, s16
	s_mul_i32 s59, s57, s16
	s_add_i32 s58, s71, s58
	s_mul_i32 s72, s56, s16
	s_add_i32 s58, s58, s59
	s_mul_hi_u32 s71, s16, s72
	s_mul_hi_u32 s73, s7, s72
	s_mul_i32 s59, s7, s72
	s_mul_hi_u32 s72, s16, s58
	s_mul_i32 s16, s16, s58
	s_mul_hi_u32 s74, s7, s58
	s_add_u32 s16, s71, s16
	s_addc_u32 s71, 0, s72
	s_add_u32 s16, s16, s59
	s_mul_i32 s58, s7, s58
	s_addc_u32 s16, s71, s73
	s_addc_u32 s59, s74, 0
	s_add_u32 s16, s16, s58
	s_addc_u32 s58, 0, s59
	v_add_co_u32 v4, s16, v4, s16
	s_delay_alu instid0(VALU_DEP_1) | instskip(SKIP_1) | instid1(VALU_DEP_1)
	s_cmp_lg_u32 s16, 0
	s_addc_u32 s7, s7, s58
	v_readfirstlane_b32 s16, v4
	s_mul_i32 s58, s56, s7
	s_delay_alu instid0(VALU_DEP_1)
	s_mul_hi_u32 s59, s56, s16
	s_mul_i32 s57, s57, s16
	s_add_i32 s58, s59, s58
	s_mul_i32 s56, s56, s16
	s_add_i32 s58, s58, s57
	s_mul_hi_u32 s59, s7, s56
	s_mul_i32 s71, s7, s56
	s_mul_hi_u32 s56, s16, s56
	s_mul_hi_u32 s72, s16, s58
	s_mul_i32 s16, s16, s58
	s_mul_hi_u32 s57, s7, s58
	s_add_u32 s16, s56, s16
	s_addc_u32 s56, 0, s72
	s_add_u32 s16, s16, s71
	s_mul_i32 s58, s7, s58
	s_addc_u32 s16, s56, s59
	s_addc_u32 s56, s57, 0
	s_add_u32 s16, s16, s58
	s_addc_u32 s56, 0, s56
	v_add_co_u32 v4, s16, v4, s16
	s_delay_alu instid0(VALU_DEP_1) | instskip(SKIP_1) | instid1(VALU_DEP_1)
	s_cmp_lg_u32 s16, 0
	s_addc_u32 s7, s7, s56
	v_readfirstlane_b32 s16, v4
	s_mul_i32 s57, s26, s7
	s_mul_hi_u32 s56, s26, s7
	s_mul_hi_u32 s58, s17, s7
	s_mul_i32 s7, s17, s7
	s_mul_hi_u32 s59, s26, s16
	s_mul_hi_u32 s71, s17, s16
	s_mul_i32 s16, s17, s16
	s_add_u32 s57, s59, s57
	s_addc_u32 s56, 0, s56
	s_add_u32 s16, s57, s16
	s_addc_u32 s16, s56, s71
	s_addc_u32 s56, s58, 0
	s_add_u32 s7, s16, s7
	s_addc_u32 s16, 0, s56
	s_mul_hi_u32 s56, s33, s7
	s_mul_i32 s7, s33, s7
	s_mul_i32 s16, s33, s16
	v_sub_co_u32 v4, s7, s26, s7
	s_add_i32 s56, s56, s16
	s_cmp_lg_u32 s7, 0
	s_delay_alu instid0(VALU_DEP_1) | instskip(SKIP_3) | instid1(VALU_DEP_2)
	v_sub_co_u32 v5, s7, v4, s33
	s_subb_u32 s16, s17, s56
	s_cmp_lg_u32 s7, 0
	v_cmp_le_u32_e32 vcc_lo, s33, v4
	v_cmp_le_u32_e64 s7, s33, v5
	v_sub_co_u32 v6, s56, v5, s33
	s_subb_u32 s57, s16, 0
	s_cmp_lg_u32 s56, 0
	s_delay_alu instid0(VALU_DEP_2)
	v_cndmask_b32_e64 v7, 0, -1, s7
	s_subb_u32 s56, s57, 0
	s_cmp_eq_u32 s57, 0
	v_mov_b32_e32 v9, s56
	v_cndmask_b32_e64 v8, 0, -1, vcc_lo
	s_cselect_b32 vcc_lo, -1, 0
	s_cmp_eq_u32 s16, 0
	v_cndmask_b32_e32 v7, -1, v7, vcc_lo
	s_cselect_b32 vcc_lo, -1, 0
	v_cndmask_b32_e32 v8, -1, v8, vcc_lo
	s_delay_alu instid0(VALU_DEP_2) | instskip(NEXT) | instid1(VALU_DEP_2)
	v_cmp_ne_u32_e32 vcc_lo, 0, v7
	v_cmp_ne_u32_e64 s7, 0, v8
	v_cndmask_b32_e32 v7, s57, v9, vcc_lo
	v_cndmask_b32_e32 v6, v5, v6, vcc_lo
	s_delay_alu instid0(VALU_DEP_2) | instskip(NEXT) | instid1(VALU_DEP_2)
	v_cndmask_b32_e64 v5, s16, v7, s7
	v_cndmask_b32_e64 v4, v4, v6, s7
	s_cbranch_execnz .LBB225_351
.LBB225_350:                            ;   in Loop: Header=BB225_31 Depth=1
	v_cvt_f32_u32_e32 v4, s33
	s_sub_i32 s7, 0, s33
	s_delay_alu instid0(VALU_DEP_1) | instskip(SKIP_2) | instid1(VALU_DEP_1)
	v_rcp_iflag_f32_e32 v4, v4
	s_waitcnt_depctr 0xfff
	v_mul_f32_e32 v4, 0x4f7ffffe, v4
	v_cvt_u32_f32_e32 v4, v4
	s_delay_alu instid0(VALU_DEP_1) | instskip(NEXT) | instid1(VALU_DEP_1)
	v_mul_lo_u32 v5, s7, v4
	v_mul_hi_u32 v5, v4, v5
	s_delay_alu instid0(VALU_DEP_1) | instskip(NEXT) | instid1(VALU_DEP_1)
	v_add_nc_u32_e32 v4, v4, v5
	v_mul_hi_u32 v4, s26, v4
	s_delay_alu instid0(VALU_DEP_1) | instskip(NEXT) | instid1(VALU_DEP_1)
	v_mul_lo_u32 v4, v4, s33
	v_sub_nc_u32_e32 v4, s26, v4
	s_delay_alu instid0(VALU_DEP_1) | instskip(SKIP_1) | instid1(VALU_DEP_2)
	v_subrev_nc_u32_e32 v5, s33, v4
	v_cmp_le_u32_e32 vcc_lo, s33, v4
	v_cndmask_b32_e32 v4, v4, v5, vcc_lo
	s_delay_alu instid0(VALU_DEP_1) | instskip(SKIP_1) | instid1(VALU_DEP_2)
	v_subrev_nc_u32_e32 v5, s33, v4
	v_cmp_le_u32_e32 vcc_lo, s33, v4
	v_cndmask_b32_e32 v12, v4, v5, vcc_lo
	s_delay_alu instid0(VALU_DEP_1)
	v_dual_mov_b32 v4, v12 :: v_dual_mov_b32 v5, v13
.LBB225_351:                            ;   in Loop: Header=BB225_31 Depth=1
	s_delay_alu instid0(VALU_DEP_1) | instskip(NEXT) | instid1(VALU_DEP_2)
	v_sub_co_u32 v4, vcc_lo, s26, v4
	v_sub_co_ci_u32_e32 v5, vcc_lo, s17, v5, vcc_lo
	s_mov_b32 s7, 0
	s_mov_b32 s16, exec_lo
                                        ; implicit-def: $vgpr50
	s_delay_alu instid0(VALU_DEP_1)
	v_cmpx_gt_u64_e64 v[4:5], v[0:1]
	s_cbranch_execz .LBB225_363
; %bb.352:                              ;   in Loop: Header=BB225_31 Depth=1
	v_dual_mov_b32 v8, v43 :: v_dual_mov_b32 v7, v1
	v_mov_b32_e32 v6, v0
	s_mov_b32 s17, 0
                                        ; implicit-def: $sgpr26
	s_branch .LBB225_354
.LBB225_353:                            ;   in Loop: Header=BB225_354 Depth=2
	s_or_b32 exec_lo, exec_lo, s7
	s_waitcnt lgkmcnt(0)
	s_barrier
	buffer_gl0_inv
	ds_load_b32 v9, v13 offset:3072
	v_add_co_u32 v6, vcc_lo, v6, s33
	v_add_co_ci_u32_e32 v7, vcc_lo, 0, v7, vcc_lo
	v_add_nc_u32_e32 v8, s93, v8
	s_waitcnt lgkmcnt(0)
	s_barrier
	s_delay_alu instid0(VALU_DEP_2) | instskip(SKIP_2) | instid1(VALU_DEP_1)
	v_cmp_ge_u64_e32 vcc_lo, v[6:7], v[4:5]
	buffer_gl0_inv
	v_and_b32_e32 v12, 0x7fff, v9
	v_cmp_ne_u16_e64 s7, 0, v12
	s_delay_alu instid0(VALU_DEP_1) | instskip(NEXT) | instid1(SALU_CYCLE_1)
	s_or_b32 s56, vcc_lo, s7
	s_and_b32 s56, exec_lo, s56
	s_delay_alu instid0(SALU_CYCLE_1) | instskip(SKIP_2) | instid1(SALU_CYCLE_1)
	s_or_b32 s17, s56, s17
	s_and_not1_b32 s26, s26, exec_lo
	s_and_b32 s7, s7, exec_lo
	s_or_b32 s26, s26, s7
	s_and_not1_b32 exec_lo, exec_lo, s17
	s_cbranch_execz .LBB225_362
.LBB225_354:                            ;   Parent Loop BB225_31 Depth=1
                                        ; =>  This Inner Loop Header: Depth=2
	s_delay_alu instid0(VALU_DEP_1)
	v_cmp_gt_u64_e32 vcc_lo, s[8:9], v[6:7]
	v_mov_b32_e32 v9, 0
	s_and_saveexec_b32 s7, vcc_lo
	s_cbranch_execz .LBB225_356
; %bb.355:                              ;   in Loop: Header=BB225_354 Depth=2
	ds_load_u16 v9, v8
.LBB225_356:                            ;   in Loop: Header=BB225_354 Depth=2
	s_or_b32 exec_lo, exec_lo, s7
	s_and_saveexec_b32 s7, vcc_lo
	s_cbranch_execz .LBB225_353
; %bb.357:                              ;   in Loop: Header=BB225_354 Depth=2
	s_waitcnt lgkmcnt(0)
	v_cmp_lt_i16_e32 vcc_lo, -1, v9
	v_and_b32_e32 v12, 0xffff, v9
	v_dual_cndmask_b32 v26, 0xffff, v47 :: v_dual_lshlrev_b32 v27, 16, v9
	s_delay_alu instid0(VALU_DEP_1) | instskip(NEXT) | instid1(VALU_DEP_2)
	v_cmp_o_f32_e32 vcc_lo, v27, v27
	v_xor_b32_e32 v12, v26, v12
	s_delay_alu instid0(VALU_DEP_1) | instskip(NEXT) | instid1(VALU_DEP_1)
	v_cndmask_b32_e32 v12, 0xffff, v12, vcc_lo
	v_and_b32_e32 v12, v12, v48
	s_delay_alu instid0(VALU_DEP_1)
	v_cmp_eq_u32_e32 vcc_lo, v12, v49
	s_and_b32 exec_lo, exec_lo, vcc_lo
	s_cbranch_execz .LBB225_353
; %bb.358:                              ;   in Loop: Header=BB225_354 Depth=2
	v_perm_b32 v9, v9, s96, 0x5040100
	ds_store_b32 v13, v9 offset:3072
	s_branch .LBB225_353
.LBB225_359:                            ;   in Loop: Header=BB225_31 Depth=1
                                        ; implicit-def: $vgpr2_vgpr3
	s_branch .LBB225_306
.LBB225_360:                            ;   in Loop: Header=BB225_31 Depth=1
                                        ; implicit-def: $vgpr2_vgpr3
	s_branch .LBB225_320
.LBB225_361:                            ;   in Loop: Header=BB225_31 Depth=1
	s_mov_b32 s16, -1
	s_mov_b32 s7, 0
                                        ; implicit-def: $sgpr17
                                        ; implicit-def: $vgpr50
	s_mov_b32 s71, s16
	s_cbranch_execnz .LBB225_364
	s_branch .LBB225_377
.LBB225_362:                            ;   in Loop: Header=BB225_31 Depth=1
	s_or_b32 exec_lo, exec_lo, s17
	v_lshrrev_b32_e32 v50, 16, v9
	s_and_b32 s7, s26, exec_lo
.LBB225_363:                            ;   in Loop: Header=BB225_31 Depth=1
	s_or_b32 exec_lo, exec_lo, s16
	s_mov_b32 s16, 0
	s_mov_b32 s17, -1
	s_mov_b32 s71, s16
	s_branch .LBB225_377
.LBB225_364:                            ;   in Loop: Header=BB225_31 Depth=1
	s_mov_b32 s26, s61
	s_delay_alu instid0(SALU_CYCLE_1)
	s_cmp_lg_u64 s[26:27], 0
	s_cbranch_scc0 .LBB225_406
; %bb.365:                              ;   in Loop: Header=BB225_31 Depth=1
	v_cvt_f32_u32_e32 v4, s33
	s_sub_u32 s9, 0, s33
	s_subb_u32 s16, 0, 0
	s_delay_alu instid0(VALU_DEP_1) | instskip(NEXT) | instid1(VALU_DEP_1)
	v_fmac_f32_e64 v4, 0, 0x4f800000
	v_rcp_f32_e32 v4, v4
	s_waitcnt_depctr 0xfff
	v_mul_f32_e32 v4, 0x5f7ffffc, v4
	s_delay_alu instid0(VALU_DEP_1) | instskip(NEXT) | instid1(VALU_DEP_1)
	v_mul_f32_e32 v5, 0x2f800000, v4
	v_trunc_f32_e32 v5, v5
	s_delay_alu instid0(VALU_DEP_1) | instskip(SKIP_1) | instid1(VALU_DEP_2)
	v_fmac_f32_e32 v4, 0xcf800000, v5
	v_cvt_u32_f32_e32 v5, v5
	v_cvt_u32_f32_e32 v4, v4
	s_delay_alu instid0(VALU_DEP_2) | instskip(NEXT) | instid1(VALU_DEP_2)
	v_readfirstlane_b32 s7, v5
	v_readfirstlane_b32 s8, v4
	s_delay_alu instid0(VALU_DEP_2) | instskip(NEXT) | instid1(VALU_DEP_1)
	s_mul_i32 s17, s9, s7
	s_mul_hi_u32 s56, s9, s8
	s_mul_i32 s26, s16, s8
	s_add_i32 s17, s56, s17
	s_mul_i32 s57, s9, s8
	s_add_i32 s17, s17, s26
	s_mul_hi_u32 s56, s8, s57
	s_mul_hi_u32 s58, s7, s57
	s_mul_i32 s26, s7, s57
	s_mul_hi_u32 s57, s8, s17
	s_mul_i32 s8, s8, s17
	s_mul_hi_u32 s59, s7, s17
	s_add_u32 s8, s56, s8
	s_addc_u32 s56, 0, s57
	s_add_u32 s8, s8, s26
	s_mul_i32 s17, s7, s17
	s_addc_u32 s8, s56, s58
	s_addc_u32 s26, s59, 0
	s_add_u32 s8, s8, s17
	s_addc_u32 s17, 0, s26
	v_add_co_u32 v4, s8, v4, s8
	s_delay_alu instid0(VALU_DEP_1) | instskip(SKIP_1) | instid1(VALU_DEP_1)
	s_cmp_lg_u32 s8, 0
	s_addc_u32 s7, s7, s17
	v_readfirstlane_b32 s8, v4
	s_mul_i32 s17, s9, s7
	s_delay_alu instid0(VALU_DEP_1)
	s_mul_hi_u32 s26, s9, s8
	s_mul_i32 s16, s16, s8
	s_add_i32 s17, s26, s17
	s_mul_i32 s9, s9, s8
	s_add_i32 s17, s17, s16
	s_mul_hi_u32 s26, s7, s9
	s_mul_i32 s56, s7, s9
	s_mul_hi_u32 s9, s8, s9
	s_mul_hi_u32 s57, s8, s17
	s_mul_i32 s8, s8, s17
	s_mul_hi_u32 s16, s7, s17
	s_add_u32 s8, s9, s8
	s_addc_u32 s9, 0, s57
	s_add_u32 s8, s8, s56
	s_mul_i32 s17, s7, s17
	s_addc_u32 s8, s9, s26
	s_addc_u32 s9, s16, 0
	s_add_u32 s8, s8, s17
	s_addc_u32 s9, 0, s9
	v_add_co_u32 v4, s8, v4, s8
	s_delay_alu instid0(VALU_DEP_1) | instskip(SKIP_1) | instid1(VALU_DEP_1)
	s_cmp_lg_u32 s8, 0
	s_addc_u32 s7, s7, s9
	v_readfirstlane_b32 s8, v4
	s_mul_i32 s16, s87, s7
	s_mul_hi_u32 s9, s87, s7
	s_mul_hi_u32 s17, s27, s7
	s_mul_i32 s7, s27, s7
	s_mul_hi_u32 s26, s87, s8
	s_mul_hi_u32 s56, s27, s8
	s_mul_i32 s8, s27, s8
	s_add_u32 s16, s26, s16
	s_addc_u32 s9, 0, s9
	s_add_u32 s8, s16, s8
	s_addc_u32 s8, s9, s56
	s_addc_u32 s9, s17, 0
	s_add_u32 s7, s8, s7
	s_addc_u32 s8, 0, s9
	s_mul_hi_u32 s9, s33, s7
	s_mul_i32 s7, s33, s7
	s_mul_i32 s8, s33, s8
	v_sub_co_u32 v4, s7, s87, s7
	s_add_i32 s9, s9, s8
	s_cmp_lg_u32 s7, 0
	s_delay_alu instid0(VALU_DEP_1) | instskip(SKIP_2) | instid1(VALU_DEP_1)
	v_sub_co_u32 v5, s7, v4, s33
	s_subb_u32 s8, s27, s9
	s_cmp_lg_u32 s7, 0
	v_cmp_le_u32_e32 vcc_lo, s33, v5
	v_sub_co_u32 v6, s7, v5, s33
	s_subb_u32 s9, s8, 0
	s_cmp_lg_u32 s7, 0
	v_cndmask_b32_e64 v7, 0, -1, vcc_lo
	s_subb_u32 s7, s9, 0
	s_cmp_eq_u32 s9, 0
	v_mov_b32_e32 v9, s7
	s_cselect_b32 vcc_lo, -1, 0
	s_cmp_eq_u32 s8, 0
	v_cndmask_b32_e32 v7, -1, v7, vcc_lo
	v_cmp_le_u32_e32 vcc_lo, s33, v4
	s_cselect_b32 s7, -1, 0
	v_cndmask_b32_e64 v8, 0, -1, vcc_lo
	s_delay_alu instid0(VALU_DEP_3) | instskip(NEXT) | instid1(VALU_DEP_2)
	v_cmp_ne_u32_e32 vcc_lo, 0, v7
	v_cndmask_b32_e64 v7, -1, v8, s7
	v_cndmask_b32_e32 v8, s9, v9, vcc_lo
	v_cndmask_b32_e32 v6, v5, v6, vcc_lo
	s_delay_alu instid0(VALU_DEP_3) | instskip(NEXT) | instid1(VALU_DEP_3)
	v_cmp_ne_u32_e32 vcc_lo, 0, v7
	v_cndmask_b32_e32 v5, s8, v8, vcc_lo
	s_delay_alu instid0(VALU_DEP_3)
	v_cndmask_b32_e32 v4, v4, v6, vcc_lo
	s_cbranch_execnz .LBB225_367
.LBB225_366:                            ;   in Loop: Header=BB225_31 Depth=1
	v_cvt_f32_u32_e32 v4, s33
	s_sub_i32 s7, 0, s33
	s_delay_alu instid0(VALU_DEP_1) | instskip(SKIP_2) | instid1(VALU_DEP_1)
	v_rcp_iflag_f32_e32 v4, v4
	s_waitcnt_depctr 0xfff
	v_mul_f32_e32 v4, 0x4f7ffffe, v4
	v_cvt_u32_f32_e32 v4, v4
	s_delay_alu instid0(VALU_DEP_1) | instskip(NEXT) | instid1(VALU_DEP_1)
	v_mul_lo_u32 v5, s7, v4
	v_mul_hi_u32 v5, v4, v5
	s_delay_alu instid0(VALU_DEP_1) | instskip(NEXT) | instid1(VALU_DEP_1)
	v_add_nc_u32_e32 v4, v4, v5
	v_mul_hi_u32 v4, s87, v4
	s_delay_alu instid0(VALU_DEP_1) | instskip(NEXT) | instid1(VALU_DEP_1)
	v_mul_lo_u32 v4, v4, s33
	v_sub_nc_u32_e32 v4, s87, v4
	s_delay_alu instid0(VALU_DEP_1) | instskip(SKIP_1) | instid1(VALU_DEP_2)
	v_subrev_nc_u32_e32 v5, s33, v4
	v_cmp_le_u32_e32 vcc_lo, s33, v4
	v_cndmask_b32_e32 v4, v4, v5, vcc_lo
	s_delay_alu instid0(VALU_DEP_1) | instskip(SKIP_1) | instid1(VALU_DEP_2)
	v_subrev_nc_u32_e32 v5, s33, v4
	v_cmp_le_u32_e32 vcc_lo, s33, v4
	v_cndmask_b32_e32 v12, v4, v5, vcc_lo
	s_delay_alu instid0(VALU_DEP_1)
	v_dual_mov_b32 v4, v12 :: v_dual_mov_b32 v5, v13
.LBB225_367:                            ;   in Loop: Header=BB225_31 Depth=1
	s_delay_alu instid0(VALU_DEP_1) | instskip(NEXT) | instid1(VALU_DEP_2)
	v_sub_co_u32 v4, vcc_lo, s87, v4
	v_sub_co_ci_u32_e32 v5, vcc_lo, s27, v5, vcc_lo
	s_mov_b32 s7, 0
	s_mov_b32 s8, exec_lo
                                        ; implicit-def: $vgpr50
	s_delay_alu instid0(VALU_DEP_1)
	v_cmpx_gt_u64_e64 v[4:5], v[0:1]
	s_cbranch_execz .LBB225_376
; %bb.368:                              ;   in Loop: Header=BB225_31 Depth=1
	v_dual_mov_b32 v6, v24 :: v_dual_mov_b32 v7, v25
	v_dual_mov_b32 v9, v1 :: v_dual_mov_b32 v8, v0
	s_mov_b32 s9, 0
                                        ; implicit-def: $sgpr16
	s_branch .LBB225_370
.LBB225_369:                            ;   in Loop: Header=BB225_370 Depth=2
	s_or_b32 exec_lo, exec_lo, s7
	s_waitcnt vmcnt(0) lgkmcnt(0)
	s_barrier
	buffer_gl0_inv
	ds_load_b32 v12, v13 offset:3072
	v_add_co_u32 v8, vcc_lo, v8, s33
	v_add_co_ci_u32_e32 v9, vcc_lo, 0, v9, vcc_lo
	s_waitcnt lgkmcnt(0)
	s_barrier
	buffer_gl0_inv
	v_cmp_ge_u64_e32 vcc_lo, v[8:9], v[4:5]
	v_and_b32_e32 v26, 0x7fff, v12
	s_delay_alu instid0(VALU_DEP_1) | instskip(NEXT) | instid1(VALU_DEP_1)
	v_cmp_ne_u16_e64 s7, 0, v26
	s_or_b32 s17, vcc_lo, s7
	v_add_co_u32 v6, vcc_lo, v6, s34
	s_and_b32 s17, exec_lo, s17
	v_add_co_ci_u32_e32 v7, vcc_lo, s35, v7, vcc_lo
	s_or_b32 s9, s17, s9
	s_and_not1_b32 s16, s16, exec_lo
	s_and_b32 s7, s7, exec_lo
	s_delay_alu instid0(SALU_CYCLE_1)
	s_or_b32 s16, s16, s7
	s_and_not1_b32 exec_lo, exec_lo, s9
	s_cbranch_execz .LBB225_375
.LBB225_370:                            ;   Parent Loop BB225_31 Depth=1
                                        ; =>  This Inner Loop Header: Depth=2
	s_delay_alu instid0(VALU_DEP_1)
	v_cmp_gt_u64_e32 vcc_lo, s[36:37], v[8:9]
	v_mov_b32_e32 v12, 0
	s_and_saveexec_b32 s7, vcc_lo
	s_cbranch_execz .LBB225_372
; %bb.371:                              ;   in Loop: Header=BB225_370 Depth=2
	global_load_u16 v12, v[6:7], off
.LBB225_372:                            ;   in Loop: Header=BB225_370 Depth=2
	s_or_b32 exec_lo, exec_lo, s7
	s_and_saveexec_b32 s7, vcc_lo
	s_cbranch_execz .LBB225_369
; %bb.373:                              ;   in Loop: Header=BB225_370 Depth=2
	s_waitcnt vmcnt(0)
	v_cmp_lt_i16_e32 vcc_lo, -1, v12
	v_and_b32_e32 v26, 0xffff, v12
	v_dual_cndmask_b32 v27, 0xffff, v47 :: v_dual_lshlrev_b32 v28, 16, v12
	s_delay_alu instid0(VALU_DEP_1) | instskip(NEXT) | instid1(VALU_DEP_2)
	v_cmp_o_f32_e32 vcc_lo, v28, v28
	v_xor_b32_e32 v26, v27, v26
	s_delay_alu instid0(VALU_DEP_1) | instskip(NEXT) | instid1(VALU_DEP_1)
	v_cndmask_b32_e32 v26, 0xffff, v26, vcc_lo
	v_and_b32_e32 v26, v26, v48
	s_delay_alu instid0(VALU_DEP_1)
	v_cmp_eq_u32_e32 vcc_lo, v26, v49
	s_and_b32 exec_lo, exec_lo, vcc_lo
	s_cbranch_execz .LBB225_369
; %bb.374:                              ;   in Loop: Header=BB225_370 Depth=2
	v_perm_b32 v12, v12, s96, 0x5040100
	ds_store_b32 v13, v12 offset:3072
	s_branch .LBB225_369
.LBB225_375:                            ;   in Loop: Header=BB225_31 Depth=1
	s_or_b32 exec_lo, exec_lo, s9
	v_lshrrev_b32_e32 v50, 16, v12
	s_and_b32 s7, s16, exec_lo
.LBB225_376:                            ;   in Loop: Header=BB225_31 Depth=1
	s_or_b32 exec_lo, exec_lo, s8
	s_mov_b32 s17, 0
	s_mov_b32 s16, -1
	s_mov_b32 s71, 0
.LBB225_377:                            ;   in Loop: Header=BB225_31 Depth=1
	s_or_not1_b32 s7, s7, exec_lo
.LBB225_378:                            ;   in Loop: Header=BB225_31 Depth=1
	s_or_b32 exec_lo, exec_lo, s47
	s_mov_b32 s26, 0
                                        ; implicit-def: $vgpr7
	s_and_saveexec_b32 s72, s7
	s_cbranch_execz .LBB225_491
; %bb.379:                              ;   in Loop: Header=BB225_31 Depth=1
	v_dual_mov_b32 v4, 1 :: v_dual_mov_b32 v7, 1
	v_mov_b32_e32 v5, 0
	s_xor_b32 s8, s46, -1
	s_delay_alu instid0(SALU_CYCLE_1)
	s_and_saveexec_b32 s7, s8
	s_cbranch_execz .LBB225_389
; %bb.380:                              ;   in Loop: Header=BB225_31 Depth=1
	s_mov_b32 s9, exec_lo
                                        ; implicit-def: $sgpr26
                                        ; implicit-def: $sgpr8
	v_cmpx_ge_u64_e64 s[14:15], v[2:3]
	s_xor_b32 s9, exec_lo, s9
	s_cbranch_execz .LBB225_386
; %bb.381:                              ;   in Loop: Header=BB225_31 Depth=1
	ds_load_b64 v[4:5], v13 offset:5120
	s_waitcnt lgkmcnt(0)
	v_cmp_ne_u64_e32 vcc_lo, 0, v[4:5]
	s_cbranch_vccnz .LBB225_385
; %bb.382:                              ;   in Loop: Header=BB225_31 Depth=1
	s_and_saveexec_b32 s8, s5
	s_cbranch_execz .LBB225_384
; %bb.383:                              ;   in Loop: Header=BB225_31 Depth=1
	v_dual_mov_b32 v4, s14 :: v_dual_mov_b32 v5, s15
	ds_store_b64 v13, v[4:5] offset:5128
.LBB225_384:                            ;   in Loop: Header=BB225_31 Depth=1
	s_or_b32 exec_lo, exec_lo, s8
	s_waitcnt lgkmcnt(0)
	s_barrier
	buffer_gl0_inv
.LBB225_385:                            ;   in Loop: Header=BB225_31 Depth=1
	s_lshl_b32 s8, 2, s22
	v_or_b32_e32 v48, s20, v48
	v_and_or_b32 v49, v49, s21, s8
	s_mov_b32 s8, 0
	s_mov_b32 s26, 5
.LBB225_386:                            ;   in Loop: Header=BB225_31 Depth=1
	s_or_saveexec_b32 s9, s9
	v_mov_b32_e32 v7, s26
	s_xor_b32 exec_lo, exec_lo, s9
; %bb.387:                              ;   in Loop: Header=BB225_31 Depth=1
	v_sub_co_u32 v2, vcc_lo, v2, s14
	v_subrev_co_ci_u32_e32 v3, vcc_lo, s15, v3, vcc_lo
	v_mov_b32_e32 v7, 0
	s_or_b32 s8, s8, exec_lo
; %bb.388:                              ;   in Loop: Header=BB225_31 Depth=1
	s_or_b32 exec_lo, exec_lo, s9
	s_delay_alu instid0(VALU_DEP_2)
	v_dual_mov_b32 v5, v3 :: v_dual_mov_b32 v4, v2
	s_and_b32 s26, s8, exec_lo
.LBB225_389:                            ;   in Loop: Header=BB225_31 Depth=1
	s_or_b32 exec_lo, exec_lo, s7
	s_mov_b32 s7, -1
                                        ; implicit-def: $sgpr8
                                        ; implicit-def: $sgpr9
                                        ; implicit-def: $sgpr14
	s_and_saveexec_b32 s73, s26
	s_cbranch_execz .LBB225_490
; %bb.390:                              ;   in Loop: Header=BB225_31 Depth=1
	v_cmp_eq_u64_e32 vcc_lo, 1, v[4:5]
	s_cmp_eq_u64 s[12:13], 1
                                        ; implicit-def: $sgpr14
                                        ; implicit-def: $sgpr15
                                        ; implicit-def: $sgpr74
	s_cselect_b32 s7, -1, 0
	s_delay_alu instid0(SALU_CYCLE_1)
	s_and_b32 s46, s7, vcc_lo
	s_mov_b32 s7, -1
	s_and_saveexec_b32 s47, s46
	s_cbranch_execz .LBB225_424
; %bb.391:                              ;   in Loop: Header=BB225_31 Depth=1
	ds_load_b64 v[2:3], v13 offset:5120
	s_waitcnt lgkmcnt(0)
	s_barrier
	buffer_gl0_inv
	v_readfirstlane_b32 s8, v2
	v_readfirstlane_b32 s9, v3
	s_and_saveexec_b32 s7, s6
	s_cbranch_execz .LBB225_393
; %bb.392:                              ;   in Loop: Header=BB225_31 Depth=1
	ds_store_b16 v44, v13
.LBB225_393:                            ;   in Loop: Header=BB225_31 Depth=1
	s_or_b32 exec_lo, exec_lo, s7
	s_lshl_b32 s7, 1, s22
	v_or_b32_e32 v48, s20, v48
	v_and_or_b32 v49, v49, s21, s7
	s_cmp_eq_u64 s[8:9], 0
	s_waitcnt lgkmcnt(0)
	s_barrier
	buffer_gl0_inv
	s_cbranch_scc1 .LBB225_407
; %bb.394:                              ;   in Loop: Header=BB225_31 Depth=1
	s_add_u32 s26, s85, s8
	s_addc_u32 s15, s86, s9
	s_mov_b32 s14, s61
	s_delay_alu instid0(SALU_CYCLE_1)
	s_cmp_lg_u64 s[14:15], 0
	s_cbranch_scc0 .LBB225_442
; %bb.395:                              ;   in Loop: Header=BB225_31 Depth=1
	v_cvt_f32_u32_e32 v2, s33
	s_sub_u32 s56, 0, s33
	s_subb_u32 s57, 0, 0
	s_delay_alu instid0(VALU_DEP_1) | instskip(NEXT) | instid1(VALU_DEP_1)
	v_fmac_f32_e64 v2, 0, 0x4f800000
	v_rcp_f32_e32 v2, v2
	s_waitcnt_depctr 0xfff
	v_mul_f32_e32 v2, 0x5f7ffffc, v2
	s_delay_alu instid0(VALU_DEP_1) | instskip(NEXT) | instid1(VALU_DEP_1)
	v_mul_f32_e32 v3, 0x2f800000, v2
	v_trunc_f32_e32 v3, v3
	s_delay_alu instid0(VALU_DEP_1) | instskip(SKIP_1) | instid1(VALU_DEP_2)
	v_fmac_f32_e32 v2, 0xcf800000, v3
	v_cvt_u32_f32_e32 v3, v3
	v_cvt_u32_f32_e32 v2, v2
	s_delay_alu instid0(VALU_DEP_2) | instskip(NEXT) | instid1(VALU_DEP_2)
	v_readfirstlane_b32 s7, v3
	v_readfirstlane_b32 s14, v2
	s_delay_alu instid0(VALU_DEP_2) | instskip(NEXT) | instid1(VALU_DEP_1)
	s_mul_i32 s58, s56, s7
	s_mul_hi_u32 s74, s56, s14
	s_mul_i32 s59, s57, s14
	s_add_i32 s58, s74, s58
	s_mul_i32 s75, s56, s14
	s_add_i32 s58, s58, s59
	s_mul_hi_u32 s74, s14, s75
	s_mul_hi_u32 s76, s7, s75
	s_mul_i32 s59, s7, s75
	s_mul_hi_u32 s75, s14, s58
	s_mul_i32 s14, s14, s58
	s_mul_hi_u32 s77, s7, s58
	s_add_u32 s14, s74, s14
	s_addc_u32 s74, 0, s75
	s_add_u32 s14, s14, s59
	s_mul_i32 s58, s7, s58
	s_addc_u32 s14, s74, s76
	s_addc_u32 s59, s77, 0
	s_add_u32 s14, s14, s58
	s_addc_u32 s58, 0, s59
	v_add_co_u32 v2, s14, v2, s14
	s_delay_alu instid0(VALU_DEP_1) | instskip(SKIP_1) | instid1(VALU_DEP_1)
	s_cmp_lg_u32 s14, 0
	s_addc_u32 s7, s7, s58
	v_readfirstlane_b32 s14, v2
	s_mul_i32 s58, s56, s7
	s_delay_alu instid0(VALU_DEP_1)
	s_mul_hi_u32 s59, s56, s14
	s_mul_i32 s57, s57, s14
	s_add_i32 s58, s59, s58
	s_mul_i32 s56, s56, s14
	s_add_i32 s58, s58, s57
	s_mul_hi_u32 s59, s7, s56
	s_mul_i32 s74, s7, s56
	s_mul_hi_u32 s56, s14, s56
	s_mul_hi_u32 s75, s14, s58
	s_mul_i32 s14, s14, s58
	s_mul_hi_u32 s57, s7, s58
	s_add_u32 s14, s56, s14
	s_addc_u32 s56, 0, s75
	s_add_u32 s14, s14, s74
	s_mul_i32 s58, s7, s58
	s_addc_u32 s14, s56, s59
	s_addc_u32 s56, s57, 0
	s_add_u32 s14, s14, s58
	s_addc_u32 s56, 0, s56
	v_add_co_u32 v2, s14, v2, s14
	s_delay_alu instid0(VALU_DEP_1) | instskip(SKIP_1) | instid1(VALU_DEP_1)
	s_cmp_lg_u32 s14, 0
	s_addc_u32 s7, s7, s56
	v_readfirstlane_b32 s14, v2
	s_mul_i32 s57, s26, s7
	s_mul_hi_u32 s56, s26, s7
	s_mul_hi_u32 s58, s15, s7
	s_mul_i32 s7, s15, s7
	s_mul_hi_u32 s59, s26, s14
	s_mul_hi_u32 s74, s15, s14
	s_mul_i32 s14, s15, s14
	s_add_u32 s57, s59, s57
	s_addc_u32 s56, 0, s56
	s_add_u32 s14, s57, s14
	s_addc_u32 s14, s56, s74
	s_addc_u32 s56, s58, 0
	s_add_u32 s7, s14, s7
	s_addc_u32 s14, 0, s56
	s_mul_hi_u32 s56, s33, s7
	s_mul_i32 s7, s33, s7
	s_mul_i32 s14, s33, s14
	v_sub_co_u32 v2, s7, s26, s7
	s_add_i32 s56, s56, s14
	s_cmp_lg_u32 s7, 0
	s_delay_alu instid0(VALU_DEP_1) | instskip(SKIP_3) | instid1(VALU_DEP_2)
	v_sub_co_u32 v3, s7, v2, s33
	s_subb_u32 s14, s15, s56
	s_cmp_lg_u32 s7, 0
	v_cmp_le_u32_e32 vcc_lo, s33, v2
	v_cmp_le_u32_e64 s7, s33, v3
	v_sub_co_u32 v6, s56, v3, s33
	s_subb_u32 s57, s14, 0
	s_cmp_lg_u32 s56, 0
	s_delay_alu instid0(VALU_DEP_2)
	v_cndmask_b32_e64 v7, 0, -1, s7
	s_subb_u32 s56, s57, 0
	s_cmp_eq_u32 s57, 0
	v_mov_b32_e32 v9, s56
	v_cndmask_b32_e64 v8, 0, -1, vcc_lo
	s_cselect_b32 vcc_lo, -1, 0
	s_cmp_eq_u32 s14, 0
	v_cndmask_b32_e32 v7, -1, v7, vcc_lo
	s_cselect_b32 vcc_lo, -1, 0
	v_cndmask_b32_e32 v8, -1, v8, vcc_lo
	s_delay_alu instid0(VALU_DEP_2) | instskip(NEXT) | instid1(VALU_DEP_2)
	v_cmp_ne_u32_e32 vcc_lo, 0, v7
	v_cmp_ne_u32_e64 s7, 0, v8
	v_cndmask_b32_e32 v7, s57, v9, vcc_lo
	v_cndmask_b32_e32 v6, v3, v6, vcc_lo
	s_delay_alu instid0(VALU_DEP_2) | instskip(NEXT) | instid1(VALU_DEP_2)
	v_cndmask_b32_e64 v3, s14, v7, s7
	v_cndmask_b32_e64 v2, v2, v6, s7
	s_cbranch_execnz .LBB225_397
.LBB225_396:                            ;   in Loop: Header=BB225_31 Depth=1
	v_cvt_f32_u32_e32 v2, s33
	s_sub_i32 s7, 0, s33
	s_delay_alu instid0(VALU_DEP_1) | instskip(SKIP_2) | instid1(VALU_DEP_1)
	v_rcp_iflag_f32_e32 v2, v2
	s_waitcnt_depctr 0xfff
	v_mul_f32_e32 v2, 0x4f7ffffe, v2
	v_cvt_u32_f32_e32 v2, v2
	s_delay_alu instid0(VALU_DEP_1) | instskip(NEXT) | instid1(VALU_DEP_1)
	v_mul_lo_u32 v3, s7, v2
	v_mul_hi_u32 v3, v2, v3
	s_delay_alu instid0(VALU_DEP_1) | instskip(NEXT) | instid1(VALU_DEP_1)
	v_add_nc_u32_e32 v2, v2, v3
	v_mul_hi_u32 v2, s26, v2
	s_delay_alu instid0(VALU_DEP_1) | instskip(NEXT) | instid1(VALU_DEP_1)
	v_mul_lo_u32 v2, v2, s33
	v_sub_nc_u32_e32 v2, s26, v2
	s_delay_alu instid0(VALU_DEP_1) | instskip(SKIP_1) | instid1(VALU_DEP_2)
	v_subrev_nc_u32_e32 v3, s33, v2
	v_cmp_le_u32_e32 vcc_lo, s33, v2
	v_cndmask_b32_e32 v2, v2, v3, vcc_lo
	s_delay_alu instid0(VALU_DEP_1) | instskip(SKIP_1) | instid1(VALU_DEP_2)
	v_subrev_nc_u32_e32 v3, s33, v2
	v_cmp_le_u32_e32 vcc_lo, s33, v2
	v_cndmask_b32_e32 v12, v2, v3, vcc_lo
	s_delay_alu instid0(VALU_DEP_1)
	v_dual_mov_b32 v2, v12 :: v_dual_mov_b32 v3, v13
.LBB225_397:                            ;   in Loop: Header=BB225_31 Depth=1
	s_delay_alu instid0(VALU_DEP_1) | instskip(NEXT) | instid1(VALU_DEP_2)
	v_sub_co_u32 v2, vcc_lo, s26, v2
	v_sub_co_ci_u32_e32 v3, vcc_lo, s15, v3, vcc_lo
	s_mov_b32 s7, 0
	s_mov_b32 s14, exec_lo
                                        ; implicit-def: $vgpr50
	s_delay_alu instid0(VALU_DEP_1)
	v_cmpx_gt_u64_e64 v[2:3], v[0:1]
	s_cbranch_execz .LBB225_409
; %bb.398:                              ;   in Loop: Header=BB225_31 Depth=1
	v_dual_mov_b32 v8, v43 :: v_dual_mov_b32 v7, v1
	v_mov_b32_e32 v6, v0
	s_mov_b32 s15, 0
                                        ; implicit-def: $sgpr26
	s_branch .LBB225_400
.LBB225_399:                            ;   in Loop: Header=BB225_400 Depth=2
	s_or_b32 exec_lo, exec_lo, s7
	s_waitcnt lgkmcnt(0)
	s_barrier
	buffer_gl0_inv
	ds_load_b32 v9, v13 offset:3072
	v_add_co_u32 v6, vcc_lo, v6, s33
	v_add_co_ci_u32_e32 v7, vcc_lo, 0, v7, vcc_lo
	v_add_nc_u32_e32 v8, s93, v8
	s_waitcnt lgkmcnt(0)
	s_barrier
	s_delay_alu instid0(VALU_DEP_2) | instskip(SKIP_2) | instid1(VALU_DEP_1)
	v_cmp_ge_u64_e32 vcc_lo, v[6:7], v[2:3]
	buffer_gl0_inv
	v_and_b32_e32 v12, 0x7fff, v9
	v_cmp_ne_u16_e64 s7, 0, v12
	s_delay_alu instid0(VALU_DEP_1) | instskip(NEXT) | instid1(SALU_CYCLE_1)
	s_or_b32 s56, vcc_lo, s7
	s_and_b32 s56, exec_lo, s56
	s_delay_alu instid0(SALU_CYCLE_1) | instskip(SKIP_2) | instid1(SALU_CYCLE_1)
	s_or_b32 s15, s56, s15
	s_and_not1_b32 s26, s26, exec_lo
	s_and_b32 s7, s7, exec_lo
	s_or_b32 s26, s26, s7
	s_and_not1_b32 exec_lo, exec_lo, s15
	s_cbranch_execz .LBB225_408
.LBB225_400:                            ;   Parent Loop BB225_31 Depth=1
                                        ; =>  This Inner Loop Header: Depth=2
	s_delay_alu instid0(VALU_DEP_1)
	v_cmp_gt_u64_e32 vcc_lo, s[8:9], v[6:7]
	v_mov_b32_e32 v9, 0
	s_and_saveexec_b32 s7, vcc_lo
	s_cbranch_execz .LBB225_402
; %bb.401:                              ;   in Loop: Header=BB225_400 Depth=2
	ds_load_u16 v9, v8
.LBB225_402:                            ;   in Loop: Header=BB225_400 Depth=2
	s_or_b32 exec_lo, exec_lo, s7
	s_and_saveexec_b32 s7, vcc_lo
	s_cbranch_execz .LBB225_399
; %bb.403:                              ;   in Loop: Header=BB225_400 Depth=2
	s_waitcnt lgkmcnt(0)
	v_cmp_lt_i16_e32 vcc_lo, -1, v9
	v_and_b32_e32 v12, 0xffff, v9
	v_dual_cndmask_b32 v26, 0xffff, v47 :: v_dual_lshlrev_b32 v27, 16, v9
	s_delay_alu instid0(VALU_DEP_1) | instskip(NEXT) | instid1(VALU_DEP_2)
	v_cmp_o_f32_e32 vcc_lo, v27, v27
	v_xor_b32_e32 v12, v26, v12
	s_delay_alu instid0(VALU_DEP_1) | instskip(NEXT) | instid1(VALU_DEP_1)
	v_cndmask_b32_e32 v12, 0xffff, v12, vcc_lo
	v_and_b32_e32 v12, v12, v48
	s_delay_alu instid0(VALU_DEP_1)
	v_cmp_eq_u32_e32 vcc_lo, v12, v49
	s_and_b32 exec_lo, exec_lo, vcc_lo
	s_cbranch_execz .LBB225_399
; %bb.404:                              ;   in Loop: Header=BB225_400 Depth=2
	v_perm_b32 v9, v9, s96, 0x5040100
	ds_store_b32 v13, v9 offset:3072
	s_branch .LBB225_399
.LBB225_405:                            ;   in Loop: Header=BB225_31 Depth=1
                                        ; implicit-def: $vgpr4_vgpr5
	s_branch .LBB225_350
.LBB225_406:                            ;   in Loop: Header=BB225_31 Depth=1
                                        ; implicit-def: $vgpr4_vgpr5
	s_branch .LBB225_366
.LBB225_407:                            ;   in Loop: Header=BB225_31 Depth=1
	s_mov_b32 s14, -1
	s_mov_b32 s7, 0
                                        ; implicit-def: $sgpr15
                                        ; implicit-def: $vgpr50
	s_mov_b32 s74, s14
	s_cbranch_execnz .LBB225_410
	s_branch .LBB225_423
.LBB225_408:                            ;   in Loop: Header=BB225_31 Depth=1
	s_or_b32 exec_lo, exec_lo, s15
	v_lshrrev_b32_e32 v50, 16, v9
	s_and_b32 s7, s26, exec_lo
.LBB225_409:                            ;   in Loop: Header=BB225_31 Depth=1
	s_or_b32 exec_lo, exec_lo, s14
	s_mov_b32 s14, 0
	s_mov_b32 s15, -1
	s_mov_b32 s74, s14
	s_branch .LBB225_423
.LBB225_410:                            ;   in Loop: Header=BB225_31 Depth=1
	s_mov_b32 s26, s61
	s_delay_alu instid0(SALU_CYCLE_1)
	s_cmp_lg_u64 s[26:27], 0
	s_cbranch_scc0 .LBB225_443
; %bb.411:                              ;   in Loop: Header=BB225_31 Depth=1
	v_cvt_f32_u32_e32 v2, s33
	s_sub_u32 s9, 0, s33
	s_subb_u32 s14, 0, 0
	s_delay_alu instid0(VALU_DEP_1) | instskip(NEXT) | instid1(VALU_DEP_1)
	v_fmac_f32_e64 v2, 0, 0x4f800000
	v_rcp_f32_e32 v2, v2
	s_waitcnt_depctr 0xfff
	v_mul_f32_e32 v2, 0x5f7ffffc, v2
	s_delay_alu instid0(VALU_DEP_1) | instskip(NEXT) | instid1(VALU_DEP_1)
	v_mul_f32_e32 v3, 0x2f800000, v2
	v_trunc_f32_e32 v3, v3
	s_delay_alu instid0(VALU_DEP_1) | instskip(SKIP_1) | instid1(VALU_DEP_2)
	v_fmac_f32_e32 v2, 0xcf800000, v3
	v_cvt_u32_f32_e32 v3, v3
	v_cvt_u32_f32_e32 v2, v2
	s_delay_alu instid0(VALU_DEP_2) | instskip(NEXT) | instid1(VALU_DEP_2)
	v_readfirstlane_b32 s7, v3
	v_readfirstlane_b32 s8, v2
	s_delay_alu instid0(VALU_DEP_2) | instskip(NEXT) | instid1(VALU_DEP_1)
	s_mul_i32 s15, s9, s7
	s_mul_hi_u32 s56, s9, s8
	s_mul_i32 s26, s14, s8
	s_add_i32 s15, s56, s15
	s_mul_i32 s57, s9, s8
	s_add_i32 s15, s15, s26
	s_mul_hi_u32 s56, s8, s57
	s_mul_hi_u32 s58, s7, s57
	s_mul_i32 s26, s7, s57
	s_mul_hi_u32 s57, s8, s15
	s_mul_i32 s8, s8, s15
	s_mul_hi_u32 s59, s7, s15
	s_add_u32 s8, s56, s8
	s_addc_u32 s56, 0, s57
	s_add_u32 s8, s8, s26
	s_mul_i32 s15, s7, s15
	s_addc_u32 s8, s56, s58
	s_addc_u32 s26, s59, 0
	s_add_u32 s8, s8, s15
	s_addc_u32 s15, 0, s26
	v_add_co_u32 v2, s8, v2, s8
	s_delay_alu instid0(VALU_DEP_1) | instskip(SKIP_1) | instid1(VALU_DEP_1)
	s_cmp_lg_u32 s8, 0
	s_addc_u32 s7, s7, s15
	v_readfirstlane_b32 s8, v2
	s_mul_i32 s15, s9, s7
	s_delay_alu instid0(VALU_DEP_1)
	s_mul_hi_u32 s26, s9, s8
	s_mul_i32 s14, s14, s8
	s_add_i32 s15, s26, s15
	s_mul_i32 s9, s9, s8
	s_add_i32 s15, s15, s14
	s_mul_hi_u32 s26, s7, s9
	s_mul_i32 s56, s7, s9
	s_mul_hi_u32 s9, s8, s9
	s_mul_hi_u32 s57, s8, s15
	s_mul_i32 s8, s8, s15
	s_mul_hi_u32 s14, s7, s15
	s_add_u32 s8, s9, s8
	s_addc_u32 s9, 0, s57
	s_add_u32 s8, s8, s56
	s_mul_i32 s15, s7, s15
	s_addc_u32 s8, s9, s26
	s_addc_u32 s9, s14, 0
	s_add_u32 s8, s8, s15
	s_addc_u32 s9, 0, s9
	v_add_co_u32 v2, s8, v2, s8
	s_delay_alu instid0(VALU_DEP_1) | instskip(SKIP_1) | instid1(VALU_DEP_1)
	s_cmp_lg_u32 s8, 0
	s_addc_u32 s7, s7, s9
	v_readfirstlane_b32 s8, v2
	s_mul_i32 s14, s87, s7
	s_mul_hi_u32 s9, s87, s7
	s_mul_hi_u32 s15, s27, s7
	s_mul_i32 s7, s27, s7
	s_mul_hi_u32 s26, s87, s8
	s_mul_hi_u32 s56, s27, s8
	s_mul_i32 s8, s27, s8
	s_add_u32 s14, s26, s14
	s_addc_u32 s9, 0, s9
	s_add_u32 s8, s14, s8
	s_addc_u32 s8, s9, s56
	s_addc_u32 s9, s15, 0
	s_add_u32 s7, s8, s7
	s_addc_u32 s8, 0, s9
	s_mul_hi_u32 s9, s33, s7
	s_mul_i32 s7, s33, s7
	s_mul_i32 s8, s33, s8
	v_sub_co_u32 v2, s7, s87, s7
	s_add_i32 s9, s9, s8
	s_cmp_lg_u32 s7, 0
	s_delay_alu instid0(VALU_DEP_1) | instskip(SKIP_3) | instid1(VALU_DEP_2)
	v_sub_co_u32 v3, s7, v2, s33
	s_subb_u32 s8, s27, s9
	s_cmp_lg_u32 s7, 0
	v_cmp_le_u32_e32 vcc_lo, s33, v2
	v_cmp_le_u32_e64 s7, s33, v3
	v_sub_co_u32 v6, s9, v3, s33
	s_subb_u32 s14, s8, 0
	s_cmp_lg_u32 s9, 0
	s_delay_alu instid0(VALU_DEP_2)
	v_cndmask_b32_e64 v7, 0, -1, s7
	s_subb_u32 s9, s14, 0
	s_cmp_eq_u32 s14, 0
	v_mov_b32_e32 v9, s9
	v_cndmask_b32_e64 v8, 0, -1, vcc_lo
	s_cselect_b32 vcc_lo, -1, 0
	s_cmp_eq_u32 s8, 0
	v_cndmask_b32_e32 v7, -1, v7, vcc_lo
	s_cselect_b32 vcc_lo, -1, 0
	v_cndmask_b32_e32 v8, -1, v8, vcc_lo
	s_delay_alu instid0(VALU_DEP_2) | instskip(NEXT) | instid1(VALU_DEP_2)
	v_cmp_ne_u32_e32 vcc_lo, 0, v7
	v_cmp_ne_u32_e64 s7, 0, v8
	v_cndmask_b32_e32 v7, s14, v9, vcc_lo
	v_cndmask_b32_e32 v6, v3, v6, vcc_lo
	s_delay_alu instid0(VALU_DEP_2) | instskip(NEXT) | instid1(VALU_DEP_2)
	v_cndmask_b32_e64 v3, s8, v7, s7
	v_cndmask_b32_e64 v2, v2, v6, s7
	s_cbranch_execnz .LBB225_413
.LBB225_412:                            ;   in Loop: Header=BB225_31 Depth=1
	v_cvt_f32_u32_e32 v2, s33
	s_sub_i32 s7, 0, s33
	s_delay_alu instid0(VALU_DEP_1) | instskip(SKIP_2) | instid1(VALU_DEP_1)
	v_rcp_iflag_f32_e32 v2, v2
	s_waitcnt_depctr 0xfff
	v_mul_f32_e32 v2, 0x4f7ffffe, v2
	v_cvt_u32_f32_e32 v2, v2
	s_delay_alu instid0(VALU_DEP_1) | instskip(NEXT) | instid1(VALU_DEP_1)
	v_mul_lo_u32 v3, s7, v2
	v_mul_hi_u32 v3, v2, v3
	s_delay_alu instid0(VALU_DEP_1) | instskip(NEXT) | instid1(VALU_DEP_1)
	v_add_nc_u32_e32 v2, v2, v3
	v_mul_hi_u32 v2, s87, v2
	s_delay_alu instid0(VALU_DEP_1) | instskip(NEXT) | instid1(VALU_DEP_1)
	v_mul_lo_u32 v2, v2, s33
	v_sub_nc_u32_e32 v2, s87, v2
	s_delay_alu instid0(VALU_DEP_1) | instskip(SKIP_1) | instid1(VALU_DEP_2)
	v_subrev_nc_u32_e32 v3, s33, v2
	v_cmp_le_u32_e32 vcc_lo, s33, v2
	v_cndmask_b32_e32 v2, v2, v3, vcc_lo
	s_delay_alu instid0(VALU_DEP_1) | instskip(SKIP_1) | instid1(VALU_DEP_2)
	v_subrev_nc_u32_e32 v3, s33, v2
	v_cmp_le_u32_e32 vcc_lo, s33, v2
	v_cndmask_b32_e32 v12, v2, v3, vcc_lo
	s_delay_alu instid0(VALU_DEP_1)
	v_dual_mov_b32 v2, v12 :: v_dual_mov_b32 v3, v13
.LBB225_413:                            ;   in Loop: Header=BB225_31 Depth=1
	s_delay_alu instid0(VALU_DEP_1) | instskip(NEXT) | instid1(VALU_DEP_2)
	v_sub_co_u32 v2, vcc_lo, s87, v2
	v_sub_co_ci_u32_e32 v3, vcc_lo, s27, v3, vcc_lo
	s_mov_b32 s7, 0
	s_mov_b32 s8, exec_lo
                                        ; implicit-def: $vgpr50
	s_delay_alu instid0(VALU_DEP_1)
	v_cmpx_gt_u64_e64 v[2:3], v[0:1]
	s_cbranch_execz .LBB225_422
; %bb.414:                              ;   in Loop: Header=BB225_31 Depth=1
	v_dual_mov_b32 v6, v24 :: v_dual_mov_b32 v7, v25
	v_dual_mov_b32 v9, v1 :: v_dual_mov_b32 v8, v0
	s_mov_b32 s9, 0
                                        ; implicit-def: $sgpr14
	s_branch .LBB225_416
.LBB225_415:                            ;   in Loop: Header=BB225_416 Depth=2
	s_or_b32 exec_lo, exec_lo, s7
	s_waitcnt vmcnt(0) lgkmcnt(0)
	s_barrier
	buffer_gl0_inv
	ds_load_b32 v12, v13 offset:3072
	v_add_co_u32 v8, vcc_lo, v8, s33
	v_add_co_ci_u32_e32 v9, vcc_lo, 0, v9, vcc_lo
	s_waitcnt lgkmcnt(0)
	s_barrier
	buffer_gl0_inv
	v_cmp_ge_u64_e32 vcc_lo, v[8:9], v[2:3]
	v_and_b32_e32 v26, 0x7fff, v12
	s_delay_alu instid0(VALU_DEP_1) | instskip(NEXT) | instid1(VALU_DEP_1)
	v_cmp_ne_u16_e64 s7, 0, v26
	s_or_b32 s15, vcc_lo, s7
	v_add_co_u32 v6, vcc_lo, v6, s34
	s_and_b32 s15, exec_lo, s15
	v_add_co_ci_u32_e32 v7, vcc_lo, s35, v7, vcc_lo
	s_or_b32 s9, s15, s9
	s_and_not1_b32 s14, s14, exec_lo
	s_and_b32 s7, s7, exec_lo
	s_delay_alu instid0(SALU_CYCLE_1)
	s_or_b32 s14, s14, s7
	s_and_not1_b32 exec_lo, exec_lo, s9
	s_cbranch_execz .LBB225_421
.LBB225_416:                            ;   Parent Loop BB225_31 Depth=1
                                        ; =>  This Inner Loop Header: Depth=2
	s_delay_alu instid0(VALU_DEP_1)
	v_cmp_gt_u64_e32 vcc_lo, s[36:37], v[8:9]
	v_mov_b32_e32 v12, 0
	s_and_saveexec_b32 s7, vcc_lo
	s_cbranch_execz .LBB225_418
; %bb.417:                              ;   in Loop: Header=BB225_416 Depth=2
	global_load_u16 v12, v[6:7], off
.LBB225_418:                            ;   in Loop: Header=BB225_416 Depth=2
	s_or_b32 exec_lo, exec_lo, s7
	s_and_saveexec_b32 s7, vcc_lo
	s_cbranch_execz .LBB225_415
; %bb.419:                              ;   in Loop: Header=BB225_416 Depth=2
	s_waitcnt vmcnt(0)
	v_cmp_lt_i16_e32 vcc_lo, -1, v12
	v_and_b32_e32 v26, 0xffff, v12
	v_dual_cndmask_b32 v27, 0xffff, v47 :: v_dual_lshlrev_b32 v28, 16, v12
	s_delay_alu instid0(VALU_DEP_1) | instskip(NEXT) | instid1(VALU_DEP_2)
	v_cmp_o_f32_e32 vcc_lo, v28, v28
	v_xor_b32_e32 v26, v27, v26
	s_delay_alu instid0(VALU_DEP_1) | instskip(NEXT) | instid1(VALU_DEP_1)
	v_cndmask_b32_e32 v26, 0xffff, v26, vcc_lo
	v_and_b32_e32 v26, v26, v48
	s_delay_alu instid0(VALU_DEP_1)
	v_cmp_eq_u32_e32 vcc_lo, v26, v49
	s_and_b32 exec_lo, exec_lo, vcc_lo
	s_cbranch_execz .LBB225_415
; %bb.420:                              ;   in Loop: Header=BB225_416 Depth=2
	v_perm_b32 v12, v12, s96, 0x5040100
	ds_store_b32 v13, v12 offset:3072
	s_branch .LBB225_415
.LBB225_421:                            ;   in Loop: Header=BB225_31 Depth=1
	s_or_b32 exec_lo, exec_lo, s9
	v_lshrrev_b32_e32 v50, 16, v12
	s_and_b32 s7, s14, exec_lo
.LBB225_422:                            ;   in Loop: Header=BB225_31 Depth=1
	s_or_b32 exec_lo, exec_lo, s8
	s_mov_b32 s15, 0
	s_mov_b32 s14, -1
	s_mov_b32 s74, 0
.LBB225_423:                            ;   in Loop: Header=BB225_31 Depth=1
	s_or_not1_b32 s7, s7, exec_lo
.LBB225_424:                            ;   in Loop: Header=BB225_31 Depth=1
	s_or_b32 exec_lo, exec_lo, s47
	s_mov_b32 s26, 0
                                        ; implicit-def: $vgpr7
	s_and_saveexec_b32 s58, s7
	s_cbranch_execz .LBB225_489
; %bb.425:                              ;   in Loop: Header=BB225_31 Depth=1
	v_dual_mov_b32 v2, 1 :: v_dual_mov_b32 v7, 1
	v_mov_b32_e32 v3, 0
	s_xor_b32 s8, s46, -1
	s_delay_alu instid0(SALU_CYCLE_1)
	s_and_saveexec_b32 s7, s8
	s_cbranch_execz .LBB225_435
; %bb.426:                              ;   in Loop: Header=BB225_31 Depth=1
	s_mov_b32 s9, exec_lo
                                        ; implicit-def: $sgpr26
                                        ; implicit-def: $sgpr8
	v_cmpx_ge_u64_e64 s[12:13], v[4:5]
	s_xor_b32 s9, exec_lo, s9
	s_cbranch_execz .LBB225_432
; %bb.427:                              ;   in Loop: Header=BB225_31 Depth=1
	ds_load_b64 v[2:3], v13 offset:5120
	s_waitcnt lgkmcnt(0)
	v_cmp_ne_u64_e32 vcc_lo, 0, v[2:3]
	s_cbranch_vccnz .LBB225_431
; %bb.428:                              ;   in Loop: Header=BB225_31 Depth=1
	s_and_saveexec_b32 s8, s5
	s_cbranch_execz .LBB225_430
; %bb.429:                              ;   in Loop: Header=BB225_31 Depth=1
	v_dual_mov_b32 v2, s12 :: v_dual_mov_b32 v3, s13
	ds_store_b64 v13, v[2:3] offset:5128
.LBB225_430:                            ;   in Loop: Header=BB225_31 Depth=1
	s_or_b32 exec_lo, exec_lo, s8
	s_waitcnt lgkmcnt(0)
	s_barrier
	buffer_gl0_inv
.LBB225_431:                            ;   in Loop: Header=BB225_31 Depth=1
	s_lshl_b32 s8, 1, s22
	v_or_b32_e32 v48, s20, v48
	v_and_or_b32 v49, v49, s21, s8
	s_mov_b32 s8, 0
	s_mov_b32 s26, 5
.LBB225_432:                            ;   in Loop: Header=BB225_31 Depth=1
	s_or_saveexec_b32 s9, s9
	v_mov_b32_e32 v7, s26
	s_xor_b32 exec_lo, exec_lo, s9
; %bb.433:                              ;   in Loop: Header=BB225_31 Depth=1
	v_sub_co_u32 v4, vcc_lo, v4, s12
	v_subrev_co_ci_u32_e32 v5, vcc_lo, s13, v5, vcc_lo
	v_mov_b32_e32 v7, 0
	s_or_b32 s8, s8, exec_lo
; %bb.434:                              ;   in Loop: Header=BB225_31 Depth=1
	s_or_b32 exec_lo, exec_lo, s9
	s_delay_alu instid0(VALU_DEP_2)
	v_dual_mov_b32 v2, v4 :: v_dual_mov_b32 v3, v5
	s_and_b32 s26, s8, exec_lo
.LBB225_435:                            ;   in Loop: Header=BB225_31 Depth=1
	s_or_b32 exec_lo, exec_lo, s7
	s_mov_b32 s12, -1
                                        ; implicit-def: $sgpr7
                                        ; implicit-def: $sgpr8
                                        ; implicit-def: $sgpr9
	s_and_saveexec_b32 s22, s26
	s_cbranch_execz .LBB225_488
; %bb.436:                              ;   in Loop: Header=BB225_31 Depth=1
	v_cmp_eq_u64_e32 vcc_lo, 1, v[2:3]
	s_cmp_eq_u64 s[10:11], 1
	s_mov_b32 s13, -1
	s_cselect_b32 s7, -1, 0
                                        ; implicit-def: $sgpr8
                                        ; implicit-def: $sgpr9
	s_delay_alu instid0(SALU_CYCLE_1) | instskip(NEXT) | instid1(SALU_CYCLE_1)
	s_and_b32 s46, s7, vcc_lo
                                        ; implicit-def: $sgpr7
	s_and_saveexec_b32 s47, s46
	s_cbranch_execz .LBB225_475
; %bb.437:                              ;   in Loop: Header=BB225_31 Depth=1
	ds_load_b64 v[4:5], v13 offset:5120
	s_waitcnt lgkmcnt(0)
	s_barrier
	buffer_gl0_inv
	v_readfirstlane_b32 s8, v4
	v_readfirstlane_b32 s9, v5
	s_and_saveexec_b32 s7, s6
	s_cbranch_execz .LBB225_439
; %bb.438:                              ;   in Loop: Header=BB225_31 Depth=1
	ds_store_b16 v44, v13
.LBB225_439:                            ;   in Loop: Header=BB225_31 Depth=1
	s_or_b32 exec_lo, exec_lo, s7
	v_and_b32_e32 v49, s21, v49
	v_or_b32_e32 v48, s20, v48
	s_cmp_eq_u64 s[8:9], 0
	s_waitcnt lgkmcnt(0)
	s_barrier
	buffer_gl0_inv
	s_cbranch_scc1 .LBB225_444
; %bb.440:                              ;   in Loop: Header=BB225_31 Depth=1
	s_add_u32 s26, s85, s8
	s_addc_u32 s13, s86, s9
	s_mov_b32 s12, s61
	s_delay_alu instid0(SALU_CYCLE_1)
	s_cmp_lg_u64 s[12:13], 0
	s_cbranch_scc0 .LBB225_445
; %bb.441:                              ;   in Loop: Header=BB225_31 Depth=1
	v_cvt_f32_u32_e32 v4, s33
	s_sub_u32 s56, 0, s33
	s_subb_u32 s57, 0, 0
	s_delay_alu instid0(VALU_DEP_1) | instskip(NEXT) | instid1(VALU_DEP_1)
	v_fmac_f32_e64 v4, 0, 0x4f800000
	v_rcp_f32_e32 v4, v4
	s_waitcnt_depctr 0xfff
	v_mul_f32_e32 v4, 0x5f7ffffc, v4
	s_delay_alu instid0(VALU_DEP_1) | instskip(NEXT) | instid1(VALU_DEP_1)
	v_mul_f32_e32 v5, 0x2f800000, v4
	v_trunc_f32_e32 v5, v5
	s_delay_alu instid0(VALU_DEP_1) | instskip(SKIP_1) | instid1(VALU_DEP_2)
	v_fmac_f32_e32 v4, 0xcf800000, v5
	v_cvt_u32_f32_e32 v5, v5
	v_cvt_u32_f32_e32 v4, v4
	s_delay_alu instid0(VALU_DEP_2) | instskip(NEXT) | instid1(VALU_DEP_2)
	v_readfirstlane_b32 s7, v5
	v_readfirstlane_b32 s12, v4
	s_delay_alu instid0(VALU_DEP_2) | instskip(NEXT) | instid1(VALU_DEP_1)
	s_mul_i32 s59, s56, s7
	s_mul_hi_u32 s76, s56, s12
	s_mul_i32 s75, s57, s12
	s_add_i32 s59, s76, s59
	s_mul_i32 s77, s56, s12
	s_add_i32 s59, s59, s75
	s_mul_hi_u32 s76, s12, s77
	s_mul_hi_u32 s78, s7, s77
	s_mul_i32 s75, s7, s77
	s_mul_hi_u32 s77, s12, s59
	s_mul_i32 s12, s12, s59
	s_mul_hi_u32 s79, s7, s59
	s_add_u32 s12, s76, s12
	s_addc_u32 s76, 0, s77
	s_add_u32 s12, s12, s75
	s_mul_i32 s59, s7, s59
	s_addc_u32 s12, s76, s78
	s_addc_u32 s75, s79, 0
	s_add_u32 s12, s12, s59
	s_addc_u32 s59, 0, s75
	v_add_co_u32 v4, s12, v4, s12
	s_delay_alu instid0(VALU_DEP_1) | instskip(SKIP_1) | instid1(VALU_DEP_1)
	s_cmp_lg_u32 s12, 0
	s_addc_u32 s7, s7, s59
	v_readfirstlane_b32 s12, v4
	s_mul_i32 s59, s56, s7
	s_delay_alu instid0(VALU_DEP_1)
	s_mul_hi_u32 s75, s56, s12
	s_mul_i32 s57, s57, s12
	s_add_i32 s59, s75, s59
	s_mul_i32 s56, s56, s12
	s_add_i32 s59, s59, s57
	s_mul_hi_u32 s75, s7, s56
	s_mul_i32 s76, s7, s56
	s_mul_hi_u32 s56, s12, s56
	s_mul_hi_u32 s77, s12, s59
	s_mul_i32 s12, s12, s59
	s_mul_hi_u32 s57, s7, s59
	s_add_u32 s12, s56, s12
	s_addc_u32 s56, 0, s77
	s_add_u32 s12, s12, s76
	s_mul_i32 s59, s7, s59
	s_addc_u32 s12, s56, s75
	s_addc_u32 s56, s57, 0
	s_add_u32 s12, s12, s59
	s_addc_u32 s56, 0, s56
	v_add_co_u32 v4, s12, v4, s12
	s_delay_alu instid0(VALU_DEP_1) | instskip(SKIP_1) | instid1(VALU_DEP_1)
	s_cmp_lg_u32 s12, 0
	s_addc_u32 s7, s7, s56
	v_readfirstlane_b32 s12, v4
	s_mul_i32 s57, s26, s7
	s_mul_hi_u32 s56, s26, s7
	s_mul_hi_u32 s59, s13, s7
	s_mul_i32 s7, s13, s7
	s_mul_hi_u32 s75, s26, s12
	s_mul_hi_u32 s76, s13, s12
	s_mul_i32 s12, s13, s12
	s_add_u32 s57, s75, s57
	s_addc_u32 s56, 0, s56
	s_add_u32 s12, s57, s12
	s_addc_u32 s12, s56, s76
	s_addc_u32 s56, s59, 0
	s_add_u32 s7, s12, s7
	s_addc_u32 s12, 0, s56
	s_mul_hi_u32 s56, s33, s7
	s_mul_i32 s7, s33, s7
	s_mul_i32 s12, s33, s12
	v_sub_co_u32 v4, s7, s26, s7
	s_add_i32 s56, s56, s12
	s_cmp_lg_u32 s7, 0
	s_delay_alu instid0(VALU_DEP_1) | instskip(SKIP_3) | instid1(VALU_DEP_2)
	v_sub_co_u32 v5, s7, v4, s33
	s_subb_u32 s12, s13, s56
	s_cmp_lg_u32 s7, 0
	v_cmp_le_u32_e32 vcc_lo, s33, v4
	v_cmp_le_u32_e64 s7, s33, v5
	v_sub_co_u32 v6, s56, v5, s33
	s_subb_u32 s57, s12, 0
	s_cmp_lg_u32 s56, 0
	s_delay_alu instid0(VALU_DEP_2)
	v_cndmask_b32_e64 v7, 0, -1, s7
	s_subb_u32 s56, s57, 0
	s_cmp_eq_u32 s57, 0
	v_mov_b32_e32 v9, s56
	v_cndmask_b32_e64 v8, 0, -1, vcc_lo
	s_cselect_b32 vcc_lo, -1, 0
	s_cmp_eq_u32 s12, 0
	v_cndmask_b32_e32 v7, -1, v7, vcc_lo
	s_cselect_b32 vcc_lo, -1, 0
	v_cndmask_b32_e32 v8, -1, v8, vcc_lo
	s_delay_alu instid0(VALU_DEP_2) | instskip(NEXT) | instid1(VALU_DEP_2)
	v_cmp_ne_u32_e32 vcc_lo, 0, v7
	v_cmp_ne_u32_e64 s7, 0, v8
	v_cndmask_b32_e32 v7, s57, v9, vcc_lo
	v_cndmask_b32_e32 v6, v5, v6, vcc_lo
	s_delay_alu instid0(VALU_DEP_2) | instskip(NEXT) | instid1(VALU_DEP_2)
	v_cndmask_b32_e64 v5, s12, v7, s7
	v_cndmask_b32_e64 v4, v4, v6, s7
	s_mov_b32 s7, 0
	s_branch .LBB225_446
.LBB225_442:                            ;   in Loop: Header=BB225_31 Depth=1
                                        ; implicit-def: $vgpr2_vgpr3
	s_branch .LBB225_396
.LBB225_443:                            ;   in Loop: Header=BB225_31 Depth=1
                                        ; implicit-def: $vgpr2_vgpr3
	s_branch .LBB225_412
.LBB225_444:                            ;   in Loop: Header=BB225_31 Depth=1
	s_mov_b32 s7, -1
	s_mov_b32 s13, 0
                                        ; implicit-def: $sgpr8
                                        ; implicit-def: $vgpr50
	s_branch .LBB225_458
.LBB225_445:                            ;   in Loop: Header=BB225_31 Depth=1
	s_mov_b32 s7, -1
                                        ; implicit-def: $vgpr4_vgpr5
.LBB225_446:                            ;   in Loop: Header=BB225_31 Depth=1
	s_delay_alu instid0(SALU_CYCLE_1)
	s_and_not1_b32 vcc_lo, exec_lo, s7
	s_cbranch_vccnz .LBB225_448
; %bb.447:                              ;   in Loop: Header=BB225_31 Depth=1
	v_cvt_f32_u32_e32 v4, s33
	s_sub_i32 s7, 0, s33
	s_delay_alu instid0(VALU_DEP_1) | instskip(SKIP_2) | instid1(VALU_DEP_1)
	v_rcp_iflag_f32_e32 v4, v4
	s_waitcnt_depctr 0xfff
	v_mul_f32_e32 v4, 0x4f7ffffe, v4
	v_cvt_u32_f32_e32 v4, v4
	s_delay_alu instid0(VALU_DEP_1) | instskip(NEXT) | instid1(VALU_DEP_1)
	v_mul_lo_u32 v5, s7, v4
	v_mul_hi_u32 v5, v4, v5
	s_delay_alu instid0(VALU_DEP_1) | instskip(NEXT) | instid1(VALU_DEP_1)
	v_add_nc_u32_e32 v4, v4, v5
	v_mul_hi_u32 v4, s26, v4
	s_delay_alu instid0(VALU_DEP_1) | instskip(NEXT) | instid1(VALU_DEP_1)
	v_mul_lo_u32 v4, v4, s33
	v_sub_nc_u32_e32 v4, s26, v4
	s_delay_alu instid0(VALU_DEP_1) | instskip(SKIP_1) | instid1(VALU_DEP_2)
	v_subrev_nc_u32_e32 v5, s33, v4
	v_cmp_le_u32_e32 vcc_lo, s33, v4
	v_cndmask_b32_e32 v4, v4, v5, vcc_lo
	s_delay_alu instid0(VALU_DEP_1) | instskip(SKIP_1) | instid1(VALU_DEP_2)
	v_subrev_nc_u32_e32 v5, s33, v4
	v_cmp_le_u32_e32 vcc_lo, s33, v4
	v_cndmask_b32_e32 v12, v4, v5, vcc_lo
	s_delay_alu instid0(VALU_DEP_1)
	v_dual_mov_b32 v4, v12 :: v_dual_mov_b32 v5, v13
.LBB225_448:                            ;   in Loop: Header=BB225_31 Depth=1
	s_delay_alu instid0(VALU_DEP_1) | instskip(NEXT) | instid1(VALU_DEP_2)
	v_sub_co_u32 v4, vcc_lo, s26, v4
	v_sub_co_ci_u32_e32 v5, vcc_lo, s13, v5, vcc_lo
	s_mov_b32 s13, 0
	s_mov_b32 s12, exec_lo
                                        ; implicit-def: $vgpr50
	s_delay_alu instid0(VALU_DEP_1)
	v_cmpx_gt_u64_e64 v[4:5], v[0:1]
	s_cbranch_execz .LBB225_457
; %bb.449:                              ;   in Loop: Header=BB225_31 Depth=1
	v_dual_mov_b32 v8, v43 :: v_dual_mov_b32 v7, v1
	v_mov_b32_e32 v6, v0
                                        ; implicit-def: $sgpr26
	s_branch .LBB225_451
.LBB225_450:                            ;   in Loop: Header=BB225_451 Depth=2
	s_or_b32 exec_lo, exec_lo, s7
	s_waitcnt lgkmcnt(0)
	s_barrier
	buffer_gl0_inv
	ds_load_b32 v9, v13 offset:3072
	v_add_co_u32 v6, vcc_lo, v6, s33
	v_add_co_ci_u32_e32 v7, vcc_lo, 0, v7, vcc_lo
	v_add_nc_u32_e32 v8, s93, v8
	s_waitcnt lgkmcnt(0)
	s_barrier
	s_delay_alu instid0(VALU_DEP_2) | instskip(SKIP_2) | instid1(VALU_DEP_1)
	v_cmp_ge_u64_e32 vcc_lo, v[6:7], v[4:5]
	buffer_gl0_inv
	v_and_b32_e32 v12, 0x7fff, v9
	v_cmp_ne_u16_e64 s7, 0, v12
	s_delay_alu instid0(VALU_DEP_1) | instskip(NEXT) | instid1(SALU_CYCLE_1)
	s_or_b32 s56, vcc_lo, s7
	s_and_b32 s56, exec_lo, s56
	s_delay_alu instid0(SALU_CYCLE_1) | instskip(SKIP_2) | instid1(SALU_CYCLE_1)
	s_or_b32 s13, s56, s13
	s_and_not1_b32 s26, s26, exec_lo
	s_and_b32 s7, s7, exec_lo
	s_or_b32 s26, s26, s7
	s_and_not1_b32 exec_lo, exec_lo, s13
	s_cbranch_execz .LBB225_456
.LBB225_451:                            ;   Parent Loop BB225_31 Depth=1
                                        ; =>  This Inner Loop Header: Depth=2
	s_delay_alu instid0(VALU_DEP_1)
	v_cmp_gt_u64_e32 vcc_lo, s[8:9], v[6:7]
	v_mov_b32_e32 v9, 0
	s_and_saveexec_b32 s7, vcc_lo
	s_cbranch_execz .LBB225_453
; %bb.452:                              ;   in Loop: Header=BB225_451 Depth=2
	ds_load_u16 v9, v8
.LBB225_453:                            ;   in Loop: Header=BB225_451 Depth=2
	s_or_b32 exec_lo, exec_lo, s7
	s_and_saveexec_b32 s7, vcc_lo
	s_cbranch_execz .LBB225_450
; %bb.454:                              ;   in Loop: Header=BB225_451 Depth=2
	s_waitcnt lgkmcnt(0)
	v_cmp_lt_i16_e32 vcc_lo, -1, v9
	v_and_b32_e32 v12, 0xffff, v9
	v_dual_cndmask_b32 v26, 0xffff, v47 :: v_dual_lshlrev_b32 v27, 16, v9
	s_delay_alu instid0(VALU_DEP_1) | instskip(NEXT) | instid1(VALU_DEP_2)
	v_cmp_o_f32_e32 vcc_lo, v27, v27
	v_xor_b32_e32 v12, v26, v12
	s_delay_alu instid0(VALU_DEP_1) | instskip(NEXT) | instid1(VALU_DEP_1)
	v_cndmask_b32_e32 v12, 0xffff, v12, vcc_lo
	v_and_b32_e32 v12, v12, v48
	s_delay_alu instid0(VALU_DEP_1)
	v_cmp_eq_u32_e32 vcc_lo, v12, v49
	s_and_b32 exec_lo, exec_lo, vcc_lo
	s_cbranch_execz .LBB225_450
; %bb.455:                              ;   in Loop: Header=BB225_451 Depth=2
	v_perm_b32 v9, v9, s96, 0x5040100
	ds_store_b32 v13, v9 offset:3072
	s_branch .LBB225_450
.LBB225_456:                            ;   in Loop: Header=BB225_31 Depth=1
	s_or_b32 exec_lo, exec_lo, s13
	v_lshrrev_b32_e32 v50, 16, v9
	s_and_b32 s13, s26, exec_lo
.LBB225_457:                            ;   in Loop: Header=BB225_31 Depth=1
	s_or_b32 exec_lo, exec_lo, s12
	s_mov_b32 s7, 0
	s_mov_b32 s8, -1
.LBB225_458:                            ;   in Loop: Header=BB225_31 Depth=1
	s_and_b32 vcc_lo, exec_lo, s7
	s_mov_b32 s9, s7
	s_cbranch_vccz .LBB225_474
; %bb.459:                              ;   in Loop: Header=BB225_31 Depth=1
	s_mov_b32 s26, s61
	s_delay_alu instid0(SALU_CYCLE_1)
	s_cmp_lg_u64 s[26:27], 0
	s_cbranch_scc0 .LBB225_461
; %bb.460:                              ;   in Loop: Header=BB225_31 Depth=1
	v_cvt_f32_u32_e32 v4, s33
	s_sub_u32 s9, 0, s33
	s_subb_u32 s12, 0, 0
	s_delay_alu instid0(VALU_DEP_1) | instskip(NEXT) | instid1(VALU_DEP_1)
	v_fmac_f32_e64 v4, 0, 0x4f800000
	v_rcp_f32_e32 v4, v4
	s_waitcnt_depctr 0xfff
	v_mul_f32_e32 v4, 0x5f7ffffc, v4
	s_delay_alu instid0(VALU_DEP_1) | instskip(NEXT) | instid1(VALU_DEP_1)
	v_mul_f32_e32 v5, 0x2f800000, v4
	v_trunc_f32_e32 v5, v5
	s_delay_alu instid0(VALU_DEP_1) | instskip(SKIP_1) | instid1(VALU_DEP_2)
	v_fmac_f32_e32 v4, 0xcf800000, v5
	v_cvt_u32_f32_e32 v5, v5
	v_cvt_u32_f32_e32 v4, v4
	s_delay_alu instid0(VALU_DEP_2) | instskip(NEXT) | instid1(VALU_DEP_2)
	v_readfirstlane_b32 s7, v5
	v_readfirstlane_b32 s8, v4
	s_delay_alu instid0(VALU_DEP_2) | instskip(NEXT) | instid1(VALU_DEP_1)
	s_mul_i32 s13, s9, s7
	s_mul_hi_u32 s56, s9, s8
	s_mul_i32 s26, s12, s8
	s_add_i32 s13, s56, s13
	s_mul_i32 s57, s9, s8
	s_add_i32 s13, s13, s26
	s_mul_hi_u32 s56, s8, s57
	s_mul_hi_u32 s59, s7, s57
	s_mul_i32 s26, s7, s57
	s_mul_hi_u32 s57, s8, s13
	s_mul_i32 s8, s8, s13
	s_mul_hi_u32 s75, s7, s13
	s_add_u32 s8, s56, s8
	s_addc_u32 s56, 0, s57
	s_add_u32 s8, s8, s26
	s_mul_i32 s13, s7, s13
	s_addc_u32 s8, s56, s59
	s_addc_u32 s26, s75, 0
	s_add_u32 s8, s8, s13
	s_addc_u32 s13, 0, s26
	v_add_co_u32 v4, s8, v4, s8
	s_delay_alu instid0(VALU_DEP_1) | instskip(SKIP_1) | instid1(VALU_DEP_1)
	s_cmp_lg_u32 s8, 0
	s_addc_u32 s7, s7, s13
	v_readfirstlane_b32 s8, v4
	s_mul_i32 s13, s9, s7
	s_delay_alu instid0(VALU_DEP_1)
	s_mul_hi_u32 s26, s9, s8
	s_mul_i32 s12, s12, s8
	s_add_i32 s13, s26, s13
	s_mul_i32 s9, s9, s8
	s_add_i32 s13, s13, s12
	s_mul_hi_u32 s26, s7, s9
	s_mul_i32 s56, s7, s9
	s_mul_hi_u32 s9, s8, s9
	s_mul_hi_u32 s57, s8, s13
	s_mul_i32 s8, s8, s13
	s_mul_hi_u32 s12, s7, s13
	s_add_u32 s8, s9, s8
	s_addc_u32 s9, 0, s57
	s_add_u32 s8, s8, s56
	s_mul_i32 s13, s7, s13
	s_addc_u32 s8, s9, s26
	s_addc_u32 s9, s12, 0
	s_add_u32 s8, s8, s13
	s_addc_u32 s9, 0, s9
	v_add_co_u32 v4, s8, v4, s8
	s_delay_alu instid0(VALU_DEP_1) | instskip(SKIP_1) | instid1(VALU_DEP_1)
	s_cmp_lg_u32 s8, 0
	s_addc_u32 s7, s7, s9
	v_readfirstlane_b32 s8, v4
	s_mul_i32 s12, s87, s7
	s_mul_hi_u32 s9, s87, s7
	s_mul_hi_u32 s13, s27, s7
	s_mul_i32 s7, s27, s7
	s_mul_hi_u32 s26, s87, s8
	s_mul_hi_u32 s56, s27, s8
	s_mul_i32 s8, s27, s8
	s_add_u32 s12, s26, s12
	s_addc_u32 s9, 0, s9
	s_add_u32 s8, s12, s8
	s_addc_u32 s8, s9, s56
	s_addc_u32 s9, s13, 0
	s_add_u32 s7, s8, s7
	s_addc_u32 s8, 0, s9
	s_mul_hi_u32 s9, s33, s7
	s_mul_i32 s7, s33, s7
	s_mul_i32 s8, s33, s8
	v_sub_co_u32 v4, s7, s87, s7
	s_add_i32 s9, s9, s8
	s_cmp_lg_u32 s7, 0
	s_delay_alu instid0(VALU_DEP_1) | instskip(SKIP_3) | instid1(VALU_DEP_2)
	v_sub_co_u32 v5, s7, v4, s33
	s_subb_u32 s8, s27, s9
	s_cmp_lg_u32 s7, 0
	v_cmp_le_u32_e32 vcc_lo, s33, v4
	v_cmp_le_u32_e64 s7, s33, v5
	v_sub_co_u32 v6, s9, v5, s33
	s_subb_u32 s12, s8, 0
	s_cmp_lg_u32 s9, 0
	s_delay_alu instid0(VALU_DEP_2)
	v_cndmask_b32_e64 v7, 0, -1, s7
	s_subb_u32 s9, s12, 0
	s_cmp_eq_u32 s12, 0
	v_mov_b32_e32 v9, s9
	v_cndmask_b32_e64 v8, 0, -1, vcc_lo
	s_cselect_b32 vcc_lo, -1, 0
	s_cmp_eq_u32 s8, 0
	v_cndmask_b32_e32 v7, -1, v7, vcc_lo
	s_cselect_b32 vcc_lo, -1, 0
	v_cndmask_b32_e32 v8, -1, v8, vcc_lo
	s_delay_alu instid0(VALU_DEP_2) | instskip(NEXT) | instid1(VALU_DEP_2)
	v_cmp_ne_u32_e32 vcc_lo, 0, v7
	v_cmp_ne_u32_e64 s7, 0, v8
	v_cndmask_b32_e32 v7, s12, v9, vcc_lo
	v_cndmask_b32_e32 v6, v5, v6, vcc_lo
	s_delay_alu instid0(VALU_DEP_2) | instskip(NEXT) | instid1(VALU_DEP_2)
	v_cndmask_b32_e64 v5, s8, v7, s7
	v_cndmask_b32_e64 v4, v4, v6, s7
	s_mov_b32 s7, 0
	s_branch .LBB225_462
.LBB225_461:                            ;   in Loop: Header=BB225_31 Depth=1
	s_mov_b32 s7, -1
                                        ; implicit-def: $vgpr4_vgpr5
.LBB225_462:                            ;   in Loop: Header=BB225_31 Depth=1
	s_delay_alu instid0(SALU_CYCLE_1)
	s_and_not1_b32 vcc_lo, exec_lo, s7
	s_cbranch_vccnz .LBB225_464
; %bb.463:                              ;   in Loop: Header=BB225_31 Depth=1
	v_cvt_f32_u32_e32 v4, s33
	s_sub_i32 s7, 0, s33
	s_delay_alu instid0(VALU_DEP_1) | instskip(SKIP_2) | instid1(VALU_DEP_1)
	v_rcp_iflag_f32_e32 v4, v4
	s_waitcnt_depctr 0xfff
	v_mul_f32_e32 v4, 0x4f7ffffe, v4
	v_cvt_u32_f32_e32 v4, v4
	s_delay_alu instid0(VALU_DEP_1) | instskip(NEXT) | instid1(VALU_DEP_1)
	v_mul_lo_u32 v5, s7, v4
	v_mul_hi_u32 v5, v4, v5
	s_delay_alu instid0(VALU_DEP_1) | instskip(NEXT) | instid1(VALU_DEP_1)
	v_add_nc_u32_e32 v4, v4, v5
	v_mul_hi_u32 v4, s87, v4
	s_delay_alu instid0(VALU_DEP_1) | instskip(NEXT) | instid1(VALU_DEP_1)
	v_mul_lo_u32 v4, v4, s33
	v_sub_nc_u32_e32 v4, s87, v4
	s_delay_alu instid0(VALU_DEP_1) | instskip(SKIP_1) | instid1(VALU_DEP_2)
	v_subrev_nc_u32_e32 v5, s33, v4
	v_cmp_le_u32_e32 vcc_lo, s33, v4
	v_cndmask_b32_e32 v4, v4, v5, vcc_lo
	s_delay_alu instid0(VALU_DEP_1) | instskip(SKIP_1) | instid1(VALU_DEP_2)
	v_subrev_nc_u32_e32 v5, s33, v4
	v_cmp_le_u32_e32 vcc_lo, s33, v4
	v_cndmask_b32_e32 v12, v4, v5, vcc_lo
	s_delay_alu instid0(VALU_DEP_1)
	v_dual_mov_b32 v4, v12 :: v_dual_mov_b32 v5, v13
.LBB225_464:                            ;   in Loop: Header=BB225_31 Depth=1
	s_delay_alu instid0(VALU_DEP_1) | instskip(NEXT) | instid1(VALU_DEP_2)
	v_sub_co_u32 v4, vcc_lo, s87, v4
	v_sub_co_ci_u32_e32 v5, vcc_lo, s27, v5, vcc_lo
	s_mov_b32 s13, 0
	s_mov_b32 s8, exec_lo
                                        ; implicit-def: $vgpr50
	s_delay_alu instid0(VALU_DEP_1)
	v_cmpx_gt_u64_e64 v[4:5], v[0:1]
	s_cbranch_execz .LBB225_473
; %bb.465:                              ;   in Loop: Header=BB225_31 Depth=1
	v_dual_mov_b32 v6, v24 :: v_dual_mov_b32 v7, v25
	v_dual_mov_b32 v9, v1 :: v_dual_mov_b32 v8, v0
	s_mov_b32 s9, 0
                                        ; implicit-def: $sgpr12
	s_branch .LBB225_467
.LBB225_466:                            ;   in Loop: Header=BB225_467 Depth=2
	s_or_b32 exec_lo, exec_lo, s7
	s_waitcnt vmcnt(0) lgkmcnt(0)
	s_barrier
	buffer_gl0_inv
	ds_load_b32 v12, v13 offset:3072
	v_add_co_u32 v8, vcc_lo, v8, s33
	v_add_co_ci_u32_e32 v9, vcc_lo, 0, v9, vcc_lo
	s_waitcnt lgkmcnt(0)
	s_barrier
	buffer_gl0_inv
	v_cmp_ge_u64_e32 vcc_lo, v[8:9], v[4:5]
	v_and_b32_e32 v26, 0x7fff, v12
	s_delay_alu instid0(VALU_DEP_1) | instskip(NEXT) | instid1(VALU_DEP_1)
	v_cmp_ne_u16_e64 s7, 0, v26
	s_or_b32 s13, vcc_lo, s7
	v_add_co_u32 v6, vcc_lo, v6, s34
	s_and_b32 s13, exec_lo, s13
	v_add_co_ci_u32_e32 v7, vcc_lo, s35, v7, vcc_lo
	s_or_b32 s9, s13, s9
	s_and_not1_b32 s12, s12, exec_lo
	s_and_b32 s7, s7, exec_lo
	s_delay_alu instid0(SALU_CYCLE_1)
	s_or_b32 s12, s12, s7
	s_and_not1_b32 exec_lo, exec_lo, s9
	s_cbranch_execz .LBB225_472
.LBB225_467:                            ;   Parent Loop BB225_31 Depth=1
                                        ; =>  This Inner Loop Header: Depth=2
	s_delay_alu instid0(VALU_DEP_1)
	v_cmp_gt_u64_e32 vcc_lo, s[36:37], v[8:9]
	v_mov_b32_e32 v12, 0
	s_and_saveexec_b32 s7, vcc_lo
	s_cbranch_execz .LBB225_469
; %bb.468:                              ;   in Loop: Header=BB225_467 Depth=2
	global_load_u16 v12, v[6:7], off
.LBB225_469:                            ;   in Loop: Header=BB225_467 Depth=2
	s_or_b32 exec_lo, exec_lo, s7
	s_and_saveexec_b32 s7, vcc_lo
	s_cbranch_execz .LBB225_466
; %bb.470:                              ;   in Loop: Header=BB225_467 Depth=2
	s_waitcnt vmcnt(0)
	v_cmp_lt_i16_e32 vcc_lo, -1, v12
	v_and_b32_e32 v26, 0xffff, v12
	v_dual_cndmask_b32 v27, 0xffff, v47 :: v_dual_lshlrev_b32 v28, 16, v12
	s_delay_alu instid0(VALU_DEP_1) | instskip(NEXT) | instid1(VALU_DEP_2)
	v_cmp_o_f32_e32 vcc_lo, v28, v28
	v_xor_b32_e32 v26, v27, v26
	s_delay_alu instid0(VALU_DEP_1) | instskip(NEXT) | instid1(VALU_DEP_1)
	v_cndmask_b32_e32 v26, 0xffff, v26, vcc_lo
	v_and_b32_e32 v26, v26, v48
	s_delay_alu instid0(VALU_DEP_1)
	v_cmp_eq_u32_e32 vcc_lo, v26, v49
	s_and_b32 exec_lo, exec_lo, vcc_lo
	s_cbranch_execz .LBB225_466
; %bb.471:                              ;   in Loop: Header=BB225_467 Depth=2
	v_perm_b32 v12, v12, s96, 0x5040100
	ds_store_b32 v13, v12 offset:3072
	s_branch .LBB225_466
.LBB225_472:                            ;   in Loop: Header=BB225_31 Depth=1
	s_or_b32 exec_lo, exec_lo, s9
	v_lshrrev_b32_e32 v50, 16, v12
	s_and_b32 s13, s12, exec_lo
.LBB225_473:                            ;   in Loop: Header=BB225_31 Depth=1
	s_or_b32 exec_lo, exec_lo, s8
	s_mov_b32 s8, 0
	s_mov_b32 s7, -1
	s_mov_b32 s9, 0
.LBB225_474:                            ;   in Loop: Header=BB225_31 Depth=1
	s_or_not1_b32 s13, s13, exec_lo
.LBB225_475:                            ;   in Loop: Header=BB225_31 Depth=1
	s_or_b32 exec_lo, exec_lo, s47
	s_mov_b32 s26, 0
                                        ; implicit-def: $vgpr7
                                        ; implicit-def: $vgpr4_vgpr5
	s_and_saveexec_b32 s12, s13
	s_cbranch_execz .LBB225_487
; %bb.476:                              ;   in Loop: Header=BB225_31 Depth=1
	v_dual_mov_b32 v4, 1 :: v_dual_mov_b32 v7, 1
	v_mov_b32_e32 v5, 0
	s_xor_b32 s26, s46, -1
	s_delay_alu instid0(SALU_CYCLE_1)
	s_and_saveexec_b32 s13, s26
	s_cbranch_execz .LBB225_486
; %bb.477:                              ;   in Loop: Header=BB225_31 Depth=1
	s_mov_b32 s26, exec_lo
                                        ; implicit-def: $sgpr46
	v_cmpx_ge_u64_e64 s[10:11], v[2:3]
	s_xor_b32 s26, exec_lo, s26
	s_cbranch_execz .LBB225_483
; %bb.478:                              ;   in Loop: Header=BB225_31 Depth=1
	ds_load_b64 v[4:5], v13 offset:5120
	s_waitcnt lgkmcnt(0)
	v_cmp_ne_u64_e32 vcc_lo, 0, v[4:5]
	s_cbranch_vccnz .LBB225_482
; %bb.479:                              ;   in Loop: Header=BB225_31 Depth=1
	s_and_saveexec_b32 s46, s5
	s_cbranch_execz .LBB225_481
; %bb.480:                              ;   in Loop: Header=BB225_31 Depth=1
	v_dual_mov_b32 v4, s10 :: v_dual_mov_b32 v5, s11
	ds_store_b64 v13, v[4:5] offset:5128
.LBB225_481:                            ;   in Loop: Header=BB225_31 Depth=1
	s_or_b32 exec_lo, exec_lo, s46
	s_waitcnt lgkmcnt(0)
	s_barrier
	buffer_gl0_inv
.LBB225_482:                            ;   in Loop: Header=BB225_31 Depth=1
	v_and_b32_e32 v49, s21, v49
	v_or_b32_e32 v48, s20, v48
	s_mov_b32 s46, 5
.LBB225_483:                            ;   in Loop: Header=BB225_31 Depth=1
	s_or_saveexec_b32 s20, s26
	v_mov_b32_e32 v7, s46
	s_xor_b32 exec_lo, exec_lo, s20
; %bb.484:                              ;   in Loop: Header=BB225_31 Depth=1
	v_sub_co_u32 v2, vcc_lo, v2, s10
	v_subrev_co_ci_u32_e32 v3, vcc_lo, s11, v3, vcc_lo
	v_mov_b32_e32 v7, 5
; %bb.485:                              ;   in Loop: Header=BB225_31 Depth=1
	s_or_b32 exec_lo, exec_lo, s20
	s_delay_alu instid0(VALU_DEP_2)
	v_dual_mov_b32 v5, v3 :: v_dual_mov_b32 v4, v2
.LBB225_486:                            ;   in Loop: Header=BB225_31 Depth=1
	s_or_b32 exec_lo, exec_lo, s13
	s_delay_alu instid0(SALU_CYCLE_1)
	s_mov_b32 s26, exec_lo
.LBB225_487:                            ;   in Loop: Header=BB225_31 Depth=1
	s_or_b32 exec_lo, exec_lo, s12
	s_delay_alu instid0(VALU_DEP_1)
	v_dual_mov_b32 v2, v4 :: v_dual_mov_b32 v3, v5
	s_or_not1_b32 s12, s26, exec_lo
.LBB225_488:                            ;   in Loop: Header=BB225_31 Depth=1
	s_or_b32 exec_lo, exec_lo, s22
	s_delay_alu instid0(SALU_CYCLE_1)
	s_and_not1_b32 s10, s14, exec_lo
	s_and_b32 s7, s7, exec_lo
	s_and_b32 s8, s8, exec_lo
	s_or_b32 s14, s10, s7
	s_and_not1_b32 s7, s15, exec_lo
	s_and_not1_b32 s10, s74, exec_lo
	s_and_b32 s9, s9, exec_lo
	v_dual_mov_b32 v5, v3 :: v_dual_mov_b32 v4, v2
	s_or_b32 s15, s7, s8
	s_or_b32 s74, s10, s9
	s_and_b32 s26, s12, exec_lo
.LBB225_489:                            ;   in Loop: Header=BB225_31 Depth=1
	s_or_b32 exec_lo, exec_lo, s58
	s_delay_alu instid0(SALU_CYCLE_1)
	s_and_b32 s14, s14, exec_lo
	s_and_b32 s9, s15, exec_lo
	;; [unrolled: 1-line block ×3, first 2 shown]
	s_or_not1_b32 s7, s26, exec_lo
.LBB225_490:                            ;   in Loop: Header=BB225_31 Depth=1
	s_or_b32 exec_lo, exec_lo, s73
	s_delay_alu instid0(SALU_CYCLE_1)
	s_and_not1_b32 s10, s16, exec_lo
	s_and_b32 s11, s14, exec_lo
	s_and_b32 s9, s9, exec_lo
	s_or_b32 s16, s10, s11
	s_and_not1_b32 s10, s17, exec_lo
	s_and_not1_b32 s11, s71, exec_lo
	s_and_b32 s8, s8, exec_lo
	v_dual_mov_b32 v2, v4 :: v_dual_mov_b32 v3, v5
	s_or_b32 s17, s10, s9
	s_or_b32 s71, s11, s8
	s_and_b32 s26, s7, exec_lo
.LBB225_491:                            ;   in Loop: Header=BB225_31 Depth=1
	s_or_b32 exec_lo, exec_lo, s72
	s_delay_alu instid0(SALU_CYCLE_1)
	s_and_b32 s16, s16, exec_lo
	s_and_b32 s9, s17, exec_lo
	;; [unrolled: 1-line block ×3, first 2 shown]
	s_or_not1_b32 s17, s26, exec_lo
.LBB225_492:                            ;   in Loop: Header=BB225_31 Depth=1
	s_or_b32 exec_lo, exec_lo, s70
	s_mov_b32 s7, s25
	s_mov_b32 s10, s24
	s_and_saveexec_b32 s11, s17
; %bb.493:                              ;   in Loop: Header=BB225_31 Depth=1
	v_cmp_eq_u32_e32 vcc_lo, 5, v7
	v_cmp_ne_u32_e64 s7, 5, v7
	s_and_not1_b32 s10, s24, exec_lo
	s_and_not1_b32 s12, s25, exec_lo
	;; [unrolled: 1-line block ×3, first 2 shown]
	s_and_b32 s13, vcc_lo, exec_lo
	s_and_b32 s7, s7, exec_lo
	s_and_not1_b32 s9, s9, exec_lo
	s_and_not1_b32 s8, s8, exec_lo
	s_or_b32 s10, s10, s7
	s_or_b32 s7, s12, s13
; %bb.494:                              ;   in Loop: Header=BB225_31 Depth=1
	s_or_b32 exec_lo, exec_lo, s11
	s_delay_alu instid0(SALU_CYCLE_1)
	s_and_not1_b32 s3, s18, exec_lo
	s_and_b32 s11, s16, exec_lo
	s_and_b32 s9, s9, exec_lo
	s_or_b32 s18, s3, s11
	s_and_not1_b32 s3, s19, exec_lo
	s_and_not1_b32 s11, s23, exec_lo
	s_and_b32 s8, s8, exec_lo
	v_dual_mov_b32 v28, v49 :: v_dual_mov_b32 v29, v48
	v_mov_b32_e32 v6, v50
	s_or_b32 s19, s3, s9
	s_or_b32 s23, s11, s8
	s_and_not1_b32 s3, s24, exec_lo
	s_and_b32 s8, s10, exec_lo
	s_and_not1_b32 s9, s25, exec_lo
	s_and_b32 s7, s7, exec_lo
	s_or_b32 s24, s3, s8
	s_or_b32 s25, s9, s7
.LBB225_495:                            ;   in Loop: Header=BB225_31 Depth=1
	s_or_b32 exec_lo, exec_lo, s60
	s_mov_b32 s70, s23
	s_mov_b32 s60, s23
	s_and_saveexec_b32 s7, s25
.LBB225_496:                            ;   in Loop: Header=BB225_31 Depth=1
	v_mov_b32_e32 v7, 0
	s_and_not1_b32 s23, s23, exec_lo
	s_and_not1_b32 s18, s18, exec_lo
	;; [unrolled: 1-line block ×5, first 2 shown]
	s_or_b32 s24, s24, exec_lo
.LBB225_497:                            ;   in Loop: Header=BB225_31 Depth=1
	s_or_b32 exec_lo, exec_lo, s7
	s_delay_alu instid0(SALU_CYCLE_1)
	s_and_not1_b32 s3, s55, exec_lo
	s_and_b32 s7, s23, exec_lo
	s_and_not1_b32 s9, s104, exec_lo
	s_or_b32 s55, s3, s7
	s_and_not1_b32 s3, s54, exec_lo
	s_and_b32 s7, s18, exec_lo
	s_and_b32 s10, s19, exec_lo
	s_or_b32 s54, s3, s7
	s_or_b32 s104, s9, s10
	s_and_not1_b32 s3, vcc_hi, exec_lo
	s_and_b32 s7, s70, exec_lo
	s_and_not1_b32 s9, s103, exec_lo
	s_and_b32 s10, s60, exec_lo
	s_mov_b32 s8, -1
	s_or_b32 vcc_hi, s3, s7
	s_or_b32 s103, s9, s10
                                        ; implicit-def: $vgpr48
                                        ; implicit-def: $vgpr49
                                        ; implicit-def: $vgpr26_vgpr27
                                        ; implicit-def: $vgpr50
	s_and_saveexec_b32 s3, s24
	s_delay_alu instid0(SALU_CYCLE_1)
	s_xor_b32 s7, exec_lo, s3
	s_cbranch_execz .LBB225_30
; %bb.498:                              ;   in Loop: Header=BB225_31 Depth=1
	s_mov_b32 s9, -1
	s_mov_b32 s10, exec_lo
	v_cmpx_eq_u32_e32 0, v7
	s_cbranch_execz .LBB225_29
; %bb.499:                              ;   in Loop: Header=BB225_31 Depth=1
	s_xor_b32 s98, s98, 1
	s_add_i32 s11, s94, -2
	s_cmp_eq_u32 s94, 0
	s_mov_b32 s94, s11
	s_cselect_b32 s8, -1, 0
	s_xor_b32 s9, exec_lo, -1
	s_or_not1_b32 s8, s8, exec_lo
	s_branch .LBB225_29
.LBB225_500:
	s_or_b32 exec_lo, exec_lo, s95
	s_xor_b32 s7, s102, -1
	s_xor_b32 s9, s100, -1
	;; [unrolled: 1-line block ×5, first 2 shown]
	s_mov_b32 s8, 0
	s_and_saveexec_b32 s11, s3
	s_delay_alu instid0(SALU_CYCLE_1)
	s_xor_b32 s12, exec_lo, s11
	s_cbranch_execz .LBB225_561
; %bb.501:
	s_and_saveexec_b32 s3, s10
	s_delay_alu instid0(SALU_CYCLE_1)
	s_xor_b32 s13, exec_lo, s3
	s_cbranch_execz .LBB225_559
; %bb.502:
	;; [unrolled: 5-line block ×4, first 2 shown]
	s_and_saveexec_b32 s3, s6
	s_delay_alu instid0(SALU_CYCLE_1)
	s_xor_b32 s6, exec_lo, s3
; %bb.505:
	v_and_b32_e32 v2, 0x8000, v28
	v_mov_b32_e32 v3, 0xffff
	s_delay_alu instid0(VALU_DEP_2) | instskip(NEXT) | instid1(VALU_DEP_2)
	v_cmp_eq_u32_e32 vcc_lo, 0, v2
	v_cndmask_b32_e32 v2, 0x8000, v3, vcc_lo
	s_delay_alu instid0(VALU_DEP_1)
	v_xor_b32_e32 v6, v2, v28
; %bb.506:
	s_or_b32 exec_lo, exec_lo, s6
	s_and_saveexec_b32 s6, s5
	s_load_b64 s[42:43], s[0:1], 0x0
	s_cbranch_execz .LBB225_508
; %bb.507:
	v_mov_b32_e32 v2, 0
	s_delay_alu instid0(VALU_DEP_1)
	v_mov_b32_e32 v3, v2
	ds_store_b64 v2, v[2:3] offset:5136
.LBB225_508:
	s_or_b32 exec_lo, exec_lo, s6
	v_mov_b32_e32 v18, 0
	s_waitcnt lgkmcnt(0)
	s_barrier
	buffer_gl0_inv
	s_and_saveexec_b32 s5, s4
	s_cbranch_execz .LBB225_510
; %bb.509:
	global_load_u16 v18, v[10:11], off
.LBB225_510:
	s_or_b32 exec_lo, exec_lo, s5
	s_load_b64 s[22:23], s[0:1], 0x440
	v_readlane_b32 s8, v51, 0
	v_readlane_b32 s9, v51, 1
	s_add_u32 s3, s36, 31
	s_addc_u32 s7, s37, 0
	s_and_b32 s6, s3, 0xffffffe0
	s_mul_i32 s3, s8, s41
	s_mul_hi_u32 s5, s8, s40
	s_mul_i32 s8, s8, s40
	s_add_i32 s3, s5, s3
	s_mul_i32 s5, s9, s40
	v_dual_mov_b32 v17, 0x8000 :: v_dual_lshlrev_b32 v4, 16, v6
	s_add_i32 s9, s3, s5
	v_cmp_lt_i16_e32 vcc_lo, -1, v6
	s_lshl_b64 s[16:17], s[8:9], 1
	s_clause 0x1
	s_load_b64 s[8:9], s[0:1], 0x368
	s_load_b64 s[10:11], s[0:1], 0x510
	v_readlane_b32 s18, v51, 2
	v_readlane_b32 s19, v51, 3
	v_dual_cndmask_b32 v3, 0xffff, v17 :: v_dual_and_b32 v2, 0xffff, v6
	s_waitcnt lgkmcnt(0)
	s_mul_i32 s3, s22, s53
	s_mul_hi_u32 s5, s22, s52
	v_cmp_o_f32_e32 vcc_lo, v4, v4
	s_add_i32 s3, s5, s3
	s_mul_i32 s5, s23, s52
	v_xor_b32_e32 v2, v3, v2
	s_add_i32 s1, s3, s5
	s_add_u32 s3, s18, s16
	s_addc_u32 s18, s19, s17
	s_lshl_b64 s[16:17], s[28:29], 1
	s_mul_i32 s0, s22, s52
	s_add_u32 s5, s3, s16
	s_addc_u32 s16, s18, s17
	v_readlane_b32 s18, v51, 4
	v_readlane_b32 s19, v51, 5
	s_lshl_b64 s[0:1], s[0:1], 3
	v_cndmask_b32_e32 v16, 0xffff, v2, vcc_lo
	v_cmp_gt_u64_e32 vcc_lo, s[6:7], v[0:1]
	s_add_u32 s3, s18, s0
	s_addc_u32 s18, s19, s1
	s_lshl_b64 s[0:1], s[44:45], 3
	s_mov_b32 s21, -1
	s_add_u32 s17, s3, s0
	s_addc_u32 s18, s18, s1
	s_mov_b32 s19, 0
	s_mov_b32 s1, 0
	s_and_saveexec_b32 s20, vcc_lo
	s_cbranch_execz .LBB225_528
; %bb.511:
	v_add_nc_u32_e32 v6, s33, v0
	v_readlane_b32 s22, v51, 7
	v_readlane_b32 s23, v51, 8
	s_add_u32 s0, s42, s48
	s_addc_u32 s1, s43, s49
	v_mad_u64_u32 v[2:3], null, s30, v6, 0
	s_add_u32 s0, s0, s22
	s_addc_u32 s1, s1, s23
	v_mov_b32_e32 v13, v1
	s_mov_b32 s21, 0
                                        ; implicit-def: $sgpr22
                                        ; implicit-def: $vgpr8_vgpr9
	v_mov_b32_e32 v12, v0
	s_delay_alu instid0(VALU_DEP_3) | instskip(NEXT) | instid1(VALU_DEP_1)
	v_mad_u64_u32 v[4:5], null, s31, v6, v[3:4]
	v_mov_b32_e32 v3, v4
	s_delay_alu instid0(VALU_DEP_1) | instskip(SKIP_1) | instid1(VALU_DEP_2)
	v_lshlrev_b64 v[4:5], 1, v[2:3]
	v_mov_b32_e32 v3, 0
	v_add_co_u32 v4, s0, s0, v4
	s_delay_alu instid0(VALU_DEP_1)
	v_add_co_ci_u32_e64 v5, s0, s1, v5, s0
	s_branch .LBB225_513
.LBB225_512:                            ;   in Loop: Header=BB225_513 Depth=1
	s_or_b32 exec_lo, exec_lo, s23
	s_xor_b32 s0, s25, -1
	s_and_b32 s1, exec_lo, s1
	v_dual_mov_b32 v13, v7 :: v_dual_mov_b32 v12, v6
	s_or_b32 s21, s1, s21
	s_waitcnt vmcnt(0)
	v_mov_b32_e32 v18, v19
	s_and_not1_b32 s1, s22, exec_lo
	s_and_b32 s0, s0, exec_lo
	s_delay_alu instid0(SALU_CYCLE_1)
	s_or_b32 s22, s1, s0
	s_and_not1_b32 exec_lo, exec_lo, s21
	s_cbranch_execz .LBB225_527
.LBB225_513:                            ; =>This Inner Loop Header: Depth=1
	v_add_co_u32 v6, s0, v12, s33
	s_delay_alu instid0(VALU_DEP_1) | instskip(SKIP_2) | instid1(VALU_DEP_2)
	v_add_co_ci_u32_e64 v7, s0, 0, v13, s0
	v_mov_b32_e32 v19, 0
	s_mov_b32 s1, exec_lo
	v_cmpx_gt_u64_e64 s[36:37], v[6:7]
	s_cbranch_execz .LBB225_515
; %bb.514:                              ;   in Loop: Header=BB225_513 Depth=1
	global_load_u16 v19, v[4:5], off
.LBB225_515:                            ;   in Loop: Header=BB225_513 Depth=1
	s_or_b32 exec_lo, exec_lo, s1
	s_mov_b32 s23, 0
	s_mov_b32 s1, exec_lo
	v_cmpx_gt_u64_e64 s[36:37], v[12:13]
	s_cbranch_execz .LBB225_517
; %bb.516:                              ;   in Loop: Header=BB225_513 Depth=1
	s_waitcnt vmcnt(0)
	v_cmp_lt_i16_e64 s0, -1, v18
	v_and_b32_e32 v2, 0xffff, v18
	v_lshlrev_b32_e32 v15, 16, v18
	s_delay_alu instid0(VALU_DEP_3) | instskip(NEXT) | instid1(VALU_DEP_2)
	v_cndmask_b32_e64 v14, 0xffff, v17, s0
	v_cmp_o_f32_e64 s0, v15, v15
	s_delay_alu instid0(VALU_DEP_2) | instskip(NEXT) | instid1(VALU_DEP_1)
	v_xor_b32_e32 v2, v14, v2
	v_cndmask_b32_e64 v2, 0xffff, v2, s0
	s_delay_alu instid0(VALU_DEP_1) | instskip(NEXT) | instid1(VALU_DEP_1)
	v_cmp_gt_u32_e64 s0, v2, v16
	v_cndmask_b32_e64 v14, 0, 1, s0
	v_cmp_lt_u32_e64 s0, v2, v16
	s_delay_alu instid0(VALU_DEP_1) | instskip(NEXT) | instid1(VALU_DEP_1)
	v_cndmask_b32_e64 v2, 0, 1, s0
	v_cndmask_b32_e64 v2, v2, v14, s88
	s_delay_alu instid0(VALU_DEP_1) | instskip(NEXT) | instid1(VALU_DEP_1)
	v_and_b32_e32 v2, 1, v2
	v_cmp_eq_u32_e64 s0, 1, v2
	s_delay_alu instid0(VALU_DEP_1)
	s_and_b32 s23, s0, exec_lo
.LBB225_517:                            ;   in Loop: Header=BB225_513 Depth=1
	s_or_b32 exec_lo, exec_lo, s1
	v_cndmask_b32_e64 v2, 0, 1, s23
	s_delay_alu instid0(VALU_DEP_1) | instskip(NEXT) | instid1(VALU_DEP_1)
	v_cmp_ne_u32_e64 s0, 0, v2
	s_cmp_lg_u32 s0, 0
	s_cselect_b32 s1, -1, 0
	s_delay_alu instid0(SALU_CYCLE_1) | instskip(NEXT) | instid1(SALU_CYCLE_1)
	s_and_b32 s1, s2, s1
	s_and_saveexec_b32 s24, s1
	s_cbranch_execz .LBB225_521
; %bb.518:                              ;   in Loop: Header=BB225_513 Depth=1
	s_mov_b32 s27, exec_lo
	s_bcnt1_i32_b32 s25, s0
	v_mbcnt_lo_u32_b32 v14, s27, 0
	s_mov_b32 s26, exec_lo
                                        ; implicit-def: $vgpr8_vgpr9
	s_delay_alu instid0(VALU_DEP_1)
	v_cmpx_eq_u32_e32 0, v14
	s_cbranch_execz .LBB225_520
; %bb.519:                              ;   in Loop: Header=BB225_513 Depth=1
	s_bcnt1_i32_b32 s1, s27
	s_delay_alu instid0(SALU_CYCLE_1) | instskip(NEXT) | instid1(SALU_CYCLE_1)
	s_mul_i32 s1, s25, s1
	v_mov_b32_e32 v2, s1
	s_waitcnt lgkmcnt(0)
	ds_add_rtn_u64 v[8:9], v3, v[2:3] offset:5136
.LBB225_520:                            ;   in Loop: Header=BB225_513 Depth=1
	s_or_b32 exec_lo, exec_lo, s26
	s_waitcnt lgkmcnt(0)
	v_readfirstlane_b32 s27, v9
	v_readfirstlane_b32 s26, v8
	s_delay_alu instid0(VALU_DEP_1)
	v_mad_u64_u32 v[8:9], null, s25, v14, s[26:27]
.LBB225_521:                            ;   in Loop: Header=BB225_513 Depth=1
	s_or_b32 exec_lo, exec_lo, s24
	s_waitcnt lgkmcnt(1)
	ds_bpermute_b32 v8, v3, v8
	s_waitcnt lgkmcnt(1)
	ds_bpermute_b32 v9, v3, v9
	s_mov_b32 s1, -1
	s_mov_b32 s26, -1
                                        ; implicit-def: $sgpr25
	s_and_saveexec_b32 s24, s23
	s_cbranch_execz .LBB225_525
; %bb.522:                              ;   in Loop: Header=BB225_513 Depth=1
	v_and_b32_e32 v2, s0, v40
	s_mov_b32 s23, 0
	s_mov_b32 s25, exec_lo
	s_delay_alu instid0(VALU_DEP_1) | instskip(SKIP_1) | instid1(VALU_DEP_1)
	v_bcnt_u32_b32 v2, v2, 0
	s_waitcnt lgkmcnt(1)
	v_add_co_u32 v14, s0, v8, v2
	s_waitcnt lgkmcnt(0)
	v_add_co_ci_u32_e64 v15, s0, 0, v9, s0
	s_delay_alu instid0(VALU_DEP_1)
	v_cmpx_gt_u64_e64 s[38:39], v[14:15]
	s_cbranch_execz .LBB225_524
; %bb.523:                              ;   in Loop: Header=BB225_513 Depth=1
	v_mul_lo_u32 v2, v15, s8
	v_mul_lo_u32 v24, v14, s9
	v_mad_u64_u32 v[20:21], null, v14, s8, 0
	v_mul_lo_u32 v15, v15, s10
	v_mul_lo_u32 v25, v14, s11
	v_mad_u64_u32 v[22:23], null, v14, s10, 0
	s_mov_b32 s23, exec_lo
	s_delay_alu instid0(VALU_DEP_4) | instskip(NEXT) | instid1(VALU_DEP_2)
	v_add3_u32 v21, v21, v24, v2
	v_add3_u32 v23, v23, v25, v15
	s_delay_alu instid0(VALU_DEP_2) | instskip(NEXT) | instid1(VALU_DEP_2)
	v_lshlrev_b64 v[14:15], 1, v[20:21]
	v_lshlrev_b64 v[20:21], 3, v[22:23]
	s_delay_alu instid0(VALU_DEP_2) | instskip(NEXT) | instid1(VALU_DEP_1)
	v_add_co_u32 v14, s0, s5, v14
	v_add_co_ci_u32_e64 v15, s0, s16, v15, s0
	s_delay_alu instid0(VALU_DEP_3) | instskip(NEXT) | instid1(VALU_DEP_1)
	v_add_co_u32 v20, s0, s17, v20
	v_add_co_ci_u32_e64 v21, s0, s18, v21, s0
	s_waitcnt vmcnt(0)
	global_store_b16 v[14:15], v18, off
	global_store_b64 v[20:21], v[12:13], off
.LBB225_524:                            ;   in Loop: Header=BB225_513 Depth=1
	s_or_b32 exec_lo, exec_lo, s25
	s_mov_b32 s25, -1
	s_or_not1_b32 s26, s23, exec_lo
.LBB225_525:                            ;   in Loop: Header=BB225_513 Depth=1
	s_or_b32 exec_lo, exec_lo, s24
	s_and_saveexec_b32 s23, s26
	s_cbranch_execz .LBB225_512
; %bb.526:                              ;   in Loop: Header=BB225_513 Depth=1
	v_cmp_le_u64_e64 s0, s[6:7], v[6:7]
	v_add_co_u32 v4, s1, v4, s34
	s_delay_alu instid0(VALU_DEP_1) | instskip(SKIP_1) | instid1(VALU_DEP_3)
	v_add_co_ci_u32_e64 v5, s1, s35, v5, s1
	s_and_not1_b32 s25, s25, exec_lo
	s_or_not1_b32 s1, s0, exec_lo
	s_branch .LBB225_512
.LBB225_527:
	s_or_b32 exec_lo, exec_lo, s21
	s_delay_alu instid0(SALU_CYCLE_1)
	s_mov_b32 s1, exec_lo
	s_or_not1_b32 s21, s22, exec_lo
.LBB225_528:
	s_or_b32 exec_lo, exec_lo, s20
	s_and_saveexec_b32 s3, s21
	s_cbranch_execz .LBB225_553
; %bb.529:
	v_mov_b32_e32 v13, 0
	s_waitcnt vmcnt(0) lgkmcnt(0)
	s_waitcnt_vscnt null, 0x0
	s_barrier
	buffer_gl0_inv
	s_and_saveexec_b32 s0, s4
	s_cbranch_execz .LBB225_531
; %bb.530:
	global_load_u16 v13, v[10:11], off
.LBB225_531:
	s_or_b32 exec_lo, exec_lo, s0
	s_mov_b32 s0, 0
	s_and_saveexec_b32 s4, vcc_lo
	s_cbranch_execz .LBB225_552
; %bb.532:
	v_add_nc_u32_e32 v6, s33, v0
	v_readlane_b32 s20, v51, 7
	v_readlane_b32 s21, v51, 8
	s_add_u32 s0, s42, s48
	s_addc_u32 s19, s43, s49
	v_mad_u64_u32 v[2:3], null, s30, v6, 0
	s_add_u32 s0, s0, s20
	s_addc_u32 s19, s19, s21
	s_mov_b32 s20, 0
	v_mov_b32_e32 v12, 0x8000
	s_delay_alu instid0(VALU_DEP_2) | instskip(NEXT) | instid1(VALU_DEP_1)
	v_mad_u64_u32 v[4:5], null, s31, v6, v[3:4]
                                        ; implicit-def: $vgpr6_vgpr7
	v_mov_b32_e32 v3, v4
	s_delay_alu instid0(VALU_DEP_1) | instskip(SKIP_1) | instid1(VALU_DEP_2)
	v_lshlrev_b64 v[4:5], 1, v[2:3]
	v_mov_b32_e32 v3, 0
	v_add_co_u32 v4, vcc_lo, s0, v4
	s_delay_alu instid0(VALU_DEP_3)
	v_add_co_ci_u32_e32 v5, vcc_lo, s19, v5, vcc_lo
                                        ; implicit-def: $sgpr19
	s_branch .LBB225_535
.LBB225_533:                            ;   in Loop: Header=BB225_535 Depth=1
	s_or_b32 exec_lo, exec_lo, s22
	s_waitcnt vmcnt(0)
	v_dual_mov_b32 v13, v14 :: v_dual_mov_b32 v0, v8
	v_mov_b32_e32 v1, v9
	s_or_not1_b32 s24, s23, exec_lo
	s_or_not1_b32 s23, s0, exec_lo
.LBB225_534:                            ;   in Loop: Header=BB225_535 Depth=1
	s_or_b32 exec_lo, exec_lo, s21
	s_xor_b32 s0, s24, -1
	s_and_b32 s21, exec_lo, s23
	s_delay_alu instid0(SALU_CYCLE_1) | instskip(SKIP_2) | instid1(SALU_CYCLE_1)
	s_or_b32 s20, s21, s20
	s_and_not1_b32 s19, s19, exec_lo
	s_and_b32 s0, s0, exec_lo
	s_or_b32 s19, s19, s0
	s_and_not1_b32 exec_lo, exec_lo, s20
	s_cbranch_execz .LBB225_550
.LBB225_535:                            ; =>This Inner Loop Header: Depth=1
	v_add_co_u32 v8, vcc_lo, v0, s33
	v_add_co_ci_u32_e32 v9, vcc_lo, 0, v1, vcc_lo
	s_waitcnt vmcnt(0)
	v_mov_b32_e32 v14, 0
	s_mov_b32 s0, exec_lo
	s_delay_alu instid0(VALU_DEP_2)
	v_cmpx_gt_u64_e64 s[36:37], v[8:9]
	s_cbranch_execz .LBB225_537
; %bb.536:                              ;   in Loop: Header=BB225_535 Depth=1
	global_load_u16 v14, v[4:5], off
.LBB225_537:                            ;   in Loop: Header=BB225_535 Depth=1
	s_or_b32 exec_lo, exec_lo, s0
	s_mov_b32 s22, 0
	s_mov_b32 s0, exec_lo
	v_cmpx_gt_u64_e64 s[36:37], v[0:1]
	s_cbranch_execz .LBB225_539
; %bb.538:                              ;   in Loop: Header=BB225_535 Depth=1
	s_waitcnt vmcnt(0)
	v_cmp_lt_i16_e32 vcc_lo, -1, v13
	v_and_b32_e32 v2, 0xffff, v13
	v_dual_cndmask_b32 v10, 0xffff, v12 :: v_dual_lshlrev_b32 v11, 16, v13
	s_delay_alu instid0(VALU_DEP_1) | instskip(NEXT) | instid1(VALU_DEP_2)
	v_cmp_o_f32_e32 vcc_lo, v11, v11
	v_xor_b32_e32 v2, v10, v2
	s_delay_alu instid0(VALU_DEP_1) | instskip(NEXT) | instid1(VALU_DEP_1)
	v_cndmask_b32_e32 v2, 0xffff, v2, vcc_lo
	v_cmp_eq_u32_e32 vcc_lo, v2, v16
	s_and_b32 s22, vcc_lo, exec_lo
.LBB225_539:                            ;   in Loop: Header=BB225_535 Depth=1
	s_or_b32 exec_lo, exec_lo, s0
	v_cndmask_b32_e64 v2, 0, 1, s22
	s_delay_alu instid0(VALU_DEP_1) | instskip(SKIP_2) | instid1(SALU_CYCLE_1)
	v_cmp_ne_u32_e32 vcc_lo, 0, v2
	s_cmp_lg_u32 vcc_lo, 0
	s_cselect_b32 s0, -1, 0
	s_and_b32 s0, s2, s0
	s_delay_alu instid0(SALU_CYCLE_1)
	s_and_saveexec_b32 s21, s0
	s_cbranch_execz .LBB225_543
; %bb.540:                              ;   in Loop: Header=BB225_535 Depth=1
	s_mov_b32 s25, exec_lo
	s_bcnt1_i32_b32 s23, vcc_lo
	v_mbcnt_lo_u32_b32 v10, s25, 0
	s_mov_b32 s24, exec_lo
                                        ; implicit-def: $vgpr6_vgpr7
	s_delay_alu instid0(VALU_DEP_1)
	v_cmpx_eq_u32_e32 0, v10
	s_cbranch_execz .LBB225_542
; %bb.541:                              ;   in Loop: Header=BB225_535 Depth=1
	s_bcnt1_i32_b32 s0, s25
	s_delay_alu instid0(SALU_CYCLE_1) | instskip(NEXT) | instid1(SALU_CYCLE_1)
	s_mul_i32 s0, s23, s0
	v_mov_b32_e32 v2, s0
	ds_add_rtn_u64 v[6:7], v3, v[2:3] offset:5136
.LBB225_542:                            ;   in Loop: Header=BB225_535 Depth=1
	s_or_b32 exec_lo, exec_lo, s24
	s_waitcnt lgkmcnt(0)
	v_readfirstlane_b32 s25, v7
	v_readfirstlane_b32 s24, v6
	s_delay_alu instid0(VALU_DEP_1)
	v_mad_u64_u32 v[6:7], null, s23, v10, s[24:25]
.LBB225_543:                            ;   in Loop: Header=BB225_535 Depth=1
	s_or_b32 exec_lo, exec_lo, s21
	ds_bpermute_b32 v6, v3, v6
	ds_bpermute_b32 v7, v3, v7
	s_cmp_eq_u32 vcc_lo, 0
	s_mov_b32 s23, -1
	s_cselect_b32 s21, -1, 0
	s_mov_b32 s24, -1
	s_waitcnt lgkmcnt(0)
	v_cmp_gt_u64_e64 s0, s[38:39], v[6:7]
	s_delay_alu instid0(VALU_DEP_1) | instskip(NEXT) | instid1(SALU_CYCLE_1)
	s_or_b32 s0, s21, s0
	s_and_saveexec_b32 s21, s0
	s_cbranch_execz .LBB225_534
; %bb.544:                              ;   in Loop: Header=BB225_535 Depth=1
	v_and_b32_e32 v2, vcc_lo, v40
	v_sub_co_u32 v10, vcc_lo, s38, v6
	v_sub_co_ci_u32_e32 v11, vcc_lo, s39, v7, vcc_lo
	s_delay_alu instid0(VALU_DEP_3) | instskip(SKIP_1) | instid1(VALU_DEP_1)
	v_bcnt_u32_b32 v2, v2, 0
	s_mov_b32 s0, -1
	v_bcnt_u32_b32 v2, 0, v2
	s_delay_alu instid0(VALU_DEP_1) | instskip(SKIP_1) | instid1(SALU_CYCLE_1)
	v_cmp_gt_u64_e32 vcc_lo, v[10:11], v[2:3]
	s_and_b32 s25, s22, vcc_lo
	s_and_saveexec_b32 s22, s25
	s_cbranch_execz .LBB225_548
; %bb.545:                              ;   in Loop: Header=BB225_535 Depth=1
	v_add_co_u32 v10, vcc_lo, v6, v2
	v_add_co_ci_u32_e32 v11, vcc_lo, 0, v7, vcc_lo
	s_mov_b32 s24, 0
	s_mov_b32 s23, exec_lo
	s_delay_alu instid0(VALU_DEP_1)
	v_cmpx_gt_u64_e64 s[38:39], v[10:11]
	s_cbranch_execz .LBB225_547
; %bb.546:                              ;   in Loop: Header=BB225_535 Depth=1
	v_mul_lo_u32 v2, v11, s8
	v_mul_lo_u32 v15, v10, s9
	v_mad_u64_u32 v[17:18], null, v10, s8, 0
	v_mul_lo_u32 v11, v11, s10
	v_mul_lo_u32 v21, v10, s11
	v_mad_u64_u32 v[19:20], null, v10, s10, 0
	s_mov_b32 s24, exec_lo
	s_delay_alu instid0(VALU_DEP_4) | instskip(NEXT) | instid1(VALU_DEP_2)
	v_add3_u32 v18, v18, v15, v2
	v_add3_u32 v20, v20, v21, v11
	s_delay_alu instid0(VALU_DEP_2) | instskip(NEXT) | instid1(VALU_DEP_2)
	v_lshlrev_b64 v[10:11], 1, v[17:18]
	v_lshlrev_b64 v[17:18], 3, v[19:20]
	s_delay_alu instid0(VALU_DEP_2) | instskip(NEXT) | instid1(VALU_DEP_3)
	v_add_co_u32 v10, vcc_lo, s5, v10
	v_add_co_ci_u32_e32 v11, vcc_lo, s16, v11, vcc_lo
	s_delay_alu instid0(VALU_DEP_3) | instskip(NEXT) | instid1(VALU_DEP_4)
	v_add_co_u32 v17, vcc_lo, s17, v17
	v_add_co_ci_u32_e32 v18, vcc_lo, s18, v18, vcc_lo
	s_waitcnt vmcnt(0)
	global_store_b16 v[10:11], v13, off
	global_store_b64 v[17:18], v[0:1], off
.LBB225_547:                            ;   in Loop: Header=BB225_535 Depth=1
	s_or_b32 exec_lo, exec_lo, s23
	s_delay_alu instid0(SALU_CYCLE_1)
	s_xor_b32 s23, exec_lo, -1
	s_or_not1_b32 s24, s24, exec_lo
.LBB225_548:                            ;   in Loop: Header=BB225_535 Depth=1
	s_or_b32 exec_lo, exec_lo, s22
	s_and_saveexec_b32 s22, s24
	s_cbranch_execz .LBB225_533
; %bb.549:                              ;   in Loop: Header=BB225_535 Depth=1
	v_cmp_le_u64_e32 vcc_lo, s[6:7], v[8:9]
	v_add_co_u32 v4, s0, v4, s34
	s_delay_alu instid0(VALU_DEP_1)
	v_add_co_ci_u32_e64 v5, s0, s35, v5, s0
	s_or_b32 s23, s23, exec_lo
	s_or_not1_b32 s0, vcc_lo, exec_lo
	s_branch .LBB225_533
.LBB225_550:
	s_or_b32 exec_lo, exec_lo, s20
	s_mov_b32 s0, 0
	s_and_saveexec_b32 s2, s19
	s_delay_alu instid0(SALU_CYCLE_1)
	s_xor_b32 s2, exec_lo, s2
	s_cbranch_execnz .LBB225_585
.LBB225_551:
	s_or_b32 exec_lo, exec_lo, s2
	s_delay_alu instid0(SALU_CYCLE_1)
	s_and_b32 s0, s0, exec_lo
.LBB225_552:
	s_or_b32 exec_lo, exec_lo, s4
	s_delay_alu instid0(SALU_CYCLE_1)
	s_and_b32 s19, s0, exec_lo
	s_and_not1_b32 s1, s1, exec_lo
.LBB225_553:
	s_or_b32 exec_lo, exec_lo, s3
	s_and_saveexec_b32 s0, s1
	s_delay_alu instid0(SALU_CYCLE_1)
	s_xor_b32 s0, exec_lo, s0
	s_cbranch_execnz .LBB225_579
.LBB225_554:
	s_or_b32 exec_lo, exec_lo, s0
	s_delay_alu instid0(SALU_CYCLE_1)
	s_and_b32 s8, s19, exec_lo
.LBB225_555:
	s_and_not1_saveexec_b32 s0, s15
	s_cbranch_execnz .LBB225_575
.LBB225_556:
	s_or_b32 exec_lo, exec_lo, s0
	s_delay_alu instid0(SALU_CYCLE_1)
	s_and_b32 s8, s8, exec_lo
.LBB225_557:
	s_and_not1_saveexec_b32 s0, s14
	s_cbranch_execnz .LBB225_571
.LBB225_558:
	s_or_b32 exec_lo, exec_lo, s0
	s_delay_alu instid0(SALU_CYCLE_1)
	s_and_b32 s8, s8, exec_lo
.LBB225_559:
	s_and_not1_saveexec_b32 s0, s13
	s_cbranch_execnz .LBB225_567
.LBB225_560:
	s_or_b32 exec_lo, exec_lo, s0
	s_delay_alu instid0(SALU_CYCLE_1)
	s_and_b32 s8, s8, exec_lo
.LBB225_561:
	s_and_not1_saveexec_b32 s0, s12
	s_cbranch_execnz .LBB225_565
; %bb.562:
	s_or_b32 exec_lo, exec_lo, s0
	s_and_saveexec_b32 s0, s8
.LBB225_563:
	; divergent unreachable
.LBB225_564:
	s_nop 0
	s_sendmsg sendmsg(MSG_DEALLOC_VGPRS)
	s_endpgm
.LBB225_565:
	s_cbranch_execnz .LBB225_569
; %bb.566:
	s_or_b32 s8, s8, exec_lo
	s_or_b32 exec_lo, exec_lo, s0
	s_and_saveexec_b32 s0, s8
	s_cbranch_execnz .LBB225_563
	s_branch .LBB225_564
.LBB225_567:
	s_cbranch_execnz .LBB225_573
; %bb.568:
	s_or_b32 s8, s8, exec_lo
	s_branch .LBB225_560
.LBB225_569:
	s_trap 2
	s_sendmsg_rtn_b32 s0, sendmsg(MSG_RTN_GET_DOORBELL)
	s_mov_b32 ttmp2, m0
	s_waitcnt lgkmcnt(0)
	s_and_b32 s0, s0, 0x3ff
	s_delay_alu instid0(SALU_CYCLE_1) | instskip(NEXT) | instid1(SALU_CYCLE_1)
	s_bitset1_b32 s0, 10
	s_mov_b32 m0, s0
	s_sendmsg sendmsg(MSG_INTERRUPT)
	s_mov_b32 m0, ttmp2
.LBB225_570:                            ; =>This Inner Loop Header: Depth=1
	s_sethalt 5
	s_branch .LBB225_570
.LBB225_571:
	s_cbranch_execnz .LBB225_577
; %bb.572:
	s_or_b32 s8, s8, exec_lo
	s_branch .LBB225_558
.LBB225_573:
	s_trap 2
	s_sendmsg_rtn_b32 s0, sendmsg(MSG_RTN_GET_DOORBELL)
	s_mov_b32 ttmp2, m0
	s_waitcnt lgkmcnt(0)
	s_and_b32 s0, s0, 0x3ff
	s_delay_alu instid0(SALU_CYCLE_1) | instskip(NEXT) | instid1(SALU_CYCLE_1)
	s_bitset1_b32 s0, 10
	s_mov_b32 m0, s0
	s_sendmsg sendmsg(MSG_INTERRUPT)
	s_mov_b32 m0, ttmp2
.LBB225_574:                            ; =>This Inner Loop Header: Depth=1
	s_sethalt 5
	s_branch .LBB225_574
.LBB225_575:
	s_cbranch_execnz .LBB225_581
; %bb.576:
	s_or_b32 s8, s8, exec_lo
	s_branch .LBB225_556
.LBB225_577:
	s_trap 2
	s_sendmsg_rtn_b32 s0, sendmsg(MSG_RTN_GET_DOORBELL)
	s_mov_b32 ttmp2, m0
	s_waitcnt lgkmcnt(0)
	s_and_b32 s0, s0, 0x3ff
	s_delay_alu instid0(SALU_CYCLE_1) | instskip(NEXT) | instid1(SALU_CYCLE_1)
	s_bitset1_b32 s0, 10
	s_mov_b32 m0, s0
	s_sendmsg sendmsg(MSG_INTERRUPT)
	s_mov_b32 m0, ttmp2
.LBB225_578:                            ; =>This Inner Loop Header: Depth=1
	s_sethalt 5
	s_branch .LBB225_578
.LBB225_579:
	s_cbranch_execnz .LBB225_583
; %bb.580:
	s_or_b32 s19, s19, exec_lo
	s_branch .LBB225_554
.LBB225_581:
	s_trap 2
	s_sendmsg_rtn_b32 s0, sendmsg(MSG_RTN_GET_DOORBELL)
	s_mov_b32 ttmp2, m0
	s_waitcnt lgkmcnt(0)
	s_and_b32 s0, s0, 0x3ff
	s_delay_alu instid0(SALU_CYCLE_1) | instskip(NEXT) | instid1(SALU_CYCLE_1)
	s_bitset1_b32 s0, 10
	s_mov_b32 m0, s0
	s_sendmsg sendmsg(MSG_INTERRUPT)
	s_mov_b32 m0, ttmp2
.LBB225_582:                            ; =>This Inner Loop Header: Depth=1
	s_sethalt 5
	s_branch .LBB225_582
.LBB225_583:
	s_trap 2
	s_sendmsg_rtn_b32 s0, sendmsg(MSG_RTN_GET_DOORBELL)
	s_mov_b32 ttmp2, m0
	s_waitcnt lgkmcnt(0)
	s_and_b32 s0, s0, 0x3ff
	s_delay_alu instid0(SALU_CYCLE_1) | instskip(NEXT) | instid1(SALU_CYCLE_1)
	s_bitset1_b32 s0, 10
	s_mov_b32 m0, s0
	s_sendmsg sendmsg(MSG_INTERRUPT)
	s_mov_b32 m0, ttmp2
.LBB225_584:                            ; =>This Inner Loop Header: Depth=1
	s_sethalt 5
	s_branch .LBB225_584
.LBB225_585:
	s_cbranch_execnz .LBB225_587
; %bb.586:
	s_mov_b32 s0, exec_lo
	s_branch .LBB225_551
.LBB225_587:
	s_trap 2
	s_sendmsg_rtn_b32 s0, sendmsg(MSG_RTN_GET_DOORBELL)
	s_mov_b32 ttmp2, m0
	s_waitcnt lgkmcnt(0)
	s_and_b32 s0, s0, 0x3ff
	s_delay_alu instid0(SALU_CYCLE_1) | instskip(NEXT) | instid1(SALU_CYCLE_1)
	s_bitset1_b32 s0, 10
	s_mov_b32 m0, s0
	s_sendmsg sendmsg(MSG_INTERRUPT)
	s_mov_b32 m0, ttmp2
.LBB225_588:                            ; =>This Inner Loop Header: Depth=1
	s_sethalt 5
	s_branch .LBB225_588
	.section	.rodata,"a",@progbits
	.p2align	6, 0x0
	.amdhsa_kernel _ZN2at6native6sbtopk10gatherTopKIN3c108BFloat16EmLin1ELb0EEEvNS_4cuda6detail10TensorInfoIKT_T0_EESA_SA_bSA_SA_NS7_IS8_SA_EESA_NS7_IlSA_EESA_PS8_
		.amdhsa_group_segment_fixed_size 5152
		.amdhsa_private_segment_fixed_size 0
		.amdhsa_kernarg_size 1568
		.amdhsa_user_sgpr_count 13
		.amdhsa_user_sgpr_dispatch_ptr 0
		.amdhsa_user_sgpr_queue_ptr 0
		.amdhsa_user_sgpr_kernarg_segment_ptr 1
		.amdhsa_user_sgpr_dispatch_id 0
		.amdhsa_user_sgpr_private_segment_size 0
		.amdhsa_wavefront_size32 1
		.amdhsa_uses_dynamic_stack 0
		.amdhsa_enable_private_segment 0
		.amdhsa_system_sgpr_workgroup_id_x 1
		.amdhsa_system_sgpr_workgroup_id_y 1
		.amdhsa_system_sgpr_workgroup_id_z 1
		.amdhsa_system_sgpr_workgroup_info 0
		.amdhsa_system_vgpr_workitem_id 0
		.amdhsa_next_free_vgpr 52
		.amdhsa_next_free_sgpr 105
		.amdhsa_reserve_vcc 1
		.amdhsa_float_round_mode_32 0
		.amdhsa_float_round_mode_16_64 0
		.amdhsa_float_denorm_mode_32 3
		.amdhsa_float_denorm_mode_16_64 3
		.amdhsa_dx10_clamp 1
		.amdhsa_ieee_mode 1
		.amdhsa_fp16_overflow 0
		.amdhsa_workgroup_processor_mode 1
		.amdhsa_memory_ordered 1
		.amdhsa_forward_progress 0
		.amdhsa_shared_vgpr_count 0
		.amdhsa_exception_fp_ieee_invalid_op 0
		.amdhsa_exception_fp_denorm_src 0
		.amdhsa_exception_fp_ieee_div_zero 0
		.amdhsa_exception_fp_ieee_overflow 0
		.amdhsa_exception_fp_ieee_underflow 0
		.amdhsa_exception_fp_ieee_inexact 0
		.amdhsa_exception_int_div_zero 0
	.end_amdhsa_kernel
	.section	.text._ZN2at6native6sbtopk10gatherTopKIN3c108BFloat16EmLin1ELb0EEEvNS_4cuda6detail10TensorInfoIKT_T0_EESA_SA_bSA_SA_NS7_IS8_SA_EESA_NS7_IlSA_EESA_PS8_,"axG",@progbits,_ZN2at6native6sbtopk10gatherTopKIN3c108BFloat16EmLin1ELb0EEEvNS_4cuda6detail10TensorInfoIKT_T0_EESA_SA_bSA_SA_NS7_IS8_SA_EESA_NS7_IlSA_EESA_PS8_,comdat
.Lfunc_end225:
	.size	_ZN2at6native6sbtopk10gatherTopKIN3c108BFloat16EmLin1ELb0EEEvNS_4cuda6detail10TensorInfoIKT_T0_EESA_SA_bSA_SA_NS7_IS8_SA_EESA_NS7_IlSA_EESA_PS8_, .Lfunc_end225-_ZN2at6native6sbtopk10gatherTopKIN3c108BFloat16EmLin1ELb0EEEvNS_4cuda6detail10TensorInfoIKT_T0_EESA_SA_bSA_SA_NS7_IS8_SA_EESA_NS7_IlSA_EESA_PS8_
                                        ; -- End function
	.section	.AMDGPU.csdata,"",@progbits
; Kernel info:
; codeLenInByte = 32824
; NumSgprs: 107
; NumVgprs: 52
; ScratchSize: 0
; MemoryBound: 0
; FloatMode: 240
; IeeeMode: 1
; LDSByteSize: 5152 bytes/workgroup (compile time only)
; SGPRBlocks: 13
; VGPRBlocks: 6
; NumSGPRsForWavesPerEU: 107
; NumVGPRsForWavesPerEU: 52
; Occupancy: 16
; WaveLimiterHint : 1
; COMPUTE_PGM_RSRC2:SCRATCH_EN: 0
; COMPUTE_PGM_RSRC2:USER_SGPR: 13
; COMPUTE_PGM_RSRC2:TRAP_HANDLER: 0
; COMPUTE_PGM_RSRC2:TGID_X_EN: 1
; COMPUTE_PGM_RSRC2:TGID_Y_EN: 1
; COMPUTE_PGM_RSRC2:TGID_Z_EN: 1
; COMPUTE_PGM_RSRC2:TIDIG_COMP_CNT: 0
	.text
	.p2alignl 7, 3214868480
	.fill 96, 4, 3214868480
	.type	__hip_cuid_55ffe4dbb09e6a5d,@object ; @__hip_cuid_55ffe4dbb09e6a5d
	.section	.bss,"aw",@nobits
	.globl	__hip_cuid_55ffe4dbb09e6a5d
__hip_cuid_55ffe4dbb09e6a5d:
	.byte	0                               ; 0x0
	.size	__hip_cuid_55ffe4dbb09e6a5d, 1

	.ident	"AMD clang version 19.0.0git (https://github.com/RadeonOpenCompute/llvm-project roc-6.4.0 25133 c7fe45cf4b819c5991fe208aaa96edf142730f1d)"
	.section	".note.GNU-stack","",@progbits
	.addrsig
	.addrsig_sym __hip_cuid_55ffe4dbb09e6a5d
	.amdgpu_metadata
---
amdhsa.kernels:
  - .args:
      - .address_space:  global
        .offset:         0
        .size:           8
        .value_kind:     global_buffer
      - .offset:         8
        .size:           4
        .value_kind:     by_value
      - .offset:         12
        .size:           4
        .value_kind:     by_value
      - .offset:         16
        .size:           4
        .value_kind:     hidden_block_count_x
      - .offset:         20
        .size:           4
        .value_kind:     hidden_block_count_y
      - .offset:         24
        .size:           4
        .value_kind:     hidden_block_count_z
      - .offset:         28
        .size:           2
        .value_kind:     hidden_group_size_x
      - .offset:         30
        .size:           2
        .value_kind:     hidden_group_size_y
      - .offset:         32
        .size:           2
        .value_kind:     hidden_group_size_z
      - .offset:         34
        .size:           2
        .value_kind:     hidden_remainder_x
      - .offset:         36
        .size:           2
        .value_kind:     hidden_remainder_y
      - .offset:         38
        .size:           2
        .value_kind:     hidden_remainder_z
      - .offset:         56
        .size:           8
        .value_kind:     hidden_global_offset_x
      - .offset:         64
        .size:           8
        .value_kind:     hidden_global_offset_y
      - .offset:         72
        .size:           8
        .value_kind:     hidden_global_offset_z
      - .offset:         80
        .size:           2
        .value_kind:     hidden_grid_dims
    .group_segment_fixed_size: 0
    .kernarg_segment_align: 8
    .kernarg_segment_size: 272
    .language:       OpenCL C
    .language_version:
      - 2
      - 0
    .max_flat_workgroup_size: 1024
    .name:           _ZN2at6native6mbtopk4fillIjjEEvPT_S3_T0_
    .private_segment_fixed_size: 0
    .sgpr_count:     18
    .sgpr_spill_count: 0
    .symbol:         _ZN2at6native6mbtopk4fillIjjEEvPT_S3_T0_.kd
    .uniform_work_group_size: 1
    .uses_dynamic_stack: false
    .vgpr_count:     5
    .vgpr_spill_count: 0
    .wavefront_size: 32
    .workgroup_processor_mode: 1
  - .args:
      - .offset:         0
        .size:           216
        .value_kind:     by_value
      - .offset:         216
        .size:           4
        .value_kind:     by_value
      - .address_space:  global
        .offset:         224
        .size:           8
        .value_kind:     global_buffer
      - .offset:         232
        .size:           4
        .value_kind:     by_value
      - .offset:         236
        .size:           4
        .value_kind:     by_value
      - .offset:         240
        .size:           4
        .value_kind:     by_value
      - .offset:         244
        .size:           4
        .value_kind:     by_value
      - .offset:         248
        .size:           4
        .value_kind:     by_value
      - .offset:         252
        .size:           4
        .value_kind:     by_value
      - .address_space:  global
        .offset:         256
        .size:           8
        .value_kind:     global_buffer
      - .address_space:  global
        .offset:         264
        .size:           8
        .value_kind:     global_buffer
      - .offset:         272
        .size:           4
        .value_kind:     hidden_block_count_x
      - .offset:         276
        .size:           4
        .value_kind:     hidden_block_count_y
      - .offset:         280
        .size:           4
        .value_kind:     hidden_block_count_z
      - .offset:         284
        .size:           2
        .value_kind:     hidden_group_size_x
      - .offset:         286
        .size:           2
        .value_kind:     hidden_group_size_y
      - .offset:         288
        .size:           2
        .value_kind:     hidden_group_size_z
      - .offset:         290
        .size:           2
        .value_kind:     hidden_remainder_x
      - .offset:         292
        .size:           2
        .value_kind:     hidden_remainder_y
      - .offset:         294
        .size:           2
        .value_kind:     hidden_remainder_z
      - .offset:         312
        .size:           8
        .value_kind:     hidden_global_offset_x
      - .offset:         320
        .size:           8
        .value_kind:     hidden_global_offset_y
      - .offset:         328
        .size:           8
        .value_kind:     hidden_global_offset_z
      - .offset:         336
        .size:           2
        .value_kind:     hidden_grid_dims
    .group_segment_fixed_size: 1024
    .kernarg_segment_align: 8
    .kernarg_segment_size: 528
    .language:       OpenCL C
    .language_version:
      - 2
      - 0
    .max_flat_workgroup_size: 256
    .name:           _ZN2at6native6mbtopk23computeBlockDigitCountsIhjjLi1EEEvNS_4cuda6detail10TensorInfoIKT_T0_EEjPjjS8_iijT1_PSB_Ps
    .private_segment_fixed_size: 0
    .sgpr_count:     20
    .sgpr_spill_count: 0
    .symbol:         _ZN2at6native6mbtopk23computeBlockDigitCountsIhjjLi1EEEvNS_4cuda6detail10TensorInfoIKT_T0_EEjPjjS8_iijT1_PSB_Ps.kd
    .uniform_work_group_size: 1
    .uses_dynamic_stack: false
    .vgpr_count:     10
    .vgpr_spill_count: 0
    .wavefront_size: 32
    .workgroup_processor_mode: 1
  - .args:
      - .address_space:  global
        .offset:         0
        .size:           8
        .value_kind:     global_buffer
      - .address_space:  global
        .offset:         8
        .size:           8
        .value_kind:     global_buffer
      - .address_space:  global
        .offset:         16
        .size:           8
        .value_kind:     global_buffer
      - .offset:         24
        .size:           4
        .value_kind:     by_value
      - .offset:         28
        .size:           4
        .value_kind:     by_value
      - .offset:         32
        .size:           1
        .value_kind:     by_value
      - .address_space:  global
        .offset:         40
        .size:           8
        .value_kind:     global_buffer
      - .address_space:  global
        .offset:         48
        .size:           8
        .value_kind:     global_buffer
      - .address_space:  global
        .offset:         56
        .size:           8
        .value_kind:     global_buffer
      - .address_space:  global
        .offset:         64
        .size:           8
        .value_kind:     global_buffer
      - .address_space:  global
        .offset:         72
        .size:           8
        .value_kind:     global_buffer
      - .offset:         80
        .size:           4
        .value_kind:     by_value
      - .offset:         88
        .size:           4
        .value_kind:     hidden_block_count_x
      - .offset:         92
        .size:           4
        .value_kind:     hidden_block_count_y
      - .offset:         96
        .size:           4
        .value_kind:     hidden_block_count_z
      - .offset:         100
        .size:           2
        .value_kind:     hidden_group_size_x
      - .offset:         102
        .size:           2
        .value_kind:     hidden_group_size_y
      - .offset:         104
        .size:           2
        .value_kind:     hidden_group_size_z
      - .offset:         106
        .size:           2
        .value_kind:     hidden_remainder_x
      - .offset:         108
        .size:           2
        .value_kind:     hidden_remainder_y
      - .offset:         110
        .size:           2
        .value_kind:     hidden_remainder_z
      - .offset:         128
        .size:           8
        .value_kind:     hidden_global_offset_x
      - .offset:         136
        .size:           8
        .value_kind:     hidden_global_offset_y
      - .offset:         144
        .size:           8
        .value_kind:     hidden_global_offset_z
      - .offset:         152
        .size:           2
        .value_kind:     hidden_grid_dims
    .group_segment_fixed_size: 2116
    .kernarg_segment_align: 8
    .kernarg_segment_size: 344
    .language:       OpenCL C
    .language_version:
      - 2
      - 0
    .max_flat_workgroup_size: 256
    .name:           _ZN2at6native6mbtopk29computeBlockwiseWithinKCountsIjhEEvPT_PsPjjibS6_PT0_S6_S4_S6_j
    .private_segment_fixed_size: 0
    .sgpr_count:     30
    .sgpr_spill_count: 0
    .symbol:         _ZN2at6native6mbtopk29computeBlockwiseWithinKCountsIjhEEvPT_PsPjjibS6_PT0_S6_S4_S6_j.kd
    .uniform_work_group_size: 1
    .uses_dynamic_stack: false
    .vgpr_count:     14
    .vgpr_spill_count: 0
    .wavefront_size: 32
    .workgroup_processor_mode: 1
  - .args:
      - .offset:         0
        .size:           216
        .value_kind:     by_value
      - .offset:         216
        .size:           4
        .value_kind:     by_value
      - .offset:         220
        .size:           4
        .value_kind:     by_value
      - .offset:         224
        .size:           1
        .value_kind:     by_value
      - .offset:         228
        .size:           4
        .value_kind:     by_value
      - .offset:         232
        .size:           4
        .value_kind:     by_value
      - .offset:         240
        .size:           216
        .value_kind:     by_value
      - .offset:         456
        .size:           4
        .value_kind:     by_value
      - .offset:         464
        .size:           216
        .value_kind:     by_value
      - .offset:         680
        .size:           4
        .value_kind:     by_value
      - .offset:         684
        .size:           4
        .value_kind:     by_value
      - .offset:         688
        .size:           4
        .value_kind:     by_value
      - .address_space:  global
        .offset:         696
        .size:           8
        .value_kind:     global_buffer
      - .address_space:  global
        .offset:         704
        .size:           8
        .value_kind:     global_buffer
      - .address_space:  global
        .offset:         712
        .size:           8
        .value_kind:     global_buffer
      - .offset:         720
        .size:           4
        .value_kind:     by_value
      - .offset:         728
        .size:           4
        .value_kind:     hidden_block_count_x
      - .offset:         732
        .size:           4
        .value_kind:     hidden_block_count_y
      - .offset:         736
        .size:           4
        .value_kind:     hidden_block_count_z
      - .offset:         740
        .size:           2
        .value_kind:     hidden_group_size_x
      - .offset:         742
        .size:           2
        .value_kind:     hidden_group_size_y
      - .offset:         744
        .size:           2
        .value_kind:     hidden_group_size_z
      - .offset:         746
        .size:           2
        .value_kind:     hidden_remainder_x
      - .offset:         748
        .size:           2
        .value_kind:     hidden_remainder_y
      - .offset:         750
        .size:           2
        .value_kind:     hidden_remainder_z
      - .offset:         768
        .size:           8
        .value_kind:     hidden_global_offset_x
      - .offset:         776
        .size:           8
        .value_kind:     hidden_global_offset_y
      - .offset:         784
        .size:           8
        .value_kind:     hidden_global_offset_z
      - .offset:         792
        .size:           2
        .value_kind:     hidden_grid_dims
    .group_segment_fixed_size: 1068
    .kernarg_segment_align: 8
    .kernarg_segment_size: 984
    .language:       OpenCL C
    .language_version:
      - 2
      - 0
    .max_flat_workgroup_size: 256
    .name:           _ZN2at6native6mbtopk10gatherTopKIhjLi1EEEvNS_4cuda6detail10TensorInfoIKT_T0_EES8_S8_bjS8_NS5_IS6_S8_EES8_NS5_IlS8_EES8_jjPS6_PjSD_j
    .private_segment_fixed_size: 0
    .sgpr_count:     37
    .sgpr_spill_count: 0
    .symbol:         _ZN2at6native6mbtopk10gatherTopKIhjLi1EEEvNS_4cuda6detail10TensorInfoIKT_T0_EES8_S8_bjS8_NS5_IS6_S8_EES8_NS5_IlS8_EES8_jjPS6_PjSD_j.kd
    .uniform_work_group_size: 1
    .uses_dynamic_stack: false
    .vgpr_count:     25
    .vgpr_spill_count: 0
    .wavefront_size: 32
    .workgroup_processor_mode: 1
  - .args:
      - .offset:         0
        .size:           216
        .value_kind:     by_value
      - .offset:         216
        .size:           4
        .value_kind:     by_value
      - .offset:         220
        .size:           4
        .value_kind:     by_value
      - .offset:         224
        .size:           1
        .value_kind:     by_value
      - .offset:         228
        .size:           4
        .value_kind:     by_value
      - .offset:         232
        .size:           4
        .value_kind:     by_value
      - .offset:         240
        .size:           216
        .value_kind:     by_value
      - .offset:         456
        .size:           4
        .value_kind:     by_value
      - .offset:         464
        .size:           216
        .value_kind:     by_value
      - .offset:         680
        .size:           4
        .value_kind:     by_value
      - .address_space:  global
        .offset:         688
        .size:           8
        .value_kind:     global_buffer
      - .offset:         696
        .size:           4
        .value_kind:     hidden_block_count_x
      - .offset:         700
        .size:           4
        .value_kind:     hidden_block_count_y
      - .offset:         704
        .size:           4
        .value_kind:     hidden_block_count_z
      - .offset:         708
        .size:           2
        .value_kind:     hidden_group_size_x
      - .offset:         710
        .size:           2
        .value_kind:     hidden_group_size_y
      - .offset:         712
        .size:           2
        .value_kind:     hidden_group_size_z
      - .offset:         714
        .size:           2
        .value_kind:     hidden_remainder_x
      - .offset:         716
        .size:           2
        .value_kind:     hidden_remainder_y
      - .offset:         718
        .size:           2
        .value_kind:     hidden_remainder_z
      - .offset:         736
        .size:           8
        .value_kind:     hidden_global_offset_x
      - .offset:         744
        .size:           8
        .value_kind:     hidden_global_offset_y
      - .offset:         752
        .size:           8
        .value_kind:     hidden_global_offset_z
      - .offset:         760
        .size:           2
        .value_kind:     hidden_grid_dims
    .group_segment_fixed_size: 4112
    .kernarg_segment_align: 8
    .kernarg_segment_size: 952
    .language:       OpenCL C
    .language_version:
      - 2
      - 0
    .max_flat_workgroup_size: 1024
    .name:           _ZN2at6native6sbtopk10gatherTopKIhjLi1ELb0EEEvNS_4cuda6detail10TensorInfoIKT_T0_EES8_S8_bS8_S8_NS5_IS6_S8_EES8_NS5_IlS8_EES8_PS6_
    .private_segment_fixed_size: 0
    .sgpr_count:     90
    .sgpr_spill_count: 0
    .symbol:         _ZN2at6native6sbtopk10gatherTopKIhjLi1ELb0EEEvNS_4cuda6detail10TensorInfoIKT_T0_EES8_S8_bS8_S8_NS5_IS6_S8_EES8_NS5_IlS8_EES8_PS6_.kd
    .uniform_work_group_size: 1
    .uses_dynamic_stack: false
    .vgpr_count:     40
    .vgpr_spill_count: 0
    .wavefront_size: 32
    .workgroup_processor_mode: 1
  - .args:
      - .offset:         0
        .size:           216
        .value_kind:     by_value
      - .offset:         216
        .size:           4
        .value_kind:     by_value
      - .address_space:  global
        .offset:         224
        .size:           8
        .value_kind:     global_buffer
      - .offset:         232
        .size:           4
        .value_kind:     by_value
      - .offset:         236
        .size:           4
        .value_kind:     by_value
      - .offset:         240
        .size:           4
        .value_kind:     by_value
      - .offset:         244
        .size:           4
        .value_kind:     by_value
      - .offset:         248
        .size:           4
        .value_kind:     by_value
      - .offset:         252
        .size:           4
        .value_kind:     by_value
      - .address_space:  global
        .offset:         256
        .size:           8
        .value_kind:     global_buffer
      - .address_space:  global
        .offset:         264
        .size:           8
        .value_kind:     global_buffer
      - .offset:         272
        .size:           4
        .value_kind:     hidden_block_count_x
      - .offset:         276
        .size:           4
        .value_kind:     hidden_block_count_y
      - .offset:         280
        .size:           4
        .value_kind:     hidden_block_count_z
      - .offset:         284
        .size:           2
        .value_kind:     hidden_group_size_x
      - .offset:         286
        .size:           2
        .value_kind:     hidden_group_size_y
      - .offset:         288
        .size:           2
        .value_kind:     hidden_group_size_z
      - .offset:         290
        .size:           2
        .value_kind:     hidden_remainder_x
      - .offset:         292
        .size:           2
        .value_kind:     hidden_remainder_y
      - .offset:         294
        .size:           2
        .value_kind:     hidden_remainder_z
      - .offset:         312
        .size:           8
        .value_kind:     hidden_global_offset_x
      - .offset:         320
        .size:           8
        .value_kind:     hidden_global_offset_y
      - .offset:         328
        .size:           8
        .value_kind:     hidden_global_offset_z
      - .offset:         336
        .size:           2
        .value_kind:     hidden_grid_dims
    .group_segment_fixed_size: 1024
    .kernarg_segment_align: 8
    .kernarg_segment_size: 528
    .language:       OpenCL C
    .language_version:
      - 2
      - 0
    .max_flat_workgroup_size: 256
    .name:           _ZN2at6native6mbtopk23computeBlockDigitCountsIhjjLi2EEEvNS_4cuda6detail10TensorInfoIKT_T0_EEjPjjS8_iijT1_PSB_Ps
    .private_segment_fixed_size: 0
    .sgpr_count:     25
    .sgpr_spill_count: 0
    .symbol:         _ZN2at6native6mbtopk23computeBlockDigitCountsIhjjLi2EEEvNS_4cuda6detail10TensorInfoIKT_T0_EEjPjjS8_iijT1_PSB_Ps.kd
    .uniform_work_group_size: 1
    .uses_dynamic_stack: false
    .vgpr_count:     10
    .vgpr_spill_count: 0
    .wavefront_size: 32
    .workgroup_processor_mode: 1
  - .args:
      - .offset:         0
        .size:           216
        .value_kind:     by_value
      - .offset:         216
        .size:           4
        .value_kind:     by_value
      - .offset:         220
        .size:           4
        .value_kind:     by_value
      - .offset:         224
        .size:           1
        .value_kind:     by_value
      - .offset:         228
        .size:           4
        .value_kind:     by_value
      - .offset:         232
        .size:           4
        .value_kind:     by_value
      - .offset:         240
        .size:           216
        .value_kind:     by_value
      - .offset:         456
        .size:           4
        .value_kind:     by_value
      - .offset:         464
        .size:           216
        .value_kind:     by_value
      - .offset:         680
        .size:           4
        .value_kind:     by_value
      - .offset:         684
        .size:           4
        .value_kind:     by_value
      - .offset:         688
        .size:           4
        .value_kind:     by_value
      - .address_space:  global
        .offset:         696
        .size:           8
        .value_kind:     global_buffer
      - .address_space:  global
        .offset:         704
        .size:           8
        .value_kind:     global_buffer
      - .address_space:  global
        .offset:         712
        .size:           8
        .value_kind:     global_buffer
      - .offset:         720
        .size:           4
        .value_kind:     by_value
      - .offset:         728
        .size:           4
        .value_kind:     hidden_block_count_x
      - .offset:         732
        .size:           4
        .value_kind:     hidden_block_count_y
      - .offset:         736
        .size:           4
        .value_kind:     hidden_block_count_z
      - .offset:         740
        .size:           2
        .value_kind:     hidden_group_size_x
      - .offset:         742
        .size:           2
        .value_kind:     hidden_group_size_y
      - .offset:         744
        .size:           2
        .value_kind:     hidden_group_size_z
      - .offset:         746
        .size:           2
        .value_kind:     hidden_remainder_x
      - .offset:         748
        .size:           2
        .value_kind:     hidden_remainder_y
      - .offset:         750
        .size:           2
        .value_kind:     hidden_remainder_z
      - .offset:         768
        .size:           8
        .value_kind:     hidden_global_offset_x
      - .offset:         776
        .size:           8
        .value_kind:     hidden_global_offset_y
      - .offset:         784
        .size:           8
        .value_kind:     hidden_global_offset_z
      - .offset:         792
        .size:           2
        .value_kind:     hidden_grid_dims
    .group_segment_fixed_size: 1068
    .kernarg_segment_align: 8
    .kernarg_segment_size: 984
    .language:       OpenCL C
    .language_version:
      - 2
      - 0
    .max_flat_workgroup_size: 256
    .name:           _ZN2at6native6mbtopk10gatherTopKIhjLi2EEEvNS_4cuda6detail10TensorInfoIKT_T0_EES8_S8_bjS8_NS5_IS6_S8_EES8_NS5_IlS8_EES8_jjPS6_PjSD_j
    .private_segment_fixed_size: 0
    .sgpr_count:     49
    .sgpr_spill_count: 0
    .symbol:         _ZN2at6native6mbtopk10gatherTopKIhjLi2EEEvNS_4cuda6detail10TensorInfoIKT_T0_EES8_S8_bjS8_NS5_IS6_S8_EES8_NS5_IlS8_EES8_jjPS6_PjSD_j.kd
    .uniform_work_group_size: 1
    .uses_dynamic_stack: false
    .vgpr_count:     25
    .vgpr_spill_count: 0
    .wavefront_size: 32
    .workgroup_processor_mode: 1
  - .args:
      - .offset:         0
        .size:           216
        .value_kind:     by_value
      - .offset:         216
        .size:           4
        .value_kind:     by_value
      - .offset:         220
        .size:           4
        .value_kind:     by_value
      - .offset:         224
        .size:           1
        .value_kind:     by_value
      - .offset:         228
        .size:           4
        .value_kind:     by_value
      - .offset:         232
        .size:           4
        .value_kind:     by_value
      - .offset:         240
        .size:           216
        .value_kind:     by_value
      - .offset:         456
        .size:           4
        .value_kind:     by_value
      - .offset:         464
        .size:           216
        .value_kind:     by_value
      - .offset:         680
        .size:           4
        .value_kind:     by_value
      - .address_space:  global
        .offset:         688
        .size:           8
        .value_kind:     global_buffer
      - .offset:         696
        .size:           4
        .value_kind:     hidden_block_count_x
      - .offset:         700
        .size:           4
        .value_kind:     hidden_block_count_y
      - .offset:         704
        .size:           4
        .value_kind:     hidden_block_count_z
      - .offset:         708
        .size:           2
        .value_kind:     hidden_group_size_x
      - .offset:         710
        .size:           2
        .value_kind:     hidden_group_size_y
      - .offset:         712
        .size:           2
        .value_kind:     hidden_group_size_z
      - .offset:         714
        .size:           2
        .value_kind:     hidden_remainder_x
      - .offset:         716
        .size:           2
        .value_kind:     hidden_remainder_y
      - .offset:         718
        .size:           2
        .value_kind:     hidden_remainder_z
      - .offset:         736
        .size:           8
        .value_kind:     hidden_global_offset_x
      - .offset:         744
        .size:           8
        .value_kind:     hidden_global_offset_y
      - .offset:         752
        .size:           8
        .value_kind:     hidden_global_offset_z
      - .offset:         760
        .size:           2
        .value_kind:     hidden_grid_dims
    .group_segment_fixed_size: 4112
    .kernarg_segment_align: 8
    .kernarg_segment_size: 952
    .language:       OpenCL C
    .language_version:
      - 2
      - 0
    .max_flat_workgroup_size: 1024
    .name:           _ZN2at6native6sbtopk10gatherTopKIhjLi2ELb0EEEvNS_4cuda6detail10TensorInfoIKT_T0_EES8_S8_bS8_S8_NS5_IS6_S8_EES8_NS5_IlS8_EES8_PS6_
    .private_segment_fixed_size: 0
    .sgpr_count:     96
    .sgpr_spill_count: 0
    .symbol:         _ZN2at6native6sbtopk10gatherTopKIhjLi2ELb0EEEvNS_4cuda6detail10TensorInfoIKT_T0_EES8_S8_bS8_S8_NS5_IS6_S8_EES8_NS5_IlS8_EES8_PS6_.kd
    .uniform_work_group_size: 1
    .uses_dynamic_stack: false
    .vgpr_count:     40
    .vgpr_spill_count: 0
    .wavefront_size: 32
    .workgroup_processor_mode: 1
  - .args:
      - .offset:         0
        .size:           216
        .value_kind:     by_value
      - .offset:         216
        .size:           4
        .value_kind:     by_value
      - .address_space:  global
        .offset:         224
        .size:           8
        .value_kind:     global_buffer
      - .offset:         232
        .size:           4
        .value_kind:     by_value
      - .offset:         236
        .size:           4
        .value_kind:     by_value
      - .offset:         240
        .size:           4
        .value_kind:     by_value
      - .offset:         244
        .size:           4
        .value_kind:     by_value
      - .offset:         248
        .size:           4
        .value_kind:     by_value
      - .offset:         252
        .size:           4
        .value_kind:     by_value
      - .address_space:  global
        .offset:         256
        .size:           8
        .value_kind:     global_buffer
      - .address_space:  global
        .offset:         264
        .size:           8
        .value_kind:     global_buffer
      - .offset:         272
        .size:           4
        .value_kind:     hidden_block_count_x
      - .offset:         276
        .size:           4
        .value_kind:     hidden_block_count_y
      - .offset:         280
        .size:           4
        .value_kind:     hidden_block_count_z
      - .offset:         284
        .size:           2
        .value_kind:     hidden_group_size_x
      - .offset:         286
        .size:           2
        .value_kind:     hidden_group_size_y
      - .offset:         288
        .size:           2
        .value_kind:     hidden_group_size_z
      - .offset:         290
        .size:           2
        .value_kind:     hidden_remainder_x
      - .offset:         292
        .size:           2
        .value_kind:     hidden_remainder_y
      - .offset:         294
        .size:           2
        .value_kind:     hidden_remainder_z
      - .offset:         312
        .size:           8
        .value_kind:     hidden_global_offset_x
      - .offset:         320
        .size:           8
        .value_kind:     hidden_global_offset_y
      - .offset:         328
        .size:           8
        .value_kind:     hidden_global_offset_z
      - .offset:         336
        .size:           2
        .value_kind:     hidden_grid_dims
    .group_segment_fixed_size: 1024
    .kernarg_segment_align: 8
    .kernarg_segment_size: 528
    .language:       OpenCL C
    .language_version:
      - 2
      - 0
    .max_flat_workgroup_size: 256
    .name:           _ZN2at6native6mbtopk23computeBlockDigitCountsIhjjLi3EEEvNS_4cuda6detail10TensorInfoIKT_T0_EEjPjjS8_iijT1_PSB_Ps
    .private_segment_fixed_size: 0
    .sgpr_count:     28
    .sgpr_spill_count: 0
    .symbol:         _ZN2at6native6mbtopk23computeBlockDigitCountsIhjjLi3EEEvNS_4cuda6detail10TensorInfoIKT_T0_EEjPjjS8_iijT1_PSB_Ps.kd
    .uniform_work_group_size: 1
    .uses_dynamic_stack: false
    .vgpr_count:     10
    .vgpr_spill_count: 0
    .wavefront_size: 32
    .workgroup_processor_mode: 1
  - .args:
      - .offset:         0
        .size:           216
        .value_kind:     by_value
      - .offset:         216
        .size:           4
        .value_kind:     by_value
      - .offset:         220
        .size:           4
        .value_kind:     by_value
      - .offset:         224
        .size:           1
        .value_kind:     by_value
      - .offset:         228
        .size:           4
        .value_kind:     by_value
      - .offset:         232
        .size:           4
        .value_kind:     by_value
      - .offset:         240
        .size:           216
        .value_kind:     by_value
      - .offset:         456
        .size:           4
        .value_kind:     by_value
      - .offset:         464
        .size:           216
        .value_kind:     by_value
      - .offset:         680
        .size:           4
        .value_kind:     by_value
      - .offset:         684
        .size:           4
        .value_kind:     by_value
      - .offset:         688
        .size:           4
        .value_kind:     by_value
      - .address_space:  global
        .offset:         696
        .size:           8
        .value_kind:     global_buffer
      - .address_space:  global
        .offset:         704
        .size:           8
        .value_kind:     global_buffer
      - .address_space:  global
        .offset:         712
        .size:           8
        .value_kind:     global_buffer
      - .offset:         720
        .size:           4
        .value_kind:     by_value
      - .offset:         728
        .size:           4
        .value_kind:     hidden_block_count_x
      - .offset:         732
        .size:           4
        .value_kind:     hidden_block_count_y
      - .offset:         736
        .size:           4
        .value_kind:     hidden_block_count_z
      - .offset:         740
        .size:           2
        .value_kind:     hidden_group_size_x
      - .offset:         742
        .size:           2
        .value_kind:     hidden_group_size_y
      - .offset:         744
        .size:           2
        .value_kind:     hidden_group_size_z
      - .offset:         746
        .size:           2
        .value_kind:     hidden_remainder_x
      - .offset:         748
        .size:           2
        .value_kind:     hidden_remainder_y
      - .offset:         750
        .size:           2
        .value_kind:     hidden_remainder_z
      - .offset:         768
        .size:           8
        .value_kind:     hidden_global_offset_x
      - .offset:         776
        .size:           8
        .value_kind:     hidden_global_offset_y
      - .offset:         784
        .size:           8
        .value_kind:     hidden_global_offset_z
      - .offset:         792
        .size:           2
        .value_kind:     hidden_grid_dims
    .group_segment_fixed_size: 1068
    .kernarg_segment_align: 8
    .kernarg_segment_size: 984
    .language:       OpenCL C
    .language_version:
      - 2
      - 0
    .max_flat_workgroup_size: 256
    .name:           _ZN2at6native6mbtopk10gatherTopKIhjLi3EEEvNS_4cuda6detail10TensorInfoIKT_T0_EES8_S8_bjS8_NS5_IS6_S8_EES8_NS5_IlS8_EES8_jjPS6_PjSD_j
    .private_segment_fixed_size: 0
    .sgpr_count:     58
    .sgpr_spill_count: 0
    .symbol:         _ZN2at6native6mbtopk10gatherTopKIhjLi3EEEvNS_4cuda6detail10TensorInfoIKT_T0_EES8_S8_bjS8_NS5_IS6_S8_EES8_NS5_IlS8_EES8_jjPS6_PjSD_j.kd
    .uniform_work_group_size: 1
    .uses_dynamic_stack: false
    .vgpr_count:     25
    .vgpr_spill_count: 0
    .wavefront_size: 32
    .workgroup_processor_mode: 1
  - .args:
      - .offset:         0
        .size:           216
        .value_kind:     by_value
      - .offset:         216
        .size:           4
        .value_kind:     by_value
      - .offset:         220
        .size:           4
        .value_kind:     by_value
      - .offset:         224
        .size:           1
        .value_kind:     by_value
      - .offset:         228
        .size:           4
        .value_kind:     by_value
      - .offset:         232
        .size:           4
        .value_kind:     by_value
      - .offset:         240
        .size:           216
        .value_kind:     by_value
      - .offset:         456
        .size:           4
        .value_kind:     by_value
      - .offset:         464
        .size:           216
        .value_kind:     by_value
      - .offset:         680
        .size:           4
        .value_kind:     by_value
      - .address_space:  global
        .offset:         688
        .size:           8
        .value_kind:     global_buffer
      - .offset:         696
        .size:           4
        .value_kind:     hidden_block_count_x
      - .offset:         700
        .size:           4
        .value_kind:     hidden_block_count_y
      - .offset:         704
        .size:           4
        .value_kind:     hidden_block_count_z
      - .offset:         708
        .size:           2
        .value_kind:     hidden_group_size_x
      - .offset:         710
        .size:           2
        .value_kind:     hidden_group_size_y
      - .offset:         712
        .size:           2
        .value_kind:     hidden_group_size_z
      - .offset:         714
        .size:           2
        .value_kind:     hidden_remainder_x
      - .offset:         716
        .size:           2
        .value_kind:     hidden_remainder_y
      - .offset:         718
        .size:           2
        .value_kind:     hidden_remainder_z
      - .offset:         736
        .size:           8
        .value_kind:     hidden_global_offset_x
      - .offset:         744
        .size:           8
        .value_kind:     hidden_global_offset_y
      - .offset:         752
        .size:           8
        .value_kind:     hidden_global_offset_z
      - .offset:         760
        .size:           2
        .value_kind:     hidden_grid_dims
    .group_segment_fixed_size: 4112
    .kernarg_segment_align: 8
    .kernarg_segment_size: 952
    .language:       OpenCL C
    .language_version:
      - 2
      - 0
    .max_flat_workgroup_size: 1024
    .name:           _ZN2at6native6sbtopk10gatherTopKIhjLi3ELb0EEEvNS_4cuda6detail10TensorInfoIKT_T0_EES8_S8_bS8_S8_NS5_IS6_S8_EES8_NS5_IlS8_EES8_PS6_
    .private_segment_fixed_size: 0
    .sgpr_count:     102
    .sgpr_spill_count: 0
    .symbol:         _ZN2at6native6sbtopk10gatherTopKIhjLi3ELb0EEEvNS_4cuda6detail10TensorInfoIKT_T0_EES8_S8_bS8_S8_NS5_IS6_S8_EES8_NS5_IlS8_EES8_PS6_.kd
    .uniform_work_group_size: 1
    .uses_dynamic_stack: false
    .vgpr_count:     40
    .vgpr_spill_count: 0
    .wavefront_size: 32
    .workgroup_processor_mode: 1
  - .args:
      - .offset:         0
        .size:           216
        .value_kind:     by_value
      - .offset:         216
        .size:           4
        .value_kind:     by_value
      - .address_space:  global
        .offset:         224
        .size:           8
        .value_kind:     global_buffer
      - .offset:         232
        .size:           4
        .value_kind:     by_value
      - .offset:         236
        .size:           4
        .value_kind:     by_value
      - .offset:         240
        .size:           4
        .value_kind:     by_value
      - .offset:         244
        .size:           4
        .value_kind:     by_value
      - .offset:         248
        .size:           4
        .value_kind:     by_value
      - .offset:         252
        .size:           4
        .value_kind:     by_value
      - .address_space:  global
        .offset:         256
        .size:           8
        .value_kind:     global_buffer
      - .address_space:  global
        .offset:         264
        .size:           8
        .value_kind:     global_buffer
      - .offset:         272
        .size:           4
        .value_kind:     hidden_block_count_x
      - .offset:         276
        .size:           4
        .value_kind:     hidden_block_count_y
      - .offset:         280
        .size:           4
        .value_kind:     hidden_block_count_z
      - .offset:         284
        .size:           2
        .value_kind:     hidden_group_size_x
      - .offset:         286
        .size:           2
        .value_kind:     hidden_group_size_y
      - .offset:         288
        .size:           2
        .value_kind:     hidden_group_size_z
      - .offset:         290
        .size:           2
        .value_kind:     hidden_remainder_x
      - .offset:         292
        .size:           2
        .value_kind:     hidden_remainder_y
      - .offset:         294
        .size:           2
        .value_kind:     hidden_remainder_z
      - .offset:         312
        .size:           8
        .value_kind:     hidden_global_offset_x
      - .offset:         320
        .size:           8
        .value_kind:     hidden_global_offset_y
      - .offset:         328
        .size:           8
        .value_kind:     hidden_global_offset_z
      - .offset:         336
        .size:           2
        .value_kind:     hidden_grid_dims
    .group_segment_fixed_size: 1024
    .kernarg_segment_align: 8
    .kernarg_segment_size: 528
    .language:       OpenCL C
    .language_version:
      - 2
      - 0
    .max_flat_workgroup_size: 256
    .name:           _ZN2at6native6mbtopk23computeBlockDigitCountsIhjjLin1EEEvNS_4cuda6detail10TensorInfoIKT_T0_EEjPjjS8_iijT1_PSB_Ps
    .private_segment_fixed_size: 0
    .sgpr_count:     26
    .sgpr_spill_count: 0
    .symbol:         _ZN2at6native6mbtopk23computeBlockDigitCountsIhjjLin1EEEvNS_4cuda6detail10TensorInfoIKT_T0_EEjPjjS8_iijT1_PSB_Ps.kd
    .uniform_work_group_size: 1
    .uses_dynamic_stack: false
    .vgpr_count:     10
    .vgpr_spill_count: 0
    .wavefront_size: 32
    .workgroup_processor_mode: 1
  - .args:
      - .offset:         0
        .size:           216
        .value_kind:     by_value
      - .offset:         216
        .size:           4
        .value_kind:     by_value
      - .offset:         220
        .size:           4
        .value_kind:     by_value
      - .offset:         224
        .size:           1
        .value_kind:     by_value
      - .offset:         228
        .size:           4
        .value_kind:     by_value
      - .offset:         232
        .size:           4
        .value_kind:     by_value
      - .offset:         240
        .size:           216
        .value_kind:     by_value
      - .offset:         456
        .size:           4
        .value_kind:     by_value
      - .offset:         464
        .size:           216
        .value_kind:     by_value
      - .offset:         680
        .size:           4
        .value_kind:     by_value
      - .offset:         684
        .size:           4
        .value_kind:     by_value
      - .offset:         688
        .size:           4
        .value_kind:     by_value
      - .address_space:  global
        .offset:         696
        .size:           8
        .value_kind:     global_buffer
      - .address_space:  global
        .offset:         704
        .size:           8
        .value_kind:     global_buffer
      - .address_space:  global
        .offset:         712
        .size:           8
        .value_kind:     global_buffer
      - .offset:         720
        .size:           4
        .value_kind:     by_value
      - .offset:         728
        .size:           4
        .value_kind:     hidden_block_count_x
      - .offset:         732
        .size:           4
        .value_kind:     hidden_block_count_y
      - .offset:         736
        .size:           4
        .value_kind:     hidden_block_count_z
      - .offset:         740
        .size:           2
        .value_kind:     hidden_group_size_x
      - .offset:         742
        .size:           2
        .value_kind:     hidden_group_size_y
      - .offset:         744
        .size:           2
        .value_kind:     hidden_group_size_z
      - .offset:         746
        .size:           2
        .value_kind:     hidden_remainder_x
      - .offset:         748
        .size:           2
        .value_kind:     hidden_remainder_y
      - .offset:         750
        .size:           2
        .value_kind:     hidden_remainder_z
      - .offset:         768
        .size:           8
        .value_kind:     hidden_global_offset_x
      - .offset:         776
        .size:           8
        .value_kind:     hidden_global_offset_y
      - .offset:         784
        .size:           8
        .value_kind:     hidden_global_offset_z
      - .offset:         792
        .size:           2
        .value_kind:     hidden_grid_dims
    .group_segment_fixed_size: 1068
    .kernarg_segment_align: 8
    .kernarg_segment_size: 984
    .language:       OpenCL C
    .language_version:
      - 2
      - 0
    .max_flat_workgroup_size: 256
    .name:           _ZN2at6native6mbtopk10gatherTopKIhjLin1EEEvNS_4cuda6detail10TensorInfoIKT_T0_EES8_S8_bjS8_NS5_IS6_S8_EES8_NS5_IlS8_EES8_jjPS6_PjSD_j
    .private_segment_fixed_size: 0
    .sgpr_count:     44
    .sgpr_spill_count: 0
    .symbol:         _ZN2at6native6mbtopk10gatherTopKIhjLin1EEEvNS_4cuda6detail10TensorInfoIKT_T0_EES8_S8_bjS8_NS5_IS6_S8_EES8_NS5_IlS8_EES8_jjPS6_PjSD_j.kd
    .uniform_work_group_size: 1
    .uses_dynamic_stack: false
    .vgpr_count:     25
    .vgpr_spill_count: 0
    .wavefront_size: 32
    .workgroup_processor_mode: 1
  - .args:
      - .offset:         0
        .size:           216
        .value_kind:     by_value
      - .offset:         216
        .size:           4
        .value_kind:     by_value
      - .offset:         220
        .size:           4
        .value_kind:     by_value
      - .offset:         224
        .size:           1
        .value_kind:     by_value
      - .offset:         228
        .size:           4
        .value_kind:     by_value
      - .offset:         232
        .size:           4
        .value_kind:     by_value
      - .offset:         240
        .size:           216
        .value_kind:     by_value
      - .offset:         456
        .size:           4
        .value_kind:     by_value
      - .offset:         464
        .size:           216
        .value_kind:     by_value
      - .offset:         680
        .size:           4
        .value_kind:     by_value
      - .address_space:  global
        .offset:         688
        .size:           8
        .value_kind:     global_buffer
      - .offset:         696
        .size:           4
        .value_kind:     hidden_block_count_x
      - .offset:         700
        .size:           4
        .value_kind:     hidden_block_count_y
      - .offset:         704
        .size:           4
        .value_kind:     hidden_block_count_z
      - .offset:         708
        .size:           2
        .value_kind:     hidden_group_size_x
      - .offset:         710
        .size:           2
        .value_kind:     hidden_group_size_y
      - .offset:         712
        .size:           2
        .value_kind:     hidden_group_size_z
      - .offset:         714
        .size:           2
        .value_kind:     hidden_remainder_x
      - .offset:         716
        .size:           2
        .value_kind:     hidden_remainder_y
      - .offset:         718
        .size:           2
        .value_kind:     hidden_remainder_z
      - .offset:         736
        .size:           8
        .value_kind:     hidden_global_offset_x
      - .offset:         744
        .size:           8
        .value_kind:     hidden_global_offset_y
      - .offset:         752
        .size:           8
        .value_kind:     hidden_global_offset_z
      - .offset:         760
        .size:           2
        .value_kind:     hidden_grid_dims
    .group_segment_fixed_size: 4112
    .kernarg_segment_align: 8
    .kernarg_segment_size: 952
    .language:       OpenCL C
    .language_version:
      - 2
      - 0
    .max_flat_workgroup_size: 1024
    .name:           _ZN2at6native6sbtopk10gatherTopKIhjLin1ELb0EEEvNS_4cuda6detail10TensorInfoIKT_T0_EES8_S8_bS8_S8_NS5_IS6_S8_EES8_NS5_IlS8_EES8_PS6_
    .private_segment_fixed_size: 0
    .sgpr_count:     93
    .sgpr_spill_count: 0
    .symbol:         _ZN2at6native6sbtopk10gatherTopKIhjLin1ELb0EEEvNS_4cuda6detail10TensorInfoIKT_T0_EES8_S8_bS8_S8_NS5_IS6_S8_EES8_NS5_IlS8_EES8_PS6_.kd
    .uniform_work_group_size: 1
    .uses_dynamic_stack: false
    .vgpr_count:     40
    .vgpr_spill_count: 0
    .wavefront_size: 32
    .workgroup_processor_mode: 1
  - .args:
      - .offset:         0
        .size:           216
        .value_kind:     by_value
      - .offset:         216
        .size:           4
        .value_kind:     by_value
      - .address_space:  global
        .offset:         224
        .size:           8
        .value_kind:     global_buffer
      - .offset:         232
        .size:           4
        .value_kind:     by_value
      - .offset:         236
        .size:           4
        .value_kind:     by_value
      - .offset:         240
        .size:           4
        .value_kind:     by_value
      - .offset:         244
        .size:           4
        .value_kind:     by_value
      - .offset:         248
        .size:           4
        .value_kind:     by_value
      - .offset:         252
        .size:           4
        .value_kind:     by_value
      - .address_space:  global
        .offset:         256
        .size:           8
        .value_kind:     global_buffer
      - .address_space:  global
        .offset:         264
        .size:           8
        .value_kind:     global_buffer
      - .offset:         272
        .size:           4
        .value_kind:     hidden_block_count_x
      - .offset:         276
        .size:           4
        .value_kind:     hidden_block_count_y
      - .offset:         280
        .size:           4
        .value_kind:     hidden_block_count_z
      - .offset:         284
        .size:           2
        .value_kind:     hidden_group_size_x
      - .offset:         286
        .size:           2
        .value_kind:     hidden_group_size_y
      - .offset:         288
        .size:           2
        .value_kind:     hidden_group_size_z
      - .offset:         290
        .size:           2
        .value_kind:     hidden_remainder_x
      - .offset:         292
        .size:           2
        .value_kind:     hidden_remainder_y
      - .offset:         294
        .size:           2
        .value_kind:     hidden_remainder_z
      - .offset:         312
        .size:           8
        .value_kind:     hidden_global_offset_x
      - .offset:         320
        .size:           8
        .value_kind:     hidden_global_offset_y
      - .offset:         328
        .size:           8
        .value_kind:     hidden_global_offset_z
      - .offset:         336
        .size:           2
        .value_kind:     hidden_grid_dims
    .group_segment_fixed_size: 1024
    .kernarg_segment_align: 8
    .kernarg_segment_size: 528
    .language:       OpenCL C
    .language_version:
      - 2
      - 0
    .max_flat_workgroup_size: 256
    .name:           _ZN2at6native6mbtopk23computeBlockDigitCountsIajjLi1EEEvNS_4cuda6detail10TensorInfoIKT_T0_EEjPjjS8_iijT1_PSB_Ps
    .private_segment_fixed_size: 0
    .sgpr_count:     20
    .sgpr_spill_count: 0
    .symbol:         _ZN2at6native6mbtopk23computeBlockDigitCountsIajjLi1EEEvNS_4cuda6detail10TensorInfoIKT_T0_EEjPjjS8_iijT1_PSB_Ps.kd
    .uniform_work_group_size: 1
    .uses_dynamic_stack: false
    .vgpr_count:     10
    .vgpr_spill_count: 0
    .wavefront_size: 32
    .workgroup_processor_mode: 1
  - .args:
      - .address_space:  global
        .offset:         0
        .size:           8
        .value_kind:     global_buffer
      - .address_space:  global
        .offset:         8
        .size:           8
        .value_kind:     global_buffer
      - .address_space:  global
        .offset:         16
        .size:           8
        .value_kind:     global_buffer
      - .offset:         24
        .size:           4
        .value_kind:     by_value
      - .offset:         28
        .size:           4
        .value_kind:     by_value
      - .offset:         32
        .size:           1
        .value_kind:     by_value
      - .address_space:  global
        .offset:         40
        .size:           8
        .value_kind:     global_buffer
      - .address_space:  global
        .offset:         48
        .size:           8
        .value_kind:     global_buffer
      - .address_space:  global
        .offset:         56
        .size:           8
        .value_kind:     global_buffer
      - .address_space:  global
        .offset:         64
        .size:           8
        .value_kind:     global_buffer
      - .address_space:  global
        .offset:         72
        .size:           8
        .value_kind:     global_buffer
      - .offset:         80
        .size:           4
        .value_kind:     by_value
      - .offset:         88
        .size:           4
        .value_kind:     hidden_block_count_x
      - .offset:         92
        .size:           4
        .value_kind:     hidden_block_count_y
      - .offset:         96
        .size:           4
        .value_kind:     hidden_block_count_z
      - .offset:         100
        .size:           2
        .value_kind:     hidden_group_size_x
      - .offset:         102
        .size:           2
        .value_kind:     hidden_group_size_y
      - .offset:         104
        .size:           2
        .value_kind:     hidden_group_size_z
      - .offset:         106
        .size:           2
        .value_kind:     hidden_remainder_x
      - .offset:         108
        .size:           2
        .value_kind:     hidden_remainder_y
      - .offset:         110
        .size:           2
        .value_kind:     hidden_remainder_z
      - .offset:         128
        .size:           8
        .value_kind:     hidden_global_offset_x
      - .offset:         136
        .size:           8
        .value_kind:     hidden_global_offset_y
      - .offset:         144
        .size:           8
        .value_kind:     hidden_global_offset_z
      - .offset:         152
        .size:           2
        .value_kind:     hidden_grid_dims
    .group_segment_fixed_size: 2116
    .kernarg_segment_align: 8
    .kernarg_segment_size: 344
    .language:       OpenCL C
    .language_version:
      - 2
      - 0
    .max_flat_workgroup_size: 256
    .name:           _ZN2at6native6mbtopk29computeBlockwiseWithinKCountsIjaEEvPT_PsPjjibS6_PT0_S6_S4_S6_j
    .private_segment_fixed_size: 0
    .sgpr_count:     30
    .sgpr_spill_count: 0
    .symbol:         _ZN2at6native6mbtopk29computeBlockwiseWithinKCountsIjaEEvPT_PsPjjibS6_PT0_S6_S4_S6_j.kd
    .uniform_work_group_size: 1
    .uses_dynamic_stack: false
    .vgpr_count:     14
    .vgpr_spill_count: 0
    .wavefront_size: 32
    .workgroup_processor_mode: 1
  - .args:
      - .offset:         0
        .size:           216
        .value_kind:     by_value
      - .offset:         216
        .size:           4
        .value_kind:     by_value
      - .offset:         220
        .size:           4
        .value_kind:     by_value
      - .offset:         224
        .size:           1
        .value_kind:     by_value
      - .offset:         228
        .size:           4
        .value_kind:     by_value
      - .offset:         232
        .size:           4
        .value_kind:     by_value
      - .offset:         240
        .size:           216
        .value_kind:     by_value
      - .offset:         456
        .size:           4
        .value_kind:     by_value
      - .offset:         464
        .size:           216
        .value_kind:     by_value
      - .offset:         680
        .size:           4
        .value_kind:     by_value
      - .offset:         684
        .size:           4
        .value_kind:     by_value
      - .offset:         688
        .size:           4
        .value_kind:     by_value
      - .address_space:  global
        .offset:         696
        .size:           8
        .value_kind:     global_buffer
      - .address_space:  global
        .offset:         704
        .size:           8
        .value_kind:     global_buffer
      - .address_space:  global
        .offset:         712
        .size:           8
        .value_kind:     global_buffer
      - .offset:         720
        .size:           4
        .value_kind:     by_value
      - .offset:         728
        .size:           4
        .value_kind:     hidden_block_count_x
      - .offset:         732
        .size:           4
        .value_kind:     hidden_block_count_y
      - .offset:         736
        .size:           4
        .value_kind:     hidden_block_count_z
      - .offset:         740
        .size:           2
        .value_kind:     hidden_group_size_x
      - .offset:         742
        .size:           2
        .value_kind:     hidden_group_size_y
      - .offset:         744
        .size:           2
        .value_kind:     hidden_group_size_z
      - .offset:         746
        .size:           2
        .value_kind:     hidden_remainder_x
      - .offset:         748
        .size:           2
        .value_kind:     hidden_remainder_y
      - .offset:         750
        .size:           2
        .value_kind:     hidden_remainder_z
      - .offset:         768
        .size:           8
        .value_kind:     hidden_global_offset_x
      - .offset:         776
        .size:           8
        .value_kind:     hidden_global_offset_y
      - .offset:         784
        .size:           8
        .value_kind:     hidden_global_offset_z
      - .offset:         792
        .size:           2
        .value_kind:     hidden_grid_dims
    .group_segment_fixed_size: 1068
    .kernarg_segment_align: 8
    .kernarg_segment_size: 984
    .language:       OpenCL C
    .language_version:
      - 2
      - 0
    .max_flat_workgroup_size: 256
    .name:           _ZN2at6native6mbtopk10gatherTopKIajLi1EEEvNS_4cuda6detail10TensorInfoIKT_T0_EES8_S8_bjS8_NS5_IS6_S8_EES8_NS5_IlS8_EES8_jjPS6_PjSD_j
    .private_segment_fixed_size: 0
    .sgpr_count:     37
    .sgpr_spill_count: 0
    .symbol:         _ZN2at6native6mbtopk10gatherTopKIajLi1EEEvNS_4cuda6detail10TensorInfoIKT_T0_EES8_S8_bjS8_NS5_IS6_S8_EES8_NS5_IlS8_EES8_jjPS6_PjSD_j.kd
    .uniform_work_group_size: 1
    .uses_dynamic_stack: false
    .vgpr_count:     26
    .vgpr_spill_count: 0
    .wavefront_size: 32
    .workgroup_processor_mode: 1
  - .args:
      - .offset:         0
        .size:           216
        .value_kind:     by_value
      - .offset:         216
        .size:           4
        .value_kind:     by_value
      - .offset:         220
        .size:           4
        .value_kind:     by_value
      - .offset:         224
        .size:           1
        .value_kind:     by_value
      - .offset:         228
        .size:           4
        .value_kind:     by_value
      - .offset:         232
        .size:           4
        .value_kind:     by_value
      - .offset:         240
        .size:           216
        .value_kind:     by_value
      - .offset:         456
        .size:           4
        .value_kind:     by_value
      - .offset:         464
        .size:           216
        .value_kind:     by_value
      - .offset:         680
        .size:           4
        .value_kind:     by_value
      - .address_space:  global
        .offset:         688
        .size:           8
        .value_kind:     global_buffer
      - .offset:         696
        .size:           4
        .value_kind:     hidden_block_count_x
      - .offset:         700
        .size:           4
        .value_kind:     hidden_block_count_y
      - .offset:         704
        .size:           4
        .value_kind:     hidden_block_count_z
      - .offset:         708
        .size:           2
        .value_kind:     hidden_group_size_x
      - .offset:         710
        .size:           2
        .value_kind:     hidden_group_size_y
      - .offset:         712
        .size:           2
        .value_kind:     hidden_group_size_z
      - .offset:         714
        .size:           2
        .value_kind:     hidden_remainder_x
      - .offset:         716
        .size:           2
        .value_kind:     hidden_remainder_y
      - .offset:         718
        .size:           2
        .value_kind:     hidden_remainder_z
      - .offset:         736
        .size:           8
        .value_kind:     hidden_global_offset_x
      - .offset:         744
        .size:           8
        .value_kind:     hidden_global_offset_y
      - .offset:         752
        .size:           8
        .value_kind:     hidden_global_offset_z
      - .offset:         760
        .size:           2
        .value_kind:     hidden_grid_dims
    .group_segment_fixed_size: 4112
    .kernarg_segment_align: 8
    .kernarg_segment_size: 952
    .language:       OpenCL C
    .language_version:
      - 2
      - 0
    .max_flat_workgroup_size: 1024
    .name:           _ZN2at6native6sbtopk10gatherTopKIajLi1ELb0EEEvNS_4cuda6detail10TensorInfoIKT_T0_EES8_S8_bS8_S8_NS5_IS6_S8_EES8_NS5_IlS8_EES8_PS6_
    .private_segment_fixed_size: 0
    .sgpr_count:     90
    .sgpr_spill_count: 0
    .symbol:         _ZN2at6native6sbtopk10gatherTopKIajLi1ELb0EEEvNS_4cuda6detail10TensorInfoIKT_T0_EES8_S8_bS8_S8_NS5_IS6_S8_EES8_NS5_IlS8_EES8_PS6_.kd
    .uniform_work_group_size: 1
    .uses_dynamic_stack: false
    .vgpr_count:     40
    .vgpr_spill_count: 0
    .wavefront_size: 32
    .workgroup_processor_mode: 1
  - .args:
      - .offset:         0
        .size:           216
        .value_kind:     by_value
      - .offset:         216
        .size:           4
        .value_kind:     by_value
      - .address_space:  global
        .offset:         224
        .size:           8
        .value_kind:     global_buffer
      - .offset:         232
        .size:           4
        .value_kind:     by_value
      - .offset:         236
        .size:           4
        .value_kind:     by_value
      - .offset:         240
        .size:           4
        .value_kind:     by_value
      - .offset:         244
        .size:           4
        .value_kind:     by_value
      - .offset:         248
        .size:           4
        .value_kind:     by_value
      - .offset:         252
        .size:           4
        .value_kind:     by_value
      - .address_space:  global
        .offset:         256
        .size:           8
        .value_kind:     global_buffer
      - .address_space:  global
        .offset:         264
        .size:           8
        .value_kind:     global_buffer
      - .offset:         272
        .size:           4
        .value_kind:     hidden_block_count_x
      - .offset:         276
        .size:           4
        .value_kind:     hidden_block_count_y
      - .offset:         280
        .size:           4
        .value_kind:     hidden_block_count_z
      - .offset:         284
        .size:           2
        .value_kind:     hidden_group_size_x
      - .offset:         286
        .size:           2
        .value_kind:     hidden_group_size_y
      - .offset:         288
        .size:           2
        .value_kind:     hidden_group_size_z
      - .offset:         290
        .size:           2
        .value_kind:     hidden_remainder_x
      - .offset:         292
        .size:           2
        .value_kind:     hidden_remainder_y
      - .offset:         294
        .size:           2
        .value_kind:     hidden_remainder_z
      - .offset:         312
        .size:           8
        .value_kind:     hidden_global_offset_x
      - .offset:         320
        .size:           8
        .value_kind:     hidden_global_offset_y
      - .offset:         328
        .size:           8
        .value_kind:     hidden_global_offset_z
      - .offset:         336
        .size:           2
        .value_kind:     hidden_grid_dims
    .group_segment_fixed_size: 1024
    .kernarg_segment_align: 8
    .kernarg_segment_size: 528
    .language:       OpenCL C
    .language_version:
      - 2
      - 0
    .max_flat_workgroup_size: 256
    .name:           _ZN2at6native6mbtopk23computeBlockDigitCountsIajjLi2EEEvNS_4cuda6detail10TensorInfoIKT_T0_EEjPjjS8_iijT1_PSB_Ps
    .private_segment_fixed_size: 0
    .sgpr_count:     25
    .sgpr_spill_count: 0
    .symbol:         _ZN2at6native6mbtopk23computeBlockDigitCountsIajjLi2EEEvNS_4cuda6detail10TensorInfoIKT_T0_EEjPjjS8_iijT1_PSB_Ps.kd
    .uniform_work_group_size: 1
    .uses_dynamic_stack: false
    .vgpr_count:     10
    .vgpr_spill_count: 0
    .wavefront_size: 32
    .workgroup_processor_mode: 1
  - .args:
      - .offset:         0
        .size:           216
        .value_kind:     by_value
      - .offset:         216
        .size:           4
        .value_kind:     by_value
      - .offset:         220
        .size:           4
        .value_kind:     by_value
      - .offset:         224
        .size:           1
        .value_kind:     by_value
      - .offset:         228
        .size:           4
        .value_kind:     by_value
      - .offset:         232
        .size:           4
        .value_kind:     by_value
      - .offset:         240
        .size:           216
        .value_kind:     by_value
      - .offset:         456
        .size:           4
        .value_kind:     by_value
      - .offset:         464
        .size:           216
        .value_kind:     by_value
      - .offset:         680
        .size:           4
        .value_kind:     by_value
      - .offset:         684
        .size:           4
        .value_kind:     by_value
      - .offset:         688
        .size:           4
        .value_kind:     by_value
      - .address_space:  global
        .offset:         696
        .size:           8
        .value_kind:     global_buffer
      - .address_space:  global
        .offset:         704
        .size:           8
        .value_kind:     global_buffer
      - .address_space:  global
        .offset:         712
        .size:           8
        .value_kind:     global_buffer
      - .offset:         720
        .size:           4
        .value_kind:     by_value
      - .offset:         728
        .size:           4
        .value_kind:     hidden_block_count_x
      - .offset:         732
        .size:           4
        .value_kind:     hidden_block_count_y
      - .offset:         736
        .size:           4
        .value_kind:     hidden_block_count_z
      - .offset:         740
        .size:           2
        .value_kind:     hidden_group_size_x
      - .offset:         742
        .size:           2
        .value_kind:     hidden_group_size_y
      - .offset:         744
        .size:           2
        .value_kind:     hidden_group_size_z
      - .offset:         746
        .size:           2
        .value_kind:     hidden_remainder_x
      - .offset:         748
        .size:           2
        .value_kind:     hidden_remainder_y
      - .offset:         750
        .size:           2
        .value_kind:     hidden_remainder_z
      - .offset:         768
        .size:           8
        .value_kind:     hidden_global_offset_x
      - .offset:         776
        .size:           8
        .value_kind:     hidden_global_offset_y
      - .offset:         784
        .size:           8
        .value_kind:     hidden_global_offset_z
      - .offset:         792
        .size:           2
        .value_kind:     hidden_grid_dims
    .group_segment_fixed_size: 1068
    .kernarg_segment_align: 8
    .kernarg_segment_size: 984
    .language:       OpenCL C
    .language_version:
      - 2
      - 0
    .max_flat_workgroup_size: 256
    .name:           _ZN2at6native6mbtopk10gatherTopKIajLi2EEEvNS_4cuda6detail10TensorInfoIKT_T0_EES8_S8_bjS8_NS5_IS6_S8_EES8_NS5_IlS8_EES8_jjPS6_PjSD_j
    .private_segment_fixed_size: 0
    .sgpr_count:     49
    .sgpr_spill_count: 0
    .symbol:         _ZN2at6native6mbtopk10gatherTopKIajLi2EEEvNS_4cuda6detail10TensorInfoIKT_T0_EES8_S8_bjS8_NS5_IS6_S8_EES8_NS5_IlS8_EES8_jjPS6_PjSD_j.kd
    .uniform_work_group_size: 1
    .uses_dynamic_stack: false
    .vgpr_count:     26
    .vgpr_spill_count: 0
    .wavefront_size: 32
    .workgroup_processor_mode: 1
  - .args:
      - .offset:         0
        .size:           216
        .value_kind:     by_value
      - .offset:         216
        .size:           4
        .value_kind:     by_value
      - .offset:         220
        .size:           4
        .value_kind:     by_value
      - .offset:         224
        .size:           1
        .value_kind:     by_value
      - .offset:         228
        .size:           4
        .value_kind:     by_value
      - .offset:         232
        .size:           4
        .value_kind:     by_value
      - .offset:         240
        .size:           216
        .value_kind:     by_value
      - .offset:         456
        .size:           4
        .value_kind:     by_value
      - .offset:         464
        .size:           216
        .value_kind:     by_value
      - .offset:         680
        .size:           4
        .value_kind:     by_value
      - .address_space:  global
        .offset:         688
        .size:           8
        .value_kind:     global_buffer
      - .offset:         696
        .size:           4
        .value_kind:     hidden_block_count_x
      - .offset:         700
        .size:           4
        .value_kind:     hidden_block_count_y
      - .offset:         704
        .size:           4
        .value_kind:     hidden_block_count_z
      - .offset:         708
        .size:           2
        .value_kind:     hidden_group_size_x
      - .offset:         710
        .size:           2
        .value_kind:     hidden_group_size_y
      - .offset:         712
        .size:           2
        .value_kind:     hidden_group_size_z
      - .offset:         714
        .size:           2
        .value_kind:     hidden_remainder_x
      - .offset:         716
        .size:           2
        .value_kind:     hidden_remainder_y
      - .offset:         718
        .size:           2
        .value_kind:     hidden_remainder_z
      - .offset:         736
        .size:           8
        .value_kind:     hidden_global_offset_x
      - .offset:         744
        .size:           8
        .value_kind:     hidden_global_offset_y
      - .offset:         752
        .size:           8
        .value_kind:     hidden_global_offset_z
      - .offset:         760
        .size:           2
        .value_kind:     hidden_grid_dims
    .group_segment_fixed_size: 4112
    .kernarg_segment_align: 8
    .kernarg_segment_size: 952
    .language:       OpenCL C
    .language_version:
      - 2
      - 0
    .max_flat_workgroup_size: 1024
    .name:           _ZN2at6native6sbtopk10gatherTopKIajLi2ELb0EEEvNS_4cuda6detail10TensorInfoIKT_T0_EES8_S8_bS8_S8_NS5_IS6_S8_EES8_NS5_IlS8_EES8_PS6_
    .private_segment_fixed_size: 0
    .sgpr_count:     96
    .sgpr_spill_count: 0
    .symbol:         _ZN2at6native6sbtopk10gatherTopKIajLi2ELb0EEEvNS_4cuda6detail10TensorInfoIKT_T0_EES8_S8_bS8_S8_NS5_IS6_S8_EES8_NS5_IlS8_EES8_PS6_.kd
    .uniform_work_group_size: 1
    .uses_dynamic_stack: false
    .vgpr_count:     40
    .vgpr_spill_count: 0
    .wavefront_size: 32
    .workgroup_processor_mode: 1
  - .args:
      - .offset:         0
        .size:           216
        .value_kind:     by_value
      - .offset:         216
        .size:           4
        .value_kind:     by_value
      - .address_space:  global
        .offset:         224
        .size:           8
        .value_kind:     global_buffer
      - .offset:         232
        .size:           4
        .value_kind:     by_value
      - .offset:         236
        .size:           4
        .value_kind:     by_value
      - .offset:         240
        .size:           4
        .value_kind:     by_value
      - .offset:         244
        .size:           4
        .value_kind:     by_value
      - .offset:         248
        .size:           4
        .value_kind:     by_value
      - .offset:         252
        .size:           4
        .value_kind:     by_value
      - .address_space:  global
        .offset:         256
        .size:           8
        .value_kind:     global_buffer
      - .address_space:  global
        .offset:         264
        .size:           8
        .value_kind:     global_buffer
      - .offset:         272
        .size:           4
        .value_kind:     hidden_block_count_x
      - .offset:         276
        .size:           4
        .value_kind:     hidden_block_count_y
      - .offset:         280
        .size:           4
        .value_kind:     hidden_block_count_z
      - .offset:         284
        .size:           2
        .value_kind:     hidden_group_size_x
      - .offset:         286
        .size:           2
        .value_kind:     hidden_group_size_y
      - .offset:         288
        .size:           2
        .value_kind:     hidden_group_size_z
      - .offset:         290
        .size:           2
        .value_kind:     hidden_remainder_x
      - .offset:         292
        .size:           2
        .value_kind:     hidden_remainder_y
      - .offset:         294
        .size:           2
        .value_kind:     hidden_remainder_z
      - .offset:         312
        .size:           8
        .value_kind:     hidden_global_offset_x
      - .offset:         320
        .size:           8
        .value_kind:     hidden_global_offset_y
      - .offset:         328
        .size:           8
        .value_kind:     hidden_global_offset_z
      - .offset:         336
        .size:           2
        .value_kind:     hidden_grid_dims
    .group_segment_fixed_size: 1024
    .kernarg_segment_align: 8
    .kernarg_segment_size: 528
    .language:       OpenCL C
    .language_version:
      - 2
      - 0
    .max_flat_workgroup_size: 256
    .name:           _ZN2at6native6mbtopk23computeBlockDigitCountsIajjLi3EEEvNS_4cuda6detail10TensorInfoIKT_T0_EEjPjjS8_iijT1_PSB_Ps
    .private_segment_fixed_size: 0
    .sgpr_count:     28
    .sgpr_spill_count: 0
    .symbol:         _ZN2at6native6mbtopk23computeBlockDigitCountsIajjLi3EEEvNS_4cuda6detail10TensorInfoIKT_T0_EEjPjjS8_iijT1_PSB_Ps.kd
    .uniform_work_group_size: 1
    .uses_dynamic_stack: false
    .vgpr_count:     10
    .vgpr_spill_count: 0
    .wavefront_size: 32
    .workgroup_processor_mode: 1
  - .args:
      - .offset:         0
        .size:           216
        .value_kind:     by_value
      - .offset:         216
        .size:           4
        .value_kind:     by_value
      - .offset:         220
        .size:           4
        .value_kind:     by_value
      - .offset:         224
        .size:           1
        .value_kind:     by_value
      - .offset:         228
        .size:           4
        .value_kind:     by_value
      - .offset:         232
        .size:           4
        .value_kind:     by_value
      - .offset:         240
        .size:           216
        .value_kind:     by_value
      - .offset:         456
        .size:           4
        .value_kind:     by_value
      - .offset:         464
        .size:           216
        .value_kind:     by_value
      - .offset:         680
        .size:           4
        .value_kind:     by_value
      - .offset:         684
        .size:           4
        .value_kind:     by_value
      - .offset:         688
        .size:           4
        .value_kind:     by_value
      - .address_space:  global
        .offset:         696
        .size:           8
        .value_kind:     global_buffer
      - .address_space:  global
        .offset:         704
        .size:           8
        .value_kind:     global_buffer
      - .address_space:  global
        .offset:         712
        .size:           8
        .value_kind:     global_buffer
      - .offset:         720
        .size:           4
        .value_kind:     by_value
      - .offset:         728
        .size:           4
        .value_kind:     hidden_block_count_x
      - .offset:         732
        .size:           4
        .value_kind:     hidden_block_count_y
      - .offset:         736
        .size:           4
        .value_kind:     hidden_block_count_z
      - .offset:         740
        .size:           2
        .value_kind:     hidden_group_size_x
      - .offset:         742
        .size:           2
        .value_kind:     hidden_group_size_y
      - .offset:         744
        .size:           2
        .value_kind:     hidden_group_size_z
      - .offset:         746
        .size:           2
        .value_kind:     hidden_remainder_x
      - .offset:         748
        .size:           2
        .value_kind:     hidden_remainder_y
      - .offset:         750
        .size:           2
        .value_kind:     hidden_remainder_z
      - .offset:         768
        .size:           8
        .value_kind:     hidden_global_offset_x
      - .offset:         776
        .size:           8
        .value_kind:     hidden_global_offset_y
      - .offset:         784
        .size:           8
        .value_kind:     hidden_global_offset_z
      - .offset:         792
        .size:           2
        .value_kind:     hidden_grid_dims
    .group_segment_fixed_size: 1068
    .kernarg_segment_align: 8
    .kernarg_segment_size: 984
    .language:       OpenCL C
    .language_version:
      - 2
      - 0
    .max_flat_workgroup_size: 256
    .name:           _ZN2at6native6mbtopk10gatherTopKIajLi3EEEvNS_4cuda6detail10TensorInfoIKT_T0_EES8_S8_bjS8_NS5_IS6_S8_EES8_NS5_IlS8_EES8_jjPS6_PjSD_j
    .private_segment_fixed_size: 0
    .sgpr_count:     58
    .sgpr_spill_count: 0
    .symbol:         _ZN2at6native6mbtopk10gatherTopKIajLi3EEEvNS_4cuda6detail10TensorInfoIKT_T0_EES8_S8_bjS8_NS5_IS6_S8_EES8_NS5_IlS8_EES8_jjPS6_PjSD_j.kd
    .uniform_work_group_size: 1
    .uses_dynamic_stack: false
    .vgpr_count:     26
    .vgpr_spill_count: 0
    .wavefront_size: 32
    .workgroup_processor_mode: 1
  - .args:
      - .offset:         0
        .size:           216
        .value_kind:     by_value
      - .offset:         216
        .size:           4
        .value_kind:     by_value
      - .offset:         220
        .size:           4
        .value_kind:     by_value
      - .offset:         224
        .size:           1
        .value_kind:     by_value
      - .offset:         228
        .size:           4
        .value_kind:     by_value
      - .offset:         232
        .size:           4
        .value_kind:     by_value
      - .offset:         240
        .size:           216
        .value_kind:     by_value
      - .offset:         456
        .size:           4
        .value_kind:     by_value
      - .offset:         464
        .size:           216
        .value_kind:     by_value
      - .offset:         680
        .size:           4
        .value_kind:     by_value
      - .address_space:  global
        .offset:         688
        .size:           8
        .value_kind:     global_buffer
      - .offset:         696
        .size:           4
        .value_kind:     hidden_block_count_x
      - .offset:         700
        .size:           4
        .value_kind:     hidden_block_count_y
      - .offset:         704
        .size:           4
        .value_kind:     hidden_block_count_z
      - .offset:         708
        .size:           2
        .value_kind:     hidden_group_size_x
      - .offset:         710
        .size:           2
        .value_kind:     hidden_group_size_y
      - .offset:         712
        .size:           2
        .value_kind:     hidden_group_size_z
      - .offset:         714
        .size:           2
        .value_kind:     hidden_remainder_x
      - .offset:         716
        .size:           2
        .value_kind:     hidden_remainder_y
      - .offset:         718
        .size:           2
        .value_kind:     hidden_remainder_z
      - .offset:         736
        .size:           8
        .value_kind:     hidden_global_offset_x
      - .offset:         744
        .size:           8
        .value_kind:     hidden_global_offset_y
      - .offset:         752
        .size:           8
        .value_kind:     hidden_global_offset_z
      - .offset:         760
        .size:           2
        .value_kind:     hidden_grid_dims
    .group_segment_fixed_size: 4112
    .kernarg_segment_align: 8
    .kernarg_segment_size: 952
    .language:       OpenCL C
    .language_version:
      - 2
      - 0
    .max_flat_workgroup_size: 1024
    .name:           _ZN2at6native6sbtopk10gatherTopKIajLi3ELb0EEEvNS_4cuda6detail10TensorInfoIKT_T0_EES8_S8_bS8_S8_NS5_IS6_S8_EES8_NS5_IlS8_EES8_PS6_
    .private_segment_fixed_size: 0
    .sgpr_count:     102
    .sgpr_spill_count: 0
    .symbol:         _ZN2at6native6sbtopk10gatherTopKIajLi3ELb0EEEvNS_4cuda6detail10TensorInfoIKT_T0_EES8_S8_bS8_S8_NS5_IS6_S8_EES8_NS5_IlS8_EES8_PS6_.kd
    .uniform_work_group_size: 1
    .uses_dynamic_stack: false
    .vgpr_count:     40
    .vgpr_spill_count: 0
    .wavefront_size: 32
    .workgroup_processor_mode: 1
  - .args:
      - .offset:         0
        .size:           216
        .value_kind:     by_value
      - .offset:         216
        .size:           4
        .value_kind:     by_value
      - .address_space:  global
        .offset:         224
        .size:           8
        .value_kind:     global_buffer
      - .offset:         232
        .size:           4
        .value_kind:     by_value
      - .offset:         236
        .size:           4
        .value_kind:     by_value
      - .offset:         240
        .size:           4
        .value_kind:     by_value
      - .offset:         244
        .size:           4
        .value_kind:     by_value
      - .offset:         248
        .size:           4
        .value_kind:     by_value
      - .offset:         252
        .size:           4
        .value_kind:     by_value
      - .address_space:  global
        .offset:         256
        .size:           8
        .value_kind:     global_buffer
      - .address_space:  global
        .offset:         264
        .size:           8
        .value_kind:     global_buffer
      - .offset:         272
        .size:           4
        .value_kind:     hidden_block_count_x
      - .offset:         276
        .size:           4
        .value_kind:     hidden_block_count_y
      - .offset:         280
        .size:           4
        .value_kind:     hidden_block_count_z
      - .offset:         284
        .size:           2
        .value_kind:     hidden_group_size_x
      - .offset:         286
        .size:           2
        .value_kind:     hidden_group_size_y
      - .offset:         288
        .size:           2
        .value_kind:     hidden_group_size_z
      - .offset:         290
        .size:           2
        .value_kind:     hidden_remainder_x
      - .offset:         292
        .size:           2
        .value_kind:     hidden_remainder_y
      - .offset:         294
        .size:           2
        .value_kind:     hidden_remainder_z
      - .offset:         312
        .size:           8
        .value_kind:     hidden_global_offset_x
      - .offset:         320
        .size:           8
        .value_kind:     hidden_global_offset_y
      - .offset:         328
        .size:           8
        .value_kind:     hidden_global_offset_z
      - .offset:         336
        .size:           2
        .value_kind:     hidden_grid_dims
    .group_segment_fixed_size: 1024
    .kernarg_segment_align: 8
    .kernarg_segment_size: 528
    .language:       OpenCL C
    .language_version:
      - 2
      - 0
    .max_flat_workgroup_size: 256
    .name:           _ZN2at6native6mbtopk23computeBlockDigitCountsIajjLin1EEEvNS_4cuda6detail10TensorInfoIKT_T0_EEjPjjS8_iijT1_PSB_Ps
    .private_segment_fixed_size: 0
    .sgpr_count:     26
    .sgpr_spill_count: 0
    .symbol:         _ZN2at6native6mbtopk23computeBlockDigitCountsIajjLin1EEEvNS_4cuda6detail10TensorInfoIKT_T0_EEjPjjS8_iijT1_PSB_Ps.kd
    .uniform_work_group_size: 1
    .uses_dynamic_stack: false
    .vgpr_count:     10
    .vgpr_spill_count: 0
    .wavefront_size: 32
    .workgroup_processor_mode: 1
  - .args:
      - .offset:         0
        .size:           216
        .value_kind:     by_value
      - .offset:         216
        .size:           4
        .value_kind:     by_value
      - .offset:         220
        .size:           4
        .value_kind:     by_value
      - .offset:         224
        .size:           1
        .value_kind:     by_value
      - .offset:         228
        .size:           4
        .value_kind:     by_value
      - .offset:         232
        .size:           4
        .value_kind:     by_value
      - .offset:         240
        .size:           216
        .value_kind:     by_value
      - .offset:         456
        .size:           4
        .value_kind:     by_value
      - .offset:         464
        .size:           216
        .value_kind:     by_value
      - .offset:         680
        .size:           4
        .value_kind:     by_value
      - .offset:         684
        .size:           4
        .value_kind:     by_value
      - .offset:         688
        .size:           4
        .value_kind:     by_value
      - .address_space:  global
        .offset:         696
        .size:           8
        .value_kind:     global_buffer
      - .address_space:  global
        .offset:         704
        .size:           8
        .value_kind:     global_buffer
      - .address_space:  global
        .offset:         712
        .size:           8
        .value_kind:     global_buffer
      - .offset:         720
        .size:           4
        .value_kind:     by_value
      - .offset:         728
        .size:           4
        .value_kind:     hidden_block_count_x
      - .offset:         732
        .size:           4
        .value_kind:     hidden_block_count_y
      - .offset:         736
        .size:           4
        .value_kind:     hidden_block_count_z
      - .offset:         740
        .size:           2
        .value_kind:     hidden_group_size_x
      - .offset:         742
        .size:           2
        .value_kind:     hidden_group_size_y
      - .offset:         744
        .size:           2
        .value_kind:     hidden_group_size_z
      - .offset:         746
        .size:           2
        .value_kind:     hidden_remainder_x
      - .offset:         748
        .size:           2
        .value_kind:     hidden_remainder_y
      - .offset:         750
        .size:           2
        .value_kind:     hidden_remainder_z
      - .offset:         768
        .size:           8
        .value_kind:     hidden_global_offset_x
      - .offset:         776
        .size:           8
        .value_kind:     hidden_global_offset_y
      - .offset:         784
        .size:           8
        .value_kind:     hidden_global_offset_z
      - .offset:         792
        .size:           2
        .value_kind:     hidden_grid_dims
    .group_segment_fixed_size: 1068
    .kernarg_segment_align: 8
    .kernarg_segment_size: 984
    .language:       OpenCL C
    .language_version:
      - 2
      - 0
    .max_flat_workgroup_size: 256
    .name:           _ZN2at6native6mbtopk10gatherTopKIajLin1EEEvNS_4cuda6detail10TensorInfoIKT_T0_EES8_S8_bjS8_NS5_IS6_S8_EES8_NS5_IlS8_EES8_jjPS6_PjSD_j
    .private_segment_fixed_size: 0
    .sgpr_count:     44
    .sgpr_spill_count: 0
    .symbol:         _ZN2at6native6mbtopk10gatherTopKIajLin1EEEvNS_4cuda6detail10TensorInfoIKT_T0_EES8_S8_bjS8_NS5_IS6_S8_EES8_NS5_IlS8_EES8_jjPS6_PjSD_j.kd
    .uniform_work_group_size: 1
    .uses_dynamic_stack: false
    .vgpr_count:     26
    .vgpr_spill_count: 0
    .wavefront_size: 32
    .workgroup_processor_mode: 1
  - .args:
      - .offset:         0
        .size:           216
        .value_kind:     by_value
      - .offset:         216
        .size:           4
        .value_kind:     by_value
      - .offset:         220
        .size:           4
        .value_kind:     by_value
      - .offset:         224
        .size:           1
        .value_kind:     by_value
      - .offset:         228
        .size:           4
        .value_kind:     by_value
      - .offset:         232
        .size:           4
        .value_kind:     by_value
      - .offset:         240
        .size:           216
        .value_kind:     by_value
      - .offset:         456
        .size:           4
        .value_kind:     by_value
      - .offset:         464
        .size:           216
        .value_kind:     by_value
      - .offset:         680
        .size:           4
        .value_kind:     by_value
      - .address_space:  global
        .offset:         688
        .size:           8
        .value_kind:     global_buffer
      - .offset:         696
        .size:           4
        .value_kind:     hidden_block_count_x
      - .offset:         700
        .size:           4
        .value_kind:     hidden_block_count_y
      - .offset:         704
        .size:           4
        .value_kind:     hidden_block_count_z
      - .offset:         708
        .size:           2
        .value_kind:     hidden_group_size_x
      - .offset:         710
        .size:           2
        .value_kind:     hidden_group_size_y
      - .offset:         712
        .size:           2
        .value_kind:     hidden_group_size_z
      - .offset:         714
        .size:           2
        .value_kind:     hidden_remainder_x
      - .offset:         716
        .size:           2
        .value_kind:     hidden_remainder_y
      - .offset:         718
        .size:           2
        .value_kind:     hidden_remainder_z
      - .offset:         736
        .size:           8
        .value_kind:     hidden_global_offset_x
      - .offset:         744
        .size:           8
        .value_kind:     hidden_global_offset_y
      - .offset:         752
        .size:           8
        .value_kind:     hidden_global_offset_z
      - .offset:         760
        .size:           2
        .value_kind:     hidden_grid_dims
    .group_segment_fixed_size: 4112
    .kernarg_segment_align: 8
    .kernarg_segment_size: 952
    .language:       OpenCL C
    .language_version:
      - 2
      - 0
    .max_flat_workgroup_size: 1024
    .name:           _ZN2at6native6sbtopk10gatherTopKIajLin1ELb0EEEvNS_4cuda6detail10TensorInfoIKT_T0_EES8_S8_bS8_S8_NS5_IS6_S8_EES8_NS5_IlS8_EES8_PS6_
    .private_segment_fixed_size: 0
    .sgpr_count:     93
    .sgpr_spill_count: 0
    .symbol:         _ZN2at6native6sbtopk10gatherTopKIajLin1ELb0EEEvNS_4cuda6detail10TensorInfoIKT_T0_EES8_S8_bS8_S8_NS5_IS6_S8_EES8_NS5_IlS8_EES8_PS6_.kd
    .uniform_work_group_size: 1
    .uses_dynamic_stack: false
    .vgpr_count:     40
    .vgpr_spill_count: 0
    .wavefront_size: 32
    .workgroup_processor_mode: 1
  - .args:
      - .offset:         0
        .size:           216
        .value_kind:     by_value
      - .offset:         216
        .size:           4
        .value_kind:     by_value
      - .address_space:  global
        .offset:         224
        .size:           8
        .value_kind:     global_buffer
      - .offset:         232
        .size:           4
        .value_kind:     by_value
      - .offset:         236
        .size:           4
        .value_kind:     by_value
      - .offset:         240
        .size:           4
        .value_kind:     by_value
      - .offset:         244
        .size:           4
        .value_kind:     by_value
      - .offset:         248
        .size:           4
        .value_kind:     by_value
      - .offset:         252
        .size:           4
        .value_kind:     by_value
      - .address_space:  global
        .offset:         256
        .size:           8
        .value_kind:     global_buffer
      - .address_space:  global
        .offset:         264
        .size:           8
        .value_kind:     global_buffer
      - .offset:         272
        .size:           4
        .value_kind:     hidden_block_count_x
      - .offset:         276
        .size:           4
        .value_kind:     hidden_block_count_y
      - .offset:         280
        .size:           4
        .value_kind:     hidden_block_count_z
      - .offset:         284
        .size:           2
        .value_kind:     hidden_group_size_x
      - .offset:         286
        .size:           2
        .value_kind:     hidden_group_size_y
      - .offset:         288
        .size:           2
        .value_kind:     hidden_group_size_z
      - .offset:         290
        .size:           2
        .value_kind:     hidden_remainder_x
      - .offset:         292
        .size:           2
        .value_kind:     hidden_remainder_y
      - .offset:         294
        .size:           2
        .value_kind:     hidden_remainder_z
      - .offset:         312
        .size:           8
        .value_kind:     hidden_global_offset_x
      - .offset:         320
        .size:           8
        .value_kind:     hidden_global_offset_y
      - .offset:         328
        .size:           8
        .value_kind:     hidden_global_offset_z
      - .offset:         336
        .size:           2
        .value_kind:     hidden_grid_dims
    .group_segment_fixed_size: 1024
    .kernarg_segment_align: 8
    .kernarg_segment_size: 528
    .language:       OpenCL C
    .language_version:
      - 2
      - 0
    .max_flat_workgroup_size: 256
    .name:           _ZN2at6native6mbtopk23computeBlockDigitCountsIijjLi1EEEvNS_4cuda6detail10TensorInfoIKT_T0_EEjPjjS8_iijT1_PSB_Ps
    .private_segment_fixed_size: 0
    .sgpr_count:     22
    .sgpr_spill_count: 0
    .symbol:         _ZN2at6native6mbtopk23computeBlockDigitCountsIijjLi1EEEvNS_4cuda6detail10TensorInfoIKT_T0_EEjPjjS8_iijT1_PSB_Ps.kd
    .uniform_work_group_size: 1
    .uses_dynamic_stack: false
    .vgpr_count:     12
    .vgpr_spill_count: 0
    .wavefront_size: 32
    .workgroup_processor_mode: 1
  - .args:
      - .address_space:  global
        .offset:         0
        .size:           8
        .value_kind:     global_buffer
      - .address_space:  global
        .offset:         8
        .size:           8
        .value_kind:     global_buffer
      - .address_space:  global
        .offset:         16
        .size:           8
        .value_kind:     global_buffer
      - .offset:         24
        .size:           4
        .value_kind:     by_value
      - .offset:         28
        .size:           4
        .value_kind:     by_value
      - .offset:         32
        .size:           1
        .value_kind:     by_value
      - .address_space:  global
        .offset:         40
        .size:           8
        .value_kind:     global_buffer
      - .address_space:  global
        .offset:         48
        .size:           8
        .value_kind:     global_buffer
      - .address_space:  global
        .offset:         56
        .size:           8
        .value_kind:     global_buffer
      - .address_space:  global
        .offset:         64
        .size:           8
        .value_kind:     global_buffer
      - .address_space:  global
        .offset:         72
        .size:           8
        .value_kind:     global_buffer
      - .offset:         80
        .size:           4
        .value_kind:     by_value
      - .offset:         88
        .size:           4
        .value_kind:     hidden_block_count_x
      - .offset:         92
        .size:           4
        .value_kind:     hidden_block_count_y
      - .offset:         96
        .size:           4
        .value_kind:     hidden_block_count_z
      - .offset:         100
        .size:           2
        .value_kind:     hidden_group_size_x
      - .offset:         102
        .size:           2
        .value_kind:     hidden_group_size_y
      - .offset:         104
        .size:           2
        .value_kind:     hidden_group_size_z
      - .offset:         106
        .size:           2
        .value_kind:     hidden_remainder_x
      - .offset:         108
        .size:           2
        .value_kind:     hidden_remainder_y
      - .offset:         110
        .size:           2
        .value_kind:     hidden_remainder_z
      - .offset:         128
        .size:           8
        .value_kind:     hidden_global_offset_x
      - .offset:         136
        .size:           8
        .value_kind:     hidden_global_offset_y
      - .offset:         144
        .size:           8
        .value_kind:     hidden_global_offset_z
      - .offset:         152
        .size:           2
        .value_kind:     hidden_grid_dims
    .group_segment_fixed_size: 2116
    .kernarg_segment_align: 8
    .kernarg_segment_size: 344
    .language:       OpenCL C
    .language_version:
      - 2
      - 0
    .max_flat_workgroup_size: 256
    .name:           _ZN2at6native6mbtopk29computeBlockwiseWithinKCountsIjiEEvPT_PsPjjibS6_PT0_S6_S4_S6_j
    .private_segment_fixed_size: 0
    .sgpr_count:     30
    .sgpr_spill_count: 0
    .symbol:         _ZN2at6native6mbtopk29computeBlockwiseWithinKCountsIjiEEvPT_PsPjjibS6_PT0_S6_S4_S6_j.kd
    .uniform_work_group_size: 1
    .uses_dynamic_stack: false
    .vgpr_count:     14
    .vgpr_spill_count: 0
    .wavefront_size: 32
    .workgroup_processor_mode: 1
  - .args:
      - .offset:         0
        .size:           216
        .value_kind:     by_value
      - .offset:         216
        .size:           4
        .value_kind:     by_value
      - .offset:         220
        .size:           4
        .value_kind:     by_value
      - .offset:         224
        .size:           1
        .value_kind:     by_value
      - .offset:         228
        .size:           4
        .value_kind:     by_value
      - .offset:         232
        .size:           4
        .value_kind:     by_value
      - .offset:         240
        .size:           216
        .value_kind:     by_value
      - .offset:         456
        .size:           4
        .value_kind:     by_value
      - .offset:         464
        .size:           216
        .value_kind:     by_value
      - .offset:         680
        .size:           4
        .value_kind:     by_value
      - .offset:         684
        .size:           4
        .value_kind:     by_value
      - .offset:         688
        .size:           4
        .value_kind:     by_value
      - .address_space:  global
        .offset:         696
        .size:           8
        .value_kind:     global_buffer
      - .address_space:  global
        .offset:         704
        .size:           8
        .value_kind:     global_buffer
      - .address_space:  global
        .offset:         712
        .size:           8
        .value_kind:     global_buffer
      - .offset:         720
        .size:           4
        .value_kind:     by_value
      - .offset:         728
        .size:           4
        .value_kind:     hidden_block_count_x
      - .offset:         732
        .size:           4
        .value_kind:     hidden_block_count_y
      - .offset:         736
        .size:           4
        .value_kind:     hidden_block_count_z
      - .offset:         740
        .size:           2
        .value_kind:     hidden_group_size_x
      - .offset:         742
        .size:           2
        .value_kind:     hidden_group_size_y
      - .offset:         744
        .size:           2
        .value_kind:     hidden_group_size_z
      - .offset:         746
        .size:           2
        .value_kind:     hidden_remainder_x
      - .offset:         748
        .size:           2
        .value_kind:     hidden_remainder_y
      - .offset:         750
        .size:           2
        .value_kind:     hidden_remainder_z
      - .offset:         768
        .size:           8
        .value_kind:     hidden_global_offset_x
      - .offset:         776
        .size:           8
        .value_kind:     hidden_global_offset_y
      - .offset:         784
        .size:           8
        .value_kind:     hidden_global_offset_z
      - .offset:         792
        .size:           2
        .value_kind:     hidden_grid_dims
    .group_segment_fixed_size: 1068
    .kernarg_segment_align: 8
    .kernarg_segment_size: 984
    .language:       OpenCL C
    .language_version:
      - 2
      - 0
    .max_flat_workgroup_size: 256
    .name:           _ZN2at6native6mbtopk10gatherTopKIijLi1EEEvNS_4cuda6detail10TensorInfoIKT_T0_EES8_S8_bjS8_NS5_IS6_S8_EES8_NS5_IlS8_EES8_jjPS6_PjSD_j
    .private_segment_fixed_size: 0
    .sgpr_count:     38
    .sgpr_spill_count: 0
    .symbol:         _ZN2at6native6mbtopk10gatherTopKIijLi1EEEvNS_4cuda6detail10TensorInfoIKT_T0_EES8_S8_bjS8_NS5_IS6_S8_EES8_NS5_IlS8_EES8_jjPS6_PjSD_j.kd
    .uniform_work_group_size: 1
    .uses_dynamic_stack: false
    .vgpr_count:     24
    .vgpr_spill_count: 0
    .wavefront_size: 32
    .workgroup_processor_mode: 1
  - .args:
      - .offset:         0
        .size:           216
        .value_kind:     by_value
      - .offset:         216
        .size:           4
        .value_kind:     by_value
      - .offset:         220
        .size:           4
        .value_kind:     by_value
      - .offset:         224
        .size:           1
        .value_kind:     by_value
      - .offset:         228
        .size:           4
        .value_kind:     by_value
      - .offset:         232
        .size:           4
        .value_kind:     by_value
      - .offset:         240
        .size:           216
        .value_kind:     by_value
      - .offset:         456
        .size:           4
        .value_kind:     by_value
      - .offset:         464
        .size:           216
        .value_kind:     by_value
      - .offset:         680
        .size:           4
        .value_kind:     by_value
      - .address_space:  global
        .offset:         688
        .size:           8
        .value_kind:     global_buffer
      - .offset:         696
        .size:           4
        .value_kind:     hidden_block_count_x
      - .offset:         700
        .size:           4
        .value_kind:     hidden_block_count_y
      - .offset:         704
        .size:           4
        .value_kind:     hidden_block_count_z
      - .offset:         708
        .size:           2
        .value_kind:     hidden_group_size_x
      - .offset:         710
        .size:           2
        .value_kind:     hidden_group_size_y
      - .offset:         712
        .size:           2
        .value_kind:     hidden_group_size_z
      - .offset:         714
        .size:           2
        .value_kind:     hidden_remainder_x
      - .offset:         716
        .size:           2
        .value_kind:     hidden_remainder_y
      - .offset:         718
        .size:           2
        .value_kind:     hidden_remainder_z
      - .offset:         736
        .size:           8
        .value_kind:     hidden_global_offset_x
      - .offset:         744
        .size:           8
        .value_kind:     hidden_global_offset_y
      - .offset:         752
        .size:           8
        .value_kind:     hidden_global_offset_z
      - .offset:         760
        .size:           2
        .value_kind:     hidden_grid_dims
    .group_segment_fixed_size: 4112
    .kernarg_segment_align: 8
    .kernarg_segment_size: 952
    .language:       OpenCL C
    .language_version:
      - 2
      - 0
    .max_flat_workgroup_size: 1024
    .name:           _ZN2at6native6sbtopk10gatherTopKIijLi1ELb0EEEvNS_4cuda6detail10TensorInfoIKT_T0_EES8_S8_bS8_S8_NS5_IS6_S8_EES8_NS5_IlS8_EES8_PS6_
    .private_segment_fixed_size: 0
    .sgpr_count:     91
    .sgpr_spill_count: 0
    .symbol:         _ZN2at6native6sbtopk10gatherTopKIijLi1ELb0EEEvNS_4cuda6detail10TensorInfoIKT_T0_EES8_S8_bS8_S8_NS5_IS6_S8_EES8_NS5_IlS8_EES8_PS6_.kd
    .uniform_work_group_size: 1
    .uses_dynamic_stack: false
    .vgpr_count:     43
    .vgpr_spill_count: 0
    .wavefront_size: 32
    .workgroup_processor_mode: 1
  - .args:
      - .offset:         0
        .size:           216
        .value_kind:     by_value
      - .offset:         216
        .size:           4
        .value_kind:     by_value
      - .address_space:  global
        .offset:         224
        .size:           8
        .value_kind:     global_buffer
      - .offset:         232
        .size:           4
        .value_kind:     by_value
      - .offset:         236
        .size:           4
        .value_kind:     by_value
      - .offset:         240
        .size:           4
        .value_kind:     by_value
      - .offset:         244
        .size:           4
        .value_kind:     by_value
      - .offset:         248
        .size:           4
        .value_kind:     by_value
      - .offset:         252
        .size:           4
        .value_kind:     by_value
      - .address_space:  global
        .offset:         256
        .size:           8
        .value_kind:     global_buffer
      - .address_space:  global
        .offset:         264
        .size:           8
        .value_kind:     global_buffer
      - .offset:         272
        .size:           4
        .value_kind:     hidden_block_count_x
      - .offset:         276
        .size:           4
        .value_kind:     hidden_block_count_y
      - .offset:         280
        .size:           4
        .value_kind:     hidden_block_count_z
      - .offset:         284
        .size:           2
        .value_kind:     hidden_group_size_x
      - .offset:         286
        .size:           2
        .value_kind:     hidden_group_size_y
      - .offset:         288
        .size:           2
        .value_kind:     hidden_group_size_z
      - .offset:         290
        .size:           2
        .value_kind:     hidden_remainder_x
      - .offset:         292
        .size:           2
        .value_kind:     hidden_remainder_y
      - .offset:         294
        .size:           2
        .value_kind:     hidden_remainder_z
      - .offset:         312
        .size:           8
        .value_kind:     hidden_global_offset_x
      - .offset:         320
        .size:           8
        .value_kind:     hidden_global_offset_y
      - .offset:         328
        .size:           8
        .value_kind:     hidden_global_offset_z
      - .offset:         336
        .size:           2
        .value_kind:     hidden_grid_dims
    .group_segment_fixed_size: 1024
    .kernarg_segment_align: 8
    .kernarg_segment_size: 528
    .language:       OpenCL C
    .language_version:
      - 2
      - 0
    .max_flat_workgroup_size: 256
    .name:           _ZN2at6native6mbtopk23computeBlockDigitCountsIijjLi2EEEvNS_4cuda6detail10TensorInfoIKT_T0_EEjPjjS8_iijT1_PSB_Ps
    .private_segment_fixed_size: 0
    .sgpr_count:     25
    .sgpr_spill_count: 0
    .symbol:         _ZN2at6native6mbtopk23computeBlockDigitCountsIijjLi2EEEvNS_4cuda6detail10TensorInfoIKT_T0_EEjPjjS8_iijT1_PSB_Ps.kd
    .uniform_work_group_size: 1
    .uses_dynamic_stack: false
    .vgpr_count:     12
    .vgpr_spill_count: 0
    .wavefront_size: 32
    .workgroup_processor_mode: 1
  - .args:
      - .offset:         0
        .size:           216
        .value_kind:     by_value
      - .offset:         216
        .size:           4
        .value_kind:     by_value
      - .offset:         220
        .size:           4
        .value_kind:     by_value
      - .offset:         224
        .size:           1
        .value_kind:     by_value
      - .offset:         228
        .size:           4
        .value_kind:     by_value
      - .offset:         232
        .size:           4
        .value_kind:     by_value
      - .offset:         240
        .size:           216
        .value_kind:     by_value
      - .offset:         456
        .size:           4
        .value_kind:     by_value
      - .offset:         464
        .size:           216
        .value_kind:     by_value
      - .offset:         680
        .size:           4
        .value_kind:     by_value
      - .offset:         684
        .size:           4
        .value_kind:     by_value
      - .offset:         688
        .size:           4
        .value_kind:     by_value
      - .address_space:  global
        .offset:         696
        .size:           8
        .value_kind:     global_buffer
      - .address_space:  global
        .offset:         704
        .size:           8
        .value_kind:     global_buffer
      - .address_space:  global
        .offset:         712
        .size:           8
        .value_kind:     global_buffer
      - .offset:         720
        .size:           4
        .value_kind:     by_value
      - .offset:         728
        .size:           4
        .value_kind:     hidden_block_count_x
      - .offset:         732
        .size:           4
        .value_kind:     hidden_block_count_y
      - .offset:         736
        .size:           4
        .value_kind:     hidden_block_count_z
      - .offset:         740
        .size:           2
        .value_kind:     hidden_group_size_x
      - .offset:         742
        .size:           2
        .value_kind:     hidden_group_size_y
      - .offset:         744
        .size:           2
        .value_kind:     hidden_group_size_z
      - .offset:         746
        .size:           2
        .value_kind:     hidden_remainder_x
      - .offset:         748
        .size:           2
        .value_kind:     hidden_remainder_y
      - .offset:         750
        .size:           2
        .value_kind:     hidden_remainder_z
      - .offset:         768
        .size:           8
        .value_kind:     hidden_global_offset_x
      - .offset:         776
        .size:           8
        .value_kind:     hidden_global_offset_y
      - .offset:         784
        .size:           8
        .value_kind:     hidden_global_offset_z
      - .offset:         792
        .size:           2
        .value_kind:     hidden_grid_dims
    .group_segment_fixed_size: 1068
    .kernarg_segment_align: 8
    .kernarg_segment_size: 984
    .language:       OpenCL C
    .language_version:
      - 2
      - 0
    .max_flat_workgroup_size: 256
    .name:           _ZN2at6native6mbtopk10gatherTopKIijLi2EEEvNS_4cuda6detail10TensorInfoIKT_T0_EES8_S8_bjS8_NS5_IS6_S8_EES8_NS5_IlS8_EES8_jjPS6_PjSD_j
    .private_segment_fixed_size: 0
    .sgpr_count:     50
    .sgpr_spill_count: 0
    .symbol:         _ZN2at6native6mbtopk10gatherTopKIijLi2EEEvNS_4cuda6detail10TensorInfoIKT_T0_EES8_S8_bjS8_NS5_IS6_S8_EES8_NS5_IlS8_EES8_jjPS6_PjSD_j.kd
    .uniform_work_group_size: 1
    .uses_dynamic_stack: false
    .vgpr_count:     24
    .vgpr_spill_count: 0
    .wavefront_size: 32
    .workgroup_processor_mode: 1
  - .args:
      - .offset:         0
        .size:           216
        .value_kind:     by_value
      - .offset:         216
        .size:           4
        .value_kind:     by_value
      - .offset:         220
        .size:           4
        .value_kind:     by_value
      - .offset:         224
        .size:           1
        .value_kind:     by_value
      - .offset:         228
        .size:           4
        .value_kind:     by_value
      - .offset:         232
        .size:           4
        .value_kind:     by_value
      - .offset:         240
        .size:           216
        .value_kind:     by_value
      - .offset:         456
        .size:           4
        .value_kind:     by_value
      - .offset:         464
        .size:           216
        .value_kind:     by_value
      - .offset:         680
        .size:           4
        .value_kind:     by_value
      - .address_space:  global
        .offset:         688
        .size:           8
        .value_kind:     global_buffer
      - .offset:         696
        .size:           4
        .value_kind:     hidden_block_count_x
      - .offset:         700
        .size:           4
        .value_kind:     hidden_block_count_y
      - .offset:         704
        .size:           4
        .value_kind:     hidden_block_count_z
      - .offset:         708
        .size:           2
        .value_kind:     hidden_group_size_x
      - .offset:         710
        .size:           2
        .value_kind:     hidden_group_size_y
      - .offset:         712
        .size:           2
        .value_kind:     hidden_group_size_z
      - .offset:         714
        .size:           2
        .value_kind:     hidden_remainder_x
      - .offset:         716
        .size:           2
        .value_kind:     hidden_remainder_y
      - .offset:         718
        .size:           2
        .value_kind:     hidden_remainder_z
      - .offset:         736
        .size:           8
        .value_kind:     hidden_global_offset_x
      - .offset:         744
        .size:           8
        .value_kind:     hidden_global_offset_y
      - .offset:         752
        .size:           8
        .value_kind:     hidden_global_offset_z
      - .offset:         760
        .size:           2
        .value_kind:     hidden_grid_dims
    .group_segment_fixed_size: 4112
    .kernarg_segment_align: 8
    .kernarg_segment_size: 952
    .language:       OpenCL C
    .language_version:
      - 2
      - 0
    .max_flat_workgroup_size: 1024
    .name:           _ZN2at6native6sbtopk10gatherTopKIijLi2ELb0EEEvNS_4cuda6detail10TensorInfoIKT_T0_EES8_S8_bS8_S8_NS5_IS6_S8_EES8_NS5_IlS8_EES8_PS6_
    .private_segment_fixed_size: 0
    .sgpr_count:     97
    .sgpr_spill_count: 0
    .symbol:         _ZN2at6native6sbtopk10gatherTopKIijLi2ELb0EEEvNS_4cuda6detail10TensorInfoIKT_T0_EES8_S8_bS8_S8_NS5_IS6_S8_EES8_NS5_IlS8_EES8_PS6_.kd
    .uniform_work_group_size: 1
    .uses_dynamic_stack: false
    .vgpr_count:     43
    .vgpr_spill_count: 0
    .wavefront_size: 32
    .workgroup_processor_mode: 1
  - .args:
      - .offset:         0
        .size:           216
        .value_kind:     by_value
      - .offset:         216
        .size:           4
        .value_kind:     by_value
      - .address_space:  global
        .offset:         224
        .size:           8
        .value_kind:     global_buffer
      - .offset:         232
        .size:           4
        .value_kind:     by_value
      - .offset:         236
        .size:           4
        .value_kind:     by_value
      - .offset:         240
        .size:           4
        .value_kind:     by_value
      - .offset:         244
        .size:           4
        .value_kind:     by_value
      - .offset:         248
        .size:           4
        .value_kind:     by_value
      - .offset:         252
        .size:           4
        .value_kind:     by_value
      - .address_space:  global
        .offset:         256
        .size:           8
        .value_kind:     global_buffer
      - .address_space:  global
        .offset:         264
        .size:           8
        .value_kind:     global_buffer
      - .offset:         272
        .size:           4
        .value_kind:     hidden_block_count_x
      - .offset:         276
        .size:           4
        .value_kind:     hidden_block_count_y
      - .offset:         280
        .size:           4
        .value_kind:     hidden_block_count_z
      - .offset:         284
        .size:           2
        .value_kind:     hidden_group_size_x
      - .offset:         286
        .size:           2
        .value_kind:     hidden_group_size_y
      - .offset:         288
        .size:           2
        .value_kind:     hidden_group_size_z
      - .offset:         290
        .size:           2
        .value_kind:     hidden_remainder_x
      - .offset:         292
        .size:           2
        .value_kind:     hidden_remainder_y
      - .offset:         294
        .size:           2
        .value_kind:     hidden_remainder_z
      - .offset:         312
        .size:           8
        .value_kind:     hidden_global_offset_x
      - .offset:         320
        .size:           8
        .value_kind:     hidden_global_offset_y
      - .offset:         328
        .size:           8
        .value_kind:     hidden_global_offset_z
      - .offset:         336
        .size:           2
        .value_kind:     hidden_grid_dims
    .group_segment_fixed_size: 1024
    .kernarg_segment_align: 8
    .kernarg_segment_size: 528
    .language:       OpenCL C
    .language_version:
      - 2
      - 0
    .max_flat_workgroup_size: 256
    .name:           _ZN2at6native6mbtopk23computeBlockDigitCountsIijjLi3EEEvNS_4cuda6detail10TensorInfoIKT_T0_EEjPjjS8_iijT1_PSB_Ps
    .private_segment_fixed_size: 0
    .sgpr_count:     28
    .sgpr_spill_count: 0
    .symbol:         _ZN2at6native6mbtopk23computeBlockDigitCountsIijjLi3EEEvNS_4cuda6detail10TensorInfoIKT_T0_EEjPjjS8_iijT1_PSB_Ps.kd
    .uniform_work_group_size: 1
    .uses_dynamic_stack: false
    .vgpr_count:     12
    .vgpr_spill_count: 0
    .wavefront_size: 32
    .workgroup_processor_mode: 1
  - .args:
      - .offset:         0
        .size:           216
        .value_kind:     by_value
      - .offset:         216
        .size:           4
        .value_kind:     by_value
      - .offset:         220
        .size:           4
        .value_kind:     by_value
      - .offset:         224
        .size:           1
        .value_kind:     by_value
      - .offset:         228
        .size:           4
        .value_kind:     by_value
      - .offset:         232
        .size:           4
        .value_kind:     by_value
      - .offset:         240
        .size:           216
        .value_kind:     by_value
      - .offset:         456
        .size:           4
        .value_kind:     by_value
      - .offset:         464
        .size:           216
        .value_kind:     by_value
      - .offset:         680
        .size:           4
        .value_kind:     by_value
      - .offset:         684
        .size:           4
        .value_kind:     by_value
      - .offset:         688
        .size:           4
        .value_kind:     by_value
      - .address_space:  global
        .offset:         696
        .size:           8
        .value_kind:     global_buffer
      - .address_space:  global
        .offset:         704
        .size:           8
        .value_kind:     global_buffer
      - .address_space:  global
        .offset:         712
        .size:           8
        .value_kind:     global_buffer
      - .offset:         720
        .size:           4
        .value_kind:     by_value
      - .offset:         728
        .size:           4
        .value_kind:     hidden_block_count_x
      - .offset:         732
        .size:           4
        .value_kind:     hidden_block_count_y
      - .offset:         736
        .size:           4
        .value_kind:     hidden_block_count_z
      - .offset:         740
        .size:           2
        .value_kind:     hidden_group_size_x
      - .offset:         742
        .size:           2
        .value_kind:     hidden_group_size_y
      - .offset:         744
        .size:           2
        .value_kind:     hidden_group_size_z
      - .offset:         746
        .size:           2
        .value_kind:     hidden_remainder_x
      - .offset:         748
        .size:           2
        .value_kind:     hidden_remainder_y
      - .offset:         750
        .size:           2
        .value_kind:     hidden_remainder_z
      - .offset:         768
        .size:           8
        .value_kind:     hidden_global_offset_x
      - .offset:         776
        .size:           8
        .value_kind:     hidden_global_offset_y
      - .offset:         784
        .size:           8
        .value_kind:     hidden_global_offset_z
      - .offset:         792
        .size:           2
        .value_kind:     hidden_grid_dims
    .group_segment_fixed_size: 1068
    .kernarg_segment_align: 8
    .kernarg_segment_size: 984
    .language:       OpenCL C
    .language_version:
      - 2
      - 0
    .max_flat_workgroup_size: 256
    .name:           _ZN2at6native6mbtopk10gatherTopKIijLi3EEEvNS_4cuda6detail10TensorInfoIKT_T0_EES8_S8_bjS8_NS5_IS6_S8_EES8_NS5_IlS8_EES8_jjPS6_PjSD_j
    .private_segment_fixed_size: 0
    .sgpr_count:     59
    .sgpr_spill_count: 0
    .symbol:         _ZN2at6native6mbtopk10gatherTopKIijLi3EEEvNS_4cuda6detail10TensorInfoIKT_T0_EES8_S8_bjS8_NS5_IS6_S8_EES8_NS5_IlS8_EES8_jjPS6_PjSD_j.kd
    .uniform_work_group_size: 1
    .uses_dynamic_stack: false
    .vgpr_count:     24
    .vgpr_spill_count: 0
    .wavefront_size: 32
    .workgroup_processor_mode: 1
  - .args:
      - .offset:         0
        .size:           216
        .value_kind:     by_value
      - .offset:         216
        .size:           4
        .value_kind:     by_value
      - .offset:         220
        .size:           4
        .value_kind:     by_value
      - .offset:         224
        .size:           1
        .value_kind:     by_value
      - .offset:         228
        .size:           4
        .value_kind:     by_value
      - .offset:         232
        .size:           4
        .value_kind:     by_value
      - .offset:         240
        .size:           216
        .value_kind:     by_value
      - .offset:         456
        .size:           4
        .value_kind:     by_value
      - .offset:         464
        .size:           216
        .value_kind:     by_value
      - .offset:         680
        .size:           4
        .value_kind:     by_value
      - .address_space:  global
        .offset:         688
        .size:           8
        .value_kind:     global_buffer
      - .offset:         696
        .size:           4
        .value_kind:     hidden_block_count_x
      - .offset:         700
        .size:           4
        .value_kind:     hidden_block_count_y
      - .offset:         704
        .size:           4
        .value_kind:     hidden_block_count_z
      - .offset:         708
        .size:           2
        .value_kind:     hidden_group_size_x
      - .offset:         710
        .size:           2
        .value_kind:     hidden_group_size_y
      - .offset:         712
        .size:           2
        .value_kind:     hidden_group_size_z
      - .offset:         714
        .size:           2
        .value_kind:     hidden_remainder_x
      - .offset:         716
        .size:           2
        .value_kind:     hidden_remainder_y
      - .offset:         718
        .size:           2
        .value_kind:     hidden_remainder_z
      - .offset:         736
        .size:           8
        .value_kind:     hidden_global_offset_x
      - .offset:         744
        .size:           8
        .value_kind:     hidden_global_offset_y
      - .offset:         752
        .size:           8
        .value_kind:     hidden_global_offset_z
      - .offset:         760
        .size:           2
        .value_kind:     hidden_grid_dims
    .group_segment_fixed_size: 4112
    .kernarg_segment_align: 8
    .kernarg_segment_size: 952
    .language:       OpenCL C
    .language_version:
      - 2
      - 0
    .max_flat_workgroup_size: 1024
    .name:           _ZN2at6native6sbtopk10gatherTopKIijLi3ELb0EEEvNS_4cuda6detail10TensorInfoIKT_T0_EES8_S8_bS8_S8_NS5_IS6_S8_EES8_NS5_IlS8_EES8_PS6_
    .private_segment_fixed_size: 0
    .sgpr_count:     103
    .sgpr_spill_count: 0
    .symbol:         _ZN2at6native6sbtopk10gatherTopKIijLi3ELb0EEEvNS_4cuda6detail10TensorInfoIKT_T0_EES8_S8_bS8_S8_NS5_IS6_S8_EES8_NS5_IlS8_EES8_PS6_.kd
    .uniform_work_group_size: 1
    .uses_dynamic_stack: false
    .vgpr_count:     43
    .vgpr_spill_count: 0
    .wavefront_size: 32
    .workgroup_processor_mode: 1
  - .args:
      - .offset:         0
        .size:           216
        .value_kind:     by_value
      - .offset:         216
        .size:           4
        .value_kind:     by_value
      - .address_space:  global
        .offset:         224
        .size:           8
        .value_kind:     global_buffer
      - .offset:         232
        .size:           4
        .value_kind:     by_value
      - .offset:         236
        .size:           4
        .value_kind:     by_value
      - .offset:         240
        .size:           4
        .value_kind:     by_value
      - .offset:         244
        .size:           4
        .value_kind:     by_value
      - .offset:         248
        .size:           4
        .value_kind:     by_value
      - .offset:         252
        .size:           4
        .value_kind:     by_value
      - .address_space:  global
        .offset:         256
        .size:           8
        .value_kind:     global_buffer
      - .address_space:  global
        .offset:         264
        .size:           8
        .value_kind:     global_buffer
      - .offset:         272
        .size:           4
        .value_kind:     hidden_block_count_x
      - .offset:         276
        .size:           4
        .value_kind:     hidden_block_count_y
      - .offset:         280
        .size:           4
        .value_kind:     hidden_block_count_z
      - .offset:         284
        .size:           2
        .value_kind:     hidden_group_size_x
      - .offset:         286
        .size:           2
        .value_kind:     hidden_group_size_y
      - .offset:         288
        .size:           2
        .value_kind:     hidden_group_size_z
      - .offset:         290
        .size:           2
        .value_kind:     hidden_remainder_x
      - .offset:         292
        .size:           2
        .value_kind:     hidden_remainder_y
      - .offset:         294
        .size:           2
        .value_kind:     hidden_remainder_z
      - .offset:         312
        .size:           8
        .value_kind:     hidden_global_offset_x
      - .offset:         320
        .size:           8
        .value_kind:     hidden_global_offset_y
      - .offset:         328
        .size:           8
        .value_kind:     hidden_global_offset_z
      - .offset:         336
        .size:           2
        .value_kind:     hidden_grid_dims
    .group_segment_fixed_size: 1024
    .kernarg_segment_align: 8
    .kernarg_segment_size: 528
    .language:       OpenCL C
    .language_version:
      - 2
      - 0
    .max_flat_workgroup_size: 256
    .name:           _ZN2at6native6mbtopk23computeBlockDigitCountsIijjLin1EEEvNS_4cuda6detail10TensorInfoIKT_T0_EEjPjjS8_iijT1_PSB_Ps
    .private_segment_fixed_size: 0
    .sgpr_count:     26
    .sgpr_spill_count: 0
    .symbol:         _ZN2at6native6mbtopk23computeBlockDigitCountsIijjLin1EEEvNS_4cuda6detail10TensorInfoIKT_T0_EEjPjjS8_iijT1_PSB_Ps.kd
    .uniform_work_group_size: 1
    .uses_dynamic_stack: false
    .vgpr_count:     12
    .vgpr_spill_count: 0
    .wavefront_size: 32
    .workgroup_processor_mode: 1
  - .args:
      - .offset:         0
        .size:           216
        .value_kind:     by_value
      - .offset:         216
        .size:           4
        .value_kind:     by_value
      - .offset:         220
        .size:           4
        .value_kind:     by_value
      - .offset:         224
        .size:           1
        .value_kind:     by_value
      - .offset:         228
        .size:           4
        .value_kind:     by_value
      - .offset:         232
        .size:           4
        .value_kind:     by_value
      - .offset:         240
        .size:           216
        .value_kind:     by_value
      - .offset:         456
        .size:           4
        .value_kind:     by_value
      - .offset:         464
        .size:           216
        .value_kind:     by_value
      - .offset:         680
        .size:           4
        .value_kind:     by_value
      - .offset:         684
        .size:           4
        .value_kind:     by_value
      - .offset:         688
        .size:           4
        .value_kind:     by_value
      - .address_space:  global
        .offset:         696
        .size:           8
        .value_kind:     global_buffer
      - .address_space:  global
        .offset:         704
        .size:           8
        .value_kind:     global_buffer
      - .address_space:  global
        .offset:         712
        .size:           8
        .value_kind:     global_buffer
      - .offset:         720
        .size:           4
        .value_kind:     by_value
      - .offset:         728
        .size:           4
        .value_kind:     hidden_block_count_x
      - .offset:         732
        .size:           4
        .value_kind:     hidden_block_count_y
      - .offset:         736
        .size:           4
        .value_kind:     hidden_block_count_z
      - .offset:         740
        .size:           2
        .value_kind:     hidden_group_size_x
      - .offset:         742
        .size:           2
        .value_kind:     hidden_group_size_y
      - .offset:         744
        .size:           2
        .value_kind:     hidden_group_size_z
      - .offset:         746
        .size:           2
        .value_kind:     hidden_remainder_x
      - .offset:         748
        .size:           2
        .value_kind:     hidden_remainder_y
      - .offset:         750
        .size:           2
        .value_kind:     hidden_remainder_z
      - .offset:         768
        .size:           8
        .value_kind:     hidden_global_offset_x
      - .offset:         776
        .size:           8
        .value_kind:     hidden_global_offset_y
      - .offset:         784
        .size:           8
        .value_kind:     hidden_global_offset_z
      - .offset:         792
        .size:           2
        .value_kind:     hidden_grid_dims
    .group_segment_fixed_size: 1068
    .kernarg_segment_align: 8
    .kernarg_segment_size: 984
    .language:       OpenCL C
    .language_version:
      - 2
      - 0
    .max_flat_workgroup_size: 256
    .name:           _ZN2at6native6mbtopk10gatherTopKIijLin1EEEvNS_4cuda6detail10TensorInfoIKT_T0_EES8_S8_bjS8_NS5_IS6_S8_EES8_NS5_IlS8_EES8_jjPS6_PjSD_j
    .private_segment_fixed_size: 0
    .sgpr_count:     45
    .sgpr_spill_count: 0
    .symbol:         _ZN2at6native6mbtopk10gatherTopKIijLin1EEEvNS_4cuda6detail10TensorInfoIKT_T0_EES8_S8_bjS8_NS5_IS6_S8_EES8_NS5_IlS8_EES8_jjPS6_PjSD_j.kd
    .uniform_work_group_size: 1
    .uses_dynamic_stack: false
    .vgpr_count:     24
    .vgpr_spill_count: 0
    .wavefront_size: 32
    .workgroup_processor_mode: 1
  - .args:
      - .offset:         0
        .size:           216
        .value_kind:     by_value
      - .offset:         216
        .size:           4
        .value_kind:     by_value
      - .offset:         220
        .size:           4
        .value_kind:     by_value
      - .offset:         224
        .size:           1
        .value_kind:     by_value
      - .offset:         228
        .size:           4
        .value_kind:     by_value
      - .offset:         232
        .size:           4
        .value_kind:     by_value
      - .offset:         240
        .size:           216
        .value_kind:     by_value
      - .offset:         456
        .size:           4
        .value_kind:     by_value
      - .offset:         464
        .size:           216
        .value_kind:     by_value
      - .offset:         680
        .size:           4
        .value_kind:     by_value
      - .address_space:  global
        .offset:         688
        .size:           8
        .value_kind:     global_buffer
      - .offset:         696
        .size:           4
        .value_kind:     hidden_block_count_x
      - .offset:         700
        .size:           4
        .value_kind:     hidden_block_count_y
      - .offset:         704
        .size:           4
        .value_kind:     hidden_block_count_z
      - .offset:         708
        .size:           2
        .value_kind:     hidden_group_size_x
      - .offset:         710
        .size:           2
        .value_kind:     hidden_group_size_y
      - .offset:         712
        .size:           2
        .value_kind:     hidden_group_size_z
      - .offset:         714
        .size:           2
        .value_kind:     hidden_remainder_x
      - .offset:         716
        .size:           2
        .value_kind:     hidden_remainder_y
      - .offset:         718
        .size:           2
        .value_kind:     hidden_remainder_z
      - .offset:         736
        .size:           8
        .value_kind:     hidden_global_offset_x
      - .offset:         744
        .size:           8
        .value_kind:     hidden_global_offset_y
      - .offset:         752
        .size:           8
        .value_kind:     hidden_global_offset_z
      - .offset:         760
        .size:           2
        .value_kind:     hidden_grid_dims
    .group_segment_fixed_size: 4112
    .kernarg_segment_align: 8
    .kernarg_segment_size: 952
    .language:       OpenCL C
    .language_version:
      - 2
      - 0
    .max_flat_workgroup_size: 1024
    .name:           _ZN2at6native6sbtopk10gatherTopKIijLin1ELb0EEEvNS_4cuda6detail10TensorInfoIKT_T0_EES8_S8_bS8_S8_NS5_IS6_S8_EES8_NS5_IlS8_EES8_PS6_
    .private_segment_fixed_size: 0
    .sgpr_count:     94
    .sgpr_spill_count: 0
    .symbol:         _ZN2at6native6sbtopk10gatherTopKIijLin1ELb0EEEvNS_4cuda6detail10TensorInfoIKT_T0_EES8_S8_bS8_S8_NS5_IS6_S8_EES8_NS5_IlS8_EES8_PS6_.kd
    .uniform_work_group_size: 1
    .uses_dynamic_stack: false
    .vgpr_count:     43
    .vgpr_spill_count: 0
    .wavefront_size: 32
    .workgroup_processor_mode: 1
  - .args:
      - .offset:         0
        .size:           216
        .value_kind:     by_value
      - .offset:         216
        .size:           4
        .value_kind:     by_value
      - .address_space:  global
        .offset:         224
        .size:           8
        .value_kind:     global_buffer
      - .offset:         232
        .size:           4
        .value_kind:     by_value
      - .offset:         236
        .size:           4
        .value_kind:     by_value
      - .offset:         240
        .size:           4
        .value_kind:     by_value
      - .offset:         244
        .size:           4
        .value_kind:     by_value
      - .offset:         248
        .size:           4
        .value_kind:     by_value
      - .offset:         256
        .size:           8
        .value_kind:     by_value
      - .address_space:  global
        .offset:         264
        .size:           8
        .value_kind:     global_buffer
      - .address_space:  global
        .offset:         272
        .size:           8
        .value_kind:     global_buffer
      - .offset:         280
        .size:           4
        .value_kind:     hidden_block_count_x
      - .offset:         284
        .size:           4
        .value_kind:     hidden_block_count_y
      - .offset:         288
        .size:           4
        .value_kind:     hidden_block_count_z
      - .offset:         292
        .size:           2
        .value_kind:     hidden_group_size_x
      - .offset:         294
        .size:           2
        .value_kind:     hidden_group_size_y
      - .offset:         296
        .size:           2
        .value_kind:     hidden_group_size_z
      - .offset:         298
        .size:           2
        .value_kind:     hidden_remainder_x
      - .offset:         300
        .size:           2
        .value_kind:     hidden_remainder_y
      - .offset:         302
        .size:           2
        .value_kind:     hidden_remainder_z
      - .offset:         320
        .size:           8
        .value_kind:     hidden_global_offset_x
      - .offset:         328
        .size:           8
        .value_kind:     hidden_global_offset_y
      - .offset:         336
        .size:           8
        .value_kind:     hidden_global_offset_z
      - .offset:         344
        .size:           2
        .value_kind:     hidden_grid_dims
    .group_segment_fixed_size: 1024
    .kernarg_segment_align: 8
    .kernarg_segment_size: 536
    .language:       OpenCL C
    .language_version:
      - 2
      - 0
    .max_flat_workgroup_size: 256
    .name:           _ZN2at6native6mbtopk23computeBlockDigitCountsIljmLi1EEEvNS_4cuda6detail10TensorInfoIKT_T0_EEjPjjS8_iijT1_PSB_Ps
    .private_segment_fixed_size: 0
    .sgpr_count:     24
    .sgpr_spill_count: 0
    .symbol:         _ZN2at6native6mbtopk23computeBlockDigitCountsIljmLi1EEEvNS_4cuda6detail10TensorInfoIKT_T0_EEjPjjS8_iijT1_PSB_Ps.kd
    .uniform_work_group_size: 1
    .uses_dynamic_stack: false
    .vgpr_count:     14
    .vgpr_spill_count: 0
    .wavefront_size: 32
    .workgroup_processor_mode: 1
  - .args:
      - .address_space:  global
        .offset:         0
        .size:           8
        .value_kind:     global_buffer
      - .address_space:  global
        .offset:         8
        .size:           8
        .value_kind:     global_buffer
      - .address_space:  global
        .offset:         16
        .size:           8
        .value_kind:     global_buffer
      - .offset:         24
        .size:           4
        .value_kind:     by_value
      - .offset:         28
        .size:           4
        .value_kind:     by_value
      - .offset:         32
        .size:           1
        .value_kind:     by_value
      - .address_space:  global
        .offset:         40
        .size:           8
        .value_kind:     global_buffer
      - .address_space:  global
        .offset:         48
        .size:           8
        .value_kind:     global_buffer
      - .address_space:  global
        .offset:         56
        .size:           8
        .value_kind:     global_buffer
      - .address_space:  global
        .offset:         64
        .size:           8
        .value_kind:     global_buffer
      - .address_space:  global
        .offset:         72
        .size:           8
        .value_kind:     global_buffer
      - .offset:         80
        .size:           4
        .value_kind:     by_value
      - .offset:         88
        .size:           4
        .value_kind:     hidden_block_count_x
      - .offset:         92
        .size:           4
        .value_kind:     hidden_block_count_y
      - .offset:         96
        .size:           4
        .value_kind:     hidden_block_count_z
      - .offset:         100
        .size:           2
        .value_kind:     hidden_group_size_x
      - .offset:         102
        .size:           2
        .value_kind:     hidden_group_size_y
      - .offset:         104
        .size:           2
        .value_kind:     hidden_group_size_z
      - .offset:         106
        .size:           2
        .value_kind:     hidden_remainder_x
      - .offset:         108
        .size:           2
        .value_kind:     hidden_remainder_y
      - .offset:         110
        .size:           2
        .value_kind:     hidden_remainder_z
      - .offset:         128
        .size:           8
        .value_kind:     hidden_global_offset_x
      - .offset:         136
        .size:           8
        .value_kind:     hidden_global_offset_y
      - .offset:         144
        .size:           8
        .value_kind:     hidden_global_offset_z
      - .offset:         152
        .size:           2
        .value_kind:     hidden_grid_dims
    .group_segment_fixed_size: 2120
    .kernarg_segment_align: 8
    .kernarg_segment_size: 344
    .language:       OpenCL C
    .language_version:
      - 2
      - 0
    .max_flat_workgroup_size: 256
    .name:           _ZN2at6native6mbtopk29computeBlockwiseWithinKCountsImlEEvPT_PsPjjibS6_PT0_S6_S4_S6_j
    .private_segment_fixed_size: 0
    .sgpr_count:     30
    .sgpr_spill_count: 0
    .symbol:         _ZN2at6native6mbtopk29computeBlockwiseWithinKCountsImlEEvPT_PsPjjibS6_PT0_S6_S4_S6_j.kd
    .uniform_work_group_size: 1
    .uses_dynamic_stack: false
    .vgpr_count:     15
    .vgpr_spill_count: 0
    .wavefront_size: 32
    .workgroup_processor_mode: 1
  - .args:
      - .offset:         0
        .size:           216
        .value_kind:     by_value
      - .offset:         216
        .size:           4
        .value_kind:     by_value
      - .offset:         220
        .size:           4
        .value_kind:     by_value
      - .offset:         224
        .size:           1
        .value_kind:     by_value
      - .offset:         228
        .size:           4
        .value_kind:     by_value
      - .offset:         232
        .size:           4
        .value_kind:     by_value
      - .offset:         240
        .size:           216
        .value_kind:     by_value
      - .offset:         456
        .size:           4
        .value_kind:     by_value
      - .offset:         464
        .size:           216
        .value_kind:     by_value
      - .offset:         680
        .size:           4
        .value_kind:     by_value
      - .offset:         684
        .size:           4
        .value_kind:     by_value
      - .offset:         688
        .size:           4
        .value_kind:     by_value
      - .address_space:  global
        .offset:         696
        .size:           8
        .value_kind:     global_buffer
      - .address_space:  global
        .offset:         704
        .size:           8
        .value_kind:     global_buffer
      - .address_space:  global
        .offset:         712
        .size:           8
        .value_kind:     global_buffer
      - .offset:         720
        .size:           4
        .value_kind:     by_value
      - .offset:         728
        .size:           4
        .value_kind:     hidden_block_count_x
      - .offset:         732
        .size:           4
        .value_kind:     hidden_block_count_y
      - .offset:         736
        .size:           4
        .value_kind:     hidden_block_count_z
      - .offset:         740
        .size:           2
        .value_kind:     hidden_group_size_x
      - .offset:         742
        .size:           2
        .value_kind:     hidden_group_size_y
      - .offset:         744
        .size:           2
        .value_kind:     hidden_group_size_z
      - .offset:         746
        .size:           2
        .value_kind:     hidden_remainder_x
      - .offset:         748
        .size:           2
        .value_kind:     hidden_remainder_y
      - .offset:         750
        .size:           2
        .value_kind:     hidden_remainder_z
      - .offset:         768
        .size:           8
        .value_kind:     hidden_global_offset_x
      - .offset:         776
        .size:           8
        .value_kind:     hidden_global_offset_y
      - .offset:         784
        .size:           8
        .value_kind:     hidden_global_offset_z
      - .offset:         792
        .size:           2
        .value_kind:     hidden_grid_dims
    .group_segment_fixed_size: 1068
    .kernarg_segment_align: 8
    .kernarg_segment_size: 984
    .language:       OpenCL C
    .language_version:
      - 2
      - 0
    .max_flat_workgroup_size: 256
    .name:           _ZN2at6native6mbtopk10gatherTopKIljLi1EEEvNS_4cuda6detail10TensorInfoIKT_T0_EES8_S8_bjS8_NS5_IS6_S8_EES8_NS5_IlS8_EES8_jjPS6_PjSD_j
    .private_segment_fixed_size: 0
    .sgpr_count:     39
    .sgpr_spill_count: 0
    .symbol:         _ZN2at6native6mbtopk10gatherTopKIljLi1EEEvNS_4cuda6detail10TensorInfoIKT_T0_EES8_S8_bjS8_NS5_IS6_S8_EES8_NS5_IlS8_EES8_jjPS6_PjSD_j.kd
    .uniform_work_group_size: 1
    .uses_dynamic_stack: false
    .vgpr_count:     25
    .vgpr_spill_count: 0
    .wavefront_size: 32
    .workgroup_processor_mode: 1
  - .args:
      - .offset:         0
        .size:           216
        .value_kind:     by_value
      - .offset:         216
        .size:           4
        .value_kind:     by_value
      - .offset:         220
        .size:           4
        .value_kind:     by_value
      - .offset:         224
        .size:           1
        .value_kind:     by_value
      - .offset:         228
        .size:           4
        .value_kind:     by_value
      - .offset:         232
        .size:           4
        .value_kind:     by_value
      - .offset:         240
        .size:           216
        .value_kind:     by_value
      - .offset:         456
        .size:           4
        .value_kind:     by_value
      - .offset:         464
        .size:           216
        .value_kind:     by_value
      - .offset:         680
        .size:           4
        .value_kind:     by_value
      - .address_space:  global
        .offset:         688
        .size:           8
        .value_kind:     global_buffer
      - .offset:         696
        .size:           4
        .value_kind:     hidden_block_count_x
      - .offset:         700
        .size:           4
        .value_kind:     hidden_block_count_y
      - .offset:         704
        .size:           4
        .value_kind:     hidden_block_count_z
      - .offset:         708
        .size:           2
        .value_kind:     hidden_group_size_x
      - .offset:         710
        .size:           2
        .value_kind:     hidden_group_size_y
      - .offset:         712
        .size:           2
        .value_kind:     hidden_group_size_z
      - .offset:         714
        .size:           2
        .value_kind:     hidden_remainder_x
      - .offset:         716
        .size:           2
        .value_kind:     hidden_remainder_y
      - .offset:         718
        .size:           2
        .value_kind:     hidden_remainder_z
      - .offset:         736
        .size:           8
        .value_kind:     hidden_global_offset_x
      - .offset:         744
        .size:           8
        .value_kind:     hidden_global_offset_y
      - .offset:         752
        .size:           8
        .value_kind:     hidden_global_offset_z
      - .offset:         760
        .size:           2
        .value_kind:     hidden_grid_dims
    .group_segment_fixed_size: 4112
    .kernarg_segment_align: 8
    .kernarg_segment_size: 952
    .language:       OpenCL C
    .language_version:
      - 2
      - 0
    .max_flat_workgroup_size: 1024
    .name:           _ZN2at6native6sbtopk10gatherTopKIljLi1ELb0EEEvNS_4cuda6detail10TensorInfoIKT_T0_EES8_S8_bS8_S8_NS5_IS6_S8_EES8_NS5_IlS8_EES8_PS6_
    .private_segment_fixed_size: 0
    .sgpr_count:     94
    .sgpr_spill_count: 0
    .symbol:         _ZN2at6native6sbtopk10gatherTopKIljLi1ELb0EEEvNS_4cuda6detail10TensorInfoIKT_T0_EES8_S8_bS8_S8_NS5_IS6_S8_EES8_NS5_IlS8_EES8_PS6_.kd
    .uniform_work_group_size: 1
    .uses_dynamic_stack: false
    .vgpr_count:     55
    .vgpr_spill_count: 0
    .wavefront_size: 32
    .workgroup_processor_mode: 1
  - .args:
      - .offset:         0
        .size:           216
        .value_kind:     by_value
      - .offset:         216
        .size:           4
        .value_kind:     by_value
      - .address_space:  global
        .offset:         224
        .size:           8
        .value_kind:     global_buffer
      - .offset:         232
        .size:           4
        .value_kind:     by_value
      - .offset:         236
        .size:           4
        .value_kind:     by_value
      - .offset:         240
        .size:           4
        .value_kind:     by_value
      - .offset:         244
        .size:           4
        .value_kind:     by_value
      - .offset:         248
        .size:           4
        .value_kind:     by_value
      - .offset:         256
        .size:           8
        .value_kind:     by_value
      - .address_space:  global
        .offset:         264
        .size:           8
        .value_kind:     global_buffer
      - .address_space:  global
        .offset:         272
        .size:           8
        .value_kind:     global_buffer
      - .offset:         280
        .size:           4
        .value_kind:     hidden_block_count_x
      - .offset:         284
        .size:           4
        .value_kind:     hidden_block_count_y
      - .offset:         288
        .size:           4
        .value_kind:     hidden_block_count_z
      - .offset:         292
        .size:           2
        .value_kind:     hidden_group_size_x
      - .offset:         294
        .size:           2
        .value_kind:     hidden_group_size_y
      - .offset:         296
        .size:           2
        .value_kind:     hidden_group_size_z
      - .offset:         298
        .size:           2
        .value_kind:     hidden_remainder_x
      - .offset:         300
        .size:           2
        .value_kind:     hidden_remainder_y
      - .offset:         302
        .size:           2
        .value_kind:     hidden_remainder_z
      - .offset:         320
        .size:           8
        .value_kind:     hidden_global_offset_x
      - .offset:         328
        .size:           8
        .value_kind:     hidden_global_offset_y
      - .offset:         336
        .size:           8
        .value_kind:     hidden_global_offset_z
      - .offset:         344
        .size:           2
        .value_kind:     hidden_grid_dims
    .group_segment_fixed_size: 1024
    .kernarg_segment_align: 8
    .kernarg_segment_size: 536
    .language:       OpenCL C
    .language_version:
      - 2
      - 0
    .max_flat_workgroup_size: 256
    .name:           _ZN2at6native6mbtopk23computeBlockDigitCountsIljmLi2EEEvNS_4cuda6detail10TensorInfoIKT_T0_EEjPjjS8_iijT1_PSB_Ps
    .private_segment_fixed_size: 0
    .sgpr_count:     25
    .sgpr_spill_count: 0
    .symbol:         _ZN2at6native6mbtopk23computeBlockDigitCountsIljmLi2EEEvNS_4cuda6detail10TensorInfoIKT_T0_EEjPjjS8_iijT1_PSB_Ps.kd
    .uniform_work_group_size: 1
    .uses_dynamic_stack: false
    .vgpr_count:     14
    .vgpr_spill_count: 0
    .wavefront_size: 32
    .workgroup_processor_mode: 1
  - .args:
      - .offset:         0
        .size:           216
        .value_kind:     by_value
      - .offset:         216
        .size:           4
        .value_kind:     by_value
      - .offset:         220
        .size:           4
        .value_kind:     by_value
      - .offset:         224
        .size:           1
        .value_kind:     by_value
      - .offset:         228
        .size:           4
        .value_kind:     by_value
      - .offset:         232
        .size:           4
        .value_kind:     by_value
      - .offset:         240
        .size:           216
        .value_kind:     by_value
      - .offset:         456
        .size:           4
        .value_kind:     by_value
      - .offset:         464
        .size:           216
        .value_kind:     by_value
      - .offset:         680
        .size:           4
        .value_kind:     by_value
      - .offset:         684
        .size:           4
        .value_kind:     by_value
      - .offset:         688
        .size:           4
        .value_kind:     by_value
      - .address_space:  global
        .offset:         696
        .size:           8
        .value_kind:     global_buffer
      - .address_space:  global
        .offset:         704
        .size:           8
        .value_kind:     global_buffer
      - .address_space:  global
        .offset:         712
        .size:           8
        .value_kind:     global_buffer
      - .offset:         720
        .size:           4
        .value_kind:     by_value
      - .offset:         728
        .size:           4
        .value_kind:     hidden_block_count_x
      - .offset:         732
        .size:           4
        .value_kind:     hidden_block_count_y
      - .offset:         736
        .size:           4
        .value_kind:     hidden_block_count_z
      - .offset:         740
        .size:           2
        .value_kind:     hidden_group_size_x
      - .offset:         742
        .size:           2
        .value_kind:     hidden_group_size_y
      - .offset:         744
        .size:           2
        .value_kind:     hidden_group_size_z
      - .offset:         746
        .size:           2
        .value_kind:     hidden_remainder_x
      - .offset:         748
        .size:           2
        .value_kind:     hidden_remainder_y
      - .offset:         750
        .size:           2
        .value_kind:     hidden_remainder_z
      - .offset:         768
        .size:           8
        .value_kind:     hidden_global_offset_x
      - .offset:         776
        .size:           8
        .value_kind:     hidden_global_offset_y
      - .offset:         784
        .size:           8
        .value_kind:     hidden_global_offset_z
      - .offset:         792
        .size:           2
        .value_kind:     hidden_grid_dims
    .group_segment_fixed_size: 1068
    .kernarg_segment_align: 8
    .kernarg_segment_size: 984
    .language:       OpenCL C
    .language_version:
      - 2
      - 0
    .max_flat_workgroup_size: 256
    .name:           _ZN2at6native6mbtopk10gatherTopKIljLi2EEEvNS_4cuda6detail10TensorInfoIKT_T0_EES8_S8_bjS8_NS5_IS6_S8_EES8_NS5_IlS8_EES8_jjPS6_PjSD_j
    .private_segment_fixed_size: 0
    .sgpr_count:     51
    .sgpr_spill_count: 0
    .symbol:         _ZN2at6native6mbtopk10gatherTopKIljLi2EEEvNS_4cuda6detail10TensorInfoIKT_T0_EES8_S8_bjS8_NS5_IS6_S8_EES8_NS5_IlS8_EES8_jjPS6_PjSD_j.kd
    .uniform_work_group_size: 1
    .uses_dynamic_stack: false
    .vgpr_count:     25
    .vgpr_spill_count: 0
    .wavefront_size: 32
    .workgroup_processor_mode: 1
  - .args:
      - .offset:         0
        .size:           216
        .value_kind:     by_value
      - .offset:         216
        .size:           4
        .value_kind:     by_value
      - .offset:         220
        .size:           4
        .value_kind:     by_value
      - .offset:         224
        .size:           1
        .value_kind:     by_value
      - .offset:         228
        .size:           4
        .value_kind:     by_value
      - .offset:         232
        .size:           4
        .value_kind:     by_value
      - .offset:         240
        .size:           216
        .value_kind:     by_value
      - .offset:         456
        .size:           4
        .value_kind:     by_value
      - .offset:         464
        .size:           216
        .value_kind:     by_value
      - .offset:         680
        .size:           4
        .value_kind:     by_value
      - .address_space:  global
        .offset:         688
        .size:           8
        .value_kind:     global_buffer
      - .offset:         696
        .size:           4
        .value_kind:     hidden_block_count_x
      - .offset:         700
        .size:           4
        .value_kind:     hidden_block_count_y
      - .offset:         704
        .size:           4
        .value_kind:     hidden_block_count_z
      - .offset:         708
        .size:           2
        .value_kind:     hidden_group_size_x
      - .offset:         710
        .size:           2
        .value_kind:     hidden_group_size_y
      - .offset:         712
        .size:           2
        .value_kind:     hidden_group_size_z
      - .offset:         714
        .size:           2
        .value_kind:     hidden_remainder_x
      - .offset:         716
        .size:           2
        .value_kind:     hidden_remainder_y
      - .offset:         718
        .size:           2
        .value_kind:     hidden_remainder_z
      - .offset:         736
        .size:           8
        .value_kind:     hidden_global_offset_x
      - .offset:         744
        .size:           8
        .value_kind:     hidden_global_offset_y
      - .offset:         752
        .size:           8
        .value_kind:     hidden_global_offset_z
      - .offset:         760
        .size:           2
        .value_kind:     hidden_grid_dims
    .group_segment_fixed_size: 4112
    .kernarg_segment_align: 8
    .kernarg_segment_size: 952
    .language:       OpenCL C
    .language_version:
      - 2
      - 0
    .max_flat_workgroup_size: 1024
    .name:           _ZN2at6native6sbtopk10gatherTopKIljLi2ELb0EEEvNS_4cuda6detail10TensorInfoIKT_T0_EES8_S8_bS8_S8_NS5_IS6_S8_EES8_NS5_IlS8_EES8_PS6_
    .private_segment_fixed_size: 0
    .sgpr_count:     100
    .sgpr_spill_count: 0
    .symbol:         _ZN2at6native6sbtopk10gatherTopKIljLi2ELb0EEEvNS_4cuda6detail10TensorInfoIKT_T0_EES8_S8_bS8_S8_NS5_IS6_S8_EES8_NS5_IlS8_EES8_PS6_.kd
    .uniform_work_group_size: 1
    .uses_dynamic_stack: false
    .vgpr_count:     55
    .vgpr_spill_count: 0
    .wavefront_size: 32
    .workgroup_processor_mode: 1
  - .args:
      - .offset:         0
        .size:           216
        .value_kind:     by_value
      - .offset:         216
        .size:           4
        .value_kind:     by_value
      - .address_space:  global
        .offset:         224
        .size:           8
        .value_kind:     global_buffer
      - .offset:         232
        .size:           4
        .value_kind:     by_value
      - .offset:         236
        .size:           4
        .value_kind:     by_value
      - .offset:         240
        .size:           4
        .value_kind:     by_value
      - .offset:         244
        .size:           4
        .value_kind:     by_value
      - .offset:         248
        .size:           4
        .value_kind:     by_value
      - .offset:         256
        .size:           8
        .value_kind:     by_value
      - .address_space:  global
        .offset:         264
        .size:           8
        .value_kind:     global_buffer
      - .address_space:  global
        .offset:         272
        .size:           8
        .value_kind:     global_buffer
      - .offset:         280
        .size:           4
        .value_kind:     hidden_block_count_x
      - .offset:         284
        .size:           4
        .value_kind:     hidden_block_count_y
      - .offset:         288
        .size:           4
        .value_kind:     hidden_block_count_z
      - .offset:         292
        .size:           2
        .value_kind:     hidden_group_size_x
      - .offset:         294
        .size:           2
        .value_kind:     hidden_group_size_y
      - .offset:         296
        .size:           2
        .value_kind:     hidden_group_size_z
      - .offset:         298
        .size:           2
        .value_kind:     hidden_remainder_x
      - .offset:         300
        .size:           2
        .value_kind:     hidden_remainder_y
      - .offset:         302
        .size:           2
        .value_kind:     hidden_remainder_z
      - .offset:         320
        .size:           8
        .value_kind:     hidden_global_offset_x
      - .offset:         328
        .size:           8
        .value_kind:     hidden_global_offset_y
      - .offset:         336
        .size:           8
        .value_kind:     hidden_global_offset_z
      - .offset:         344
        .size:           2
        .value_kind:     hidden_grid_dims
    .group_segment_fixed_size: 1024
    .kernarg_segment_align: 8
    .kernarg_segment_size: 536
    .language:       OpenCL C
    .language_version:
      - 2
      - 0
    .max_flat_workgroup_size: 256
    .name:           _ZN2at6native6mbtopk23computeBlockDigitCountsIljmLi3EEEvNS_4cuda6detail10TensorInfoIKT_T0_EEjPjjS8_iijT1_PSB_Ps
    .private_segment_fixed_size: 0
    .sgpr_count:     29
    .sgpr_spill_count: 0
    .symbol:         _ZN2at6native6mbtopk23computeBlockDigitCountsIljmLi3EEEvNS_4cuda6detail10TensorInfoIKT_T0_EEjPjjS8_iijT1_PSB_Ps.kd
    .uniform_work_group_size: 1
    .uses_dynamic_stack: false
    .vgpr_count:     14
    .vgpr_spill_count: 0
    .wavefront_size: 32
    .workgroup_processor_mode: 1
  - .args:
      - .offset:         0
        .size:           216
        .value_kind:     by_value
      - .offset:         216
        .size:           4
        .value_kind:     by_value
      - .offset:         220
        .size:           4
        .value_kind:     by_value
      - .offset:         224
        .size:           1
        .value_kind:     by_value
      - .offset:         228
        .size:           4
        .value_kind:     by_value
      - .offset:         232
        .size:           4
        .value_kind:     by_value
      - .offset:         240
        .size:           216
        .value_kind:     by_value
      - .offset:         456
        .size:           4
        .value_kind:     by_value
      - .offset:         464
        .size:           216
        .value_kind:     by_value
      - .offset:         680
        .size:           4
        .value_kind:     by_value
      - .offset:         684
        .size:           4
        .value_kind:     by_value
      - .offset:         688
        .size:           4
        .value_kind:     by_value
      - .address_space:  global
        .offset:         696
        .size:           8
        .value_kind:     global_buffer
      - .address_space:  global
        .offset:         704
        .size:           8
        .value_kind:     global_buffer
      - .address_space:  global
        .offset:         712
        .size:           8
        .value_kind:     global_buffer
      - .offset:         720
        .size:           4
        .value_kind:     by_value
      - .offset:         728
        .size:           4
        .value_kind:     hidden_block_count_x
      - .offset:         732
        .size:           4
        .value_kind:     hidden_block_count_y
      - .offset:         736
        .size:           4
        .value_kind:     hidden_block_count_z
      - .offset:         740
        .size:           2
        .value_kind:     hidden_group_size_x
      - .offset:         742
        .size:           2
        .value_kind:     hidden_group_size_y
      - .offset:         744
        .size:           2
        .value_kind:     hidden_group_size_z
      - .offset:         746
        .size:           2
        .value_kind:     hidden_remainder_x
      - .offset:         748
        .size:           2
        .value_kind:     hidden_remainder_y
      - .offset:         750
        .size:           2
        .value_kind:     hidden_remainder_z
      - .offset:         768
        .size:           8
        .value_kind:     hidden_global_offset_x
      - .offset:         776
        .size:           8
        .value_kind:     hidden_global_offset_y
      - .offset:         784
        .size:           8
        .value_kind:     hidden_global_offset_z
      - .offset:         792
        .size:           2
        .value_kind:     hidden_grid_dims
    .group_segment_fixed_size: 1068
    .kernarg_segment_align: 8
    .kernarg_segment_size: 984
    .language:       OpenCL C
    .language_version:
      - 2
      - 0
    .max_flat_workgroup_size: 256
    .name:           _ZN2at6native6mbtopk10gatherTopKIljLi3EEEvNS_4cuda6detail10TensorInfoIKT_T0_EES8_S8_bjS8_NS5_IS6_S8_EES8_NS5_IlS8_EES8_jjPS6_PjSD_j
    .private_segment_fixed_size: 0
    .sgpr_count:     60
    .sgpr_spill_count: 0
    .symbol:         _ZN2at6native6mbtopk10gatherTopKIljLi3EEEvNS_4cuda6detail10TensorInfoIKT_T0_EES8_S8_bjS8_NS5_IS6_S8_EES8_NS5_IlS8_EES8_jjPS6_PjSD_j.kd
    .uniform_work_group_size: 1
    .uses_dynamic_stack: false
    .vgpr_count:     25
    .vgpr_spill_count: 0
    .wavefront_size: 32
    .workgroup_processor_mode: 1
  - .args:
      - .offset:         0
        .size:           216
        .value_kind:     by_value
      - .offset:         216
        .size:           4
        .value_kind:     by_value
      - .offset:         220
        .size:           4
        .value_kind:     by_value
      - .offset:         224
        .size:           1
        .value_kind:     by_value
      - .offset:         228
        .size:           4
        .value_kind:     by_value
      - .offset:         232
        .size:           4
        .value_kind:     by_value
      - .offset:         240
        .size:           216
        .value_kind:     by_value
      - .offset:         456
        .size:           4
        .value_kind:     by_value
      - .offset:         464
        .size:           216
        .value_kind:     by_value
      - .offset:         680
        .size:           4
        .value_kind:     by_value
      - .address_space:  global
        .offset:         688
        .size:           8
        .value_kind:     global_buffer
      - .offset:         696
        .size:           4
        .value_kind:     hidden_block_count_x
      - .offset:         700
        .size:           4
        .value_kind:     hidden_block_count_y
      - .offset:         704
        .size:           4
        .value_kind:     hidden_block_count_z
      - .offset:         708
        .size:           2
        .value_kind:     hidden_group_size_x
      - .offset:         710
        .size:           2
        .value_kind:     hidden_group_size_y
      - .offset:         712
        .size:           2
        .value_kind:     hidden_group_size_z
      - .offset:         714
        .size:           2
        .value_kind:     hidden_remainder_x
      - .offset:         716
        .size:           2
        .value_kind:     hidden_remainder_y
      - .offset:         718
        .size:           2
        .value_kind:     hidden_remainder_z
      - .offset:         736
        .size:           8
        .value_kind:     hidden_global_offset_x
      - .offset:         744
        .size:           8
        .value_kind:     hidden_global_offset_y
      - .offset:         752
        .size:           8
        .value_kind:     hidden_global_offset_z
      - .offset:         760
        .size:           2
        .value_kind:     hidden_grid_dims
    .group_segment_fixed_size: 4112
    .kernarg_segment_align: 8
    .kernarg_segment_size: 952
    .language:       OpenCL C
    .language_version:
      - 2
      - 0
    .max_flat_workgroup_size: 1024
    .name:           _ZN2at6native6sbtopk10gatherTopKIljLi3ELb0EEEvNS_4cuda6detail10TensorInfoIKT_T0_EES8_S8_bS8_S8_NS5_IS6_S8_EES8_NS5_IlS8_EES8_PS6_
    .private_segment_fixed_size: 0
    .sgpr_count:     106
    .sgpr_spill_count: 0
    .symbol:         _ZN2at6native6sbtopk10gatherTopKIljLi3ELb0EEEvNS_4cuda6detail10TensorInfoIKT_T0_EES8_S8_bS8_S8_NS5_IS6_S8_EES8_NS5_IlS8_EES8_PS6_.kd
    .uniform_work_group_size: 1
    .uses_dynamic_stack: false
    .vgpr_count:     55
    .vgpr_spill_count: 0
    .wavefront_size: 32
    .workgroup_processor_mode: 1
  - .args:
      - .offset:         0
        .size:           216
        .value_kind:     by_value
      - .offset:         216
        .size:           4
        .value_kind:     by_value
      - .address_space:  global
        .offset:         224
        .size:           8
        .value_kind:     global_buffer
      - .offset:         232
        .size:           4
        .value_kind:     by_value
      - .offset:         236
        .size:           4
        .value_kind:     by_value
      - .offset:         240
        .size:           4
        .value_kind:     by_value
      - .offset:         244
        .size:           4
        .value_kind:     by_value
      - .offset:         248
        .size:           4
        .value_kind:     by_value
      - .offset:         256
        .size:           8
        .value_kind:     by_value
      - .address_space:  global
        .offset:         264
        .size:           8
        .value_kind:     global_buffer
      - .address_space:  global
        .offset:         272
        .size:           8
        .value_kind:     global_buffer
      - .offset:         280
        .size:           4
        .value_kind:     hidden_block_count_x
      - .offset:         284
        .size:           4
        .value_kind:     hidden_block_count_y
      - .offset:         288
        .size:           4
        .value_kind:     hidden_block_count_z
      - .offset:         292
        .size:           2
        .value_kind:     hidden_group_size_x
      - .offset:         294
        .size:           2
        .value_kind:     hidden_group_size_y
      - .offset:         296
        .size:           2
        .value_kind:     hidden_group_size_z
      - .offset:         298
        .size:           2
        .value_kind:     hidden_remainder_x
      - .offset:         300
        .size:           2
        .value_kind:     hidden_remainder_y
      - .offset:         302
        .size:           2
        .value_kind:     hidden_remainder_z
      - .offset:         320
        .size:           8
        .value_kind:     hidden_global_offset_x
      - .offset:         328
        .size:           8
        .value_kind:     hidden_global_offset_y
      - .offset:         336
        .size:           8
        .value_kind:     hidden_global_offset_z
      - .offset:         344
        .size:           2
        .value_kind:     hidden_grid_dims
    .group_segment_fixed_size: 1024
    .kernarg_segment_align: 8
    .kernarg_segment_size: 536
    .language:       OpenCL C
    .language_version:
      - 2
      - 0
    .max_flat_workgroup_size: 256
    .name:           _ZN2at6native6mbtopk23computeBlockDigitCountsIljmLin1EEEvNS_4cuda6detail10TensorInfoIKT_T0_EEjPjjS8_iijT1_PSB_Ps
    .private_segment_fixed_size: 0
    .sgpr_count:     27
    .sgpr_spill_count: 0
    .symbol:         _ZN2at6native6mbtopk23computeBlockDigitCountsIljmLin1EEEvNS_4cuda6detail10TensorInfoIKT_T0_EEjPjjS8_iijT1_PSB_Ps.kd
    .uniform_work_group_size: 1
    .uses_dynamic_stack: false
    .vgpr_count:     14
    .vgpr_spill_count: 0
    .wavefront_size: 32
    .workgroup_processor_mode: 1
  - .args:
      - .offset:         0
        .size:           216
        .value_kind:     by_value
      - .offset:         216
        .size:           4
        .value_kind:     by_value
      - .offset:         220
        .size:           4
        .value_kind:     by_value
      - .offset:         224
        .size:           1
        .value_kind:     by_value
      - .offset:         228
        .size:           4
        .value_kind:     by_value
      - .offset:         232
        .size:           4
        .value_kind:     by_value
      - .offset:         240
        .size:           216
        .value_kind:     by_value
      - .offset:         456
        .size:           4
        .value_kind:     by_value
      - .offset:         464
        .size:           216
        .value_kind:     by_value
      - .offset:         680
        .size:           4
        .value_kind:     by_value
      - .offset:         684
        .size:           4
        .value_kind:     by_value
      - .offset:         688
        .size:           4
        .value_kind:     by_value
      - .address_space:  global
        .offset:         696
        .size:           8
        .value_kind:     global_buffer
      - .address_space:  global
        .offset:         704
        .size:           8
        .value_kind:     global_buffer
      - .address_space:  global
        .offset:         712
        .size:           8
        .value_kind:     global_buffer
      - .offset:         720
        .size:           4
        .value_kind:     by_value
      - .offset:         728
        .size:           4
        .value_kind:     hidden_block_count_x
      - .offset:         732
        .size:           4
        .value_kind:     hidden_block_count_y
      - .offset:         736
        .size:           4
        .value_kind:     hidden_block_count_z
      - .offset:         740
        .size:           2
        .value_kind:     hidden_group_size_x
      - .offset:         742
        .size:           2
        .value_kind:     hidden_group_size_y
      - .offset:         744
        .size:           2
        .value_kind:     hidden_group_size_z
      - .offset:         746
        .size:           2
        .value_kind:     hidden_remainder_x
      - .offset:         748
        .size:           2
        .value_kind:     hidden_remainder_y
      - .offset:         750
        .size:           2
        .value_kind:     hidden_remainder_z
      - .offset:         768
        .size:           8
        .value_kind:     hidden_global_offset_x
      - .offset:         776
        .size:           8
        .value_kind:     hidden_global_offset_y
      - .offset:         784
        .size:           8
        .value_kind:     hidden_global_offset_z
      - .offset:         792
        .size:           2
        .value_kind:     hidden_grid_dims
    .group_segment_fixed_size: 1068
    .kernarg_segment_align: 8
    .kernarg_segment_size: 984
    .language:       OpenCL C
    .language_version:
      - 2
      - 0
    .max_flat_workgroup_size: 256
    .name:           _ZN2at6native6mbtopk10gatherTopKIljLin1EEEvNS_4cuda6detail10TensorInfoIKT_T0_EES8_S8_bjS8_NS5_IS6_S8_EES8_NS5_IlS8_EES8_jjPS6_PjSD_j
    .private_segment_fixed_size: 0
    .sgpr_count:     46
    .sgpr_spill_count: 0
    .symbol:         _ZN2at6native6mbtopk10gatherTopKIljLin1EEEvNS_4cuda6detail10TensorInfoIKT_T0_EES8_S8_bjS8_NS5_IS6_S8_EES8_NS5_IlS8_EES8_jjPS6_PjSD_j.kd
    .uniform_work_group_size: 1
    .uses_dynamic_stack: false
    .vgpr_count:     25
    .vgpr_spill_count: 0
    .wavefront_size: 32
    .workgroup_processor_mode: 1
  - .args:
      - .offset:         0
        .size:           216
        .value_kind:     by_value
      - .offset:         216
        .size:           4
        .value_kind:     by_value
      - .offset:         220
        .size:           4
        .value_kind:     by_value
      - .offset:         224
        .size:           1
        .value_kind:     by_value
      - .offset:         228
        .size:           4
        .value_kind:     by_value
      - .offset:         232
        .size:           4
        .value_kind:     by_value
      - .offset:         240
        .size:           216
        .value_kind:     by_value
      - .offset:         456
        .size:           4
        .value_kind:     by_value
      - .offset:         464
        .size:           216
        .value_kind:     by_value
      - .offset:         680
        .size:           4
        .value_kind:     by_value
      - .address_space:  global
        .offset:         688
        .size:           8
        .value_kind:     global_buffer
      - .offset:         696
        .size:           4
        .value_kind:     hidden_block_count_x
      - .offset:         700
        .size:           4
        .value_kind:     hidden_block_count_y
      - .offset:         704
        .size:           4
        .value_kind:     hidden_block_count_z
      - .offset:         708
        .size:           2
        .value_kind:     hidden_group_size_x
      - .offset:         710
        .size:           2
        .value_kind:     hidden_group_size_y
      - .offset:         712
        .size:           2
        .value_kind:     hidden_group_size_z
      - .offset:         714
        .size:           2
        .value_kind:     hidden_remainder_x
      - .offset:         716
        .size:           2
        .value_kind:     hidden_remainder_y
      - .offset:         718
        .size:           2
        .value_kind:     hidden_remainder_z
      - .offset:         736
        .size:           8
        .value_kind:     hidden_global_offset_x
      - .offset:         744
        .size:           8
        .value_kind:     hidden_global_offset_y
      - .offset:         752
        .size:           8
        .value_kind:     hidden_global_offset_z
      - .offset:         760
        .size:           2
        .value_kind:     hidden_grid_dims
    .group_segment_fixed_size: 4112
    .kernarg_segment_align: 8
    .kernarg_segment_size: 952
    .language:       OpenCL C
    .language_version:
      - 2
      - 0
    .max_flat_workgroup_size: 1024
    .name:           _ZN2at6native6sbtopk10gatherTopKIljLin1ELb0EEEvNS_4cuda6detail10TensorInfoIKT_T0_EES8_S8_bS8_S8_NS5_IS6_S8_EES8_NS5_IlS8_EES8_PS6_
    .private_segment_fixed_size: 0
    .sgpr_count:     98
    .sgpr_spill_count: 0
    .symbol:         _ZN2at6native6sbtopk10gatherTopKIljLin1ELb0EEEvNS_4cuda6detail10TensorInfoIKT_T0_EES8_S8_bS8_S8_NS5_IS6_S8_EES8_NS5_IlS8_EES8_PS6_.kd
    .uniform_work_group_size: 1
    .uses_dynamic_stack: false
    .vgpr_count:     55
    .vgpr_spill_count: 0
    .wavefront_size: 32
    .workgroup_processor_mode: 1
  - .args:
      - .offset:         0
        .size:           216
        .value_kind:     by_value
      - .offset:         216
        .size:           4
        .value_kind:     by_value
      - .address_space:  global
        .offset:         224
        .size:           8
        .value_kind:     global_buffer
      - .offset:         232
        .size:           4
        .value_kind:     by_value
      - .offset:         236
        .size:           4
        .value_kind:     by_value
      - .offset:         240
        .size:           4
        .value_kind:     by_value
      - .offset:         244
        .size:           4
        .value_kind:     by_value
      - .offset:         248
        .size:           4
        .value_kind:     by_value
      - .offset:         252
        .size:           4
        .value_kind:     by_value
      - .address_space:  global
        .offset:         256
        .size:           8
        .value_kind:     global_buffer
      - .address_space:  global
        .offset:         264
        .size:           8
        .value_kind:     global_buffer
      - .offset:         272
        .size:           4
        .value_kind:     hidden_block_count_x
      - .offset:         276
        .size:           4
        .value_kind:     hidden_block_count_y
      - .offset:         280
        .size:           4
        .value_kind:     hidden_block_count_z
      - .offset:         284
        .size:           2
        .value_kind:     hidden_group_size_x
      - .offset:         286
        .size:           2
        .value_kind:     hidden_group_size_y
      - .offset:         288
        .size:           2
        .value_kind:     hidden_group_size_z
      - .offset:         290
        .size:           2
        .value_kind:     hidden_remainder_x
      - .offset:         292
        .size:           2
        .value_kind:     hidden_remainder_y
      - .offset:         294
        .size:           2
        .value_kind:     hidden_remainder_z
      - .offset:         312
        .size:           8
        .value_kind:     hidden_global_offset_x
      - .offset:         320
        .size:           8
        .value_kind:     hidden_global_offset_y
      - .offset:         328
        .size:           8
        .value_kind:     hidden_global_offset_z
      - .offset:         336
        .size:           2
        .value_kind:     hidden_grid_dims
    .group_segment_fixed_size: 1024
    .kernarg_segment_align: 8
    .kernarg_segment_size: 528
    .language:       OpenCL C
    .language_version:
      - 2
      - 0
    .max_flat_workgroup_size: 256
    .name:           _ZN2at6native6mbtopk23computeBlockDigitCountsIsjjLi1EEEvNS_4cuda6detail10TensorInfoIKT_T0_EEjPjjS8_iijT1_PSB_Ps
    .private_segment_fixed_size: 0
    .sgpr_count:     22
    .sgpr_spill_count: 0
    .symbol:         _ZN2at6native6mbtopk23computeBlockDigitCountsIsjjLi1EEEvNS_4cuda6detail10TensorInfoIKT_T0_EEjPjjS8_iijT1_PSB_Ps.kd
    .uniform_work_group_size: 1
    .uses_dynamic_stack: false
    .vgpr_count:     12
    .vgpr_spill_count: 0
    .wavefront_size: 32
    .workgroup_processor_mode: 1
  - .args:
      - .address_space:  global
        .offset:         0
        .size:           8
        .value_kind:     global_buffer
      - .address_space:  global
        .offset:         8
        .size:           8
        .value_kind:     global_buffer
      - .address_space:  global
        .offset:         16
        .size:           8
        .value_kind:     global_buffer
      - .offset:         24
        .size:           4
        .value_kind:     by_value
      - .offset:         28
        .size:           4
        .value_kind:     by_value
      - .offset:         32
        .size:           1
        .value_kind:     by_value
      - .address_space:  global
        .offset:         40
        .size:           8
        .value_kind:     global_buffer
      - .address_space:  global
        .offset:         48
        .size:           8
        .value_kind:     global_buffer
      - .address_space:  global
        .offset:         56
        .size:           8
        .value_kind:     global_buffer
      - .address_space:  global
        .offset:         64
        .size:           8
        .value_kind:     global_buffer
      - .address_space:  global
        .offset:         72
        .size:           8
        .value_kind:     global_buffer
      - .offset:         80
        .size:           4
        .value_kind:     by_value
      - .offset:         88
        .size:           4
        .value_kind:     hidden_block_count_x
      - .offset:         92
        .size:           4
        .value_kind:     hidden_block_count_y
      - .offset:         96
        .size:           4
        .value_kind:     hidden_block_count_z
      - .offset:         100
        .size:           2
        .value_kind:     hidden_group_size_x
      - .offset:         102
        .size:           2
        .value_kind:     hidden_group_size_y
      - .offset:         104
        .size:           2
        .value_kind:     hidden_group_size_z
      - .offset:         106
        .size:           2
        .value_kind:     hidden_remainder_x
      - .offset:         108
        .size:           2
        .value_kind:     hidden_remainder_y
      - .offset:         110
        .size:           2
        .value_kind:     hidden_remainder_z
      - .offset:         128
        .size:           8
        .value_kind:     hidden_global_offset_x
      - .offset:         136
        .size:           8
        .value_kind:     hidden_global_offset_y
      - .offset:         144
        .size:           8
        .value_kind:     hidden_global_offset_z
      - .offset:         152
        .size:           2
        .value_kind:     hidden_grid_dims
    .group_segment_fixed_size: 2116
    .kernarg_segment_align: 8
    .kernarg_segment_size: 344
    .language:       OpenCL C
    .language_version:
      - 2
      - 0
    .max_flat_workgroup_size: 256
    .name:           _ZN2at6native6mbtopk29computeBlockwiseWithinKCountsIjsEEvPT_PsPjjibS6_PT0_S6_S4_S6_j
    .private_segment_fixed_size: 0
    .sgpr_count:     30
    .sgpr_spill_count: 0
    .symbol:         _ZN2at6native6mbtopk29computeBlockwiseWithinKCountsIjsEEvPT_PsPjjibS6_PT0_S6_S4_S6_j.kd
    .uniform_work_group_size: 1
    .uses_dynamic_stack: false
    .vgpr_count:     14
    .vgpr_spill_count: 0
    .wavefront_size: 32
    .workgroup_processor_mode: 1
  - .args:
      - .offset:         0
        .size:           216
        .value_kind:     by_value
      - .offset:         216
        .size:           4
        .value_kind:     by_value
      - .offset:         220
        .size:           4
        .value_kind:     by_value
      - .offset:         224
        .size:           1
        .value_kind:     by_value
      - .offset:         228
        .size:           4
        .value_kind:     by_value
      - .offset:         232
        .size:           4
        .value_kind:     by_value
      - .offset:         240
        .size:           216
        .value_kind:     by_value
      - .offset:         456
        .size:           4
        .value_kind:     by_value
      - .offset:         464
        .size:           216
        .value_kind:     by_value
      - .offset:         680
        .size:           4
        .value_kind:     by_value
      - .offset:         684
        .size:           4
        .value_kind:     by_value
      - .offset:         688
        .size:           4
        .value_kind:     by_value
      - .address_space:  global
        .offset:         696
        .size:           8
        .value_kind:     global_buffer
      - .address_space:  global
        .offset:         704
        .size:           8
        .value_kind:     global_buffer
      - .address_space:  global
        .offset:         712
        .size:           8
        .value_kind:     global_buffer
      - .offset:         720
        .size:           4
        .value_kind:     by_value
      - .offset:         728
        .size:           4
        .value_kind:     hidden_block_count_x
      - .offset:         732
        .size:           4
        .value_kind:     hidden_block_count_y
      - .offset:         736
        .size:           4
        .value_kind:     hidden_block_count_z
      - .offset:         740
        .size:           2
        .value_kind:     hidden_group_size_x
      - .offset:         742
        .size:           2
        .value_kind:     hidden_group_size_y
      - .offset:         744
        .size:           2
        .value_kind:     hidden_group_size_z
      - .offset:         746
        .size:           2
        .value_kind:     hidden_remainder_x
      - .offset:         748
        .size:           2
        .value_kind:     hidden_remainder_y
      - .offset:         750
        .size:           2
        .value_kind:     hidden_remainder_z
      - .offset:         768
        .size:           8
        .value_kind:     hidden_global_offset_x
      - .offset:         776
        .size:           8
        .value_kind:     hidden_global_offset_y
      - .offset:         784
        .size:           8
        .value_kind:     hidden_global_offset_z
      - .offset:         792
        .size:           2
        .value_kind:     hidden_grid_dims
    .group_segment_fixed_size: 1068
    .kernarg_segment_align: 8
    .kernarg_segment_size: 984
    .language:       OpenCL C
    .language_version:
      - 2
      - 0
    .max_flat_workgroup_size: 256
    .name:           _ZN2at6native6mbtopk10gatherTopKIsjLi1EEEvNS_4cuda6detail10TensorInfoIKT_T0_EES8_S8_bjS8_NS5_IS6_S8_EES8_NS5_IlS8_EES8_jjPS6_PjSD_j
    .private_segment_fixed_size: 0
    .sgpr_count:     37
    .sgpr_spill_count: 0
    .symbol:         _ZN2at6native6mbtopk10gatherTopKIsjLi1EEEvNS_4cuda6detail10TensorInfoIKT_T0_EES8_S8_bjS8_NS5_IS6_S8_EES8_NS5_IlS8_EES8_jjPS6_PjSD_j.kd
    .uniform_work_group_size: 1
    .uses_dynamic_stack: false
    .vgpr_count:     26
    .vgpr_spill_count: 0
    .wavefront_size: 32
    .workgroup_processor_mode: 1
  - .args:
      - .offset:         0
        .size:           216
        .value_kind:     by_value
      - .offset:         216
        .size:           4
        .value_kind:     by_value
      - .offset:         220
        .size:           4
        .value_kind:     by_value
      - .offset:         224
        .size:           1
        .value_kind:     by_value
      - .offset:         228
        .size:           4
        .value_kind:     by_value
      - .offset:         232
        .size:           4
        .value_kind:     by_value
      - .offset:         240
        .size:           216
        .value_kind:     by_value
      - .offset:         456
        .size:           4
        .value_kind:     by_value
      - .offset:         464
        .size:           216
        .value_kind:     by_value
      - .offset:         680
        .size:           4
        .value_kind:     by_value
      - .address_space:  global
        .offset:         688
        .size:           8
        .value_kind:     global_buffer
      - .offset:         696
        .size:           4
        .value_kind:     hidden_block_count_x
      - .offset:         700
        .size:           4
        .value_kind:     hidden_block_count_y
      - .offset:         704
        .size:           4
        .value_kind:     hidden_block_count_z
      - .offset:         708
        .size:           2
        .value_kind:     hidden_group_size_x
      - .offset:         710
        .size:           2
        .value_kind:     hidden_group_size_y
      - .offset:         712
        .size:           2
        .value_kind:     hidden_group_size_z
      - .offset:         714
        .size:           2
        .value_kind:     hidden_remainder_x
      - .offset:         716
        .size:           2
        .value_kind:     hidden_remainder_y
      - .offset:         718
        .size:           2
        .value_kind:     hidden_remainder_z
      - .offset:         736
        .size:           8
        .value_kind:     hidden_global_offset_x
      - .offset:         744
        .size:           8
        .value_kind:     hidden_global_offset_y
      - .offset:         752
        .size:           8
        .value_kind:     hidden_global_offset_z
      - .offset:         760
        .size:           2
        .value_kind:     hidden_grid_dims
    .group_segment_fixed_size: 4112
    .kernarg_segment_align: 8
    .kernarg_segment_size: 952
    .language:       OpenCL C
    .language_version:
      - 2
      - 0
    .max_flat_workgroup_size: 1024
    .name:           _ZN2at6native6sbtopk10gatherTopKIsjLi1ELb0EEEvNS_4cuda6detail10TensorInfoIKT_T0_EES8_S8_bS8_S8_NS5_IS6_S8_EES8_NS5_IlS8_EES8_PS6_
    .private_segment_fixed_size: 0
    .sgpr_count:     92
    .sgpr_spill_count: 0
    .symbol:         _ZN2at6native6sbtopk10gatherTopKIsjLi1ELb0EEEvNS_4cuda6detail10TensorInfoIKT_T0_EES8_S8_bS8_S8_NS5_IS6_S8_EES8_NS5_IlS8_EES8_PS6_.kd
    .uniform_work_group_size: 1
    .uses_dynamic_stack: false
    .vgpr_count:     43
    .vgpr_spill_count: 0
    .wavefront_size: 32
    .workgroup_processor_mode: 1
  - .args:
      - .offset:         0
        .size:           216
        .value_kind:     by_value
      - .offset:         216
        .size:           4
        .value_kind:     by_value
      - .address_space:  global
        .offset:         224
        .size:           8
        .value_kind:     global_buffer
      - .offset:         232
        .size:           4
        .value_kind:     by_value
      - .offset:         236
        .size:           4
        .value_kind:     by_value
      - .offset:         240
        .size:           4
        .value_kind:     by_value
      - .offset:         244
        .size:           4
        .value_kind:     by_value
      - .offset:         248
        .size:           4
        .value_kind:     by_value
      - .offset:         252
        .size:           4
        .value_kind:     by_value
      - .address_space:  global
        .offset:         256
        .size:           8
        .value_kind:     global_buffer
      - .address_space:  global
        .offset:         264
        .size:           8
        .value_kind:     global_buffer
      - .offset:         272
        .size:           4
        .value_kind:     hidden_block_count_x
      - .offset:         276
        .size:           4
        .value_kind:     hidden_block_count_y
      - .offset:         280
        .size:           4
        .value_kind:     hidden_block_count_z
      - .offset:         284
        .size:           2
        .value_kind:     hidden_group_size_x
      - .offset:         286
        .size:           2
        .value_kind:     hidden_group_size_y
      - .offset:         288
        .size:           2
        .value_kind:     hidden_group_size_z
      - .offset:         290
        .size:           2
        .value_kind:     hidden_remainder_x
      - .offset:         292
        .size:           2
        .value_kind:     hidden_remainder_y
      - .offset:         294
        .size:           2
        .value_kind:     hidden_remainder_z
      - .offset:         312
        .size:           8
        .value_kind:     hidden_global_offset_x
      - .offset:         320
        .size:           8
        .value_kind:     hidden_global_offset_y
      - .offset:         328
        .size:           8
        .value_kind:     hidden_global_offset_z
      - .offset:         336
        .size:           2
        .value_kind:     hidden_grid_dims
    .group_segment_fixed_size: 1024
    .kernarg_segment_align: 8
    .kernarg_segment_size: 528
    .language:       OpenCL C
    .language_version:
      - 2
      - 0
    .max_flat_workgroup_size: 256
    .name:           _ZN2at6native6mbtopk23computeBlockDigitCountsIsjjLi2EEEvNS_4cuda6detail10TensorInfoIKT_T0_EEjPjjS8_iijT1_PSB_Ps
    .private_segment_fixed_size: 0
    .sgpr_count:     25
    .sgpr_spill_count: 0
    .symbol:         _ZN2at6native6mbtopk23computeBlockDigitCountsIsjjLi2EEEvNS_4cuda6detail10TensorInfoIKT_T0_EEjPjjS8_iijT1_PSB_Ps.kd
    .uniform_work_group_size: 1
    .uses_dynamic_stack: false
    .vgpr_count:     12
    .vgpr_spill_count: 0
    .wavefront_size: 32
    .workgroup_processor_mode: 1
  - .args:
      - .offset:         0
        .size:           216
        .value_kind:     by_value
      - .offset:         216
        .size:           4
        .value_kind:     by_value
      - .offset:         220
        .size:           4
        .value_kind:     by_value
      - .offset:         224
        .size:           1
        .value_kind:     by_value
      - .offset:         228
        .size:           4
        .value_kind:     by_value
      - .offset:         232
        .size:           4
        .value_kind:     by_value
      - .offset:         240
        .size:           216
        .value_kind:     by_value
      - .offset:         456
        .size:           4
        .value_kind:     by_value
      - .offset:         464
        .size:           216
        .value_kind:     by_value
      - .offset:         680
        .size:           4
        .value_kind:     by_value
      - .offset:         684
        .size:           4
        .value_kind:     by_value
      - .offset:         688
        .size:           4
        .value_kind:     by_value
      - .address_space:  global
        .offset:         696
        .size:           8
        .value_kind:     global_buffer
      - .address_space:  global
        .offset:         704
        .size:           8
        .value_kind:     global_buffer
      - .address_space:  global
        .offset:         712
        .size:           8
        .value_kind:     global_buffer
      - .offset:         720
        .size:           4
        .value_kind:     by_value
      - .offset:         728
        .size:           4
        .value_kind:     hidden_block_count_x
      - .offset:         732
        .size:           4
        .value_kind:     hidden_block_count_y
      - .offset:         736
        .size:           4
        .value_kind:     hidden_block_count_z
      - .offset:         740
        .size:           2
        .value_kind:     hidden_group_size_x
      - .offset:         742
        .size:           2
        .value_kind:     hidden_group_size_y
      - .offset:         744
        .size:           2
        .value_kind:     hidden_group_size_z
      - .offset:         746
        .size:           2
        .value_kind:     hidden_remainder_x
      - .offset:         748
        .size:           2
        .value_kind:     hidden_remainder_y
      - .offset:         750
        .size:           2
        .value_kind:     hidden_remainder_z
      - .offset:         768
        .size:           8
        .value_kind:     hidden_global_offset_x
      - .offset:         776
        .size:           8
        .value_kind:     hidden_global_offset_y
      - .offset:         784
        .size:           8
        .value_kind:     hidden_global_offset_z
      - .offset:         792
        .size:           2
        .value_kind:     hidden_grid_dims
    .group_segment_fixed_size: 1068
    .kernarg_segment_align: 8
    .kernarg_segment_size: 984
    .language:       OpenCL C
    .language_version:
      - 2
      - 0
    .max_flat_workgroup_size: 256
    .name:           _ZN2at6native6mbtopk10gatherTopKIsjLi2EEEvNS_4cuda6detail10TensorInfoIKT_T0_EES8_S8_bjS8_NS5_IS6_S8_EES8_NS5_IlS8_EES8_jjPS6_PjSD_j
    .private_segment_fixed_size: 0
    .sgpr_count:     49
    .sgpr_spill_count: 0
    .symbol:         _ZN2at6native6mbtopk10gatherTopKIsjLi2EEEvNS_4cuda6detail10TensorInfoIKT_T0_EES8_S8_bjS8_NS5_IS6_S8_EES8_NS5_IlS8_EES8_jjPS6_PjSD_j.kd
    .uniform_work_group_size: 1
    .uses_dynamic_stack: false
    .vgpr_count:     26
    .vgpr_spill_count: 0
    .wavefront_size: 32
    .workgroup_processor_mode: 1
  - .args:
      - .offset:         0
        .size:           216
        .value_kind:     by_value
      - .offset:         216
        .size:           4
        .value_kind:     by_value
      - .offset:         220
        .size:           4
        .value_kind:     by_value
      - .offset:         224
        .size:           1
        .value_kind:     by_value
      - .offset:         228
        .size:           4
        .value_kind:     by_value
      - .offset:         232
        .size:           4
        .value_kind:     by_value
      - .offset:         240
        .size:           216
        .value_kind:     by_value
      - .offset:         456
        .size:           4
        .value_kind:     by_value
      - .offset:         464
        .size:           216
        .value_kind:     by_value
      - .offset:         680
        .size:           4
        .value_kind:     by_value
      - .address_space:  global
        .offset:         688
        .size:           8
        .value_kind:     global_buffer
      - .offset:         696
        .size:           4
        .value_kind:     hidden_block_count_x
      - .offset:         700
        .size:           4
        .value_kind:     hidden_block_count_y
      - .offset:         704
        .size:           4
        .value_kind:     hidden_block_count_z
      - .offset:         708
        .size:           2
        .value_kind:     hidden_group_size_x
      - .offset:         710
        .size:           2
        .value_kind:     hidden_group_size_y
      - .offset:         712
        .size:           2
        .value_kind:     hidden_group_size_z
      - .offset:         714
        .size:           2
        .value_kind:     hidden_remainder_x
      - .offset:         716
        .size:           2
        .value_kind:     hidden_remainder_y
      - .offset:         718
        .size:           2
        .value_kind:     hidden_remainder_z
      - .offset:         736
        .size:           8
        .value_kind:     hidden_global_offset_x
      - .offset:         744
        .size:           8
        .value_kind:     hidden_global_offset_y
      - .offset:         752
        .size:           8
        .value_kind:     hidden_global_offset_z
      - .offset:         760
        .size:           2
        .value_kind:     hidden_grid_dims
    .group_segment_fixed_size: 4112
    .kernarg_segment_align: 8
    .kernarg_segment_size: 952
    .language:       OpenCL C
    .language_version:
      - 2
      - 0
    .max_flat_workgroup_size: 1024
    .name:           _ZN2at6native6sbtopk10gatherTopKIsjLi2ELb0EEEvNS_4cuda6detail10TensorInfoIKT_T0_EES8_S8_bS8_S8_NS5_IS6_S8_EES8_NS5_IlS8_EES8_PS6_
    .private_segment_fixed_size: 0
    .sgpr_count:     98
    .sgpr_spill_count: 0
    .symbol:         _ZN2at6native6sbtopk10gatherTopKIsjLi2ELb0EEEvNS_4cuda6detail10TensorInfoIKT_T0_EES8_S8_bS8_S8_NS5_IS6_S8_EES8_NS5_IlS8_EES8_PS6_.kd
    .uniform_work_group_size: 1
    .uses_dynamic_stack: false
    .vgpr_count:     43
    .vgpr_spill_count: 0
    .wavefront_size: 32
    .workgroup_processor_mode: 1
  - .args:
      - .offset:         0
        .size:           216
        .value_kind:     by_value
      - .offset:         216
        .size:           4
        .value_kind:     by_value
      - .address_space:  global
        .offset:         224
        .size:           8
        .value_kind:     global_buffer
      - .offset:         232
        .size:           4
        .value_kind:     by_value
      - .offset:         236
        .size:           4
        .value_kind:     by_value
      - .offset:         240
        .size:           4
        .value_kind:     by_value
      - .offset:         244
        .size:           4
        .value_kind:     by_value
      - .offset:         248
        .size:           4
        .value_kind:     by_value
      - .offset:         252
        .size:           4
        .value_kind:     by_value
      - .address_space:  global
        .offset:         256
        .size:           8
        .value_kind:     global_buffer
      - .address_space:  global
        .offset:         264
        .size:           8
        .value_kind:     global_buffer
      - .offset:         272
        .size:           4
        .value_kind:     hidden_block_count_x
      - .offset:         276
        .size:           4
        .value_kind:     hidden_block_count_y
      - .offset:         280
        .size:           4
        .value_kind:     hidden_block_count_z
      - .offset:         284
        .size:           2
        .value_kind:     hidden_group_size_x
      - .offset:         286
        .size:           2
        .value_kind:     hidden_group_size_y
      - .offset:         288
        .size:           2
        .value_kind:     hidden_group_size_z
      - .offset:         290
        .size:           2
        .value_kind:     hidden_remainder_x
      - .offset:         292
        .size:           2
        .value_kind:     hidden_remainder_y
      - .offset:         294
        .size:           2
        .value_kind:     hidden_remainder_z
      - .offset:         312
        .size:           8
        .value_kind:     hidden_global_offset_x
      - .offset:         320
        .size:           8
        .value_kind:     hidden_global_offset_y
      - .offset:         328
        .size:           8
        .value_kind:     hidden_global_offset_z
      - .offset:         336
        .size:           2
        .value_kind:     hidden_grid_dims
    .group_segment_fixed_size: 1024
    .kernarg_segment_align: 8
    .kernarg_segment_size: 528
    .language:       OpenCL C
    .language_version:
      - 2
      - 0
    .max_flat_workgroup_size: 256
    .name:           _ZN2at6native6mbtopk23computeBlockDigitCountsIsjjLi3EEEvNS_4cuda6detail10TensorInfoIKT_T0_EEjPjjS8_iijT1_PSB_Ps
    .private_segment_fixed_size: 0
    .sgpr_count:     28
    .sgpr_spill_count: 0
    .symbol:         _ZN2at6native6mbtopk23computeBlockDigitCountsIsjjLi3EEEvNS_4cuda6detail10TensorInfoIKT_T0_EEjPjjS8_iijT1_PSB_Ps.kd
    .uniform_work_group_size: 1
    .uses_dynamic_stack: false
    .vgpr_count:     12
    .vgpr_spill_count: 0
    .wavefront_size: 32
    .workgroup_processor_mode: 1
  - .args:
      - .offset:         0
        .size:           216
        .value_kind:     by_value
      - .offset:         216
        .size:           4
        .value_kind:     by_value
      - .offset:         220
        .size:           4
        .value_kind:     by_value
      - .offset:         224
        .size:           1
        .value_kind:     by_value
      - .offset:         228
        .size:           4
        .value_kind:     by_value
      - .offset:         232
        .size:           4
        .value_kind:     by_value
      - .offset:         240
        .size:           216
        .value_kind:     by_value
      - .offset:         456
        .size:           4
        .value_kind:     by_value
      - .offset:         464
        .size:           216
        .value_kind:     by_value
      - .offset:         680
        .size:           4
        .value_kind:     by_value
      - .offset:         684
        .size:           4
        .value_kind:     by_value
      - .offset:         688
        .size:           4
        .value_kind:     by_value
      - .address_space:  global
        .offset:         696
        .size:           8
        .value_kind:     global_buffer
      - .address_space:  global
        .offset:         704
        .size:           8
        .value_kind:     global_buffer
      - .address_space:  global
        .offset:         712
        .size:           8
        .value_kind:     global_buffer
      - .offset:         720
        .size:           4
        .value_kind:     by_value
      - .offset:         728
        .size:           4
        .value_kind:     hidden_block_count_x
      - .offset:         732
        .size:           4
        .value_kind:     hidden_block_count_y
      - .offset:         736
        .size:           4
        .value_kind:     hidden_block_count_z
      - .offset:         740
        .size:           2
        .value_kind:     hidden_group_size_x
      - .offset:         742
        .size:           2
        .value_kind:     hidden_group_size_y
      - .offset:         744
        .size:           2
        .value_kind:     hidden_group_size_z
      - .offset:         746
        .size:           2
        .value_kind:     hidden_remainder_x
      - .offset:         748
        .size:           2
        .value_kind:     hidden_remainder_y
      - .offset:         750
        .size:           2
        .value_kind:     hidden_remainder_z
      - .offset:         768
        .size:           8
        .value_kind:     hidden_global_offset_x
      - .offset:         776
        .size:           8
        .value_kind:     hidden_global_offset_y
      - .offset:         784
        .size:           8
        .value_kind:     hidden_global_offset_z
      - .offset:         792
        .size:           2
        .value_kind:     hidden_grid_dims
    .group_segment_fixed_size: 1068
    .kernarg_segment_align: 8
    .kernarg_segment_size: 984
    .language:       OpenCL C
    .language_version:
      - 2
      - 0
    .max_flat_workgroup_size: 256
    .name:           _ZN2at6native6mbtopk10gatherTopKIsjLi3EEEvNS_4cuda6detail10TensorInfoIKT_T0_EES8_S8_bjS8_NS5_IS6_S8_EES8_NS5_IlS8_EES8_jjPS6_PjSD_j
    .private_segment_fixed_size: 0
    .sgpr_count:     58
    .sgpr_spill_count: 0
    .symbol:         _ZN2at6native6mbtopk10gatherTopKIsjLi3EEEvNS_4cuda6detail10TensorInfoIKT_T0_EES8_S8_bjS8_NS5_IS6_S8_EES8_NS5_IlS8_EES8_jjPS6_PjSD_j.kd
    .uniform_work_group_size: 1
    .uses_dynamic_stack: false
    .vgpr_count:     26
    .vgpr_spill_count: 0
    .wavefront_size: 32
    .workgroup_processor_mode: 1
  - .args:
      - .offset:         0
        .size:           216
        .value_kind:     by_value
      - .offset:         216
        .size:           4
        .value_kind:     by_value
      - .offset:         220
        .size:           4
        .value_kind:     by_value
      - .offset:         224
        .size:           1
        .value_kind:     by_value
      - .offset:         228
        .size:           4
        .value_kind:     by_value
      - .offset:         232
        .size:           4
        .value_kind:     by_value
      - .offset:         240
        .size:           216
        .value_kind:     by_value
      - .offset:         456
        .size:           4
        .value_kind:     by_value
      - .offset:         464
        .size:           216
        .value_kind:     by_value
      - .offset:         680
        .size:           4
        .value_kind:     by_value
      - .address_space:  global
        .offset:         688
        .size:           8
        .value_kind:     global_buffer
      - .offset:         696
        .size:           4
        .value_kind:     hidden_block_count_x
      - .offset:         700
        .size:           4
        .value_kind:     hidden_block_count_y
      - .offset:         704
        .size:           4
        .value_kind:     hidden_block_count_z
      - .offset:         708
        .size:           2
        .value_kind:     hidden_group_size_x
      - .offset:         710
        .size:           2
        .value_kind:     hidden_group_size_y
      - .offset:         712
        .size:           2
        .value_kind:     hidden_group_size_z
      - .offset:         714
        .size:           2
        .value_kind:     hidden_remainder_x
      - .offset:         716
        .size:           2
        .value_kind:     hidden_remainder_y
      - .offset:         718
        .size:           2
        .value_kind:     hidden_remainder_z
      - .offset:         736
        .size:           8
        .value_kind:     hidden_global_offset_x
      - .offset:         744
        .size:           8
        .value_kind:     hidden_global_offset_y
      - .offset:         752
        .size:           8
        .value_kind:     hidden_global_offset_z
      - .offset:         760
        .size:           2
        .value_kind:     hidden_grid_dims
    .group_segment_fixed_size: 4112
    .kernarg_segment_align: 8
    .kernarg_segment_size: 952
    .language:       OpenCL C
    .language_version:
      - 2
      - 0
    .max_flat_workgroup_size: 1024
    .name:           _ZN2at6native6sbtopk10gatherTopKIsjLi3ELb0EEEvNS_4cuda6detail10TensorInfoIKT_T0_EES8_S8_bS8_S8_NS5_IS6_S8_EES8_NS5_IlS8_EES8_PS6_
    .private_segment_fixed_size: 0
    .sgpr_count:     104
    .sgpr_spill_count: 0
    .symbol:         _ZN2at6native6sbtopk10gatherTopKIsjLi3ELb0EEEvNS_4cuda6detail10TensorInfoIKT_T0_EES8_S8_bS8_S8_NS5_IS6_S8_EES8_NS5_IlS8_EES8_PS6_.kd
    .uniform_work_group_size: 1
    .uses_dynamic_stack: false
    .vgpr_count:     43
    .vgpr_spill_count: 0
    .wavefront_size: 32
    .workgroup_processor_mode: 1
  - .args:
      - .offset:         0
        .size:           216
        .value_kind:     by_value
      - .offset:         216
        .size:           4
        .value_kind:     by_value
      - .address_space:  global
        .offset:         224
        .size:           8
        .value_kind:     global_buffer
      - .offset:         232
        .size:           4
        .value_kind:     by_value
      - .offset:         236
        .size:           4
        .value_kind:     by_value
      - .offset:         240
        .size:           4
        .value_kind:     by_value
      - .offset:         244
        .size:           4
        .value_kind:     by_value
      - .offset:         248
        .size:           4
        .value_kind:     by_value
      - .offset:         252
        .size:           4
        .value_kind:     by_value
      - .address_space:  global
        .offset:         256
        .size:           8
        .value_kind:     global_buffer
      - .address_space:  global
        .offset:         264
        .size:           8
        .value_kind:     global_buffer
      - .offset:         272
        .size:           4
        .value_kind:     hidden_block_count_x
      - .offset:         276
        .size:           4
        .value_kind:     hidden_block_count_y
      - .offset:         280
        .size:           4
        .value_kind:     hidden_block_count_z
      - .offset:         284
        .size:           2
        .value_kind:     hidden_group_size_x
      - .offset:         286
        .size:           2
        .value_kind:     hidden_group_size_y
      - .offset:         288
        .size:           2
        .value_kind:     hidden_group_size_z
      - .offset:         290
        .size:           2
        .value_kind:     hidden_remainder_x
      - .offset:         292
        .size:           2
        .value_kind:     hidden_remainder_y
      - .offset:         294
        .size:           2
        .value_kind:     hidden_remainder_z
      - .offset:         312
        .size:           8
        .value_kind:     hidden_global_offset_x
      - .offset:         320
        .size:           8
        .value_kind:     hidden_global_offset_y
      - .offset:         328
        .size:           8
        .value_kind:     hidden_global_offset_z
      - .offset:         336
        .size:           2
        .value_kind:     hidden_grid_dims
    .group_segment_fixed_size: 1024
    .kernarg_segment_align: 8
    .kernarg_segment_size: 528
    .language:       OpenCL C
    .language_version:
      - 2
      - 0
    .max_flat_workgroup_size: 256
    .name:           _ZN2at6native6mbtopk23computeBlockDigitCountsIsjjLin1EEEvNS_4cuda6detail10TensorInfoIKT_T0_EEjPjjS8_iijT1_PSB_Ps
    .private_segment_fixed_size: 0
    .sgpr_count:     26
    .sgpr_spill_count: 0
    .symbol:         _ZN2at6native6mbtopk23computeBlockDigitCountsIsjjLin1EEEvNS_4cuda6detail10TensorInfoIKT_T0_EEjPjjS8_iijT1_PSB_Ps.kd
    .uniform_work_group_size: 1
    .uses_dynamic_stack: false
    .vgpr_count:     12
    .vgpr_spill_count: 0
    .wavefront_size: 32
    .workgroup_processor_mode: 1
  - .args:
      - .offset:         0
        .size:           216
        .value_kind:     by_value
      - .offset:         216
        .size:           4
        .value_kind:     by_value
      - .offset:         220
        .size:           4
        .value_kind:     by_value
      - .offset:         224
        .size:           1
        .value_kind:     by_value
      - .offset:         228
        .size:           4
        .value_kind:     by_value
      - .offset:         232
        .size:           4
        .value_kind:     by_value
      - .offset:         240
        .size:           216
        .value_kind:     by_value
      - .offset:         456
        .size:           4
        .value_kind:     by_value
      - .offset:         464
        .size:           216
        .value_kind:     by_value
      - .offset:         680
        .size:           4
        .value_kind:     by_value
      - .offset:         684
        .size:           4
        .value_kind:     by_value
      - .offset:         688
        .size:           4
        .value_kind:     by_value
      - .address_space:  global
        .offset:         696
        .size:           8
        .value_kind:     global_buffer
      - .address_space:  global
        .offset:         704
        .size:           8
        .value_kind:     global_buffer
      - .address_space:  global
        .offset:         712
        .size:           8
        .value_kind:     global_buffer
      - .offset:         720
        .size:           4
        .value_kind:     by_value
      - .offset:         728
        .size:           4
        .value_kind:     hidden_block_count_x
      - .offset:         732
        .size:           4
        .value_kind:     hidden_block_count_y
      - .offset:         736
        .size:           4
        .value_kind:     hidden_block_count_z
      - .offset:         740
        .size:           2
        .value_kind:     hidden_group_size_x
      - .offset:         742
        .size:           2
        .value_kind:     hidden_group_size_y
      - .offset:         744
        .size:           2
        .value_kind:     hidden_group_size_z
      - .offset:         746
        .size:           2
        .value_kind:     hidden_remainder_x
      - .offset:         748
        .size:           2
        .value_kind:     hidden_remainder_y
      - .offset:         750
        .size:           2
        .value_kind:     hidden_remainder_z
      - .offset:         768
        .size:           8
        .value_kind:     hidden_global_offset_x
      - .offset:         776
        .size:           8
        .value_kind:     hidden_global_offset_y
      - .offset:         784
        .size:           8
        .value_kind:     hidden_global_offset_z
      - .offset:         792
        .size:           2
        .value_kind:     hidden_grid_dims
    .group_segment_fixed_size: 1068
    .kernarg_segment_align: 8
    .kernarg_segment_size: 984
    .language:       OpenCL C
    .language_version:
      - 2
      - 0
    .max_flat_workgroup_size: 256
    .name:           _ZN2at6native6mbtopk10gatherTopKIsjLin1EEEvNS_4cuda6detail10TensorInfoIKT_T0_EES8_S8_bjS8_NS5_IS6_S8_EES8_NS5_IlS8_EES8_jjPS6_PjSD_j
    .private_segment_fixed_size: 0
    .sgpr_count:     44
    .sgpr_spill_count: 0
    .symbol:         _ZN2at6native6mbtopk10gatherTopKIsjLin1EEEvNS_4cuda6detail10TensorInfoIKT_T0_EES8_S8_bjS8_NS5_IS6_S8_EES8_NS5_IlS8_EES8_jjPS6_PjSD_j.kd
    .uniform_work_group_size: 1
    .uses_dynamic_stack: false
    .vgpr_count:     26
    .vgpr_spill_count: 0
    .wavefront_size: 32
    .workgroup_processor_mode: 1
  - .args:
      - .offset:         0
        .size:           216
        .value_kind:     by_value
      - .offset:         216
        .size:           4
        .value_kind:     by_value
      - .offset:         220
        .size:           4
        .value_kind:     by_value
      - .offset:         224
        .size:           1
        .value_kind:     by_value
      - .offset:         228
        .size:           4
        .value_kind:     by_value
      - .offset:         232
        .size:           4
        .value_kind:     by_value
      - .offset:         240
        .size:           216
        .value_kind:     by_value
      - .offset:         456
        .size:           4
        .value_kind:     by_value
      - .offset:         464
        .size:           216
        .value_kind:     by_value
      - .offset:         680
        .size:           4
        .value_kind:     by_value
      - .address_space:  global
        .offset:         688
        .size:           8
        .value_kind:     global_buffer
      - .offset:         696
        .size:           4
        .value_kind:     hidden_block_count_x
      - .offset:         700
        .size:           4
        .value_kind:     hidden_block_count_y
      - .offset:         704
        .size:           4
        .value_kind:     hidden_block_count_z
      - .offset:         708
        .size:           2
        .value_kind:     hidden_group_size_x
      - .offset:         710
        .size:           2
        .value_kind:     hidden_group_size_y
      - .offset:         712
        .size:           2
        .value_kind:     hidden_group_size_z
      - .offset:         714
        .size:           2
        .value_kind:     hidden_remainder_x
      - .offset:         716
        .size:           2
        .value_kind:     hidden_remainder_y
      - .offset:         718
        .size:           2
        .value_kind:     hidden_remainder_z
      - .offset:         736
        .size:           8
        .value_kind:     hidden_global_offset_x
      - .offset:         744
        .size:           8
        .value_kind:     hidden_global_offset_y
      - .offset:         752
        .size:           8
        .value_kind:     hidden_global_offset_z
      - .offset:         760
        .size:           2
        .value_kind:     hidden_grid_dims
    .group_segment_fixed_size: 4112
    .kernarg_segment_align: 8
    .kernarg_segment_size: 952
    .language:       OpenCL C
    .language_version:
      - 2
      - 0
    .max_flat_workgroup_size: 1024
    .name:           _ZN2at6native6sbtopk10gatherTopKIsjLin1ELb0EEEvNS_4cuda6detail10TensorInfoIKT_T0_EES8_S8_bS8_S8_NS5_IS6_S8_EES8_NS5_IlS8_EES8_PS6_
    .private_segment_fixed_size: 0
    .sgpr_count:     95
    .sgpr_spill_count: 0
    .symbol:         _ZN2at6native6sbtopk10gatherTopKIsjLin1ELb0EEEvNS_4cuda6detail10TensorInfoIKT_T0_EES8_S8_bS8_S8_NS5_IS6_S8_EES8_NS5_IlS8_EES8_PS6_.kd
    .uniform_work_group_size: 1
    .uses_dynamic_stack: false
    .vgpr_count:     43
    .vgpr_spill_count: 0
    .wavefront_size: 32
    .workgroup_processor_mode: 1
  - .args:
      - .offset:         0
        .size:           216
        .value_kind:     by_value
      - .offset:         216
        .size:           4
        .value_kind:     by_value
      - .address_space:  global
        .offset:         224
        .size:           8
        .value_kind:     global_buffer
      - .offset:         232
        .size:           4
        .value_kind:     by_value
      - .offset:         236
        .size:           4
        .value_kind:     by_value
      - .offset:         240
        .size:           4
        .value_kind:     by_value
      - .offset:         244
        .size:           4
        .value_kind:     by_value
      - .offset:         248
        .size:           4
        .value_kind:     by_value
      - .offset:         256
        .size:           8
        .value_kind:     by_value
      - .address_space:  global
        .offset:         264
        .size:           8
        .value_kind:     global_buffer
      - .address_space:  global
        .offset:         272
        .size:           8
        .value_kind:     global_buffer
      - .offset:         280
        .size:           4
        .value_kind:     hidden_block_count_x
      - .offset:         284
        .size:           4
        .value_kind:     hidden_block_count_y
      - .offset:         288
        .size:           4
        .value_kind:     hidden_block_count_z
      - .offset:         292
        .size:           2
        .value_kind:     hidden_group_size_x
      - .offset:         294
        .size:           2
        .value_kind:     hidden_group_size_y
      - .offset:         296
        .size:           2
        .value_kind:     hidden_group_size_z
      - .offset:         298
        .size:           2
        .value_kind:     hidden_remainder_x
      - .offset:         300
        .size:           2
        .value_kind:     hidden_remainder_y
      - .offset:         302
        .size:           2
        .value_kind:     hidden_remainder_z
      - .offset:         320
        .size:           8
        .value_kind:     hidden_global_offset_x
      - .offset:         328
        .size:           8
        .value_kind:     hidden_global_offset_y
      - .offset:         336
        .size:           8
        .value_kind:     hidden_global_offset_z
      - .offset:         344
        .size:           2
        .value_kind:     hidden_grid_dims
    .group_segment_fixed_size: 1024
    .kernarg_segment_align: 8
    .kernarg_segment_size: 536
    .language:       OpenCL C
    .language_version:
      - 2
      - 0
    .max_flat_workgroup_size: 256
    .name:           _ZN2at6native6mbtopk23computeBlockDigitCountsIdjmLi1EEEvNS_4cuda6detail10TensorInfoIKT_T0_EEjPjjS8_iijT1_PSB_Ps
    .private_segment_fixed_size: 0
    .sgpr_count:     22
    .sgpr_spill_count: 0
    .symbol:         _ZN2at6native6mbtopk23computeBlockDigitCountsIdjmLi1EEEvNS_4cuda6detail10TensorInfoIKT_T0_EEjPjjS8_iijT1_PSB_Ps.kd
    .uniform_work_group_size: 1
    .uses_dynamic_stack: false
    .vgpr_count:     13
    .vgpr_spill_count: 0
    .wavefront_size: 32
    .workgroup_processor_mode: 1
  - .args:
      - .address_space:  global
        .offset:         0
        .size:           8
        .value_kind:     global_buffer
      - .address_space:  global
        .offset:         8
        .size:           8
        .value_kind:     global_buffer
      - .address_space:  global
        .offset:         16
        .size:           8
        .value_kind:     global_buffer
      - .offset:         24
        .size:           4
        .value_kind:     by_value
      - .offset:         28
        .size:           4
        .value_kind:     by_value
      - .offset:         32
        .size:           1
        .value_kind:     by_value
      - .address_space:  global
        .offset:         40
        .size:           8
        .value_kind:     global_buffer
      - .address_space:  global
        .offset:         48
        .size:           8
        .value_kind:     global_buffer
      - .address_space:  global
        .offset:         56
        .size:           8
        .value_kind:     global_buffer
      - .address_space:  global
        .offset:         64
        .size:           8
        .value_kind:     global_buffer
      - .address_space:  global
        .offset:         72
        .size:           8
        .value_kind:     global_buffer
      - .offset:         80
        .size:           4
        .value_kind:     by_value
      - .offset:         88
        .size:           4
        .value_kind:     hidden_block_count_x
      - .offset:         92
        .size:           4
        .value_kind:     hidden_block_count_y
      - .offset:         96
        .size:           4
        .value_kind:     hidden_block_count_z
      - .offset:         100
        .size:           2
        .value_kind:     hidden_group_size_x
      - .offset:         102
        .size:           2
        .value_kind:     hidden_group_size_y
      - .offset:         104
        .size:           2
        .value_kind:     hidden_group_size_z
      - .offset:         106
        .size:           2
        .value_kind:     hidden_remainder_x
      - .offset:         108
        .size:           2
        .value_kind:     hidden_remainder_y
      - .offset:         110
        .size:           2
        .value_kind:     hidden_remainder_z
      - .offset:         128
        .size:           8
        .value_kind:     hidden_global_offset_x
      - .offset:         136
        .size:           8
        .value_kind:     hidden_global_offset_y
      - .offset:         144
        .size:           8
        .value_kind:     hidden_global_offset_z
      - .offset:         152
        .size:           2
        .value_kind:     hidden_grid_dims
    .group_segment_fixed_size: 2120
    .kernarg_segment_align: 8
    .kernarg_segment_size: 344
    .language:       OpenCL C
    .language_version:
      - 2
      - 0
    .max_flat_workgroup_size: 256
    .name:           _ZN2at6native6mbtopk29computeBlockwiseWithinKCountsImdEEvPT_PsPjjibS6_PT0_S6_S4_S6_j
    .private_segment_fixed_size: 0
    .sgpr_count:     30
    .sgpr_spill_count: 0
    .symbol:         _ZN2at6native6mbtopk29computeBlockwiseWithinKCountsImdEEvPT_PsPjjibS6_PT0_S6_S4_S6_j.kd
    .uniform_work_group_size: 1
    .uses_dynamic_stack: false
    .vgpr_count:     15
    .vgpr_spill_count: 0
    .wavefront_size: 32
    .workgroup_processor_mode: 1
  - .args:
      - .offset:         0
        .size:           216
        .value_kind:     by_value
      - .offset:         216
        .size:           4
        .value_kind:     by_value
      - .offset:         220
        .size:           4
        .value_kind:     by_value
      - .offset:         224
        .size:           1
        .value_kind:     by_value
      - .offset:         228
        .size:           4
        .value_kind:     by_value
      - .offset:         232
        .size:           4
        .value_kind:     by_value
      - .offset:         240
        .size:           216
        .value_kind:     by_value
      - .offset:         456
        .size:           4
        .value_kind:     by_value
      - .offset:         464
        .size:           216
        .value_kind:     by_value
      - .offset:         680
        .size:           4
        .value_kind:     by_value
      - .offset:         684
        .size:           4
        .value_kind:     by_value
      - .offset:         688
        .size:           4
        .value_kind:     by_value
      - .address_space:  global
        .offset:         696
        .size:           8
        .value_kind:     global_buffer
      - .address_space:  global
        .offset:         704
        .size:           8
        .value_kind:     global_buffer
      - .address_space:  global
        .offset:         712
        .size:           8
        .value_kind:     global_buffer
      - .offset:         720
        .size:           4
        .value_kind:     by_value
      - .offset:         728
        .size:           4
        .value_kind:     hidden_block_count_x
      - .offset:         732
        .size:           4
        .value_kind:     hidden_block_count_y
      - .offset:         736
        .size:           4
        .value_kind:     hidden_block_count_z
      - .offset:         740
        .size:           2
        .value_kind:     hidden_group_size_x
      - .offset:         742
        .size:           2
        .value_kind:     hidden_group_size_y
      - .offset:         744
        .size:           2
        .value_kind:     hidden_group_size_z
      - .offset:         746
        .size:           2
        .value_kind:     hidden_remainder_x
      - .offset:         748
        .size:           2
        .value_kind:     hidden_remainder_y
      - .offset:         750
        .size:           2
        .value_kind:     hidden_remainder_z
      - .offset:         768
        .size:           8
        .value_kind:     hidden_global_offset_x
      - .offset:         776
        .size:           8
        .value_kind:     hidden_global_offset_y
      - .offset:         784
        .size:           8
        .value_kind:     hidden_global_offset_z
      - .offset:         792
        .size:           2
        .value_kind:     hidden_grid_dims
    .group_segment_fixed_size: 1068
    .kernarg_segment_align: 8
    .kernarg_segment_size: 984
    .language:       OpenCL C
    .language_version:
      - 2
      - 0
    .max_flat_workgroup_size: 256
    .name:           _ZN2at6native6mbtopk10gatherTopKIdjLi1EEEvNS_4cuda6detail10TensorInfoIKT_T0_EES8_S8_bjS8_NS5_IS6_S8_EES8_NS5_IlS8_EES8_jjPS6_PjSD_j
    .private_segment_fixed_size: 0
    .sgpr_count:     39
    .sgpr_spill_count: 0
    .symbol:         _ZN2at6native6mbtopk10gatherTopKIdjLi1EEEvNS_4cuda6detail10TensorInfoIKT_T0_EES8_S8_bjS8_NS5_IS6_S8_EES8_NS5_IlS8_EES8_jjPS6_PjSD_j.kd
    .uniform_work_group_size: 1
    .uses_dynamic_stack: false
    .vgpr_count:     25
    .vgpr_spill_count: 0
    .wavefront_size: 32
    .workgroup_processor_mode: 1
  - .args:
      - .offset:         0
        .size:           216
        .value_kind:     by_value
      - .offset:         216
        .size:           4
        .value_kind:     by_value
      - .offset:         220
        .size:           4
        .value_kind:     by_value
      - .offset:         224
        .size:           1
        .value_kind:     by_value
      - .offset:         228
        .size:           4
        .value_kind:     by_value
      - .offset:         232
        .size:           4
        .value_kind:     by_value
      - .offset:         240
        .size:           216
        .value_kind:     by_value
      - .offset:         456
        .size:           4
        .value_kind:     by_value
      - .offset:         464
        .size:           216
        .value_kind:     by_value
      - .offset:         680
        .size:           4
        .value_kind:     by_value
      - .address_space:  global
        .offset:         688
        .size:           8
        .value_kind:     global_buffer
      - .offset:         696
        .size:           4
        .value_kind:     hidden_block_count_x
      - .offset:         700
        .size:           4
        .value_kind:     hidden_block_count_y
      - .offset:         704
        .size:           4
        .value_kind:     hidden_block_count_z
      - .offset:         708
        .size:           2
        .value_kind:     hidden_group_size_x
      - .offset:         710
        .size:           2
        .value_kind:     hidden_group_size_y
      - .offset:         712
        .size:           2
        .value_kind:     hidden_group_size_z
      - .offset:         714
        .size:           2
        .value_kind:     hidden_remainder_x
      - .offset:         716
        .size:           2
        .value_kind:     hidden_remainder_y
      - .offset:         718
        .size:           2
        .value_kind:     hidden_remainder_z
      - .offset:         736
        .size:           8
        .value_kind:     hidden_global_offset_x
      - .offset:         744
        .size:           8
        .value_kind:     hidden_global_offset_y
      - .offset:         752
        .size:           8
        .value_kind:     hidden_global_offset_z
      - .offset:         760
        .size:           2
        .value_kind:     hidden_grid_dims
    .group_segment_fixed_size: 4112
    .kernarg_segment_align: 8
    .kernarg_segment_size: 952
    .language:       OpenCL C
    .language_version:
      - 2
      - 0
    .max_flat_workgroup_size: 1024
    .name:           _ZN2at6native6sbtopk10gatherTopKIdjLi1ELb0EEEvNS_4cuda6detail10TensorInfoIKT_T0_EES8_S8_bS8_S8_NS5_IS6_S8_EES8_NS5_IlS8_EES8_PS6_
    .private_segment_fixed_size: 0
    .sgpr_count:     93
    .sgpr_spill_count: 0
    .symbol:         _ZN2at6native6sbtopk10gatherTopKIdjLi1ELb0EEEvNS_4cuda6detail10TensorInfoIKT_T0_EES8_S8_bS8_S8_NS5_IS6_S8_EES8_NS5_IlS8_EES8_PS6_.kd
    .uniform_work_group_size: 1
    .uses_dynamic_stack: false
    .vgpr_count:     55
    .vgpr_spill_count: 0
    .wavefront_size: 32
    .workgroup_processor_mode: 1
  - .args:
      - .offset:         0
        .size:           216
        .value_kind:     by_value
      - .offset:         216
        .size:           4
        .value_kind:     by_value
      - .address_space:  global
        .offset:         224
        .size:           8
        .value_kind:     global_buffer
      - .offset:         232
        .size:           4
        .value_kind:     by_value
      - .offset:         236
        .size:           4
        .value_kind:     by_value
      - .offset:         240
        .size:           4
        .value_kind:     by_value
      - .offset:         244
        .size:           4
        .value_kind:     by_value
      - .offset:         248
        .size:           4
        .value_kind:     by_value
      - .offset:         256
        .size:           8
        .value_kind:     by_value
      - .address_space:  global
        .offset:         264
        .size:           8
        .value_kind:     global_buffer
      - .address_space:  global
        .offset:         272
        .size:           8
        .value_kind:     global_buffer
      - .offset:         280
        .size:           4
        .value_kind:     hidden_block_count_x
      - .offset:         284
        .size:           4
        .value_kind:     hidden_block_count_y
      - .offset:         288
        .size:           4
        .value_kind:     hidden_block_count_z
      - .offset:         292
        .size:           2
        .value_kind:     hidden_group_size_x
      - .offset:         294
        .size:           2
        .value_kind:     hidden_group_size_y
      - .offset:         296
        .size:           2
        .value_kind:     hidden_group_size_z
      - .offset:         298
        .size:           2
        .value_kind:     hidden_remainder_x
      - .offset:         300
        .size:           2
        .value_kind:     hidden_remainder_y
      - .offset:         302
        .size:           2
        .value_kind:     hidden_remainder_z
      - .offset:         320
        .size:           8
        .value_kind:     hidden_global_offset_x
      - .offset:         328
        .size:           8
        .value_kind:     hidden_global_offset_y
      - .offset:         336
        .size:           8
        .value_kind:     hidden_global_offset_z
      - .offset:         344
        .size:           2
        .value_kind:     hidden_grid_dims
    .group_segment_fixed_size: 1024
    .kernarg_segment_align: 8
    .kernarg_segment_size: 536
    .language:       OpenCL C
    .language_version:
      - 2
      - 0
    .max_flat_workgroup_size: 256
    .name:           _ZN2at6native6mbtopk23computeBlockDigitCountsIdjmLi2EEEvNS_4cuda6detail10TensorInfoIKT_T0_EEjPjjS8_iijT1_PSB_Ps
    .private_segment_fixed_size: 0
    .sgpr_count:     25
    .sgpr_spill_count: 0
    .symbol:         _ZN2at6native6mbtopk23computeBlockDigitCountsIdjmLi2EEEvNS_4cuda6detail10TensorInfoIKT_T0_EEjPjjS8_iijT1_PSB_Ps.kd
    .uniform_work_group_size: 1
    .uses_dynamic_stack: false
    .vgpr_count:     13
    .vgpr_spill_count: 0
    .wavefront_size: 32
    .workgroup_processor_mode: 1
  - .args:
      - .offset:         0
        .size:           216
        .value_kind:     by_value
      - .offset:         216
        .size:           4
        .value_kind:     by_value
      - .offset:         220
        .size:           4
        .value_kind:     by_value
      - .offset:         224
        .size:           1
        .value_kind:     by_value
      - .offset:         228
        .size:           4
        .value_kind:     by_value
      - .offset:         232
        .size:           4
        .value_kind:     by_value
      - .offset:         240
        .size:           216
        .value_kind:     by_value
      - .offset:         456
        .size:           4
        .value_kind:     by_value
      - .offset:         464
        .size:           216
        .value_kind:     by_value
      - .offset:         680
        .size:           4
        .value_kind:     by_value
      - .offset:         684
        .size:           4
        .value_kind:     by_value
      - .offset:         688
        .size:           4
        .value_kind:     by_value
      - .address_space:  global
        .offset:         696
        .size:           8
        .value_kind:     global_buffer
      - .address_space:  global
        .offset:         704
        .size:           8
        .value_kind:     global_buffer
      - .address_space:  global
        .offset:         712
        .size:           8
        .value_kind:     global_buffer
      - .offset:         720
        .size:           4
        .value_kind:     by_value
      - .offset:         728
        .size:           4
        .value_kind:     hidden_block_count_x
      - .offset:         732
        .size:           4
        .value_kind:     hidden_block_count_y
      - .offset:         736
        .size:           4
        .value_kind:     hidden_block_count_z
      - .offset:         740
        .size:           2
        .value_kind:     hidden_group_size_x
      - .offset:         742
        .size:           2
        .value_kind:     hidden_group_size_y
      - .offset:         744
        .size:           2
        .value_kind:     hidden_group_size_z
      - .offset:         746
        .size:           2
        .value_kind:     hidden_remainder_x
      - .offset:         748
        .size:           2
        .value_kind:     hidden_remainder_y
      - .offset:         750
        .size:           2
        .value_kind:     hidden_remainder_z
      - .offset:         768
        .size:           8
        .value_kind:     hidden_global_offset_x
      - .offset:         776
        .size:           8
        .value_kind:     hidden_global_offset_y
      - .offset:         784
        .size:           8
        .value_kind:     hidden_global_offset_z
      - .offset:         792
        .size:           2
        .value_kind:     hidden_grid_dims
    .group_segment_fixed_size: 1068
    .kernarg_segment_align: 8
    .kernarg_segment_size: 984
    .language:       OpenCL C
    .language_version:
      - 2
      - 0
    .max_flat_workgroup_size: 256
    .name:           _ZN2at6native6mbtopk10gatherTopKIdjLi2EEEvNS_4cuda6detail10TensorInfoIKT_T0_EES8_S8_bjS8_NS5_IS6_S8_EES8_NS5_IlS8_EES8_jjPS6_PjSD_j
    .private_segment_fixed_size: 0
    .sgpr_count:     51
    .sgpr_spill_count: 0
    .symbol:         _ZN2at6native6mbtopk10gatherTopKIdjLi2EEEvNS_4cuda6detail10TensorInfoIKT_T0_EES8_S8_bjS8_NS5_IS6_S8_EES8_NS5_IlS8_EES8_jjPS6_PjSD_j.kd
    .uniform_work_group_size: 1
    .uses_dynamic_stack: false
    .vgpr_count:     25
    .vgpr_spill_count: 0
    .wavefront_size: 32
    .workgroup_processor_mode: 1
  - .args:
      - .offset:         0
        .size:           216
        .value_kind:     by_value
      - .offset:         216
        .size:           4
        .value_kind:     by_value
      - .offset:         220
        .size:           4
        .value_kind:     by_value
      - .offset:         224
        .size:           1
        .value_kind:     by_value
      - .offset:         228
        .size:           4
        .value_kind:     by_value
      - .offset:         232
        .size:           4
        .value_kind:     by_value
      - .offset:         240
        .size:           216
        .value_kind:     by_value
      - .offset:         456
        .size:           4
        .value_kind:     by_value
      - .offset:         464
        .size:           216
        .value_kind:     by_value
      - .offset:         680
        .size:           4
        .value_kind:     by_value
      - .address_space:  global
        .offset:         688
        .size:           8
        .value_kind:     global_buffer
      - .offset:         696
        .size:           4
        .value_kind:     hidden_block_count_x
      - .offset:         700
        .size:           4
        .value_kind:     hidden_block_count_y
      - .offset:         704
        .size:           4
        .value_kind:     hidden_block_count_z
      - .offset:         708
        .size:           2
        .value_kind:     hidden_group_size_x
      - .offset:         710
        .size:           2
        .value_kind:     hidden_group_size_y
      - .offset:         712
        .size:           2
        .value_kind:     hidden_group_size_z
      - .offset:         714
        .size:           2
        .value_kind:     hidden_remainder_x
      - .offset:         716
        .size:           2
        .value_kind:     hidden_remainder_y
      - .offset:         718
        .size:           2
        .value_kind:     hidden_remainder_z
      - .offset:         736
        .size:           8
        .value_kind:     hidden_global_offset_x
      - .offset:         744
        .size:           8
        .value_kind:     hidden_global_offset_y
      - .offset:         752
        .size:           8
        .value_kind:     hidden_global_offset_z
      - .offset:         760
        .size:           2
        .value_kind:     hidden_grid_dims
    .group_segment_fixed_size: 4112
    .kernarg_segment_align: 8
    .kernarg_segment_size: 952
    .language:       OpenCL C
    .language_version:
      - 2
      - 0
    .max_flat_workgroup_size: 1024
    .name:           _ZN2at6native6sbtopk10gatherTopKIdjLi2ELb0EEEvNS_4cuda6detail10TensorInfoIKT_T0_EES8_S8_bS8_S8_NS5_IS6_S8_EES8_NS5_IlS8_EES8_PS6_
    .private_segment_fixed_size: 0
    .sgpr_count:     99
    .sgpr_spill_count: 0
    .symbol:         _ZN2at6native6sbtopk10gatherTopKIdjLi2ELb0EEEvNS_4cuda6detail10TensorInfoIKT_T0_EES8_S8_bS8_S8_NS5_IS6_S8_EES8_NS5_IlS8_EES8_PS6_.kd
    .uniform_work_group_size: 1
    .uses_dynamic_stack: false
    .vgpr_count:     55
    .vgpr_spill_count: 0
    .wavefront_size: 32
    .workgroup_processor_mode: 1
  - .args:
      - .offset:         0
        .size:           216
        .value_kind:     by_value
      - .offset:         216
        .size:           4
        .value_kind:     by_value
      - .address_space:  global
        .offset:         224
        .size:           8
        .value_kind:     global_buffer
      - .offset:         232
        .size:           4
        .value_kind:     by_value
      - .offset:         236
        .size:           4
        .value_kind:     by_value
      - .offset:         240
        .size:           4
        .value_kind:     by_value
      - .offset:         244
        .size:           4
        .value_kind:     by_value
      - .offset:         248
        .size:           4
        .value_kind:     by_value
      - .offset:         256
        .size:           8
        .value_kind:     by_value
      - .address_space:  global
        .offset:         264
        .size:           8
        .value_kind:     global_buffer
      - .address_space:  global
        .offset:         272
        .size:           8
        .value_kind:     global_buffer
      - .offset:         280
        .size:           4
        .value_kind:     hidden_block_count_x
      - .offset:         284
        .size:           4
        .value_kind:     hidden_block_count_y
      - .offset:         288
        .size:           4
        .value_kind:     hidden_block_count_z
      - .offset:         292
        .size:           2
        .value_kind:     hidden_group_size_x
      - .offset:         294
        .size:           2
        .value_kind:     hidden_group_size_y
      - .offset:         296
        .size:           2
        .value_kind:     hidden_group_size_z
      - .offset:         298
        .size:           2
        .value_kind:     hidden_remainder_x
      - .offset:         300
        .size:           2
        .value_kind:     hidden_remainder_y
      - .offset:         302
        .size:           2
        .value_kind:     hidden_remainder_z
      - .offset:         320
        .size:           8
        .value_kind:     hidden_global_offset_x
      - .offset:         328
        .size:           8
        .value_kind:     hidden_global_offset_y
      - .offset:         336
        .size:           8
        .value_kind:     hidden_global_offset_z
      - .offset:         344
        .size:           2
        .value_kind:     hidden_grid_dims
    .group_segment_fixed_size: 1024
    .kernarg_segment_align: 8
    .kernarg_segment_size: 536
    .language:       OpenCL C
    .language_version:
      - 2
      - 0
    .max_flat_workgroup_size: 256
    .name:           _ZN2at6native6mbtopk23computeBlockDigitCountsIdjmLi3EEEvNS_4cuda6detail10TensorInfoIKT_T0_EEjPjjS8_iijT1_PSB_Ps
    .private_segment_fixed_size: 0
    .sgpr_count:     27
    .sgpr_spill_count: 0
    .symbol:         _ZN2at6native6mbtopk23computeBlockDigitCountsIdjmLi3EEEvNS_4cuda6detail10TensorInfoIKT_T0_EEjPjjS8_iijT1_PSB_Ps.kd
    .uniform_work_group_size: 1
    .uses_dynamic_stack: false
    .vgpr_count:     13
    .vgpr_spill_count: 0
    .wavefront_size: 32
    .workgroup_processor_mode: 1
  - .args:
      - .offset:         0
        .size:           216
        .value_kind:     by_value
      - .offset:         216
        .size:           4
        .value_kind:     by_value
      - .offset:         220
        .size:           4
        .value_kind:     by_value
      - .offset:         224
        .size:           1
        .value_kind:     by_value
      - .offset:         228
        .size:           4
        .value_kind:     by_value
      - .offset:         232
        .size:           4
        .value_kind:     by_value
      - .offset:         240
        .size:           216
        .value_kind:     by_value
      - .offset:         456
        .size:           4
        .value_kind:     by_value
      - .offset:         464
        .size:           216
        .value_kind:     by_value
      - .offset:         680
        .size:           4
        .value_kind:     by_value
      - .offset:         684
        .size:           4
        .value_kind:     by_value
      - .offset:         688
        .size:           4
        .value_kind:     by_value
      - .address_space:  global
        .offset:         696
        .size:           8
        .value_kind:     global_buffer
      - .address_space:  global
        .offset:         704
        .size:           8
        .value_kind:     global_buffer
      - .address_space:  global
        .offset:         712
        .size:           8
        .value_kind:     global_buffer
      - .offset:         720
        .size:           4
        .value_kind:     by_value
      - .offset:         728
        .size:           4
        .value_kind:     hidden_block_count_x
      - .offset:         732
        .size:           4
        .value_kind:     hidden_block_count_y
      - .offset:         736
        .size:           4
        .value_kind:     hidden_block_count_z
      - .offset:         740
        .size:           2
        .value_kind:     hidden_group_size_x
      - .offset:         742
        .size:           2
        .value_kind:     hidden_group_size_y
      - .offset:         744
        .size:           2
        .value_kind:     hidden_group_size_z
      - .offset:         746
        .size:           2
        .value_kind:     hidden_remainder_x
      - .offset:         748
        .size:           2
        .value_kind:     hidden_remainder_y
      - .offset:         750
        .size:           2
        .value_kind:     hidden_remainder_z
      - .offset:         768
        .size:           8
        .value_kind:     hidden_global_offset_x
      - .offset:         776
        .size:           8
        .value_kind:     hidden_global_offset_y
      - .offset:         784
        .size:           8
        .value_kind:     hidden_global_offset_z
      - .offset:         792
        .size:           2
        .value_kind:     hidden_grid_dims
    .group_segment_fixed_size: 1068
    .kernarg_segment_align: 8
    .kernarg_segment_size: 984
    .language:       OpenCL C
    .language_version:
      - 2
      - 0
    .max_flat_workgroup_size: 256
    .name:           _ZN2at6native6mbtopk10gatherTopKIdjLi3EEEvNS_4cuda6detail10TensorInfoIKT_T0_EES8_S8_bjS8_NS5_IS6_S8_EES8_NS5_IlS8_EES8_jjPS6_PjSD_j
    .private_segment_fixed_size: 0
    .sgpr_count:     60
    .sgpr_spill_count: 0
    .symbol:         _ZN2at6native6mbtopk10gatherTopKIdjLi3EEEvNS_4cuda6detail10TensorInfoIKT_T0_EES8_S8_bjS8_NS5_IS6_S8_EES8_NS5_IlS8_EES8_jjPS6_PjSD_j.kd
    .uniform_work_group_size: 1
    .uses_dynamic_stack: false
    .vgpr_count:     25
    .vgpr_spill_count: 0
    .wavefront_size: 32
    .workgroup_processor_mode: 1
  - .args:
      - .offset:         0
        .size:           216
        .value_kind:     by_value
      - .offset:         216
        .size:           4
        .value_kind:     by_value
      - .offset:         220
        .size:           4
        .value_kind:     by_value
      - .offset:         224
        .size:           1
        .value_kind:     by_value
      - .offset:         228
        .size:           4
        .value_kind:     by_value
      - .offset:         232
        .size:           4
        .value_kind:     by_value
      - .offset:         240
        .size:           216
        .value_kind:     by_value
      - .offset:         456
        .size:           4
        .value_kind:     by_value
      - .offset:         464
        .size:           216
        .value_kind:     by_value
      - .offset:         680
        .size:           4
        .value_kind:     by_value
      - .address_space:  global
        .offset:         688
        .size:           8
        .value_kind:     global_buffer
      - .offset:         696
        .size:           4
        .value_kind:     hidden_block_count_x
      - .offset:         700
        .size:           4
        .value_kind:     hidden_block_count_y
      - .offset:         704
        .size:           4
        .value_kind:     hidden_block_count_z
      - .offset:         708
        .size:           2
        .value_kind:     hidden_group_size_x
      - .offset:         710
        .size:           2
        .value_kind:     hidden_group_size_y
      - .offset:         712
        .size:           2
        .value_kind:     hidden_group_size_z
      - .offset:         714
        .size:           2
        .value_kind:     hidden_remainder_x
      - .offset:         716
        .size:           2
        .value_kind:     hidden_remainder_y
      - .offset:         718
        .size:           2
        .value_kind:     hidden_remainder_z
      - .offset:         736
        .size:           8
        .value_kind:     hidden_global_offset_x
      - .offset:         744
        .size:           8
        .value_kind:     hidden_global_offset_y
      - .offset:         752
        .size:           8
        .value_kind:     hidden_global_offset_z
      - .offset:         760
        .size:           2
        .value_kind:     hidden_grid_dims
    .group_segment_fixed_size: 4112
    .kernarg_segment_align: 8
    .kernarg_segment_size: 952
    .language:       OpenCL C
    .language_version:
      - 2
      - 0
    .max_flat_workgroup_size: 1024
    .name:           _ZN2at6native6sbtopk10gatherTopKIdjLi3ELb0EEEvNS_4cuda6detail10TensorInfoIKT_T0_EES8_S8_bS8_S8_NS5_IS6_S8_EES8_NS5_IlS8_EES8_PS6_
    .private_segment_fixed_size: 0
    .sgpr_count:     105
    .sgpr_spill_count: 0
    .symbol:         _ZN2at6native6sbtopk10gatherTopKIdjLi3ELb0EEEvNS_4cuda6detail10TensorInfoIKT_T0_EES8_S8_bS8_S8_NS5_IS6_S8_EES8_NS5_IlS8_EES8_PS6_.kd
    .uniform_work_group_size: 1
    .uses_dynamic_stack: false
    .vgpr_count:     55
    .vgpr_spill_count: 0
    .wavefront_size: 32
    .workgroup_processor_mode: 1
  - .args:
      - .offset:         0
        .size:           216
        .value_kind:     by_value
      - .offset:         216
        .size:           4
        .value_kind:     by_value
      - .address_space:  global
        .offset:         224
        .size:           8
        .value_kind:     global_buffer
      - .offset:         232
        .size:           4
        .value_kind:     by_value
      - .offset:         236
        .size:           4
        .value_kind:     by_value
      - .offset:         240
        .size:           4
        .value_kind:     by_value
      - .offset:         244
        .size:           4
        .value_kind:     by_value
      - .offset:         248
        .size:           4
        .value_kind:     by_value
      - .offset:         256
        .size:           8
        .value_kind:     by_value
      - .address_space:  global
        .offset:         264
        .size:           8
        .value_kind:     global_buffer
      - .address_space:  global
        .offset:         272
        .size:           8
        .value_kind:     global_buffer
      - .offset:         280
        .size:           4
        .value_kind:     hidden_block_count_x
      - .offset:         284
        .size:           4
        .value_kind:     hidden_block_count_y
      - .offset:         288
        .size:           4
        .value_kind:     hidden_block_count_z
      - .offset:         292
        .size:           2
        .value_kind:     hidden_group_size_x
      - .offset:         294
        .size:           2
        .value_kind:     hidden_group_size_y
      - .offset:         296
        .size:           2
        .value_kind:     hidden_group_size_z
      - .offset:         298
        .size:           2
        .value_kind:     hidden_remainder_x
      - .offset:         300
        .size:           2
        .value_kind:     hidden_remainder_y
      - .offset:         302
        .size:           2
        .value_kind:     hidden_remainder_z
      - .offset:         320
        .size:           8
        .value_kind:     hidden_global_offset_x
      - .offset:         328
        .size:           8
        .value_kind:     hidden_global_offset_y
      - .offset:         336
        .size:           8
        .value_kind:     hidden_global_offset_z
      - .offset:         344
        .size:           2
        .value_kind:     hidden_grid_dims
    .group_segment_fixed_size: 1024
    .kernarg_segment_align: 8
    .kernarg_segment_size: 536
    .language:       OpenCL C
    .language_version:
      - 2
      - 0
    .max_flat_workgroup_size: 256
    .name:           _ZN2at6native6mbtopk23computeBlockDigitCountsIdjmLin1EEEvNS_4cuda6detail10TensorInfoIKT_T0_EEjPjjS8_iijT1_PSB_Ps
    .private_segment_fixed_size: 0
    .sgpr_count:     27
    .sgpr_spill_count: 0
    .symbol:         _ZN2at6native6mbtopk23computeBlockDigitCountsIdjmLin1EEEvNS_4cuda6detail10TensorInfoIKT_T0_EEjPjjS8_iijT1_PSB_Ps.kd
    .uniform_work_group_size: 1
    .uses_dynamic_stack: false
    .vgpr_count:     13
    .vgpr_spill_count: 0
    .wavefront_size: 32
    .workgroup_processor_mode: 1
  - .args:
      - .offset:         0
        .size:           216
        .value_kind:     by_value
      - .offset:         216
        .size:           4
        .value_kind:     by_value
      - .offset:         220
        .size:           4
        .value_kind:     by_value
      - .offset:         224
        .size:           1
        .value_kind:     by_value
      - .offset:         228
        .size:           4
        .value_kind:     by_value
      - .offset:         232
        .size:           4
        .value_kind:     by_value
      - .offset:         240
        .size:           216
        .value_kind:     by_value
      - .offset:         456
        .size:           4
        .value_kind:     by_value
      - .offset:         464
        .size:           216
        .value_kind:     by_value
      - .offset:         680
        .size:           4
        .value_kind:     by_value
      - .offset:         684
        .size:           4
        .value_kind:     by_value
      - .offset:         688
        .size:           4
        .value_kind:     by_value
      - .address_space:  global
        .offset:         696
        .size:           8
        .value_kind:     global_buffer
      - .address_space:  global
        .offset:         704
        .size:           8
        .value_kind:     global_buffer
      - .address_space:  global
        .offset:         712
        .size:           8
        .value_kind:     global_buffer
      - .offset:         720
        .size:           4
        .value_kind:     by_value
      - .offset:         728
        .size:           4
        .value_kind:     hidden_block_count_x
      - .offset:         732
        .size:           4
        .value_kind:     hidden_block_count_y
      - .offset:         736
        .size:           4
        .value_kind:     hidden_block_count_z
      - .offset:         740
        .size:           2
        .value_kind:     hidden_group_size_x
      - .offset:         742
        .size:           2
        .value_kind:     hidden_group_size_y
      - .offset:         744
        .size:           2
        .value_kind:     hidden_group_size_z
      - .offset:         746
        .size:           2
        .value_kind:     hidden_remainder_x
      - .offset:         748
        .size:           2
        .value_kind:     hidden_remainder_y
      - .offset:         750
        .size:           2
        .value_kind:     hidden_remainder_z
      - .offset:         768
        .size:           8
        .value_kind:     hidden_global_offset_x
      - .offset:         776
        .size:           8
        .value_kind:     hidden_global_offset_y
      - .offset:         784
        .size:           8
        .value_kind:     hidden_global_offset_z
      - .offset:         792
        .size:           2
        .value_kind:     hidden_grid_dims
    .group_segment_fixed_size: 1068
    .kernarg_segment_align: 8
    .kernarg_segment_size: 984
    .language:       OpenCL C
    .language_version:
      - 2
      - 0
    .max_flat_workgroup_size: 256
    .name:           _ZN2at6native6mbtopk10gatherTopKIdjLin1EEEvNS_4cuda6detail10TensorInfoIKT_T0_EES8_S8_bjS8_NS5_IS6_S8_EES8_NS5_IlS8_EES8_jjPS6_PjSD_j
    .private_segment_fixed_size: 0
    .sgpr_count:     46
    .sgpr_spill_count: 0
    .symbol:         _ZN2at6native6mbtopk10gatherTopKIdjLin1EEEvNS_4cuda6detail10TensorInfoIKT_T0_EES8_S8_bjS8_NS5_IS6_S8_EES8_NS5_IlS8_EES8_jjPS6_PjSD_j.kd
    .uniform_work_group_size: 1
    .uses_dynamic_stack: false
    .vgpr_count:     25
    .vgpr_spill_count: 0
    .wavefront_size: 32
    .workgroup_processor_mode: 1
  - .args:
      - .offset:         0
        .size:           216
        .value_kind:     by_value
      - .offset:         216
        .size:           4
        .value_kind:     by_value
      - .offset:         220
        .size:           4
        .value_kind:     by_value
      - .offset:         224
        .size:           1
        .value_kind:     by_value
      - .offset:         228
        .size:           4
        .value_kind:     by_value
      - .offset:         232
        .size:           4
        .value_kind:     by_value
      - .offset:         240
        .size:           216
        .value_kind:     by_value
      - .offset:         456
        .size:           4
        .value_kind:     by_value
      - .offset:         464
        .size:           216
        .value_kind:     by_value
      - .offset:         680
        .size:           4
        .value_kind:     by_value
      - .address_space:  global
        .offset:         688
        .size:           8
        .value_kind:     global_buffer
      - .offset:         696
        .size:           4
        .value_kind:     hidden_block_count_x
      - .offset:         700
        .size:           4
        .value_kind:     hidden_block_count_y
      - .offset:         704
        .size:           4
        .value_kind:     hidden_block_count_z
      - .offset:         708
        .size:           2
        .value_kind:     hidden_group_size_x
      - .offset:         710
        .size:           2
        .value_kind:     hidden_group_size_y
      - .offset:         712
        .size:           2
        .value_kind:     hidden_group_size_z
      - .offset:         714
        .size:           2
        .value_kind:     hidden_remainder_x
      - .offset:         716
        .size:           2
        .value_kind:     hidden_remainder_y
      - .offset:         718
        .size:           2
        .value_kind:     hidden_remainder_z
      - .offset:         736
        .size:           8
        .value_kind:     hidden_global_offset_x
      - .offset:         744
        .size:           8
        .value_kind:     hidden_global_offset_y
      - .offset:         752
        .size:           8
        .value_kind:     hidden_global_offset_z
      - .offset:         760
        .size:           2
        .value_kind:     hidden_grid_dims
    .group_segment_fixed_size: 4112
    .kernarg_segment_align: 8
    .kernarg_segment_size: 952
    .language:       OpenCL C
    .language_version:
      - 2
      - 0
    .max_flat_workgroup_size: 1024
    .name:           _ZN2at6native6sbtopk10gatherTopKIdjLin1ELb0EEEvNS_4cuda6detail10TensorInfoIKT_T0_EES8_S8_bS8_S8_NS5_IS6_S8_EES8_NS5_IlS8_EES8_PS6_
    .private_segment_fixed_size: 0
    .sgpr_count:     96
    .sgpr_spill_count: 0
    .symbol:         _ZN2at6native6sbtopk10gatherTopKIdjLin1ELb0EEEvNS_4cuda6detail10TensorInfoIKT_T0_EES8_S8_bS8_S8_NS5_IS6_S8_EES8_NS5_IlS8_EES8_PS6_.kd
    .uniform_work_group_size: 1
    .uses_dynamic_stack: false
    .vgpr_count:     55
    .vgpr_spill_count: 0
    .wavefront_size: 32
    .workgroup_processor_mode: 1
  - .args:
      - .offset:         0
        .size:           216
        .value_kind:     by_value
      - .offset:         216
        .size:           4
        .value_kind:     by_value
      - .address_space:  global
        .offset:         224
        .size:           8
        .value_kind:     global_buffer
      - .offset:         232
        .size:           4
        .value_kind:     by_value
      - .offset:         236
        .size:           4
        .value_kind:     by_value
      - .offset:         240
        .size:           4
        .value_kind:     by_value
      - .offset:         244
        .size:           4
        .value_kind:     by_value
      - .offset:         248
        .size:           4
        .value_kind:     by_value
      - .offset:         252
        .size:           4
        .value_kind:     by_value
      - .address_space:  global
        .offset:         256
        .size:           8
        .value_kind:     global_buffer
      - .address_space:  global
        .offset:         264
        .size:           8
        .value_kind:     global_buffer
      - .offset:         272
        .size:           4
        .value_kind:     hidden_block_count_x
      - .offset:         276
        .size:           4
        .value_kind:     hidden_block_count_y
      - .offset:         280
        .size:           4
        .value_kind:     hidden_block_count_z
      - .offset:         284
        .size:           2
        .value_kind:     hidden_group_size_x
      - .offset:         286
        .size:           2
        .value_kind:     hidden_group_size_y
      - .offset:         288
        .size:           2
        .value_kind:     hidden_group_size_z
      - .offset:         290
        .size:           2
        .value_kind:     hidden_remainder_x
      - .offset:         292
        .size:           2
        .value_kind:     hidden_remainder_y
      - .offset:         294
        .size:           2
        .value_kind:     hidden_remainder_z
      - .offset:         312
        .size:           8
        .value_kind:     hidden_global_offset_x
      - .offset:         320
        .size:           8
        .value_kind:     hidden_global_offset_y
      - .offset:         328
        .size:           8
        .value_kind:     hidden_global_offset_z
      - .offset:         336
        .size:           2
        .value_kind:     hidden_grid_dims
    .group_segment_fixed_size: 1024
    .kernarg_segment_align: 8
    .kernarg_segment_size: 528
    .language:       OpenCL C
    .language_version:
      - 2
      - 0
    .max_flat_workgroup_size: 256
    .name:           _ZN2at6native6mbtopk23computeBlockDigitCountsIfjjLi1EEEvNS_4cuda6detail10TensorInfoIKT_T0_EEjPjjS8_iijT1_PSB_Ps
    .private_segment_fixed_size: 0
    .sgpr_count:     22
    .sgpr_spill_count: 0
    .symbol:         _ZN2at6native6mbtopk23computeBlockDigitCountsIfjjLi1EEEvNS_4cuda6detail10TensorInfoIKT_T0_EEjPjjS8_iijT1_PSB_Ps.kd
    .uniform_work_group_size: 1
    .uses_dynamic_stack: false
    .vgpr_count:     12
    .vgpr_spill_count: 0
    .wavefront_size: 32
    .workgroup_processor_mode: 1
  - .args:
      - .address_space:  global
        .offset:         0
        .size:           8
        .value_kind:     global_buffer
      - .address_space:  global
        .offset:         8
        .size:           8
        .value_kind:     global_buffer
      - .address_space:  global
        .offset:         16
        .size:           8
        .value_kind:     global_buffer
      - .offset:         24
        .size:           4
        .value_kind:     by_value
      - .offset:         28
        .size:           4
        .value_kind:     by_value
      - .offset:         32
        .size:           1
        .value_kind:     by_value
      - .address_space:  global
        .offset:         40
        .size:           8
        .value_kind:     global_buffer
      - .address_space:  global
        .offset:         48
        .size:           8
        .value_kind:     global_buffer
      - .address_space:  global
        .offset:         56
        .size:           8
        .value_kind:     global_buffer
      - .address_space:  global
        .offset:         64
        .size:           8
        .value_kind:     global_buffer
      - .address_space:  global
        .offset:         72
        .size:           8
        .value_kind:     global_buffer
      - .offset:         80
        .size:           4
        .value_kind:     by_value
      - .offset:         88
        .size:           4
        .value_kind:     hidden_block_count_x
      - .offset:         92
        .size:           4
        .value_kind:     hidden_block_count_y
      - .offset:         96
        .size:           4
        .value_kind:     hidden_block_count_z
      - .offset:         100
        .size:           2
        .value_kind:     hidden_group_size_x
      - .offset:         102
        .size:           2
        .value_kind:     hidden_group_size_y
      - .offset:         104
        .size:           2
        .value_kind:     hidden_group_size_z
      - .offset:         106
        .size:           2
        .value_kind:     hidden_remainder_x
      - .offset:         108
        .size:           2
        .value_kind:     hidden_remainder_y
      - .offset:         110
        .size:           2
        .value_kind:     hidden_remainder_z
      - .offset:         128
        .size:           8
        .value_kind:     hidden_global_offset_x
      - .offset:         136
        .size:           8
        .value_kind:     hidden_global_offset_y
      - .offset:         144
        .size:           8
        .value_kind:     hidden_global_offset_z
      - .offset:         152
        .size:           2
        .value_kind:     hidden_grid_dims
    .group_segment_fixed_size: 2116
    .kernarg_segment_align: 8
    .kernarg_segment_size: 344
    .language:       OpenCL C
    .language_version:
      - 2
      - 0
    .max_flat_workgroup_size: 256
    .name:           _ZN2at6native6mbtopk29computeBlockwiseWithinKCountsIjfEEvPT_PsPjjibS6_PT0_S6_S4_S6_j
    .private_segment_fixed_size: 0
    .sgpr_count:     30
    .sgpr_spill_count: 0
    .symbol:         _ZN2at6native6mbtopk29computeBlockwiseWithinKCountsIjfEEvPT_PsPjjibS6_PT0_S6_S4_S6_j.kd
    .uniform_work_group_size: 1
    .uses_dynamic_stack: false
    .vgpr_count:     14
    .vgpr_spill_count: 0
    .wavefront_size: 32
    .workgroup_processor_mode: 1
  - .args:
      - .offset:         0
        .size:           216
        .value_kind:     by_value
      - .offset:         216
        .size:           4
        .value_kind:     by_value
      - .offset:         220
        .size:           4
        .value_kind:     by_value
      - .offset:         224
        .size:           1
        .value_kind:     by_value
      - .offset:         228
        .size:           4
        .value_kind:     by_value
      - .offset:         232
        .size:           4
        .value_kind:     by_value
      - .offset:         240
        .size:           216
        .value_kind:     by_value
      - .offset:         456
        .size:           4
        .value_kind:     by_value
      - .offset:         464
        .size:           216
        .value_kind:     by_value
      - .offset:         680
        .size:           4
        .value_kind:     by_value
      - .offset:         684
        .size:           4
        .value_kind:     by_value
      - .offset:         688
        .size:           4
        .value_kind:     by_value
      - .address_space:  global
        .offset:         696
        .size:           8
        .value_kind:     global_buffer
      - .address_space:  global
        .offset:         704
        .size:           8
        .value_kind:     global_buffer
      - .address_space:  global
        .offset:         712
        .size:           8
        .value_kind:     global_buffer
      - .offset:         720
        .size:           4
        .value_kind:     by_value
      - .offset:         728
        .size:           4
        .value_kind:     hidden_block_count_x
      - .offset:         732
        .size:           4
        .value_kind:     hidden_block_count_y
      - .offset:         736
        .size:           4
        .value_kind:     hidden_block_count_z
      - .offset:         740
        .size:           2
        .value_kind:     hidden_group_size_x
      - .offset:         742
        .size:           2
        .value_kind:     hidden_group_size_y
      - .offset:         744
        .size:           2
        .value_kind:     hidden_group_size_z
      - .offset:         746
        .size:           2
        .value_kind:     hidden_remainder_x
      - .offset:         748
        .size:           2
        .value_kind:     hidden_remainder_y
      - .offset:         750
        .size:           2
        .value_kind:     hidden_remainder_z
      - .offset:         768
        .size:           8
        .value_kind:     hidden_global_offset_x
      - .offset:         776
        .size:           8
        .value_kind:     hidden_global_offset_y
      - .offset:         784
        .size:           8
        .value_kind:     hidden_global_offset_z
      - .offset:         792
        .size:           2
        .value_kind:     hidden_grid_dims
    .group_segment_fixed_size: 1068
    .kernarg_segment_align: 8
    .kernarg_segment_size: 984
    .language:       OpenCL C
    .language_version:
      - 2
      - 0
    .max_flat_workgroup_size: 256
    .name:           _ZN2at6native6mbtopk10gatherTopKIfjLi1EEEvNS_4cuda6detail10TensorInfoIKT_T0_EES8_S8_bjS8_NS5_IS6_S8_EES8_NS5_IlS8_EES8_jjPS6_PjSD_j
    .private_segment_fixed_size: 0
    .sgpr_count:     38
    .sgpr_spill_count: 0
    .symbol:         _ZN2at6native6mbtopk10gatherTopKIfjLi1EEEvNS_4cuda6detail10TensorInfoIKT_T0_EES8_S8_bjS8_NS5_IS6_S8_EES8_NS5_IlS8_EES8_jjPS6_PjSD_j.kd
    .uniform_work_group_size: 1
    .uses_dynamic_stack: false
    .vgpr_count:     24
    .vgpr_spill_count: 0
    .wavefront_size: 32
    .workgroup_processor_mode: 1
  - .args:
      - .offset:         0
        .size:           216
        .value_kind:     by_value
      - .offset:         216
        .size:           4
        .value_kind:     by_value
      - .offset:         220
        .size:           4
        .value_kind:     by_value
      - .offset:         224
        .size:           1
        .value_kind:     by_value
      - .offset:         228
        .size:           4
        .value_kind:     by_value
      - .offset:         232
        .size:           4
        .value_kind:     by_value
      - .offset:         240
        .size:           216
        .value_kind:     by_value
      - .offset:         456
        .size:           4
        .value_kind:     by_value
      - .offset:         464
        .size:           216
        .value_kind:     by_value
      - .offset:         680
        .size:           4
        .value_kind:     by_value
      - .address_space:  global
        .offset:         688
        .size:           8
        .value_kind:     global_buffer
      - .offset:         696
        .size:           4
        .value_kind:     hidden_block_count_x
      - .offset:         700
        .size:           4
        .value_kind:     hidden_block_count_y
      - .offset:         704
        .size:           4
        .value_kind:     hidden_block_count_z
      - .offset:         708
        .size:           2
        .value_kind:     hidden_group_size_x
      - .offset:         710
        .size:           2
        .value_kind:     hidden_group_size_y
      - .offset:         712
        .size:           2
        .value_kind:     hidden_group_size_z
      - .offset:         714
        .size:           2
        .value_kind:     hidden_remainder_x
      - .offset:         716
        .size:           2
        .value_kind:     hidden_remainder_y
      - .offset:         718
        .size:           2
        .value_kind:     hidden_remainder_z
      - .offset:         736
        .size:           8
        .value_kind:     hidden_global_offset_x
      - .offset:         744
        .size:           8
        .value_kind:     hidden_global_offset_y
      - .offset:         752
        .size:           8
        .value_kind:     hidden_global_offset_z
      - .offset:         760
        .size:           2
        .value_kind:     hidden_grid_dims
    .group_segment_fixed_size: 4112
    .kernarg_segment_align: 8
    .kernarg_segment_size: 952
    .language:       OpenCL C
    .language_version:
      - 2
      - 0
    .max_flat_workgroup_size: 1024
    .name:           _ZN2at6native6sbtopk10gatherTopKIfjLi1ELb0EEEvNS_4cuda6detail10TensorInfoIKT_T0_EES8_S8_bS8_S8_NS5_IS6_S8_EES8_NS5_IlS8_EES8_PS6_
    .private_segment_fixed_size: 0
    .sgpr_count:     91
    .sgpr_spill_count: 0
    .symbol:         _ZN2at6native6sbtopk10gatherTopKIfjLi1ELb0EEEvNS_4cuda6detail10TensorInfoIKT_T0_EES8_S8_bS8_S8_NS5_IS6_S8_EES8_NS5_IlS8_EES8_PS6_.kd
    .uniform_work_group_size: 1
    .uses_dynamic_stack: false
    .vgpr_count:     43
    .vgpr_spill_count: 0
    .wavefront_size: 32
    .workgroup_processor_mode: 1
  - .args:
      - .offset:         0
        .size:           216
        .value_kind:     by_value
      - .offset:         216
        .size:           4
        .value_kind:     by_value
      - .address_space:  global
        .offset:         224
        .size:           8
        .value_kind:     global_buffer
      - .offset:         232
        .size:           4
        .value_kind:     by_value
      - .offset:         236
        .size:           4
        .value_kind:     by_value
      - .offset:         240
        .size:           4
        .value_kind:     by_value
      - .offset:         244
        .size:           4
        .value_kind:     by_value
      - .offset:         248
        .size:           4
        .value_kind:     by_value
      - .offset:         252
        .size:           4
        .value_kind:     by_value
      - .address_space:  global
        .offset:         256
        .size:           8
        .value_kind:     global_buffer
      - .address_space:  global
        .offset:         264
        .size:           8
        .value_kind:     global_buffer
      - .offset:         272
        .size:           4
        .value_kind:     hidden_block_count_x
      - .offset:         276
        .size:           4
        .value_kind:     hidden_block_count_y
      - .offset:         280
        .size:           4
        .value_kind:     hidden_block_count_z
      - .offset:         284
        .size:           2
        .value_kind:     hidden_group_size_x
      - .offset:         286
        .size:           2
        .value_kind:     hidden_group_size_y
      - .offset:         288
        .size:           2
        .value_kind:     hidden_group_size_z
      - .offset:         290
        .size:           2
        .value_kind:     hidden_remainder_x
      - .offset:         292
        .size:           2
        .value_kind:     hidden_remainder_y
      - .offset:         294
        .size:           2
        .value_kind:     hidden_remainder_z
      - .offset:         312
        .size:           8
        .value_kind:     hidden_global_offset_x
      - .offset:         320
        .size:           8
        .value_kind:     hidden_global_offset_y
      - .offset:         328
        .size:           8
        .value_kind:     hidden_global_offset_z
      - .offset:         336
        .size:           2
        .value_kind:     hidden_grid_dims
    .group_segment_fixed_size: 1024
    .kernarg_segment_align: 8
    .kernarg_segment_size: 528
    .language:       OpenCL C
    .language_version:
      - 2
      - 0
    .max_flat_workgroup_size: 256
    .name:           _ZN2at6native6mbtopk23computeBlockDigitCountsIfjjLi2EEEvNS_4cuda6detail10TensorInfoIKT_T0_EEjPjjS8_iijT1_PSB_Ps
    .private_segment_fixed_size: 0
    .sgpr_count:     25
    .sgpr_spill_count: 0
    .symbol:         _ZN2at6native6mbtopk23computeBlockDigitCountsIfjjLi2EEEvNS_4cuda6detail10TensorInfoIKT_T0_EEjPjjS8_iijT1_PSB_Ps.kd
    .uniform_work_group_size: 1
    .uses_dynamic_stack: false
    .vgpr_count:     12
    .vgpr_spill_count: 0
    .wavefront_size: 32
    .workgroup_processor_mode: 1
  - .args:
      - .offset:         0
        .size:           216
        .value_kind:     by_value
      - .offset:         216
        .size:           4
        .value_kind:     by_value
      - .offset:         220
        .size:           4
        .value_kind:     by_value
      - .offset:         224
        .size:           1
        .value_kind:     by_value
      - .offset:         228
        .size:           4
        .value_kind:     by_value
      - .offset:         232
        .size:           4
        .value_kind:     by_value
      - .offset:         240
        .size:           216
        .value_kind:     by_value
      - .offset:         456
        .size:           4
        .value_kind:     by_value
      - .offset:         464
        .size:           216
        .value_kind:     by_value
      - .offset:         680
        .size:           4
        .value_kind:     by_value
      - .offset:         684
        .size:           4
        .value_kind:     by_value
      - .offset:         688
        .size:           4
        .value_kind:     by_value
      - .address_space:  global
        .offset:         696
        .size:           8
        .value_kind:     global_buffer
      - .address_space:  global
        .offset:         704
        .size:           8
        .value_kind:     global_buffer
      - .address_space:  global
        .offset:         712
        .size:           8
        .value_kind:     global_buffer
      - .offset:         720
        .size:           4
        .value_kind:     by_value
      - .offset:         728
        .size:           4
        .value_kind:     hidden_block_count_x
      - .offset:         732
        .size:           4
        .value_kind:     hidden_block_count_y
      - .offset:         736
        .size:           4
        .value_kind:     hidden_block_count_z
      - .offset:         740
        .size:           2
        .value_kind:     hidden_group_size_x
      - .offset:         742
        .size:           2
        .value_kind:     hidden_group_size_y
      - .offset:         744
        .size:           2
        .value_kind:     hidden_group_size_z
      - .offset:         746
        .size:           2
        .value_kind:     hidden_remainder_x
      - .offset:         748
        .size:           2
        .value_kind:     hidden_remainder_y
      - .offset:         750
        .size:           2
        .value_kind:     hidden_remainder_z
      - .offset:         768
        .size:           8
        .value_kind:     hidden_global_offset_x
      - .offset:         776
        .size:           8
        .value_kind:     hidden_global_offset_y
      - .offset:         784
        .size:           8
        .value_kind:     hidden_global_offset_z
      - .offset:         792
        .size:           2
        .value_kind:     hidden_grid_dims
    .group_segment_fixed_size: 1068
    .kernarg_segment_align: 8
    .kernarg_segment_size: 984
    .language:       OpenCL C
    .language_version:
      - 2
      - 0
    .max_flat_workgroup_size: 256
    .name:           _ZN2at6native6mbtopk10gatherTopKIfjLi2EEEvNS_4cuda6detail10TensorInfoIKT_T0_EES8_S8_bjS8_NS5_IS6_S8_EES8_NS5_IlS8_EES8_jjPS6_PjSD_j
    .private_segment_fixed_size: 0
    .sgpr_count:     50
    .sgpr_spill_count: 0
    .symbol:         _ZN2at6native6mbtopk10gatherTopKIfjLi2EEEvNS_4cuda6detail10TensorInfoIKT_T0_EES8_S8_bjS8_NS5_IS6_S8_EES8_NS5_IlS8_EES8_jjPS6_PjSD_j.kd
    .uniform_work_group_size: 1
    .uses_dynamic_stack: false
    .vgpr_count:     24
    .vgpr_spill_count: 0
    .wavefront_size: 32
    .workgroup_processor_mode: 1
  - .args:
      - .offset:         0
        .size:           216
        .value_kind:     by_value
      - .offset:         216
        .size:           4
        .value_kind:     by_value
      - .offset:         220
        .size:           4
        .value_kind:     by_value
      - .offset:         224
        .size:           1
        .value_kind:     by_value
      - .offset:         228
        .size:           4
        .value_kind:     by_value
      - .offset:         232
        .size:           4
        .value_kind:     by_value
      - .offset:         240
        .size:           216
        .value_kind:     by_value
      - .offset:         456
        .size:           4
        .value_kind:     by_value
      - .offset:         464
        .size:           216
        .value_kind:     by_value
      - .offset:         680
        .size:           4
        .value_kind:     by_value
      - .address_space:  global
        .offset:         688
        .size:           8
        .value_kind:     global_buffer
      - .offset:         696
        .size:           4
        .value_kind:     hidden_block_count_x
      - .offset:         700
        .size:           4
        .value_kind:     hidden_block_count_y
      - .offset:         704
        .size:           4
        .value_kind:     hidden_block_count_z
      - .offset:         708
        .size:           2
        .value_kind:     hidden_group_size_x
      - .offset:         710
        .size:           2
        .value_kind:     hidden_group_size_y
      - .offset:         712
        .size:           2
        .value_kind:     hidden_group_size_z
      - .offset:         714
        .size:           2
        .value_kind:     hidden_remainder_x
      - .offset:         716
        .size:           2
        .value_kind:     hidden_remainder_y
      - .offset:         718
        .size:           2
        .value_kind:     hidden_remainder_z
      - .offset:         736
        .size:           8
        .value_kind:     hidden_global_offset_x
      - .offset:         744
        .size:           8
        .value_kind:     hidden_global_offset_y
      - .offset:         752
        .size:           8
        .value_kind:     hidden_global_offset_z
      - .offset:         760
        .size:           2
        .value_kind:     hidden_grid_dims
    .group_segment_fixed_size: 4112
    .kernarg_segment_align: 8
    .kernarg_segment_size: 952
    .language:       OpenCL C
    .language_version:
      - 2
      - 0
    .max_flat_workgroup_size: 1024
    .name:           _ZN2at6native6sbtopk10gatherTopKIfjLi2ELb0EEEvNS_4cuda6detail10TensorInfoIKT_T0_EES8_S8_bS8_S8_NS5_IS6_S8_EES8_NS5_IlS8_EES8_PS6_
    .private_segment_fixed_size: 0
    .sgpr_count:     97
    .sgpr_spill_count: 0
    .symbol:         _ZN2at6native6sbtopk10gatherTopKIfjLi2ELb0EEEvNS_4cuda6detail10TensorInfoIKT_T0_EES8_S8_bS8_S8_NS5_IS6_S8_EES8_NS5_IlS8_EES8_PS6_.kd
    .uniform_work_group_size: 1
    .uses_dynamic_stack: false
    .vgpr_count:     43
    .vgpr_spill_count: 0
    .wavefront_size: 32
    .workgroup_processor_mode: 1
  - .args:
      - .offset:         0
        .size:           216
        .value_kind:     by_value
      - .offset:         216
        .size:           4
        .value_kind:     by_value
      - .address_space:  global
        .offset:         224
        .size:           8
        .value_kind:     global_buffer
      - .offset:         232
        .size:           4
        .value_kind:     by_value
      - .offset:         236
        .size:           4
        .value_kind:     by_value
      - .offset:         240
        .size:           4
        .value_kind:     by_value
      - .offset:         244
        .size:           4
        .value_kind:     by_value
      - .offset:         248
        .size:           4
        .value_kind:     by_value
      - .offset:         252
        .size:           4
        .value_kind:     by_value
      - .address_space:  global
        .offset:         256
        .size:           8
        .value_kind:     global_buffer
      - .address_space:  global
        .offset:         264
        .size:           8
        .value_kind:     global_buffer
      - .offset:         272
        .size:           4
        .value_kind:     hidden_block_count_x
      - .offset:         276
        .size:           4
        .value_kind:     hidden_block_count_y
      - .offset:         280
        .size:           4
        .value_kind:     hidden_block_count_z
      - .offset:         284
        .size:           2
        .value_kind:     hidden_group_size_x
      - .offset:         286
        .size:           2
        .value_kind:     hidden_group_size_y
      - .offset:         288
        .size:           2
        .value_kind:     hidden_group_size_z
      - .offset:         290
        .size:           2
        .value_kind:     hidden_remainder_x
      - .offset:         292
        .size:           2
        .value_kind:     hidden_remainder_y
      - .offset:         294
        .size:           2
        .value_kind:     hidden_remainder_z
      - .offset:         312
        .size:           8
        .value_kind:     hidden_global_offset_x
      - .offset:         320
        .size:           8
        .value_kind:     hidden_global_offset_y
      - .offset:         328
        .size:           8
        .value_kind:     hidden_global_offset_z
      - .offset:         336
        .size:           2
        .value_kind:     hidden_grid_dims
    .group_segment_fixed_size: 1024
    .kernarg_segment_align: 8
    .kernarg_segment_size: 528
    .language:       OpenCL C
    .language_version:
      - 2
      - 0
    .max_flat_workgroup_size: 256
    .name:           _ZN2at6native6mbtopk23computeBlockDigitCountsIfjjLi3EEEvNS_4cuda6detail10TensorInfoIKT_T0_EEjPjjS8_iijT1_PSB_Ps
    .private_segment_fixed_size: 0
    .sgpr_count:     28
    .sgpr_spill_count: 0
    .symbol:         _ZN2at6native6mbtopk23computeBlockDigitCountsIfjjLi3EEEvNS_4cuda6detail10TensorInfoIKT_T0_EEjPjjS8_iijT1_PSB_Ps.kd
    .uniform_work_group_size: 1
    .uses_dynamic_stack: false
    .vgpr_count:     12
    .vgpr_spill_count: 0
    .wavefront_size: 32
    .workgroup_processor_mode: 1
  - .args:
      - .offset:         0
        .size:           216
        .value_kind:     by_value
      - .offset:         216
        .size:           4
        .value_kind:     by_value
      - .offset:         220
        .size:           4
        .value_kind:     by_value
      - .offset:         224
        .size:           1
        .value_kind:     by_value
      - .offset:         228
        .size:           4
        .value_kind:     by_value
      - .offset:         232
        .size:           4
        .value_kind:     by_value
      - .offset:         240
        .size:           216
        .value_kind:     by_value
      - .offset:         456
        .size:           4
        .value_kind:     by_value
      - .offset:         464
        .size:           216
        .value_kind:     by_value
      - .offset:         680
        .size:           4
        .value_kind:     by_value
      - .offset:         684
        .size:           4
        .value_kind:     by_value
      - .offset:         688
        .size:           4
        .value_kind:     by_value
      - .address_space:  global
        .offset:         696
        .size:           8
        .value_kind:     global_buffer
      - .address_space:  global
        .offset:         704
        .size:           8
        .value_kind:     global_buffer
      - .address_space:  global
        .offset:         712
        .size:           8
        .value_kind:     global_buffer
      - .offset:         720
        .size:           4
        .value_kind:     by_value
      - .offset:         728
        .size:           4
        .value_kind:     hidden_block_count_x
      - .offset:         732
        .size:           4
        .value_kind:     hidden_block_count_y
      - .offset:         736
        .size:           4
        .value_kind:     hidden_block_count_z
      - .offset:         740
        .size:           2
        .value_kind:     hidden_group_size_x
      - .offset:         742
        .size:           2
        .value_kind:     hidden_group_size_y
      - .offset:         744
        .size:           2
        .value_kind:     hidden_group_size_z
      - .offset:         746
        .size:           2
        .value_kind:     hidden_remainder_x
      - .offset:         748
        .size:           2
        .value_kind:     hidden_remainder_y
      - .offset:         750
        .size:           2
        .value_kind:     hidden_remainder_z
      - .offset:         768
        .size:           8
        .value_kind:     hidden_global_offset_x
      - .offset:         776
        .size:           8
        .value_kind:     hidden_global_offset_y
      - .offset:         784
        .size:           8
        .value_kind:     hidden_global_offset_z
      - .offset:         792
        .size:           2
        .value_kind:     hidden_grid_dims
    .group_segment_fixed_size: 1068
    .kernarg_segment_align: 8
    .kernarg_segment_size: 984
    .language:       OpenCL C
    .language_version:
      - 2
      - 0
    .max_flat_workgroup_size: 256
    .name:           _ZN2at6native6mbtopk10gatherTopKIfjLi3EEEvNS_4cuda6detail10TensorInfoIKT_T0_EES8_S8_bjS8_NS5_IS6_S8_EES8_NS5_IlS8_EES8_jjPS6_PjSD_j
    .private_segment_fixed_size: 0
    .sgpr_count:     59
    .sgpr_spill_count: 0
    .symbol:         _ZN2at6native6mbtopk10gatherTopKIfjLi3EEEvNS_4cuda6detail10TensorInfoIKT_T0_EES8_S8_bjS8_NS5_IS6_S8_EES8_NS5_IlS8_EES8_jjPS6_PjSD_j.kd
    .uniform_work_group_size: 1
    .uses_dynamic_stack: false
    .vgpr_count:     24
    .vgpr_spill_count: 0
    .wavefront_size: 32
    .workgroup_processor_mode: 1
  - .args:
      - .offset:         0
        .size:           216
        .value_kind:     by_value
      - .offset:         216
        .size:           4
        .value_kind:     by_value
      - .offset:         220
        .size:           4
        .value_kind:     by_value
      - .offset:         224
        .size:           1
        .value_kind:     by_value
      - .offset:         228
        .size:           4
        .value_kind:     by_value
      - .offset:         232
        .size:           4
        .value_kind:     by_value
      - .offset:         240
        .size:           216
        .value_kind:     by_value
      - .offset:         456
        .size:           4
        .value_kind:     by_value
      - .offset:         464
        .size:           216
        .value_kind:     by_value
      - .offset:         680
        .size:           4
        .value_kind:     by_value
      - .address_space:  global
        .offset:         688
        .size:           8
        .value_kind:     global_buffer
      - .offset:         696
        .size:           4
        .value_kind:     hidden_block_count_x
      - .offset:         700
        .size:           4
        .value_kind:     hidden_block_count_y
      - .offset:         704
        .size:           4
        .value_kind:     hidden_block_count_z
      - .offset:         708
        .size:           2
        .value_kind:     hidden_group_size_x
      - .offset:         710
        .size:           2
        .value_kind:     hidden_group_size_y
      - .offset:         712
        .size:           2
        .value_kind:     hidden_group_size_z
      - .offset:         714
        .size:           2
        .value_kind:     hidden_remainder_x
      - .offset:         716
        .size:           2
        .value_kind:     hidden_remainder_y
      - .offset:         718
        .size:           2
        .value_kind:     hidden_remainder_z
      - .offset:         736
        .size:           8
        .value_kind:     hidden_global_offset_x
      - .offset:         744
        .size:           8
        .value_kind:     hidden_global_offset_y
      - .offset:         752
        .size:           8
        .value_kind:     hidden_global_offset_z
      - .offset:         760
        .size:           2
        .value_kind:     hidden_grid_dims
    .group_segment_fixed_size: 4112
    .kernarg_segment_align: 8
    .kernarg_segment_size: 952
    .language:       OpenCL C
    .language_version:
      - 2
      - 0
    .max_flat_workgroup_size: 1024
    .name:           _ZN2at6native6sbtopk10gatherTopKIfjLi3ELb0EEEvNS_4cuda6detail10TensorInfoIKT_T0_EES8_S8_bS8_S8_NS5_IS6_S8_EES8_NS5_IlS8_EES8_PS6_
    .private_segment_fixed_size: 0
    .sgpr_count:     103
    .sgpr_spill_count: 0
    .symbol:         _ZN2at6native6sbtopk10gatherTopKIfjLi3ELb0EEEvNS_4cuda6detail10TensorInfoIKT_T0_EES8_S8_bS8_S8_NS5_IS6_S8_EES8_NS5_IlS8_EES8_PS6_.kd
    .uniform_work_group_size: 1
    .uses_dynamic_stack: false
    .vgpr_count:     43
    .vgpr_spill_count: 0
    .wavefront_size: 32
    .workgroup_processor_mode: 1
  - .args:
      - .offset:         0
        .size:           216
        .value_kind:     by_value
      - .offset:         216
        .size:           4
        .value_kind:     by_value
      - .address_space:  global
        .offset:         224
        .size:           8
        .value_kind:     global_buffer
      - .offset:         232
        .size:           4
        .value_kind:     by_value
      - .offset:         236
        .size:           4
        .value_kind:     by_value
      - .offset:         240
        .size:           4
        .value_kind:     by_value
      - .offset:         244
        .size:           4
        .value_kind:     by_value
      - .offset:         248
        .size:           4
        .value_kind:     by_value
      - .offset:         252
        .size:           4
        .value_kind:     by_value
      - .address_space:  global
        .offset:         256
        .size:           8
        .value_kind:     global_buffer
      - .address_space:  global
        .offset:         264
        .size:           8
        .value_kind:     global_buffer
      - .offset:         272
        .size:           4
        .value_kind:     hidden_block_count_x
      - .offset:         276
        .size:           4
        .value_kind:     hidden_block_count_y
      - .offset:         280
        .size:           4
        .value_kind:     hidden_block_count_z
      - .offset:         284
        .size:           2
        .value_kind:     hidden_group_size_x
      - .offset:         286
        .size:           2
        .value_kind:     hidden_group_size_y
      - .offset:         288
        .size:           2
        .value_kind:     hidden_group_size_z
      - .offset:         290
        .size:           2
        .value_kind:     hidden_remainder_x
      - .offset:         292
        .size:           2
        .value_kind:     hidden_remainder_y
      - .offset:         294
        .size:           2
        .value_kind:     hidden_remainder_z
      - .offset:         312
        .size:           8
        .value_kind:     hidden_global_offset_x
      - .offset:         320
        .size:           8
        .value_kind:     hidden_global_offset_y
      - .offset:         328
        .size:           8
        .value_kind:     hidden_global_offset_z
      - .offset:         336
        .size:           2
        .value_kind:     hidden_grid_dims
    .group_segment_fixed_size: 1024
    .kernarg_segment_align: 8
    .kernarg_segment_size: 528
    .language:       OpenCL C
    .language_version:
      - 2
      - 0
    .max_flat_workgroup_size: 256
    .name:           _ZN2at6native6mbtopk23computeBlockDigitCountsIfjjLin1EEEvNS_4cuda6detail10TensorInfoIKT_T0_EEjPjjS8_iijT1_PSB_Ps
    .private_segment_fixed_size: 0
    .sgpr_count:     26
    .sgpr_spill_count: 0
    .symbol:         _ZN2at6native6mbtopk23computeBlockDigitCountsIfjjLin1EEEvNS_4cuda6detail10TensorInfoIKT_T0_EEjPjjS8_iijT1_PSB_Ps.kd
    .uniform_work_group_size: 1
    .uses_dynamic_stack: false
    .vgpr_count:     12
    .vgpr_spill_count: 0
    .wavefront_size: 32
    .workgroup_processor_mode: 1
  - .args:
      - .offset:         0
        .size:           216
        .value_kind:     by_value
      - .offset:         216
        .size:           4
        .value_kind:     by_value
      - .offset:         220
        .size:           4
        .value_kind:     by_value
      - .offset:         224
        .size:           1
        .value_kind:     by_value
      - .offset:         228
        .size:           4
        .value_kind:     by_value
      - .offset:         232
        .size:           4
        .value_kind:     by_value
      - .offset:         240
        .size:           216
        .value_kind:     by_value
      - .offset:         456
        .size:           4
        .value_kind:     by_value
      - .offset:         464
        .size:           216
        .value_kind:     by_value
      - .offset:         680
        .size:           4
        .value_kind:     by_value
      - .offset:         684
        .size:           4
        .value_kind:     by_value
      - .offset:         688
        .size:           4
        .value_kind:     by_value
      - .address_space:  global
        .offset:         696
        .size:           8
        .value_kind:     global_buffer
      - .address_space:  global
        .offset:         704
        .size:           8
        .value_kind:     global_buffer
      - .address_space:  global
        .offset:         712
        .size:           8
        .value_kind:     global_buffer
      - .offset:         720
        .size:           4
        .value_kind:     by_value
      - .offset:         728
        .size:           4
        .value_kind:     hidden_block_count_x
      - .offset:         732
        .size:           4
        .value_kind:     hidden_block_count_y
      - .offset:         736
        .size:           4
        .value_kind:     hidden_block_count_z
      - .offset:         740
        .size:           2
        .value_kind:     hidden_group_size_x
      - .offset:         742
        .size:           2
        .value_kind:     hidden_group_size_y
      - .offset:         744
        .size:           2
        .value_kind:     hidden_group_size_z
      - .offset:         746
        .size:           2
        .value_kind:     hidden_remainder_x
      - .offset:         748
        .size:           2
        .value_kind:     hidden_remainder_y
      - .offset:         750
        .size:           2
        .value_kind:     hidden_remainder_z
      - .offset:         768
        .size:           8
        .value_kind:     hidden_global_offset_x
      - .offset:         776
        .size:           8
        .value_kind:     hidden_global_offset_y
      - .offset:         784
        .size:           8
        .value_kind:     hidden_global_offset_z
      - .offset:         792
        .size:           2
        .value_kind:     hidden_grid_dims
    .group_segment_fixed_size: 1068
    .kernarg_segment_align: 8
    .kernarg_segment_size: 984
    .language:       OpenCL C
    .language_version:
      - 2
      - 0
    .max_flat_workgroup_size: 256
    .name:           _ZN2at6native6mbtopk10gatherTopKIfjLin1EEEvNS_4cuda6detail10TensorInfoIKT_T0_EES8_S8_bjS8_NS5_IS6_S8_EES8_NS5_IlS8_EES8_jjPS6_PjSD_j
    .private_segment_fixed_size: 0
    .sgpr_count:     45
    .sgpr_spill_count: 0
    .symbol:         _ZN2at6native6mbtopk10gatherTopKIfjLin1EEEvNS_4cuda6detail10TensorInfoIKT_T0_EES8_S8_bjS8_NS5_IS6_S8_EES8_NS5_IlS8_EES8_jjPS6_PjSD_j.kd
    .uniform_work_group_size: 1
    .uses_dynamic_stack: false
    .vgpr_count:     24
    .vgpr_spill_count: 0
    .wavefront_size: 32
    .workgroup_processor_mode: 1
  - .args:
      - .offset:         0
        .size:           216
        .value_kind:     by_value
      - .offset:         216
        .size:           4
        .value_kind:     by_value
      - .offset:         220
        .size:           4
        .value_kind:     by_value
      - .offset:         224
        .size:           1
        .value_kind:     by_value
      - .offset:         228
        .size:           4
        .value_kind:     by_value
      - .offset:         232
        .size:           4
        .value_kind:     by_value
      - .offset:         240
        .size:           216
        .value_kind:     by_value
      - .offset:         456
        .size:           4
        .value_kind:     by_value
      - .offset:         464
        .size:           216
        .value_kind:     by_value
      - .offset:         680
        .size:           4
        .value_kind:     by_value
      - .address_space:  global
        .offset:         688
        .size:           8
        .value_kind:     global_buffer
      - .offset:         696
        .size:           4
        .value_kind:     hidden_block_count_x
      - .offset:         700
        .size:           4
        .value_kind:     hidden_block_count_y
      - .offset:         704
        .size:           4
        .value_kind:     hidden_block_count_z
      - .offset:         708
        .size:           2
        .value_kind:     hidden_group_size_x
      - .offset:         710
        .size:           2
        .value_kind:     hidden_group_size_y
      - .offset:         712
        .size:           2
        .value_kind:     hidden_group_size_z
      - .offset:         714
        .size:           2
        .value_kind:     hidden_remainder_x
      - .offset:         716
        .size:           2
        .value_kind:     hidden_remainder_y
      - .offset:         718
        .size:           2
        .value_kind:     hidden_remainder_z
      - .offset:         736
        .size:           8
        .value_kind:     hidden_global_offset_x
      - .offset:         744
        .size:           8
        .value_kind:     hidden_global_offset_y
      - .offset:         752
        .size:           8
        .value_kind:     hidden_global_offset_z
      - .offset:         760
        .size:           2
        .value_kind:     hidden_grid_dims
    .group_segment_fixed_size: 4112
    .kernarg_segment_align: 8
    .kernarg_segment_size: 952
    .language:       OpenCL C
    .language_version:
      - 2
      - 0
    .max_flat_workgroup_size: 1024
    .name:           _ZN2at6native6sbtopk10gatherTopKIfjLin1ELb0EEEvNS_4cuda6detail10TensorInfoIKT_T0_EES8_S8_bS8_S8_NS5_IS6_S8_EES8_NS5_IlS8_EES8_PS6_
    .private_segment_fixed_size: 0
    .sgpr_count:     94
    .sgpr_spill_count: 0
    .symbol:         _ZN2at6native6sbtopk10gatherTopKIfjLin1ELb0EEEvNS_4cuda6detail10TensorInfoIKT_T0_EES8_S8_bS8_S8_NS5_IS6_S8_EES8_NS5_IlS8_EES8_PS6_.kd
    .uniform_work_group_size: 1
    .uses_dynamic_stack: false
    .vgpr_count:     43
    .vgpr_spill_count: 0
    .wavefront_size: 32
    .workgroup_processor_mode: 1
  - .args:
      - .offset:         0
        .size:           216
        .value_kind:     by_value
      - .offset:         216
        .size:           4
        .value_kind:     by_value
      - .address_space:  global
        .offset:         224
        .size:           8
        .value_kind:     global_buffer
      - .offset:         232
        .size:           4
        .value_kind:     by_value
      - .offset:         236
        .size:           4
        .value_kind:     by_value
      - .offset:         240
        .size:           4
        .value_kind:     by_value
      - .offset:         244
        .size:           4
        .value_kind:     by_value
      - .offset:         248
        .size:           4
        .value_kind:     by_value
      - .offset:         252
        .size:           4
        .value_kind:     by_value
      - .address_space:  global
        .offset:         256
        .size:           8
        .value_kind:     global_buffer
      - .address_space:  global
        .offset:         264
        .size:           8
        .value_kind:     global_buffer
      - .offset:         272
        .size:           4
        .value_kind:     hidden_block_count_x
      - .offset:         276
        .size:           4
        .value_kind:     hidden_block_count_y
      - .offset:         280
        .size:           4
        .value_kind:     hidden_block_count_z
      - .offset:         284
        .size:           2
        .value_kind:     hidden_group_size_x
      - .offset:         286
        .size:           2
        .value_kind:     hidden_group_size_y
      - .offset:         288
        .size:           2
        .value_kind:     hidden_group_size_z
      - .offset:         290
        .size:           2
        .value_kind:     hidden_remainder_x
      - .offset:         292
        .size:           2
        .value_kind:     hidden_remainder_y
      - .offset:         294
        .size:           2
        .value_kind:     hidden_remainder_z
      - .offset:         312
        .size:           8
        .value_kind:     hidden_global_offset_x
      - .offset:         320
        .size:           8
        .value_kind:     hidden_global_offset_y
      - .offset:         328
        .size:           8
        .value_kind:     hidden_global_offset_z
      - .offset:         336
        .size:           2
        .value_kind:     hidden_grid_dims
    .group_segment_fixed_size: 1024
    .kernarg_segment_align: 8
    .kernarg_segment_size: 528
    .language:       OpenCL C
    .language_version:
      - 2
      - 0
    .max_flat_workgroup_size: 256
    .name:           _ZN2at6native6mbtopk23computeBlockDigitCountsIN3c104HalfEjjLi1EEEvNS_4cuda6detail10TensorInfoIKT_T0_EEjPjjSA_iijT1_PSD_Ps
    .private_segment_fixed_size: 0
    .sgpr_count:     22
    .sgpr_spill_count: 0
    .symbol:         _ZN2at6native6mbtopk23computeBlockDigitCountsIN3c104HalfEjjLi1EEEvNS_4cuda6detail10TensorInfoIKT_T0_EEjPjjSA_iijT1_PSD_Ps.kd
    .uniform_work_group_size: 1
    .uses_dynamic_stack: false
    .vgpr_count:     13
    .vgpr_spill_count: 0
    .wavefront_size: 32
    .workgroup_processor_mode: 1
  - .args:
      - .address_space:  global
        .offset:         0
        .size:           8
        .value_kind:     global_buffer
      - .address_space:  global
        .offset:         8
        .size:           8
        .value_kind:     global_buffer
      - .address_space:  global
        .offset:         16
        .size:           8
        .value_kind:     global_buffer
      - .offset:         24
        .size:           4
        .value_kind:     by_value
      - .offset:         28
        .size:           4
        .value_kind:     by_value
      - .offset:         32
        .size:           1
        .value_kind:     by_value
      - .address_space:  global
        .offset:         40
        .size:           8
        .value_kind:     global_buffer
      - .address_space:  global
        .offset:         48
        .size:           8
        .value_kind:     global_buffer
      - .address_space:  global
        .offset:         56
        .size:           8
        .value_kind:     global_buffer
      - .address_space:  global
        .offset:         64
        .size:           8
        .value_kind:     global_buffer
      - .address_space:  global
        .offset:         72
        .size:           8
        .value_kind:     global_buffer
      - .offset:         80
        .size:           4
        .value_kind:     by_value
      - .offset:         88
        .size:           4
        .value_kind:     hidden_block_count_x
      - .offset:         92
        .size:           4
        .value_kind:     hidden_block_count_y
      - .offset:         96
        .size:           4
        .value_kind:     hidden_block_count_z
      - .offset:         100
        .size:           2
        .value_kind:     hidden_group_size_x
      - .offset:         102
        .size:           2
        .value_kind:     hidden_group_size_y
      - .offset:         104
        .size:           2
        .value_kind:     hidden_group_size_z
      - .offset:         106
        .size:           2
        .value_kind:     hidden_remainder_x
      - .offset:         108
        .size:           2
        .value_kind:     hidden_remainder_y
      - .offset:         110
        .size:           2
        .value_kind:     hidden_remainder_z
      - .offset:         128
        .size:           8
        .value_kind:     hidden_global_offset_x
      - .offset:         136
        .size:           8
        .value_kind:     hidden_global_offset_y
      - .offset:         144
        .size:           8
        .value_kind:     hidden_global_offset_z
      - .offset:         152
        .size:           2
        .value_kind:     hidden_grid_dims
    .group_segment_fixed_size: 2116
    .kernarg_segment_align: 8
    .kernarg_segment_size: 344
    .language:       OpenCL C
    .language_version:
      - 2
      - 0
    .max_flat_workgroup_size: 256
    .name:           _ZN2at6native6mbtopk29computeBlockwiseWithinKCountsIjN3c104HalfEEEvPT_PsPjjibS8_PT0_S8_S6_S8_j
    .private_segment_fixed_size: 0
    .sgpr_count:     30
    .sgpr_spill_count: 0
    .symbol:         _ZN2at6native6mbtopk29computeBlockwiseWithinKCountsIjN3c104HalfEEEvPT_PsPjjibS8_PT0_S8_S6_S8_j.kd
    .uniform_work_group_size: 1
    .uses_dynamic_stack: false
    .vgpr_count:     14
    .vgpr_spill_count: 0
    .wavefront_size: 32
    .workgroup_processor_mode: 1
  - .args:
      - .offset:         0
        .size:           216
        .value_kind:     by_value
      - .offset:         216
        .size:           4
        .value_kind:     by_value
      - .offset:         220
        .size:           4
        .value_kind:     by_value
      - .offset:         224
        .size:           1
        .value_kind:     by_value
      - .offset:         228
        .size:           4
        .value_kind:     by_value
      - .offset:         232
        .size:           4
        .value_kind:     by_value
      - .offset:         240
        .size:           216
        .value_kind:     by_value
      - .offset:         456
        .size:           4
        .value_kind:     by_value
      - .offset:         464
        .size:           216
        .value_kind:     by_value
      - .offset:         680
        .size:           4
        .value_kind:     by_value
      - .offset:         684
        .size:           4
        .value_kind:     by_value
      - .offset:         688
        .size:           4
        .value_kind:     by_value
      - .address_space:  global
        .offset:         696
        .size:           8
        .value_kind:     global_buffer
      - .address_space:  global
        .offset:         704
        .size:           8
        .value_kind:     global_buffer
      - .address_space:  global
        .offset:         712
        .size:           8
        .value_kind:     global_buffer
      - .offset:         720
        .size:           4
        .value_kind:     by_value
      - .offset:         728
        .size:           4
        .value_kind:     hidden_block_count_x
      - .offset:         732
        .size:           4
        .value_kind:     hidden_block_count_y
      - .offset:         736
        .size:           4
        .value_kind:     hidden_block_count_z
      - .offset:         740
        .size:           2
        .value_kind:     hidden_group_size_x
      - .offset:         742
        .size:           2
        .value_kind:     hidden_group_size_y
      - .offset:         744
        .size:           2
        .value_kind:     hidden_group_size_z
      - .offset:         746
        .size:           2
        .value_kind:     hidden_remainder_x
      - .offset:         748
        .size:           2
        .value_kind:     hidden_remainder_y
      - .offset:         750
        .size:           2
        .value_kind:     hidden_remainder_z
      - .offset:         768
        .size:           8
        .value_kind:     hidden_global_offset_x
      - .offset:         776
        .size:           8
        .value_kind:     hidden_global_offset_y
      - .offset:         784
        .size:           8
        .value_kind:     hidden_global_offset_z
      - .offset:         792
        .size:           2
        .value_kind:     hidden_grid_dims
    .group_segment_fixed_size: 1068
    .kernarg_segment_align: 8
    .kernarg_segment_size: 984
    .language:       OpenCL C
    .language_version:
      - 2
      - 0
    .max_flat_workgroup_size: 256
    .name:           _ZN2at6native6mbtopk10gatherTopKIN3c104HalfEjLi1EEEvNS_4cuda6detail10TensorInfoIKT_T0_EESA_SA_bjSA_NS7_IS8_SA_EESA_NS7_IlSA_EESA_jjPS8_PjSF_j
    .private_segment_fixed_size: 0
    .sgpr_count:     38
    .sgpr_spill_count: 0
    .symbol:         _ZN2at6native6mbtopk10gatherTopKIN3c104HalfEjLi1EEEvNS_4cuda6detail10TensorInfoIKT_T0_EESA_SA_bjSA_NS7_IS8_SA_EESA_NS7_IlSA_EESA_jjPS8_PjSF_j.kd
    .uniform_work_group_size: 1
    .uses_dynamic_stack: false
    .vgpr_count:     25
    .vgpr_spill_count: 0
    .wavefront_size: 32
    .workgroup_processor_mode: 1
  - .args:
      - .offset:         0
        .size:           216
        .value_kind:     by_value
      - .offset:         216
        .size:           4
        .value_kind:     by_value
      - .offset:         220
        .size:           4
        .value_kind:     by_value
      - .offset:         224
        .size:           1
        .value_kind:     by_value
      - .offset:         228
        .size:           4
        .value_kind:     by_value
      - .offset:         232
        .size:           4
        .value_kind:     by_value
      - .offset:         240
        .size:           216
        .value_kind:     by_value
      - .offset:         456
        .size:           4
        .value_kind:     by_value
      - .offset:         464
        .size:           216
        .value_kind:     by_value
      - .offset:         680
        .size:           4
        .value_kind:     by_value
      - .address_space:  global
        .offset:         688
        .size:           8
        .value_kind:     global_buffer
      - .offset:         696
        .size:           4
        .value_kind:     hidden_block_count_x
      - .offset:         700
        .size:           4
        .value_kind:     hidden_block_count_y
      - .offset:         704
        .size:           4
        .value_kind:     hidden_block_count_z
      - .offset:         708
        .size:           2
        .value_kind:     hidden_group_size_x
      - .offset:         710
        .size:           2
        .value_kind:     hidden_group_size_y
      - .offset:         712
        .size:           2
        .value_kind:     hidden_group_size_z
      - .offset:         714
        .size:           2
        .value_kind:     hidden_remainder_x
      - .offset:         716
        .size:           2
        .value_kind:     hidden_remainder_y
      - .offset:         718
        .size:           2
        .value_kind:     hidden_remainder_z
      - .offset:         736
        .size:           8
        .value_kind:     hidden_global_offset_x
      - .offset:         744
        .size:           8
        .value_kind:     hidden_global_offset_y
      - .offset:         752
        .size:           8
        .value_kind:     hidden_global_offset_z
      - .offset:         760
        .size:           2
        .value_kind:     hidden_grid_dims
    .group_segment_fixed_size: 4112
    .kernarg_segment_align: 8
    .kernarg_segment_size: 952
    .language:       OpenCL C
    .language_version:
      - 2
      - 0
    .max_flat_workgroup_size: 1024
    .name:           _ZN2at6native6sbtopk10gatherTopKIN3c104HalfEjLi1ELb0EEEvNS_4cuda6detail10TensorInfoIKT_T0_EESA_SA_bSA_SA_NS7_IS8_SA_EESA_NS7_IlSA_EESA_PS8_
    .private_segment_fixed_size: 0
    .sgpr_count:     93
    .sgpr_spill_count: 0
    .symbol:         _ZN2at6native6sbtopk10gatherTopKIN3c104HalfEjLi1ELb0EEEvNS_4cuda6detail10TensorInfoIKT_T0_EESA_SA_bSA_SA_NS7_IS8_SA_EESA_NS7_IlSA_EESA_PS8_.kd
    .uniform_work_group_size: 1
    .uses_dynamic_stack: false
    .vgpr_count:     37
    .vgpr_spill_count: 0
    .wavefront_size: 32
    .workgroup_processor_mode: 1
  - .args:
      - .offset:         0
        .size:           216
        .value_kind:     by_value
      - .offset:         216
        .size:           4
        .value_kind:     by_value
      - .address_space:  global
        .offset:         224
        .size:           8
        .value_kind:     global_buffer
      - .offset:         232
        .size:           4
        .value_kind:     by_value
      - .offset:         236
        .size:           4
        .value_kind:     by_value
      - .offset:         240
        .size:           4
        .value_kind:     by_value
      - .offset:         244
        .size:           4
        .value_kind:     by_value
      - .offset:         248
        .size:           4
        .value_kind:     by_value
      - .offset:         252
        .size:           4
        .value_kind:     by_value
      - .address_space:  global
        .offset:         256
        .size:           8
        .value_kind:     global_buffer
      - .address_space:  global
        .offset:         264
        .size:           8
        .value_kind:     global_buffer
      - .offset:         272
        .size:           4
        .value_kind:     hidden_block_count_x
      - .offset:         276
        .size:           4
        .value_kind:     hidden_block_count_y
      - .offset:         280
        .size:           4
        .value_kind:     hidden_block_count_z
      - .offset:         284
        .size:           2
        .value_kind:     hidden_group_size_x
      - .offset:         286
        .size:           2
        .value_kind:     hidden_group_size_y
      - .offset:         288
        .size:           2
        .value_kind:     hidden_group_size_z
      - .offset:         290
        .size:           2
        .value_kind:     hidden_remainder_x
      - .offset:         292
        .size:           2
        .value_kind:     hidden_remainder_y
      - .offset:         294
        .size:           2
        .value_kind:     hidden_remainder_z
      - .offset:         312
        .size:           8
        .value_kind:     hidden_global_offset_x
      - .offset:         320
        .size:           8
        .value_kind:     hidden_global_offset_y
      - .offset:         328
        .size:           8
        .value_kind:     hidden_global_offset_z
      - .offset:         336
        .size:           2
        .value_kind:     hidden_grid_dims
    .group_segment_fixed_size: 1024
    .kernarg_segment_align: 8
    .kernarg_segment_size: 528
    .language:       OpenCL C
    .language_version:
      - 2
      - 0
    .max_flat_workgroup_size: 256
    .name:           _ZN2at6native6mbtopk23computeBlockDigitCountsIN3c104HalfEjjLi2EEEvNS_4cuda6detail10TensorInfoIKT_T0_EEjPjjSA_iijT1_PSD_Ps
    .private_segment_fixed_size: 0
    .sgpr_count:     25
    .sgpr_spill_count: 0
    .symbol:         _ZN2at6native6mbtopk23computeBlockDigitCountsIN3c104HalfEjjLi2EEEvNS_4cuda6detail10TensorInfoIKT_T0_EEjPjjSA_iijT1_PSD_Ps.kd
    .uniform_work_group_size: 1
    .uses_dynamic_stack: false
    .vgpr_count:     13
    .vgpr_spill_count: 0
    .wavefront_size: 32
    .workgroup_processor_mode: 1
  - .args:
      - .offset:         0
        .size:           216
        .value_kind:     by_value
      - .offset:         216
        .size:           4
        .value_kind:     by_value
      - .offset:         220
        .size:           4
        .value_kind:     by_value
      - .offset:         224
        .size:           1
        .value_kind:     by_value
      - .offset:         228
        .size:           4
        .value_kind:     by_value
      - .offset:         232
        .size:           4
        .value_kind:     by_value
      - .offset:         240
        .size:           216
        .value_kind:     by_value
      - .offset:         456
        .size:           4
        .value_kind:     by_value
      - .offset:         464
        .size:           216
        .value_kind:     by_value
      - .offset:         680
        .size:           4
        .value_kind:     by_value
      - .offset:         684
        .size:           4
        .value_kind:     by_value
      - .offset:         688
        .size:           4
        .value_kind:     by_value
      - .address_space:  global
        .offset:         696
        .size:           8
        .value_kind:     global_buffer
      - .address_space:  global
        .offset:         704
        .size:           8
        .value_kind:     global_buffer
      - .address_space:  global
        .offset:         712
        .size:           8
        .value_kind:     global_buffer
      - .offset:         720
        .size:           4
        .value_kind:     by_value
      - .offset:         728
        .size:           4
        .value_kind:     hidden_block_count_x
      - .offset:         732
        .size:           4
        .value_kind:     hidden_block_count_y
      - .offset:         736
        .size:           4
        .value_kind:     hidden_block_count_z
      - .offset:         740
        .size:           2
        .value_kind:     hidden_group_size_x
      - .offset:         742
        .size:           2
        .value_kind:     hidden_group_size_y
      - .offset:         744
        .size:           2
        .value_kind:     hidden_group_size_z
      - .offset:         746
        .size:           2
        .value_kind:     hidden_remainder_x
      - .offset:         748
        .size:           2
        .value_kind:     hidden_remainder_y
      - .offset:         750
        .size:           2
        .value_kind:     hidden_remainder_z
      - .offset:         768
        .size:           8
        .value_kind:     hidden_global_offset_x
      - .offset:         776
        .size:           8
        .value_kind:     hidden_global_offset_y
      - .offset:         784
        .size:           8
        .value_kind:     hidden_global_offset_z
      - .offset:         792
        .size:           2
        .value_kind:     hidden_grid_dims
    .group_segment_fixed_size: 1068
    .kernarg_segment_align: 8
    .kernarg_segment_size: 984
    .language:       OpenCL C
    .language_version:
      - 2
      - 0
    .max_flat_workgroup_size: 256
    .name:           _ZN2at6native6mbtopk10gatherTopKIN3c104HalfEjLi2EEEvNS_4cuda6detail10TensorInfoIKT_T0_EESA_SA_bjSA_NS7_IS8_SA_EESA_NS7_IlSA_EESA_jjPS8_PjSF_j
    .private_segment_fixed_size: 0
    .sgpr_count:     50
    .sgpr_spill_count: 0
    .symbol:         _ZN2at6native6mbtopk10gatherTopKIN3c104HalfEjLi2EEEvNS_4cuda6detail10TensorInfoIKT_T0_EESA_SA_bjSA_NS7_IS8_SA_EESA_NS7_IlSA_EESA_jjPS8_PjSF_j.kd
    .uniform_work_group_size: 1
    .uses_dynamic_stack: false
    .vgpr_count:     25
    .vgpr_spill_count: 0
    .wavefront_size: 32
    .workgroup_processor_mode: 1
  - .args:
      - .offset:         0
        .size:           216
        .value_kind:     by_value
      - .offset:         216
        .size:           4
        .value_kind:     by_value
      - .offset:         220
        .size:           4
        .value_kind:     by_value
      - .offset:         224
        .size:           1
        .value_kind:     by_value
      - .offset:         228
        .size:           4
        .value_kind:     by_value
      - .offset:         232
        .size:           4
        .value_kind:     by_value
      - .offset:         240
        .size:           216
        .value_kind:     by_value
      - .offset:         456
        .size:           4
        .value_kind:     by_value
      - .offset:         464
        .size:           216
        .value_kind:     by_value
      - .offset:         680
        .size:           4
        .value_kind:     by_value
      - .address_space:  global
        .offset:         688
        .size:           8
        .value_kind:     global_buffer
      - .offset:         696
        .size:           4
        .value_kind:     hidden_block_count_x
      - .offset:         700
        .size:           4
        .value_kind:     hidden_block_count_y
      - .offset:         704
        .size:           4
        .value_kind:     hidden_block_count_z
      - .offset:         708
        .size:           2
        .value_kind:     hidden_group_size_x
      - .offset:         710
        .size:           2
        .value_kind:     hidden_group_size_y
      - .offset:         712
        .size:           2
        .value_kind:     hidden_group_size_z
      - .offset:         714
        .size:           2
        .value_kind:     hidden_remainder_x
      - .offset:         716
        .size:           2
        .value_kind:     hidden_remainder_y
      - .offset:         718
        .size:           2
        .value_kind:     hidden_remainder_z
      - .offset:         736
        .size:           8
        .value_kind:     hidden_global_offset_x
      - .offset:         744
        .size:           8
        .value_kind:     hidden_global_offset_y
      - .offset:         752
        .size:           8
        .value_kind:     hidden_global_offset_z
      - .offset:         760
        .size:           2
        .value_kind:     hidden_grid_dims
    .group_segment_fixed_size: 4112
    .kernarg_segment_align: 8
    .kernarg_segment_size: 952
    .language:       OpenCL C
    .language_version:
      - 2
      - 0
    .max_flat_workgroup_size: 1024
    .name:           _ZN2at6native6sbtopk10gatherTopKIN3c104HalfEjLi2ELb0EEEvNS_4cuda6detail10TensorInfoIKT_T0_EESA_SA_bSA_SA_NS7_IS8_SA_EESA_NS7_IlSA_EESA_PS8_
    .private_segment_fixed_size: 0
    .sgpr_count:     99
    .sgpr_spill_count: 0
    .symbol:         _ZN2at6native6sbtopk10gatherTopKIN3c104HalfEjLi2ELb0EEEvNS_4cuda6detail10TensorInfoIKT_T0_EESA_SA_bSA_SA_NS7_IS8_SA_EESA_NS7_IlSA_EESA_PS8_.kd
    .uniform_work_group_size: 1
    .uses_dynamic_stack: false
    .vgpr_count:     37
    .vgpr_spill_count: 0
    .wavefront_size: 32
    .workgroup_processor_mode: 1
  - .args:
      - .offset:         0
        .size:           216
        .value_kind:     by_value
      - .offset:         216
        .size:           4
        .value_kind:     by_value
      - .address_space:  global
        .offset:         224
        .size:           8
        .value_kind:     global_buffer
      - .offset:         232
        .size:           4
        .value_kind:     by_value
      - .offset:         236
        .size:           4
        .value_kind:     by_value
      - .offset:         240
        .size:           4
        .value_kind:     by_value
      - .offset:         244
        .size:           4
        .value_kind:     by_value
      - .offset:         248
        .size:           4
        .value_kind:     by_value
      - .offset:         252
        .size:           4
        .value_kind:     by_value
      - .address_space:  global
        .offset:         256
        .size:           8
        .value_kind:     global_buffer
      - .address_space:  global
        .offset:         264
        .size:           8
        .value_kind:     global_buffer
      - .offset:         272
        .size:           4
        .value_kind:     hidden_block_count_x
      - .offset:         276
        .size:           4
        .value_kind:     hidden_block_count_y
      - .offset:         280
        .size:           4
        .value_kind:     hidden_block_count_z
      - .offset:         284
        .size:           2
        .value_kind:     hidden_group_size_x
      - .offset:         286
        .size:           2
        .value_kind:     hidden_group_size_y
      - .offset:         288
        .size:           2
        .value_kind:     hidden_group_size_z
      - .offset:         290
        .size:           2
        .value_kind:     hidden_remainder_x
      - .offset:         292
        .size:           2
        .value_kind:     hidden_remainder_y
      - .offset:         294
        .size:           2
        .value_kind:     hidden_remainder_z
      - .offset:         312
        .size:           8
        .value_kind:     hidden_global_offset_x
      - .offset:         320
        .size:           8
        .value_kind:     hidden_global_offset_y
      - .offset:         328
        .size:           8
        .value_kind:     hidden_global_offset_z
      - .offset:         336
        .size:           2
        .value_kind:     hidden_grid_dims
    .group_segment_fixed_size: 1024
    .kernarg_segment_align: 8
    .kernarg_segment_size: 528
    .language:       OpenCL C
    .language_version:
      - 2
      - 0
    .max_flat_workgroup_size: 256
    .name:           _ZN2at6native6mbtopk23computeBlockDigitCountsIN3c104HalfEjjLi3EEEvNS_4cuda6detail10TensorInfoIKT_T0_EEjPjjSA_iijT1_PSD_Ps
    .private_segment_fixed_size: 0
    .sgpr_count:     28
    .sgpr_spill_count: 0
    .symbol:         _ZN2at6native6mbtopk23computeBlockDigitCountsIN3c104HalfEjjLi3EEEvNS_4cuda6detail10TensorInfoIKT_T0_EEjPjjSA_iijT1_PSD_Ps.kd
    .uniform_work_group_size: 1
    .uses_dynamic_stack: false
    .vgpr_count:     13
    .vgpr_spill_count: 0
    .wavefront_size: 32
    .workgroup_processor_mode: 1
  - .args:
      - .offset:         0
        .size:           216
        .value_kind:     by_value
      - .offset:         216
        .size:           4
        .value_kind:     by_value
      - .offset:         220
        .size:           4
        .value_kind:     by_value
      - .offset:         224
        .size:           1
        .value_kind:     by_value
      - .offset:         228
        .size:           4
        .value_kind:     by_value
      - .offset:         232
        .size:           4
        .value_kind:     by_value
      - .offset:         240
        .size:           216
        .value_kind:     by_value
      - .offset:         456
        .size:           4
        .value_kind:     by_value
      - .offset:         464
        .size:           216
        .value_kind:     by_value
      - .offset:         680
        .size:           4
        .value_kind:     by_value
      - .offset:         684
        .size:           4
        .value_kind:     by_value
      - .offset:         688
        .size:           4
        .value_kind:     by_value
      - .address_space:  global
        .offset:         696
        .size:           8
        .value_kind:     global_buffer
      - .address_space:  global
        .offset:         704
        .size:           8
        .value_kind:     global_buffer
      - .address_space:  global
        .offset:         712
        .size:           8
        .value_kind:     global_buffer
      - .offset:         720
        .size:           4
        .value_kind:     by_value
      - .offset:         728
        .size:           4
        .value_kind:     hidden_block_count_x
      - .offset:         732
        .size:           4
        .value_kind:     hidden_block_count_y
      - .offset:         736
        .size:           4
        .value_kind:     hidden_block_count_z
      - .offset:         740
        .size:           2
        .value_kind:     hidden_group_size_x
      - .offset:         742
        .size:           2
        .value_kind:     hidden_group_size_y
      - .offset:         744
        .size:           2
        .value_kind:     hidden_group_size_z
      - .offset:         746
        .size:           2
        .value_kind:     hidden_remainder_x
      - .offset:         748
        .size:           2
        .value_kind:     hidden_remainder_y
      - .offset:         750
        .size:           2
        .value_kind:     hidden_remainder_z
      - .offset:         768
        .size:           8
        .value_kind:     hidden_global_offset_x
      - .offset:         776
        .size:           8
        .value_kind:     hidden_global_offset_y
      - .offset:         784
        .size:           8
        .value_kind:     hidden_global_offset_z
      - .offset:         792
        .size:           2
        .value_kind:     hidden_grid_dims
    .group_segment_fixed_size: 1068
    .kernarg_segment_align: 8
    .kernarg_segment_size: 984
    .language:       OpenCL C
    .language_version:
      - 2
      - 0
    .max_flat_workgroup_size: 256
    .name:           _ZN2at6native6mbtopk10gatherTopKIN3c104HalfEjLi3EEEvNS_4cuda6detail10TensorInfoIKT_T0_EESA_SA_bjSA_NS7_IS8_SA_EESA_NS7_IlSA_EESA_jjPS8_PjSF_j
    .private_segment_fixed_size: 0
    .sgpr_count:     59
    .sgpr_spill_count: 0
    .symbol:         _ZN2at6native6mbtopk10gatherTopKIN3c104HalfEjLi3EEEvNS_4cuda6detail10TensorInfoIKT_T0_EESA_SA_bjSA_NS7_IS8_SA_EESA_NS7_IlSA_EESA_jjPS8_PjSF_j.kd
    .uniform_work_group_size: 1
    .uses_dynamic_stack: false
    .vgpr_count:     25
    .vgpr_spill_count: 0
    .wavefront_size: 32
    .workgroup_processor_mode: 1
  - .args:
      - .offset:         0
        .size:           216
        .value_kind:     by_value
      - .offset:         216
        .size:           4
        .value_kind:     by_value
      - .offset:         220
        .size:           4
        .value_kind:     by_value
      - .offset:         224
        .size:           1
        .value_kind:     by_value
      - .offset:         228
        .size:           4
        .value_kind:     by_value
      - .offset:         232
        .size:           4
        .value_kind:     by_value
      - .offset:         240
        .size:           216
        .value_kind:     by_value
      - .offset:         456
        .size:           4
        .value_kind:     by_value
      - .offset:         464
        .size:           216
        .value_kind:     by_value
      - .offset:         680
        .size:           4
        .value_kind:     by_value
      - .address_space:  global
        .offset:         688
        .size:           8
        .value_kind:     global_buffer
      - .offset:         696
        .size:           4
        .value_kind:     hidden_block_count_x
      - .offset:         700
        .size:           4
        .value_kind:     hidden_block_count_y
      - .offset:         704
        .size:           4
        .value_kind:     hidden_block_count_z
      - .offset:         708
        .size:           2
        .value_kind:     hidden_group_size_x
      - .offset:         710
        .size:           2
        .value_kind:     hidden_group_size_y
      - .offset:         712
        .size:           2
        .value_kind:     hidden_group_size_z
      - .offset:         714
        .size:           2
        .value_kind:     hidden_remainder_x
      - .offset:         716
        .size:           2
        .value_kind:     hidden_remainder_y
      - .offset:         718
        .size:           2
        .value_kind:     hidden_remainder_z
      - .offset:         736
        .size:           8
        .value_kind:     hidden_global_offset_x
      - .offset:         744
        .size:           8
        .value_kind:     hidden_global_offset_y
      - .offset:         752
        .size:           8
        .value_kind:     hidden_global_offset_z
      - .offset:         760
        .size:           2
        .value_kind:     hidden_grid_dims
    .group_segment_fixed_size: 4112
    .kernarg_segment_align: 8
    .kernarg_segment_size: 952
    .language:       OpenCL C
    .language_version:
      - 2
      - 0
    .max_flat_workgroup_size: 1024
    .name:           _ZN2at6native6sbtopk10gatherTopKIN3c104HalfEjLi3ELb0EEEvNS_4cuda6detail10TensorInfoIKT_T0_EESA_SA_bSA_SA_NS7_IS8_SA_EESA_NS7_IlSA_EESA_PS8_
    .private_segment_fixed_size: 0
    .sgpr_count:     105
    .sgpr_spill_count: 0
    .symbol:         _ZN2at6native6sbtopk10gatherTopKIN3c104HalfEjLi3ELb0EEEvNS_4cuda6detail10TensorInfoIKT_T0_EESA_SA_bSA_SA_NS7_IS8_SA_EESA_NS7_IlSA_EESA_PS8_.kd
    .uniform_work_group_size: 1
    .uses_dynamic_stack: false
    .vgpr_count:     37
    .vgpr_spill_count: 0
    .wavefront_size: 32
    .workgroup_processor_mode: 1
  - .args:
      - .offset:         0
        .size:           216
        .value_kind:     by_value
      - .offset:         216
        .size:           4
        .value_kind:     by_value
      - .address_space:  global
        .offset:         224
        .size:           8
        .value_kind:     global_buffer
      - .offset:         232
        .size:           4
        .value_kind:     by_value
      - .offset:         236
        .size:           4
        .value_kind:     by_value
      - .offset:         240
        .size:           4
        .value_kind:     by_value
      - .offset:         244
        .size:           4
        .value_kind:     by_value
      - .offset:         248
        .size:           4
        .value_kind:     by_value
      - .offset:         252
        .size:           4
        .value_kind:     by_value
      - .address_space:  global
        .offset:         256
        .size:           8
        .value_kind:     global_buffer
      - .address_space:  global
        .offset:         264
        .size:           8
        .value_kind:     global_buffer
      - .offset:         272
        .size:           4
        .value_kind:     hidden_block_count_x
      - .offset:         276
        .size:           4
        .value_kind:     hidden_block_count_y
      - .offset:         280
        .size:           4
        .value_kind:     hidden_block_count_z
      - .offset:         284
        .size:           2
        .value_kind:     hidden_group_size_x
      - .offset:         286
        .size:           2
        .value_kind:     hidden_group_size_y
      - .offset:         288
        .size:           2
        .value_kind:     hidden_group_size_z
      - .offset:         290
        .size:           2
        .value_kind:     hidden_remainder_x
      - .offset:         292
        .size:           2
        .value_kind:     hidden_remainder_y
      - .offset:         294
        .size:           2
        .value_kind:     hidden_remainder_z
      - .offset:         312
        .size:           8
        .value_kind:     hidden_global_offset_x
      - .offset:         320
        .size:           8
        .value_kind:     hidden_global_offset_y
      - .offset:         328
        .size:           8
        .value_kind:     hidden_global_offset_z
      - .offset:         336
        .size:           2
        .value_kind:     hidden_grid_dims
    .group_segment_fixed_size: 1024
    .kernarg_segment_align: 8
    .kernarg_segment_size: 528
    .language:       OpenCL C
    .language_version:
      - 2
      - 0
    .max_flat_workgroup_size: 256
    .name:           _ZN2at6native6mbtopk23computeBlockDigitCountsIN3c104HalfEjjLin1EEEvNS_4cuda6detail10TensorInfoIKT_T0_EEjPjjSA_iijT1_PSD_Ps
    .private_segment_fixed_size: 0
    .sgpr_count:     26
    .sgpr_spill_count: 0
    .symbol:         _ZN2at6native6mbtopk23computeBlockDigitCountsIN3c104HalfEjjLin1EEEvNS_4cuda6detail10TensorInfoIKT_T0_EEjPjjSA_iijT1_PSD_Ps.kd
    .uniform_work_group_size: 1
    .uses_dynamic_stack: false
    .vgpr_count:     13
    .vgpr_spill_count: 0
    .wavefront_size: 32
    .workgroup_processor_mode: 1
  - .args:
      - .offset:         0
        .size:           216
        .value_kind:     by_value
      - .offset:         216
        .size:           4
        .value_kind:     by_value
      - .offset:         220
        .size:           4
        .value_kind:     by_value
      - .offset:         224
        .size:           1
        .value_kind:     by_value
      - .offset:         228
        .size:           4
        .value_kind:     by_value
      - .offset:         232
        .size:           4
        .value_kind:     by_value
      - .offset:         240
        .size:           216
        .value_kind:     by_value
      - .offset:         456
        .size:           4
        .value_kind:     by_value
      - .offset:         464
        .size:           216
        .value_kind:     by_value
      - .offset:         680
        .size:           4
        .value_kind:     by_value
      - .offset:         684
        .size:           4
        .value_kind:     by_value
      - .offset:         688
        .size:           4
        .value_kind:     by_value
      - .address_space:  global
        .offset:         696
        .size:           8
        .value_kind:     global_buffer
      - .address_space:  global
        .offset:         704
        .size:           8
        .value_kind:     global_buffer
      - .address_space:  global
        .offset:         712
        .size:           8
        .value_kind:     global_buffer
      - .offset:         720
        .size:           4
        .value_kind:     by_value
      - .offset:         728
        .size:           4
        .value_kind:     hidden_block_count_x
      - .offset:         732
        .size:           4
        .value_kind:     hidden_block_count_y
      - .offset:         736
        .size:           4
        .value_kind:     hidden_block_count_z
      - .offset:         740
        .size:           2
        .value_kind:     hidden_group_size_x
      - .offset:         742
        .size:           2
        .value_kind:     hidden_group_size_y
      - .offset:         744
        .size:           2
        .value_kind:     hidden_group_size_z
      - .offset:         746
        .size:           2
        .value_kind:     hidden_remainder_x
      - .offset:         748
        .size:           2
        .value_kind:     hidden_remainder_y
      - .offset:         750
        .size:           2
        .value_kind:     hidden_remainder_z
      - .offset:         768
        .size:           8
        .value_kind:     hidden_global_offset_x
      - .offset:         776
        .size:           8
        .value_kind:     hidden_global_offset_y
      - .offset:         784
        .size:           8
        .value_kind:     hidden_global_offset_z
      - .offset:         792
        .size:           2
        .value_kind:     hidden_grid_dims
    .group_segment_fixed_size: 1068
    .kernarg_segment_align: 8
    .kernarg_segment_size: 984
    .language:       OpenCL C
    .language_version:
      - 2
      - 0
    .max_flat_workgroup_size: 256
    .name:           _ZN2at6native6mbtopk10gatherTopKIN3c104HalfEjLin1EEEvNS_4cuda6detail10TensorInfoIKT_T0_EESA_SA_bjSA_NS7_IS8_SA_EESA_NS7_IlSA_EESA_jjPS8_PjSF_j
    .private_segment_fixed_size: 0
    .sgpr_count:     45
    .sgpr_spill_count: 0
    .symbol:         _ZN2at6native6mbtopk10gatherTopKIN3c104HalfEjLin1EEEvNS_4cuda6detail10TensorInfoIKT_T0_EESA_SA_bjSA_NS7_IS8_SA_EESA_NS7_IlSA_EESA_jjPS8_PjSF_j.kd
    .uniform_work_group_size: 1
    .uses_dynamic_stack: false
    .vgpr_count:     25
    .vgpr_spill_count: 0
    .wavefront_size: 32
    .workgroup_processor_mode: 1
  - .args:
      - .offset:         0
        .size:           216
        .value_kind:     by_value
      - .offset:         216
        .size:           4
        .value_kind:     by_value
      - .offset:         220
        .size:           4
        .value_kind:     by_value
      - .offset:         224
        .size:           1
        .value_kind:     by_value
      - .offset:         228
        .size:           4
        .value_kind:     by_value
      - .offset:         232
        .size:           4
        .value_kind:     by_value
      - .offset:         240
        .size:           216
        .value_kind:     by_value
      - .offset:         456
        .size:           4
        .value_kind:     by_value
      - .offset:         464
        .size:           216
        .value_kind:     by_value
      - .offset:         680
        .size:           4
        .value_kind:     by_value
      - .address_space:  global
        .offset:         688
        .size:           8
        .value_kind:     global_buffer
      - .offset:         696
        .size:           4
        .value_kind:     hidden_block_count_x
      - .offset:         700
        .size:           4
        .value_kind:     hidden_block_count_y
      - .offset:         704
        .size:           4
        .value_kind:     hidden_block_count_z
      - .offset:         708
        .size:           2
        .value_kind:     hidden_group_size_x
      - .offset:         710
        .size:           2
        .value_kind:     hidden_group_size_y
      - .offset:         712
        .size:           2
        .value_kind:     hidden_group_size_z
      - .offset:         714
        .size:           2
        .value_kind:     hidden_remainder_x
      - .offset:         716
        .size:           2
        .value_kind:     hidden_remainder_y
      - .offset:         718
        .size:           2
        .value_kind:     hidden_remainder_z
      - .offset:         736
        .size:           8
        .value_kind:     hidden_global_offset_x
      - .offset:         744
        .size:           8
        .value_kind:     hidden_global_offset_y
      - .offset:         752
        .size:           8
        .value_kind:     hidden_global_offset_z
      - .offset:         760
        .size:           2
        .value_kind:     hidden_grid_dims
    .group_segment_fixed_size: 4112
    .kernarg_segment_align: 8
    .kernarg_segment_size: 952
    .language:       OpenCL C
    .language_version:
      - 2
      - 0
    .max_flat_workgroup_size: 1024
    .name:           _ZN2at6native6sbtopk10gatherTopKIN3c104HalfEjLin1ELb0EEEvNS_4cuda6detail10TensorInfoIKT_T0_EESA_SA_bSA_SA_NS7_IS8_SA_EESA_NS7_IlSA_EESA_PS8_
    .private_segment_fixed_size: 0
    .sgpr_count:     96
    .sgpr_spill_count: 0
    .symbol:         _ZN2at6native6sbtopk10gatherTopKIN3c104HalfEjLin1ELb0EEEvNS_4cuda6detail10TensorInfoIKT_T0_EESA_SA_bSA_SA_NS7_IS8_SA_EESA_NS7_IlSA_EESA_PS8_.kd
    .uniform_work_group_size: 1
    .uses_dynamic_stack: false
    .vgpr_count:     37
    .vgpr_spill_count: 0
    .wavefront_size: 32
    .workgroup_processor_mode: 1
  - .args:
      - .offset:         0
        .size:           216
        .value_kind:     by_value
      - .offset:         216
        .size:           4
        .value_kind:     by_value
      - .address_space:  global
        .offset:         224
        .size:           8
        .value_kind:     global_buffer
      - .offset:         232
        .size:           4
        .value_kind:     by_value
      - .offset:         236
        .size:           4
        .value_kind:     by_value
      - .offset:         240
        .size:           4
        .value_kind:     by_value
      - .offset:         244
        .size:           4
        .value_kind:     by_value
      - .offset:         248
        .size:           4
        .value_kind:     by_value
      - .offset:         252
        .size:           4
        .value_kind:     by_value
      - .address_space:  global
        .offset:         256
        .size:           8
        .value_kind:     global_buffer
      - .address_space:  global
        .offset:         264
        .size:           8
        .value_kind:     global_buffer
      - .offset:         272
        .size:           4
        .value_kind:     hidden_block_count_x
      - .offset:         276
        .size:           4
        .value_kind:     hidden_block_count_y
      - .offset:         280
        .size:           4
        .value_kind:     hidden_block_count_z
      - .offset:         284
        .size:           2
        .value_kind:     hidden_group_size_x
      - .offset:         286
        .size:           2
        .value_kind:     hidden_group_size_y
      - .offset:         288
        .size:           2
        .value_kind:     hidden_group_size_z
      - .offset:         290
        .size:           2
        .value_kind:     hidden_remainder_x
      - .offset:         292
        .size:           2
        .value_kind:     hidden_remainder_y
      - .offset:         294
        .size:           2
        .value_kind:     hidden_remainder_z
      - .offset:         312
        .size:           8
        .value_kind:     hidden_global_offset_x
      - .offset:         320
        .size:           8
        .value_kind:     hidden_global_offset_y
      - .offset:         328
        .size:           8
        .value_kind:     hidden_global_offset_z
      - .offset:         336
        .size:           2
        .value_kind:     hidden_grid_dims
    .group_segment_fixed_size: 1024
    .kernarg_segment_align: 8
    .kernarg_segment_size: 528
    .language:       OpenCL C
    .language_version:
      - 2
      - 0
    .max_flat_workgroup_size: 256
    .name:           _ZN2at6native6mbtopk23computeBlockDigitCountsIN3c108BFloat16EjjLi1EEEvNS_4cuda6detail10TensorInfoIKT_T0_EEjPjjSA_iijT1_PSD_Ps
    .private_segment_fixed_size: 0
    .sgpr_count:     22
    .sgpr_spill_count: 0
    .symbol:         _ZN2at6native6mbtopk23computeBlockDigitCountsIN3c108BFloat16EjjLi1EEEvNS_4cuda6detail10TensorInfoIKT_T0_EEjPjjSA_iijT1_PSD_Ps.kd
    .uniform_work_group_size: 1
    .uses_dynamic_stack: false
    .vgpr_count:     13
    .vgpr_spill_count: 0
    .wavefront_size: 32
    .workgroup_processor_mode: 1
  - .args:
      - .address_space:  global
        .offset:         0
        .size:           8
        .value_kind:     global_buffer
      - .address_space:  global
        .offset:         8
        .size:           8
        .value_kind:     global_buffer
      - .address_space:  global
        .offset:         16
        .size:           8
        .value_kind:     global_buffer
      - .offset:         24
        .size:           4
        .value_kind:     by_value
      - .offset:         28
        .size:           4
        .value_kind:     by_value
      - .offset:         32
        .size:           1
        .value_kind:     by_value
      - .address_space:  global
        .offset:         40
        .size:           8
        .value_kind:     global_buffer
      - .address_space:  global
        .offset:         48
        .size:           8
        .value_kind:     global_buffer
      - .address_space:  global
        .offset:         56
        .size:           8
        .value_kind:     global_buffer
      - .address_space:  global
        .offset:         64
        .size:           8
        .value_kind:     global_buffer
      - .address_space:  global
        .offset:         72
        .size:           8
        .value_kind:     global_buffer
      - .offset:         80
        .size:           4
        .value_kind:     by_value
      - .offset:         88
        .size:           4
        .value_kind:     hidden_block_count_x
      - .offset:         92
        .size:           4
        .value_kind:     hidden_block_count_y
      - .offset:         96
        .size:           4
        .value_kind:     hidden_block_count_z
      - .offset:         100
        .size:           2
        .value_kind:     hidden_group_size_x
      - .offset:         102
        .size:           2
        .value_kind:     hidden_group_size_y
      - .offset:         104
        .size:           2
        .value_kind:     hidden_group_size_z
      - .offset:         106
        .size:           2
        .value_kind:     hidden_remainder_x
      - .offset:         108
        .size:           2
        .value_kind:     hidden_remainder_y
      - .offset:         110
        .size:           2
        .value_kind:     hidden_remainder_z
      - .offset:         128
        .size:           8
        .value_kind:     hidden_global_offset_x
      - .offset:         136
        .size:           8
        .value_kind:     hidden_global_offset_y
      - .offset:         144
        .size:           8
        .value_kind:     hidden_global_offset_z
      - .offset:         152
        .size:           2
        .value_kind:     hidden_grid_dims
    .group_segment_fixed_size: 2116
    .kernarg_segment_align: 8
    .kernarg_segment_size: 344
    .language:       OpenCL C
    .language_version:
      - 2
      - 0
    .max_flat_workgroup_size: 256
    .name:           _ZN2at6native6mbtopk29computeBlockwiseWithinKCountsIjN3c108BFloat16EEEvPT_PsPjjibS8_PT0_S8_S6_S8_j
    .private_segment_fixed_size: 0
    .sgpr_count:     30
    .sgpr_spill_count: 0
    .symbol:         _ZN2at6native6mbtopk29computeBlockwiseWithinKCountsIjN3c108BFloat16EEEvPT_PsPjjibS8_PT0_S8_S6_S8_j.kd
    .uniform_work_group_size: 1
    .uses_dynamic_stack: false
    .vgpr_count:     14
    .vgpr_spill_count: 0
    .wavefront_size: 32
    .workgroup_processor_mode: 1
  - .args:
      - .offset:         0
        .size:           216
        .value_kind:     by_value
      - .offset:         216
        .size:           4
        .value_kind:     by_value
      - .offset:         220
        .size:           4
        .value_kind:     by_value
      - .offset:         224
        .size:           1
        .value_kind:     by_value
      - .offset:         228
        .size:           4
        .value_kind:     by_value
      - .offset:         232
        .size:           4
        .value_kind:     by_value
      - .offset:         240
        .size:           216
        .value_kind:     by_value
      - .offset:         456
        .size:           4
        .value_kind:     by_value
      - .offset:         464
        .size:           216
        .value_kind:     by_value
      - .offset:         680
        .size:           4
        .value_kind:     by_value
      - .offset:         684
        .size:           4
        .value_kind:     by_value
      - .offset:         688
        .size:           4
        .value_kind:     by_value
      - .address_space:  global
        .offset:         696
        .size:           8
        .value_kind:     global_buffer
      - .address_space:  global
        .offset:         704
        .size:           8
        .value_kind:     global_buffer
      - .address_space:  global
        .offset:         712
        .size:           8
        .value_kind:     global_buffer
      - .offset:         720
        .size:           4
        .value_kind:     by_value
      - .offset:         728
        .size:           4
        .value_kind:     hidden_block_count_x
      - .offset:         732
        .size:           4
        .value_kind:     hidden_block_count_y
      - .offset:         736
        .size:           4
        .value_kind:     hidden_block_count_z
      - .offset:         740
        .size:           2
        .value_kind:     hidden_group_size_x
      - .offset:         742
        .size:           2
        .value_kind:     hidden_group_size_y
      - .offset:         744
        .size:           2
        .value_kind:     hidden_group_size_z
      - .offset:         746
        .size:           2
        .value_kind:     hidden_remainder_x
      - .offset:         748
        .size:           2
        .value_kind:     hidden_remainder_y
      - .offset:         750
        .size:           2
        .value_kind:     hidden_remainder_z
      - .offset:         768
        .size:           8
        .value_kind:     hidden_global_offset_x
      - .offset:         776
        .size:           8
        .value_kind:     hidden_global_offset_y
      - .offset:         784
        .size:           8
        .value_kind:     hidden_global_offset_z
      - .offset:         792
        .size:           2
        .value_kind:     hidden_grid_dims
    .group_segment_fixed_size: 1068
    .kernarg_segment_align: 8
    .kernarg_segment_size: 984
    .language:       OpenCL C
    .language_version:
      - 2
      - 0
    .max_flat_workgroup_size: 256
    .name:           _ZN2at6native6mbtopk10gatherTopKIN3c108BFloat16EjLi1EEEvNS_4cuda6detail10TensorInfoIKT_T0_EESA_SA_bjSA_NS7_IS8_SA_EESA_NS7_IlSA_EESA_jjPS8_PjSF_j
    .private_segment_fixed_size: 0
    .sgpr_count:     38
    .sgpr_spill_count: 0
    .symbol:         _ZN2at6native6mbtopk10gatherTopKIN3c108BFloat16EjLi1EEEvNS_4cuda6detail10TensorInfoIKT_T0_EESA_SA_bjSA_NS7_IS8_SA_EESA_NS7_IlSA_EESA_jjPS8_PjSF_j.kd
    .uniform_work_group_size: 1
    .uses_dynamic_stack: false
    .vgpr_count:     25
    .vgpr_spill_count: 0
    .wavefront_size: 32
    .workgroup_processor_mode: 1
  - .args:
      - .offset:         0
        .size:           216
        .value_kind:     by_value
      - .offset:         216
        .size:           4
        .value_kind:     by_value
      - .offset:         220
        .size:           4
        .value_kind:     by_value
      - .offset:         224
        .size:           1
        .value_kind:     by_value
      - .offset:         228
        .size:           4
        .value_kind:     by_value
      - .offset:         232
        .size:           4
        .value_kind:     by_value
      - .offset:         240
        .size:           216
        .value_kind:     by_value
      - .offset:         456
        .size:           4
        .value_kind:     by_value
      - .offset:         464
        .size:           216
        .value_kind:     by_value
      - .offset:         680
        .size:           4
        .value_kind:     by_value
      - .address_space:  global
        .offset:         688
        .size:           8
        .value_kind:     global_buffer
      - .offset:         696
        .size:           4
        .value_kind:     hidden_block_count_x
      - .offset:         700
        .size:           4
        .value_kind:     hidden_block_count_y
      - .offset:         704
        .size:           4
        .value_kind:     hidden_block_count_z
      - .offset:         708
        .size:           2
        .value_kind:     hidden_group_size_x
      - .offset:         710
        .size:           2
        .value_kind:     hidden_group_size_y
      - .offset:         712
        .size:           2
        .value_kind:     hidden_group_size_z
      - .offset:         714
        .size:           2
        .value_kind:     hidden_remainder_x
      - .offset:         716
        .size:           2
        .value_kind:     hidden_remainder_y
      - .offset:         718
        .size:           2
        .value_kind:     hidden_remainder_z
      - .offset:         736
        .size:           8
        .value_kind:     hidden_global_offset_x
      - .offset:         744
        .size:           8
        .value_kind:     hidden_global_offset_y
      - .offset:         752
        .size:           8
        .value_kind:     hidden_global_offset_z
      - .offset:         760
        .size:           2
        .value_kind:     hidden_grid_dims
    .group_segment_fixed_size: 4112
    .kernarg_segment_align: 8
    .kernarg_segment_size: 952
    .language:       OpenCL C
    .language_version:
      - 2
      - 0
    .max_flat_workgroup_size: 1024
    .name:           _ZN2at6native6sbtopk10gatherTopKIN3c108BFloat16EjLi1ELb0EEEvNS_4cuda6detail10TensorInfoIKT_T0_EESA_SA_bSA_SA_NS7_IS8_SA_EESA_NS7_IlSA_EESA_PS8_
    .private_segment_fixed_size: 0
    .sgpr_count:     93
    .sgpr_spill_count: 0
    .symbol:         _ZN2at6native6sbtopk10gatherTopKIN3c108BFloat16EjLi1ELb0EEEvNS_4cuda6detail10TensorInfoIKT_T0_EESA_SA_bSA_SA_NS7_IS8_SA_EESA_NS7_IlSA_EESA_PS8_.kd
    .uniform_work_group_size: 1
    .uses_dynamic_stack: false
    .vgpr_count:     38
    .vgpr_spill_count: 0
    .wavefront_size: 32
    .workgroup_processor_mode: 1
  - .args:
      - .offset:         0
        .size:           216
        .value_kind:     by_value
      - .offset:         216
        .size:           4
        .value_kind:     by_value
      - .address_space:  global
        .offset:         224
        .size:           8
        .value_kind:     global_buffer
      - .offset:         232
        .size:           4
        .value_kind:     by_value
      - .offset:         236
        .size:           4
        .value_kind:     by_value
      - .offset:         240
        .size:           4
        .value_kind:     by_value
      - .offset:         244
        .size:           4
        .value_kind:     by_value
      - .offset:         248
        .size:           4
        .value_kind:     by_value
      - .offset:         252
        .size:           4
        .value_kind:     by_value
      - .address_space:  global
        .offset:         256
        .size:           8
        .value_kind:     global_buffer
      - .address_space:  global
        .offset:         264
        .size:           8
        .value_kind:     global_buffer
      - .offset:         272
        .size:           4
        .value_kind:     hidden_block_count_x
      - .offset:         276
        .size:           4
        .value_kind:     hidden_block_count_y
      - .offset:         280
        .size:           4
        .value_kind:     hidden_block_count_z
      - .offset:         284
        .size:           2
        .value_kind:     hidden_group_size_x
      - .offset:         286
        .size:           2
        .value_kind:     hidden_group_size_y
      - .offset:         288
        .size:           2
        .value_kind:     hidden_group_size_z
      - .offset:         290
        .size:           2
        .value_kind:     hidden_remainder_x
      - .offset:         292
        .size:           2
        .value_kind:     hidden_remainder_y
      - .offset:         294
        .size:           2
        .value_kind:     hidden_remainder_z
      - .offset:         312
        .size:           8
        .value_kind:     hidden_global_offset_x
      - .offset:         320
        .size:           8
        .value_kind:     hidden_global_offset_y
      - .offset:         328
        .size:           8
        .value_kind:     hidden_global_offset_z
      - .offset:         336
        .size:           2
        .value_kind:     hidden_grid_dims
    .group_segment_fixed_size: 1024
    .kernarg_segment_align: 8
    .kernarg_segment_size: 528
    .language:       OpenCL C
    .language_version:
      - 2
      - 0
    .max_flat_workgroup_size: 256
    .name:           _ZN2at6native6mbtopk23computeBlockDigitCountsIN3c108BFloat16EjjLi2EEEvNS_4cuda6detail10TensorInfoIKT_T0_EEjPjjSA_iijT1_PSD_Ps
    .private_segment_fixed_size: 0
    .sgpr_count:     25
    .sgpr_spill_count: 0
    .symbol:         _ZN2at6native6mbtopk23computeBlockDigitCountsIN3c108BFloat16EjjLi2EEEvNS_4cuda6detail10TensorInfoIKT_T0_EEjPjjSA_iijT1_PSD_Ps.kd
    .uniform_work_group_size: 1
    .uses_dynamic_stack: false
    .vgpr_count:     13
    .vgpr_spill_count: 0
    .wavefront_size: 32
    .workgroup_processor_mode: 1
  - .args:
      - .offset:         0
        .size:           216
        .value_kind:     by_value
      - .offset:         216
        .size:           4
        .value_kind:     by_value
      - .offset:         220
        .size:           4
        .value_kind:     by_value
      - .offset:         224
        .size:           1
        .value_kind:     by_value
      - .offset:         228
        .size:           4
        .value_kind:     by_value
      - .offset:         232
        .size:           4
        .value_kind:     by_value
      - .offset:         240
        .size:           216
        .value_kind:     by_value
      - .offset:         456
        .size:           4
        .value_kind:     by_value
      - .offset:         464
        .size:           216
        .value_kind:     by_value
      - .offset:         680
        .size:           4
        .value_kind:     by_value
      - .offset:         684
        .size:           4
        .value_kind:     by_value
      - .offset:         688
        .size:           4
        .value_kind:     by_value
      - .address_space:  global
        .offset:         696
        .size:           8
        .value_kind:     global_buffer
      - .address_space:  global
        .offset:         704
        .size:           8
        .value_kind:     global_buffer
      - .address_space:  global
        .offset:         712
        .size:           8
        .value_kind:     global_buffer
      - .offset:         720
        .size:           4
        .value_kind:     by_value
      - .offset:         728
        .size:           4
        .value_kind:     hidden_block_count_x
      - .offset:         732
        .size:           4
        .value_kind:     hidden_block_count_y
      - .offset:         736
        .size:           4
        .value_kind:     hidden_block_count_z
      - .offset:         740
        .size:           2
        .value_kind:     hidden_group_size_x
      - .offset:         742
        .size:           2
        .value_kind:     hidden_group_size_y
      - .offset:         744
        .size:           2
        .value_kind:     hidden_group_size_z
      - .offset:         746
        .size:           2
        .value_kind:     hidden_remainder_x
      - .offset:         748
        .size:           2
        .value_kind:     hidden_remainder_y
      - .offset:         750
        .size:           2
        .value_kind:     hidden_remainder_z
      - .offset:         768
        .size:           8
        .value_kind:     hidden_global_offset_x
      - .offset:         776
        .size:           8
        .value_kind:     hidden_global_offset_y
      - .offset:         784
        .size:           8
        .value_kind:     hidden_global_offset_z
      - .offset:         792
        .size:           2
        .value_kind:     hidden_grid_dims
    .group_segment_fixed_size: 1068
    .kernarg_segment_align: 8
    .kernarg_segment_size: 984
    .language:       OpenCL C
    .language_version:
      - 2
      - 0
    .max_flat_workgroup_size: 256
    .name:           _ZN2at6native6mbtopk10gatherTopKIN3c108BFloat16EjLi2EEEvNS_4cuda6detail10TensorInfoIKT_T0_EESA_SA_bjSA_NS7_IS8_SA_EESA_NS7_IlSA_EESA_jjPS8_PjSF_j
    .private_segment_fixed_size: 0
    .sgpr_count:     50
    .sgpr_spill_count: 0
    .symbol:         _ZN2at6native6mbtopk10gatherTopKIN3c108BFloat16EjLi2EEEvNS_4cuda6detail10TensorInfoIKT_T0_EESA_SA_bjSA_NS7_IS8_SA_EESA_NS7_IlSA_EESA_jjPS8_PjSF_j.kd
    .uniform_work_group_size: 1
    .uses_dynamic_stack: false
    .vgpr_count:     25
    .vgpr_spill_count: 0
    .wavefront_size: 32
    .workgroup_processor_mode: 1
  - .args:
      - .offset:         0
        .size:           216
        .value_kind:     by_value
      - .offset:         216
        .size:           4
        .value_kind:     by_value
      - .offset:         220
        .size:           4
        .value_kind:     by_value
      - .offset:         224
        .size:           1
        .value_kind:     by_value
      - .offset:         228
        .size:           4
        .value_kind:     by_value
      - .offset:         232
        .size:           4
        .value_kind:     by_value
      - .offset:         240
        .size:           216
        .value_kind:     by_value
      - .offset:         456
        .size:           4
        .value_kind:     by_value
      - .offset:         464
        .size:           216
        .value_kind:     by_value
      - .offset:         680
        .size:           4
        .value_kind:     by_value
      - .address_space:  global
        .offset:         688
        .size:           8
        .value_kind:     global_buffer
      - .offset:         696
        .size:           4
        .value_kind:     hidden_block_count_x
      - .offset:         700
        .size:           4
        .value_kind:     hidden_block_count_y
      - .offset:         704
        .size:           4
        .value_kind:     hidden_block_count_z
      - .offset:         708
        .size:           2
        .value_kind:     hidden_group_size_x
      - .offset:         710
        .size:           2
        .value_kind:     hidden_group_size_y
      - .offset:         712
        .size:           2
        .value_kind:     hidden_group_size_z
      - .offset:         714
        .size:           2
        .value_kind:     hidden_remainder_x
      - .offset:         716
        .size:           2
        .value_kind:     hidden_remainder_y
      - .offset:         718
        .size:           2
        .value_kind:     hidden_remainder_z
      - .offset:         736
        .size:           8
        .value_kind:     hidden_global_offset_x
      - .offset:         744
        .size:           8
        .value_kind:     hidden_global_offset_y
      - .offset:         752
        .size:           8
        .value_kind:     hidden_global_offset_z
      - .offset:         760
        .size:           2
        .value_kind:     hidden_grid_dims
    .group_segment_fixed_size: 4112
    .kernarg_segment_align: 8
    .kernarg_segment_size: 952
    .language:       OpenCL C
    .language_version:
      - 2
      - 0
    .max_flat_workgroup_size: 1024
    .name:           _ZN2at6native6sbtopk10gatherTopKIN3c108BFloat16EjLi2ELb0EEEvNS_4cuda6detail10TensorInfoIKT_T0_EESA_SA_bSA_SA_NS7_IS8_SA_EESA_NS7_IlSA_EESA_PS8_
    .private_segment_fixed_size: 0
    .sgpr_count:     99
    .sgpr_spill_count: 0
    .symbol:         _ZN2at6native6sbtopk10gatherTopKIN3c108BFloat16EjLi2ELb0EEEvNS_4cuda6detail10TensorInfoIKT_T0_EESA_SA_bSA_SA_NS7_IS8_SA_EESA_NS7_IlSA_EESA_PS8_.kd
    .uniform_work_group_size: 1
    .uses_dynamic_stack: false
    .vgpr_count:     38
    .vgpr_spill_count: 0
    .wavefront_size: 32
    .workgroup_processor_mode: 1
  - .args:
      - .offset:         0
        .size:           216
        .value_kind:     by_value
      - .offset:         216
        .size:           4
        .value_kind:     by_value
      - .address_space:  global
        .offset:         224
        .size:           8
        .value_kind:     global_buffer
      - .offset:         232
        .size:           4
        .value_kind:     by_value
      - .offset:         236
        .size:           4
        .value_kind:     by_value
      - .offset:         240
        .size:           4
        .value_kind:     by_value
      - .offset:         244
        .size:           4
        .value_kind:     by_value
      - .offset:         248
        .size:           4
        .value_kind:     by_value
      - .offset:         252
        .size:           4
        .value_kind:     by_value
      - .address_space:  global
        .offset:         256
        .size:           8
        .value_kind:     global_buffer
      - .address_space:  global
        .offset:         264
        .size:           8
        .value_kind:     global_buffer
      - .offset:         272
        .size:           4
        .value_kind:     hidden_block_count_x
      - .offset:         276
        .size:           4
        .value_kind:     hidden_block_count_y
      - .offset:         280
        .size:           4
        .value_kind:     hidden_block_count_z
      - .offset:         284
        .size:           2
        .value_kind:     hidden_group_size_x
      - .offset:         286
        .size:           2
        .value_kind:     hidden_group_size_y
      - .offset:         288
        .size:           2
        .value_kind:     hidden_group_size_z
      - .offset:         290
        .size:           2
        .value_kind:     hidden_remainder_x
      - .offset:         292
        .size:           2
        .value_kind:     hidden_remainder_y
      - .offset:         294
        .size:           2
        .value_kind:     hidden_remainder_z
      - .offset:         312
        .size:           8
        .value_kind:     hidden_global_offset_x
      - .offset:         320
        .size:           8
        .value_kind:     hidden_global_offset_y
      - .offset:         328
        .size:           8
        .value_kind:     hidden_global_offset_z
      - .offset:         336
        .size:           2
        .value_kind:     hidden_grid_dims
    .group_segment_fixed_size: 1024
    .kernarg_segment_align: 8
    .kernarg_segment_size: 528
    .language:       OpenCL C
    .language_version:
      - 2
      - 0
    .max_flat_workgroup_size: 256
    .name:           _ZN2at6native6mbtopk23computeBlockDigitCountsIN3c108BFloat16EjjLi3EEEvNS_4cuda6detail10TensorInfoIKT_T0_EEjPjjSA_iijT1_PSD_Ps
    .private_segment_fixed_size: 0
    .sgpr_count:     28
    .sgpr_spill_count: 0
    .symbol:         _ZN2at6native6mbtopk23computeBlockDigitCountsIN3c108BFloat16EjjLi3EEEvNS_4cuda6detail10TensorInfoIKT_T0_EEjPjjSA_iijT1_PSD_Ps.kd
    .uniform_work_group_size: 1
    .uses_dynamic_stack: false
    .vgpr_count:     13
    .vgpr_spill_count: 0
    .wavefront_size: 32
    .workgroup_processor_mode: 1
  - .args:
      - .offset:         0
        .size:           216
        .value_kind:     by_value
      - .offset:         216
        .size:           4
        .value_kind:     by_value
      - .offset:         220
        .size:           4
        .value_kind:     by_value
      - .offset:         224
        .size:           1
        .value_kind:     by_value
      - .offset:         228
        .size:           4
        .value_kind:     by_value
      - .offset:         232
        .size:           4
        .value_kind:     by_value
      - .offset:         240
        .size:           216
        .value_kind:     by_value
      - .offset:         456
        .size:           4
        .value_kind:     by_value
      - .offset:         464
        .size:           216
        .value_kind:     by_value
      - .offset:         680
        .size:           4
        .value_kind:     by_value
      - .offset:         684
        .size:           4
        .value_kind:     by_value
      - .offset:         688
        .size:           4
        .value_kind:     by_value
      - .address_space:  global
        .offset:         696
        .size:           8
        .value_kind:     global_buffer
      - .address_space:  global
        .offset:         704
        .size:           8
        .value_kind:     global_buffer
      - .address_space:  global
        .offset:         712
        .size:           8
        .value_kind:     global_buffer
      - .offset:         720
        .size:           4
        .value_kind:     by_value
      - .offset:         728
        .size:           4
        .value_kind:     hidden_block_count_x
      - .offset:         732
        .size:           4
        .value_kind:     hidden_block_count_y
      - .offset:         736
        .size:           4
        .value_kind:     hidden_block_count_z
      - .offset:         740
        .size:           2
        .value_kind:     hidden_group_size_x
      - .offset:         742
        .size:           2
        .value_kind:     hidden_group_size_y
      - .offset:         744
        .size:           2
        .value_kind:     hidden_group_size_z
      - .offset:         746
        .size:           2
        .value_kind:     hidden_remainder_x
      - .offset:         748
        .size:           2
        .value_kind:     hidden_remainder_y
      - .offset:         750
        .size:           2
        .value_kind:     hidden_remainder_z
      - .offset:         768
        .size:           8
        .value_kind:     hidden_global_offset_x
      - .offset:         776
        .size:           8
        .value_kind:     hidden_global_offset_y
      - .offset:         784
        .size:           8
        .value_kind:     hidden_global_offset_z
      - .offset:         792
        .size:           2
        .value_kind:     hidden_grid_dims
    .group_segment_fixed_size: 1068
    .kernarg_segment_align: 8
    .kernarg_segment_size: 984
    .language:       OpenCL C
    .language_version:
      - 2
      - 0
    .max_flat_workgroup_size: 256
    .name:           _ZN2at6native6mbtopk10gatherTopKIN3c108BFloat16EjLi3EEEvNS_4cuda6detail10TensorInfoIKT_T0_EESA_SA_bjSA_NS7_IS8_SA_EESA_NS7_IlSA_EESA_jjPS8_PjSF_j
    .private_segment_fixed_size: 0
    .sgpr_count:     59
    .sgpr_spill_count: 0
    .symbol:         _ZN2at6native6mbtopk10gatherTopKIN3c108BFloat16EjLi3EEEvNS_4cuda6detail10TensorInfoIKT_T0_EESA_SA_bjSA_NS7_IS8_SA_EESA_NS7_IlSA_EESA_jjPS8_PjSF_j.kd
    .uniform_work_group_size: 1
    .uses_dynamic_stack: false
    .vgpr_count:     25
    .vgpr_spill_count: 0
    .wavefront_size: 32
    .workgroup_processor_mode: 1
  - .args:
      - .offset:         0
        .size:           216
        .value_kind:     by_value
      - .offset:         216
        .size:           4
        .value_kind:     by_value
      - .offset:         220
        .size:           4
        .value_kind:     by_value
      - .offset:         224
        .size:           1
        .value_kind:     by_value
      - .offset:         228
        .size:           4
        .value_kind:     by_value
      - .offset:         232
        .size:           4
        .value_kind:     by_value
      - .offset:         240
        .size:           216
        .value_kind:     by_value
      - .offset:         456
        .size:           4
        .value_kind:     by_value
      - .offset:         464
        .size:           216
        .value_kind:     by_value
      - .offset:         680
        .size:           4
        .value_kind:     by_value
      - .address_space:  global
        .offset:         688
        .size:           8
        .value_kind:     global_buffer
      - .offset:         696
        .size:           4
        .value_kind:     hidden_block_count_x
      - .offset:         700
        .size:           4
        .value_kind:     hidden_block_count_y
      - .offset:         704
        .size:           4
        .value_kind:     hidden_block_count_z
      - .offset:         708
        .size:           2
        .value_kind:     hidden_group_size_x
      - .offset:         710
        .size:           2
        .value_kind:     hidden_group_size_y
      - .offset:         712
        .size:           2
        .value_kind:     hidden_group_size_z
      - .offset:         714
        .size:           2
        .value_kind:     hidden_remainder_x
      - .offset:         716
        .size:           2
        .value_kind:     hidden_remainder_y
      - .offset:         718
        .size:           2
        .value_kind:     hidden_remainder_z
      - .offset:         736
        .size:           8
        .value_kind:     hidden_global_offset_x
      - .offset:         744
        .size:           8
        .value_kind:     hidden_global_offset_y
      - .offset:         752
        .size:           8
        .value_kind:     hidden_global_offset_z
      - .offset:         760
        .size:           2
        .value_kind:     hidden_grid_dims
    .group_segment_fixed_size: 4112
    .kernarg_segment_align: 8
    .kernarg_segment_size: 952
    .language:       OpenCL C
    .language_version:
      - 2
      - 0
    .max_flat_workgroup_size: 1024
    .name:           _ZN2at6native6sbtopk10gatherTopKIN3c108BFloat16EjLi3ELb0EEEvNS_4cuda6detail10TensorInfoIKT_T0_EESA_SA_bSA_SA_NS7_IS8_SA_EESA_NS7_IlSA_EESA_PS8_
    .private_segment_fixed_size: 0
    .sgpr_count:     105
    .sgpr_spill_count: 0
    .symbol:         _ZN2at6native6sbtopk10gatherTopKIN3c108BFloat16EjLi3ELb0EEEvNS_4cuda6detail10TensorInfoIKT_T0_EESA_SA_bSA_SA_NS7_IS8_SA_EESA_NS7_IlSA_EESA_PS8_.kd
    .uniform_work_group_size: 1
    .uses_dynamic_stack: false
    .vgpr_count:     38
    .vgpr_spill_count: 0
    .wavefront_size: 32
    .workgroup_processor_mode: 1
  - .args:
      - .offset:         0
        .size:           216
        .value_kind:     by_value
      - .offset:         216
        .size:           4
        .value_kind:     by_value
      - .address_space:  global
        .offset:         224
        .size:           8
        .value_kind:     global_buffer
      - .offset:         232
        .size:           4
        .value_kind:     by_value
      - .offset:         236
        .size:           4
        .value_kind:     by_value
      - .offset:         240
        .size:           4
        .value_kind:     by_value
      - .offset:         244
        .size:           4
        .value_kind:     by_value
      - .offset:         248
        .size:           4
        .value_kind:     by_value
      - .offset:         252
        .size:           4
        .value_kind:     by_value
      - .address_space:  global
        .offset:         256
        .size:           8
        .value_kind:     global_buffer
      - .address_space:  global
        .offset:         264
        .size:           8
        .value_kind:     global_buffer
      - .offset:         272
        .size:           4
        .value_kind:     hidden_block_count_x
      - .offset:         276
        .size:           4
        .value_kind:     hidden_block_count_y
      - .offset:         280
        .size:           4
        .value_kind:     hidden_block_count_z
      - .offset:         284
        .size:           2
        .value_kind:     hidden_group_size_x
      - .offset:         286
        .size:           2
        .value_kind:     hidden_group_size_y
      - .offset:         288
        .size:           2
        .value_kind:     hidden_group_size_z
      - .offset:         290
        .size:           2
        .value_kind:     hidden_remainder_x
      - .offset:         292
        .size:           2
        .value_kind:     hidden_remainder_y
      - .offset:         294
        .size:           2
        .value_kind:     hidden_remainder_z
      - .offset:         312
        .size:           8
        .value_kind:     hidden_global_offset_x
      - .offset:         320
        .size:           8
        .value_kind:     hidden_global_offset_y
      - .offset:         328
        .size:           8
        .value_kind:     hidden_global_offset_z
      - .offset:         336
        .size:           2
        .value_kind:     hidden_grid_dims
    .group_segment_fixed_size: 1024
    .kernarg_segment_align: 8
    .kernarg_segment_size: 528
    .language:       OpenCL C
    .language_version:
      - 2
      - 0
    .max_flat_workgroup_size: 256
    .name:           _ZN2at6native6mbtopk23computeBlockDigitCountsIN3c108BFloat16EjjLin1EEEvNS_4cuda6detail10TensorInfoIKT_T0_EEjPjjSA_iijT1_PSD_Ps
    .private_segment_fixed_size: 0
    .sgpr_count:     26
    .sgpr_spill_count: 0
    .symbol:         _ZN2at6native6mbtopk23computeBlockDigitCountsIN3c108BFloat16EjjLin1EEEvNS_4cuda6detail10TensorInfoIKT_T0_EEjPjjSA_iijT1_PSD_Ps.kd
    .uniform_work_group_size: 1
    .uses_dynamic_stack: false
    .vgpr_count:     13
    .vgpr_spill_count: 0
    .wavefront_size: 32
    .workgroup_processor_mode: 1
  - .args:
      - .offset:         0
        .size:           216
        .value_kind:     by_value
      - .offset:         216
        .size:           4
        .value_kind:     by_value
      - .offset:         220
        .size:           4
        .value_kind:     by_value
      - .offset:         224
        .size:           1
        .value_kind:     by_value
      - .offset:         228
        .size:           4
        .value_kind:     by_value
      - .offset:         232
        .size:           4
        .value_kind:     by_value
      - .offset:         240
        .size:           216
        .value_kind:     by_value
      - .offset:         456
        .size:           4
        .value_kind:     by_value
      - .offset:         464
        .size:           216
        .value_kind:     by_value
      - .offset:         680
        .size:           4
        .value_kind:     by_value
      - .offset:         684
        .size:           4
        .value_kind:     by_value
      - .offset:         688
        .size:           4
        .value_kind:     by_value
      - .address_space:  global
        .offset:         696
        .size:           8
        .value_kind:     global_buffer
      - .address_space:  global
        .offset:         704
        .size:           8
        .value_kind:     global_buffer
      - .address_space:  global
        .offset:         712
        .size:           8
        .value_kind:     global_buffer
      - .offset:         720
        .size:           4
        .value_kind:     by_value
      - .offset:         728
        .size:           4
        .value_kind:     hidden_block_count_x
      - .offset:         732
        .size:           4
        .value_kind:     hidden_block_count_y
      - .offset:         736
        .size:           4
        .value_kind:     hidden_block_count_z
      - .offset:         740
        .size:           2
        .value_kind:     hidden_group_size_x
      - .offset:         742
        .size:           2
        .value_kind:     hidden_group_size_y
      - .offset:         744
        .size:           2
        .value_kind:     hidden_group_size_z
      - .offset:         746
        .size:           2
        .value_kind:     hidden_remainder_x
      - .offset:         748
        .size:           2
        .value_kind:     hidden_remainder_y
      - .offset:         750
        .size:           2
        .value_kind:     hidden_remainder_z
      - .offset:         768
        .size:           8
        .value_kind:     hidden_global_offset_x
      - .offset:         776
        .size:           8
        .value_kind:     hidden_global_offset_y
      - .offset:         784
        .size:           8
        .value_kind:     hidden_global_offset_z
      - .offset:         792
        .size:           2
        .value_kind:     hidden_grid_dims
    .group_segment_fixed_size: 1068
    .kernarg_segment_align: 8
    .kernarg_segment_size: 984
    .language:       OpenCL C
    .language_version:
      - 2
      - 0
    .max_flat_workgroup_size: 256
    .name:           _ZN2at6native6mbtopk10gatherTopKIN3c108BFloat16EjLin1EEEvNS_4cuda6detail10TensorInfoIKT_T0_EESA_SA_bjSA_NS7_IS8_SA_EESA_NS7_IlSA_EESA_jjPS8_PjSF_j
    .private_segment_fixed_size: 0
    .sgpr_count:     45
    .sgpr_spill_count: 0
    .symbol:         _ZN2at6native6mbtopk10gatherTopKIN3c108BFloat16EjLin1EEEvNS_4cuda6detail10TensorInfoIKT_T0_EESA_SA_bjSA_NS7_IS8_SA_EESA_NS7_IlSA_EESA_jjPS8_PjSF_j.kd
    .uniform_work_group_size: 1
    .uses_dynamic_stack: false
    .vgpr_count:     25
    .vgpr_spill_count: 0
    .wavefront_size: 32
    .workgroup_processor_mode: 1
  - .args:
      - .offset:         0
        .size:           216
        .value_kind:     by_value
      - .offset:         216
        .size:           4
        .value_kind:     by_value
      - .offset:         220
        .size:           4
        .value_kind:     by_value
      - .offset:         224
        .size:           1
        .value_kind:     by_value
      - .offset:         228
        .size:           4
        .value_kind:     by_value
      - .offset:         232
        .size:           4
        .value_kind:     by_value
      - .offset:         240
        .size:           216
        .value_kind:     by_value
      - .offset:         456
        .size:           4
        .value_kind:     by_value
      - .offset:         464
        .size:           216
        .value_kind:     by_value
      - .offset:         680
        .size:           4
        .value_kind:     by_value
      - .address_space:  global
        .offset:         688
        .size:           8
        .value_kind:     global_buffer
      - .offset:         696
        .size:           4
        .value_kind:     hidden_block_count_x
      - .offset:         700
        .size:           4
        .value_kind:     hidden_block_count_y
      - .offset:         704
        .size:           4
        .value_kind:     hidden_block_count_z
      - .offset:         708
        .size:           2
        .value_kind:     hidden_group_size_x
      - .offset:         710
        .size:           2
        .value_kind:     hidden_group_size_y
      - .offset:         712
        .size:           2
        .value_kind:     hidden_group_size_z
      - .offset:         714
        .size:           2
        .value_kind:     hidden_remainder_x
      - .offset:         716
        .size:           2
        .value_kind:     hidden_remainder_y
      - .offset:         718
        .size:           2
        .value_kind:     hidden_remainder_z
      - .offset:         736
        .size:           8
        .value_kind:     hidden_global_offset_x
      - .offset:         744
        .size:           8
        .value_kind:     hidden_global_offset_y
      - .offset:         752
        .size:           8
        .value_kind:     hidden_global_offset_z
      - .offset:         760
        .size:           2
        .value_kind:     hidden_grid_dims
    .group_segment_fixed_size: 4112
    .kernarg_segment_align: 8
    .kernarg_segment_size: 952
    .language:       OpenCL C
    .language_version:
      - 2
      - 0
    .max_flat_workgroup_size: 1024
    .name:           _ZN2at6native6sbtopk10gatherTopKIN3c108BFloat16EjLin1ELb0EEEvNS_4cuda6detail10TensorInfoIKT_T0_EESA_SA_bSA_SA_NS7_IS8_SA_EESA_NS7_IlSA_EESA_PS8_
    .private_segment_fixed_size: 0
    .sgpr_count:     96
    .sgpr_spill_count: 0
    .symbol:         _ZN2at6native6sbtopk10gatherTopKIN3c108BFloat16EjLin1ELb0EEEvNS_4cuda6detail10TensorInfoIKT_T0_EESA_SA_bSA_SA_NS7_IS8_SA_EESA_NS7_IlSA_EESA_PS8_.kd
    .uniform_work_group_size: 1
    .uses_dynamic_stack: false
    .vgpr_count:     38
    .vgpr_spill_count: 0
    .wavefront_size: 32
    .workgroup_processor_mode: 1
  - .args:
      - .offset:         0
        .size:           416
        .value_kind:     by_value
      - .offset:         416
        .size:           4
        .value_kind:     by_value
      - .address_space:  global
        .offset:         424
        .size:           8
        .value_kind:     global_buffer
      - .offset:         432
        .size:           4
        .value_kind:     by_value
      - .offset:         440
        .size:           8
        .value_kind:     by_value
      - .offset:         448
        .size:           4
        .value_kind:     by_value
      - .offset:         452
        .size:           4
        .value_kind:     by_value
      - .offset:         456
        .size:           4
        .value_kind:     by_value
      - .offset:         460
        .size:           4
        .value_kind:     by_value
      - .address_space:  global
        .offset:         464
        .size:           8
        .value_kind:     global_buffer
      - .address_space:  global
        .offset:         472
        .size:           8
        .value_kind:     global_buffer
      - .offset:         480
        .size:           4
        .value_kind:     hidden_block_count_x
      - .offset:         484
        .size:           4
        .value_kind:     hidden_block_count_y
      - .offset:         488
        .size:           4
        .value_kind:     hidden_block_count_z
      - .offset:         492
        .size:           2
        .value_kind:     hidden_group_size_x
      - .offset:         494
        .size:           2
        .value_kind:     hidden_group_size_y
      - .offset:         496
        .size:           2
        .value_kind:     hidden_group_size_z
      - .offset:         498
        .size:           2
        .value_kind:     hidden_remainder_x
      - .offset:         500
        .size:           2
        .value_kind:     hidden_remainder_y
      - .offset:         502
        .size:           2
        .value_kind:     hidden_remainder_z
      - .offset:         520
        .size:           8
        .value_kind:     hidden_global_offset_x
      - .offset:         528
        .size:           8
        .value_kind:     hidden_global_offset_y
      - .offset:         536
        .size:           8
        .value_kind:     hidden_global_offset_z
      - .offset:         544
        .size:           2
        .value_kind:     hidden_grid_dims
    .group_segment_fixed_size: 1024
    .kernarg_segment_align: 8
    .kernarg_segment_size: 736
    .language:       OpenCL C
    .language_version:
      - 2
      - 0
    .max_flat_workgroup_size: 256
    .name:           _ZN2at6native6mbtopk23computeBlockDigitCountsIhmjLi1EEEvNS_4cuda6detail10TensorInfoIKT_T0_EEjPjjS8_iijT1_PSB_Ps
    .private_segment_fixed_size: 0
    .sgpr_count:     22
    .sgpr_spill_count: 0
    .symbol:         _ZN2at6native6mbtopk23computeBlockDigitCountsIhmjLi1EEEvNS_4cuda6detail10TensorInfoIKT_T0_EEjPjjS8_iijT1_PSB_Ps.kd
    .uniform_work_group_size: 1
    .uses_dynamic_stack: false
    .vgpr_count:     9
    .vgpr_spill_count: 0
    .wavefront_size: 32
    .workgroup_processor_mode: 1
  - .args:
      - .offset:         0
        .size:           416
        .value_kind:     by_value
      - .offset:         416
        .size:           8
        .value_kind:     by_value
      - .offset:         424
        .size:           8
        .value_kind:     by_value
      - .offset:         432
        .size:           1
        .value_kind:     by_value
      - .offset:         436
        .size:           4
        .value_kind:     by_value
      - .offset:         440
        .size:           8
        .value_kind:     by_value
      - .offset:         448
        .size:           416
        .value_kind:     by_value
      - .offset:         864
        .size:           8
        .value_kind:     by_value
      - .offset:         872
        .size:           416
        .value_kind:     by_value
      - .offset:         1288
        .size:           8
        .value_kind:     by_value
      - .offset:         1296
        .size:           4
        .value_kind:     by_value
      - .offset:         1300
        .size:           4
        .value_kind:     by_value
      - .address_space:  global
        .offset:         1304
        .size:           8
        .value_kind:     global_buffer
      - .address_space:  global
        .offset:         1312
        .size:           8
        .value_kind:     global_buffer
      - .address_space:  global
        .offset:         1320
        .size:           8
        .value_kind:     global_buffer
      - .offset:         1328
        .size:           4
        .value_kind:     by_value
      - .offset:         1336
        .size:           4
        .value_kind:     hidden_block_count_x
      - .offset:         1340
        .size:           4
        .value_kind:     hidden_block_count_y
      - .offset:         1344
        .size:           4
        .value_kind:     hidden_block_count_z
      - .offset:         1348
        .size:           2
        .value_kind:     hidden_group_size_x
      - .offset:         1350
        .size:           2
        .value_kind:     hidden_group_size_y
      - .offset:         1352
        .size:           2
        .value_kind:     hidden_group_size_z
      - .offset:         1354
        .size:           2
        .value_kind:     hidden_remainder_x
      - .offset:         1356
        .size:           2
        .value_kind:     hidden_remainder_y
      - .offset:         1358
        .size:           2
        .value_kind:     hidden_remainder_z
      - .offset:         1376
        .size:           8
        .value_kind:     hidden_global_offset_x
      - .offset:         1384
        .size:           8
        .value_kind:     hidden_global_offset_y
      - .offset:         1392
        .size:           8
        .value_kind:     hidden_global_offset_z
      - .offset:         1400
        .size:           2
        .value_kind:     hidden_grid_dims
    .group_segment_fixed_size: 1068
    .kernarg_segment_align: 8
    .kernarg_segment_size: 1592
    .language:       OpenCL C
    .language_version:
      - 2
      - 0
    .max_flat_workgroup_size: 256
    .name:           _ZN2at6native6mbtopk10gatherTopKIhmLi1EEEvNS_4cuda6detail10TensorInfoIKT_T0_EES8_S8_bjS8_NS5_IS6_S8_EES8_NS5_IlS8_EES8_jjPS6_PjSD_j
    .private_segment_fixed_size: 0
    .sgpr_count:     43
    .sgpr_spill_count: 0
    .symbol:         _ZN2at6native6mbtopk10gatherTopKIhmLi1EEEvNS_4cuda6detail10TensorInfoIKT_T0_EES8_S8_bjS8_NS5_IS6_S8_EES8_NS5_IlS8_EES8_jjPS6_PjSD_j.kd
    .uniform_work_group_size: 1
    .uses_dynamic_stack: false
    .vgpr_count:     25
    .vgpr_spill_count: 0
    .wavefront_size: 32
    .workgroup_processor_mode: 1
  - .args:
      - .offset:         0
        .size:           416
        .value_kind:     by_value
      - .offset:         416
        .size:           8
        .value_kind:     by_value
      - .offset:         424
        .size:           8
        .value_kind:     by_value
      - .offset:         432
        .size:           1
        .value_kind:     by_value
      - .offset:         440
        .size:           8
        .value_kind:     by_value
      - .offset:         448
        .size:           8
        .value_kind:     by_value
      - .offset:         456
        .size:           416
        .value_kind:     by_value
      - .offset:         872
        .size:           8
        .value_kind:     by_value
      - .offset:         880
        .size:           416
        .value_kind:     by_value
      - .offset:         1296
        .size:           8
        .value_kind:     by_value
      - .address_space:  global
        .offset:         1304
        .size:           8
        .value_kind:     global_buffer
      - .offset:         1312
        .size:           4
        .value_kind:     hidden_block_count_x
      - .offset:         1316
        .size:           4
        .value_kind:     hidden_block_count_y
      - .offset:         1320
        .size:           4
        .value_kind:     hidden_block_count_z
      - .offset:         1324
        .size:           2
        .value_kind:     hidden_group_size_x
      - .offset:         1326
        .size:           2
        .value_kind:     hidden_group_size_y
      - .offset:         1328
        .size:           2
        .value_kind:     hidden_group_size_z
      - .offset:         1330
        .size:           2
        .value_kind:     hidden_remainder_x
      - .offset:         1332
        .size:           2
        .value_kind:     hidden_remainder_y
      - .offset:         1334
        .size:           2
        .value_kind:     hidden_remainder_z
      - .offset:         1352
        .size:           8
        .value_kind:     hidden_global_offset_x
      - .offset:         1360
        .size:           8
        .value_kind:     hidden_global_offset_y
      - .offset:         1368
        .size:           8
        .value_kind:     hidden_global_offset_z
      - .offset:         1376
        .size:           2
        .value_kind:     hidden_grid_dims
    .group_segment_fixed_size: 5152
    .kernarg_segment_align: 8
    .kernarg_segment_size: 1568
    .language:       OpenCL C
    .language_version:
      - 2
      - 0
    .max_flat_workgroup_size: 1024
    .name:           _ZN2at6native6sbtopk10gatherTopKIhmLi1ELb0EEEvNS_4cuda6detail10TensorInfoIKT_T0_EES8_S8_bS8_S8_NS5_IS6_S8_EES8_NS5_IlS8_EES8_PS6_
    .private_segment_fixed_size: 0
    .sgpr_count:     107
    .sgpr_spill_count: 0
    .symbol:         _ZN2at6native6sbtopk10gatherTopKIhmLi1ELb0EEEvNS_4cuda6detail10TensorInfoIKT_T0_EES8_S8_bS8_S8_NS5_IS6_S8_EES8_NS5_IlS8_EES8_PS6_.kd
    .uniform_work_group_size: 1
    .uses_dynamic_stack: false
    .vgpr_count:     41
    .vgpr_spill_count: 0
    .wavefront_size: 32
    .workgroup_processor_mode: 1
  - .args:
      - .offset:         0
        .size:           416
        .value_kind:     by_value
      - .offset:         416
        .size:           4
        .value_kind:     by_value
      - .address_space:  global
        .offset:         424
        .size:           8
        .value_kind:     global_buffer
      - .offset:         432
        .size:           4
        .value_kind:     by_value
      - .offset:         440
        .size:           8
        .value_kind:     by_value
      - .offset:         448
        .size:           4
        .value_kind:     by_value
      - .offset:         452
        .size:           4
        .value_kind:     by_value
      - .offset:         456
        .size:           4
        .value_kind:     by_value
      - .offset:         460
        .size:           4
        .value_kind:     by_value
      - .address_space:  global
        .offset:         464
        .size:           8
        .value_kind:     global_buffer
      - .address_space:  global
        .offset:         472
        .size:           8
        .value_kind:     global_buffer
      - .offset:         480
        .size:           4
        .value_kind:     hidden_block_count_x
      - .offset:         484
        .size:           4
        .value_kind:     hidden_block_count_y
      - .offset:         488
        .size:           4
        .value_kind:     hidden_block_count_z
      - .offset:         492
        .size:           2
        .value_kind:     hidden_group_size_x
      - .offset:         494
        .size:           2
        .value_kind:     hidden_group_size_y
      - .offset:         496
        .size:           2
        .value_kind:     hidden_group_size_z
      - .offset:         498
        .size:           2
        .value_kind:     hidden_remainder_x
      - .offset:         500
        .size:           2
        .value_kind:     hidden_remainder_y
      - .offset:         502
        .size:           2
        .value_kind:     hidden_remainder_z
      - .offset:         520
        .size:           8
        .value_kind:     hidden_global_offset_x
      - .offset:         528
        .size:           8
        .value_kind:     hidden_global_offset_y
      - .offset:         536
        .size:           8
        .value_kind:     hidden_global_offset_z
      - .offset:         544
        .size:           2
        .value_kind:     hidden_grid_dims
    .group_segment_fixed_size: 1024
    .kernarg_segment_align: 8
    .kernarg_segment_size: 736
    .language:       OpenCL C
    .language_version:
      - 2
      - 0
    .max_flat_workgroup_size: 256
    .name:           _ZN2at6native6mbtopk23computeBlockDigitCountsIhmjLi2EEEvNS_4cuda6detail10TensorInfoIKT_T0_EEjPjjS8_iijT1_PSB_Ps
    .private_segment_fixed_size: 0
    .sgpr_count:     28
    .sgpr_spill_count: 0
    .symbol:         _ZN2at6native6mbtopk23computeBlockDigitCountsIhmjLi2EEEvNS_4cuda6detail10TensorInfoIKT_T0_EEjPjjS8_iijT1_PSB_Ps.kd
    .uniform_work_group_size: 1
    .uses_dynamic_stack: false
    .vgpr_count:     9
    .vgpr_spill_count: 0
    .wavefront_size: 32
    .workgroup_processor_mode: 1
  - .args:
      - .offset:         0
        .size:           416
        .value_kind:     by_value
      - .offset:         416
        .size:           8
        .value_kind:     by_value
      - .offset:         424
        .size:           8
        .value_kind:     by_value
      - .offset:         432
        .size:           1
        .value_kind:     by_value
      - .offset:         436
        .size:           4
        .value_kind:     by_value
      - .offset:         440
        .size:           8
        .value_kind:     by_value
      - .offset:         448
        .size:           416
        .value_kind:     by_value
      - .offset:         864
        .size:           8
        .value_kind:     by_value
      - .offset:         872
        .size:           416
        .value_kind:     by_value
      - .offset:         1288
        .size:           8
        .value_kind:     by_value
      - .offset:         1296
        .size:           4
        .value_kind:     by_value
      - .offset:         1300
        .size:           4
        .value_kind:     by_value
      - .address_space:  global
        .offset:         1304
        .size:           8
        .value_kind:     global_buffer
      - .address_space:  global
        .offset:         1312
        .size:           8
        .value_kind:     global_buffer
      - .address_space:  global
        .offset:         1320
        .size:           8
        .value_kind:     global_buffer
      - .offset:         1328
        .size:           4
        .value_kind:     by_value
      - .offset:         1336
        .size:           4
        .value_kind:     hidden_block_count_x
      - .offset:         1340
        .size:           4
        .value_kind:     hidden_block_count_y
      - .offset:         1344
        .size:           4
        .value_kind:     hidden_block_count_z
      - .offset:         1348
        .size:           2
        .value_kind:     hidden_group_size_x
      - .offset:         1350
        .size:           2
        .value_kind:     hidden_group_size_y
      - .offset:         1352
        .size:           2
        .value_kind:     hidden_group_size_z
      - .offset:         1354
        .size:           2
        .value_kind:     hidden_remainder_x
      - .offset:         1356
        .size:           2
        .value_kind:     hidden_remainder_y
      - .offset:         1358
        .size:           2
        .value_kind:     hidden_remainder_z
      - .offset:         1376
        .size:           8
        .value_kind:     hidden_global_offset_x
      - .offset:         1384
        .size:           8
        .value_kind:     hidden_global_offset_y
      - .offset:         1392
        .size:           8
        .value_kind:     hidden_global_offset_z
      - .offset:         1400
        .size:           2
        .value_kind:     hidden_grid_dims
    .group_segment_fixed_size: 1068
    .kernarg_segment_align: 8
    .kernarg_segment_size: 1592
    .language:       OpenCL C
    .language_version:
      - 2
      - 0
    .max_flat_workgroup_size: 256
    .name:           _ZN2at6native6mbtopk10gatherTopKIhmLi2EEEvNS_4cuda6detail10TensorInfoIKT_T0_EES8_S8_bjS8_NS5_IS6_S8_EES8_NS5_IlS8_EES8_jjPS6_PjSD_j
    .private_segment_fixed_size: 0
    .sgpr_count:     51
    .sgpr_spill_count: 0
    .symbol:         _ZN2at6native6mbtopk10gatherTopKIhmLi2EEEvNS_4cuda6detail10TensorInfoIKT_T0_EES8_S8_bjS8_NS5_IS6_S8_EES8_NS5_IlS8_EES8_jjPS6_PjSD_j.kd
    .uniform_work_group_size: 1
    .uses_dynamic_stack: false
    .vgpr_count:     25
    .vgpr_spill_count: 0
    .wavefront_size: 32
    .workgroup_processor_mode: 1
  - .args:
      - .offset:         0
        .size:           416
        .value_kind:     by_value
      - .offset:         416
        .size:           8
        .value_kind:     by_value
      - .offset:         424
        .size:           8
        .value_kind:     by_value
      - .offset:         432
        .size:           1
        .value_kind:     by_value
      - .offset:         440
        .size:           8
        .value_kind:     by_value
      - .offset:         448
        .size:           8
        .value_kind:     by_value
      - .offset:         456
        .size:           416
        .value_kind:     by_value
      - .offset:         872
        .size:           8
        .value_kind:     by_value
      - .offset:         880
        .size:           416
        .value_kind:     by_value
      - .offset:         1296
        .size:           8
        .value_kind:     by_value
      - .address_space:  global
        .offset:         1304
        .size:           8
        .value_kind:     global_buffer
      - .offset:         1312
        .size:           4
        .value_kind:     hidden_block_count_x
      - .offset:         1316
        .size:           4
        .value_kind:     hidden_block_count_y
      - .offset:         1320
        .size:           4
        .value_kind:     hidden_block_count_z
      - .offset:         1324
        .size:           2
        .value_kind:     hidden_group_size_x
      - .offset:         1326
        .size:           2
        .value_kind:     hidden_group_size_y
      - .offset:         1328
        .size:           2
        .value_kind:     hidden_group_size_z
      - .offset:         1330
        .size:           2
        .value_kind:     hidden_remainder_x
      - .offset:         1332
        .size:           2
        .value_kind:     hidden_remainder_y
      - .offset:         1334
        .size:           2
        .value_kind:     hidden_remainder_z
      - .offset:         1352
        .size:           8
        .value_kind:     hidden_global_offset_x
      - .offset:         1360
        .size:           8
        .value_kind:     hidden_global_offset_y
      - .offset:         1368
        .size:           8
        .value_kind:     hidden_global_offset_z
      - .offset:         1376
        .size:           2
        .value_kind:     hidden_grid_dims
    .group_segment_fixed_size: 5152
    .kernarg_segment_align: 8
    .kernarg_segment_size: 1568
    .language:       OpenCL C
    .language_version:
      - 2
      - 0
    .max_flat_workgroup_size: 1024
    .name:           _ZN2at6native6sbtopk10gatherTopKIhmLi2ELb0EEEvNS_4cuda6detail10TensorInfoIKT_T0_EES8_S8_bS8_S8_NS5_IS6_S8_EES8_NS5_IlS8_EES8_PS6_
    .private_segment_fixed_size: 0
    .sgpr_count:     107
    .sgpr_spill_count: 0
    .symbol:         _ZN2at6native6sbtopk10gatherTopKIhmLi2ELb0EEEvNS_4cuda6detail10TensorInfoIKT_T0_EES8_S8_bS8_S8_NS5_IS6_S8_EES8_NS5_IlS8_EES8_PS6_.kd
    .uniform_work_group_size: 1
    .uses_dynamic_stack: false
    .vgpr_count:     33
    .vgpr_spill_count: 0
    .wavefront_size: 32
    .workgroup_processor_mode: 1
  - .args:
      - .offset:         0
        .size:           416
        .value_kind:     by_value
      - .offset:         416
        .size:           4
        .value_kind:     by_value
      - .address_space:  global
        .offset:         424
        .size:           8
        .value_kind:     global_buffer
      - .offset:         432
        .size:           4
        .value_kind:     by_value
      - .offset:         440
        .size:           8
        .value_kind:     by_value
      - .offset:         448
        .size:           4
        .value_kind:     by_value
      - .offset:         452
        .size:           4
        .value_kind:     by_value
      - .offset:         456
        .size:           4
        .value_kind:     by_value
      - .offset:         460
        .size:           4
        .value_kind:     by_value
      - .address_space:  global
        .offset:         464
        .size:           8
        .value_kind:     global_buffer
      - .address_space:  global
        .offset:         472
        .size:           8
        .value_kind:     global_buffer
      - .offset:         480
        .size:           4
        .value_kind:     hidden_block_count_x
      - .offset:         484
        .size:           4
        .value_kind:     hidden_block_count_y
      - .offset:         488
        .size:           4
        .value_kind:     hidden_block_count_z
      - .offset:         492
        .size:           2
        .value_kind:     hidden_group_size_x
      - .offset:         494
        .size:           2
        .value_kind:     hidden_group_size_y
      - .offset:         496
        .size:           2
        .value_kind:     hidden_group_size_z
      - .offset:         498
        .size:           2
        .value_kind:     hidden_remainder_x
      - .offset:         500
        .size:           2
        .value_kind:     hidden_remainder_y
      - .offset:         502
        .size:           2
        .value_kind:     hidden_remainder_z
      - .offset:         520
        .size:           8
        .value_kind:     hidden_global_offset_x
      - .offset:         528
        .size:           8
        .value_kind:     hidden_global_offset_y
      - .offset:         536
        .size:           8
        .value_kind:     hidden_global_offset_z
      - .offset:         544
        .size:           2
        .value_kind:     hidden_grid_dims
    .group_segment_fixed_size: 1024
    .kernarg_segment_align: 8
    .kernarg_segment_size: 736
    .language:       OpenCL C
    .language_version:
      - 2
      - 0
    .max_flat_workgroup_size: 256
    .name:           _ZN2at6native6mbtopk23computeBlockDigitCountsIhmjLi3EEEvNS_4cuda6detail10TensorInfoIKT_T0_EEjPjjS8_iijT1_PSB_Ps
    .private_segment_fixed_size: 0
    .sgpr_count:     34
    .sgpr_spill_count: 0
    .symbol:         _ZN2at6native6mbtopk23computeBlockDigitCountsIhmjLi3EEEvNS_4cuda6detail10TensorInfoIKT_T0_EEjPjjS8_iijT1_PSB_Ps.kd
    .uniform_work_group_size: 1
    .uses_dynamic_stack: false
    .vgpr_count:     9
    .vgpr_spill_count: 0
    .wavefront_size: 32
    .workgroup_processor_mode: 1
  - .args:
      - .offset:         0
        .size:           416
        .value_kind:     by_value
      - .offset:         416
        .size:           8
        .value_kind:     by_value
      - .offset:         424
        .size:           8
        .value_kind:     by_value
      - .offset:         432
        .size:           1
        .value_kind:     by_value
      - .offset:         436
        .size:           4
        .value_kind:     by_value
      - .offset:         440
        .size:           8
        .value_kind:     by_value
      - .offset:         448
        .size:           416
        .value_kind:     by_value
      - .offset:         864
        .size:           8
        .value_kind:     by_value
      - .offset:         872
        .size:           416
        .value_kind:     by_value
      - .offset:         1288
        .size:           8
        .value_kind:     by_value
      - .offset:         1296
        .size:           4
        .value_kind:     by_value
      - .offset:         1300
        .size:           4
        .value_kind:     by_value
      - .address_space:  global
        .offset:         1304
        .size:           8
        .value_kind:     global_buffer
      - .address_space:  global
        .offset:         1312
        .size:           8
        .value_kind:     global_buffer
      - .address_space:  global
        .offset:         1320
        .size:           8
        .value_kind:     global_buffer
      - .offset:         1328
        .size:           4
        .value_kind:     by_value
      - .offset:         1336
        .size:           4
        .value_kind:     hidden_block_count_x
      - .offset:         1340
        .size:           4
        .value_kind:     hidden_block_count_y
      - .offset:         1344
        .size:           4
        .value_kind:     hidden_block_count_z
      - .offset:         1348
        .size:           2
        .value_kind:     hidden_group_size_x
      - .offset:         1350
        .size:           2
        .value_kind:     hidden_group_size_y
      - .offset:         1352
        .size:           2
        .value_kind:     hidden_group_size_z
      - .offset:         1354
        .size:           2
        .value_kind:     hidden_remainder_x
      - .offset:         1356
        .size:           2
        .value_kind:     hidden_remainder_y
      - .offset:         1358
        .size:           2
        .value_kind:     hidden_remainder_z
      - .offset:         1376
        .size:           8
        .value_kind:     hidden_global_offset_x
      - .offset:         1384
        .size:           8
        .value_kind:     hidden_global_offset_y
      - .offset:         1392
        .size:           8
        .value_kind:     hidden_global_offset_z
      - .offset:         1400
        .size:           2
        .value_kind:     hidden_grid_dims
    .group_segment_fixed_size: 1068
    .kernarg_segment_align: 8
    .kernarg_segment_size: 1592
    .language:       OpenCL C
    .language_version:
      - 2
      - 0
    .max_flat_workgroup_size: 256
    .name:           _ZN2at6native6mbtopk10gatherTopKIhmLi3EEEvNS_4cuda6detail10TensorInfoIKT_T0_EES8_S8_bjS8_NS5_IS6_S8_EES8_NS5_IlS8_EES8_jjPS6_PjSD_j
    .private_segment_fixed_size: 0
    .sgpr_count:     76
    .sgpr_spill_count: 0
    .symbol:         _ZN2at6native6mbtopk10gatherTopKIhmLi3EEEvNS_4cuda6detail10TensorInfoIKT_T0_EES8_S8_bjS8_NS5_IS6_S8_EES8_NS5_IlS8_EES8_jjPS6_PjSD_j.kd
    .uniform_work_group_size: 1
    .uses_dynamic_stack: false
    .vgpr_count:     25
    .vgpr_spill_count: 0
    .wavefront_size: 32
    .workgroup_processor_mode: 1
  - .args:
      - .offset:         0
        .size:           416
        .value_kind:     by_value
      - .offset:         416
        .size:           8
        .value_kind:     by_value
      - .offset:         424
        .size:           8
        .value_kind:     by_value
      - .offset:         432
        .size:           1
        .value_kind:     by_value
      - .offset:         440
        .size:           8
        .value_kind:     by_value
      - .offset:         448
        .size:           8
        .value_kind:     by_value
      - .offset:         456
        .size:           416
        .value_kind:     by_value
      - .offset:         872
        .size:           8
        .value_kind:     by_value
      - .offset:         880
        .size:           416
        .value_kind:     by_value
      - .offset:         1296
        .size:           8
        .value_kind:     by_value
      - .address_space:  global
        .offset:         1304
        .size:           8
        .value_kind:     global_buffer
      - .offset:         1312
        .size:           4
        .value_kind:     hidden_block_count_x
      - .offset:         1316
        .size:           4
        .value_kind:     hidden_block_count_y
      - .offset:         1320
        .size:           4
        .value_kind:     hidden_block_count_z
      - .offset:         1324
        .size:           2
        .value_kind:     hidden_group_size_x
      - .offset:         1326
        .size:           2
        .value_kind:     hidden_group_size_y
      - .offset:         1328
        .size:           2
        .value_kind:     hidden_group_size_z
      - .offset:         1330
        .size:           2
        .value_kind:     hidden_remainder_x
      - .offset:         1332
        .size:           2
        .value_kind:     hidden_remainder_y
      - .offset:         1334
        .size:           2
        .value_kind:     hidden_remainder_z
      - .offset:         1352
        .size:           8
        .value_kind:     hidden_global_offset_x
      - .offset:         1360
        .size:           8
        .value_kind:     hidden_global_offset_y
      - .offset:         1368
        .size:           8
        .value_kind:     hidden_global_offset_z
      - .offset:         1376
        .size:           2
        .value_kind:     hidden_grid_dims
    .group_segment_fixed_size: 5152
    .kernarg_segment_align: 8
    .kernarg_segment_size: 1568
    .language:       OpenCL C
    .language_version:
      - 2
      - 0
    .max_flat_workgroup_size: 1024
    .name:           _ZN2at6native6sbtopk10gatherTopKIhmLi3ELb0EEEvNS_4cuda6detail10TensorInfoIKT_T0_EES8_S8_bS8_S8_NS5_IS6_S8_EES8_NS5_IlS8_EES8_PS6_
    .private_segment_fixed_size: 0
    .sgpr_count:     107
    .sgpr_spill_count: 2
    .symbol:         _ZN2at6native6sbtopk10gatherTopKIhmLi3ELb0EEEvNS_4cuda6detail10TensorInfoIKT_T0_EES8_S8_bS8_S8_NS5_IS6_S8_EES8_NS5_IlS8_EES8_PS6_.kd
    .uniform_work_group_size: 1
    .uses_dynamic_stack: false
    .vgpr_count:     34
    .vgpr_spill_count: 0
    .wavefront_size: 32
    .workgroup_processor_mode: 1
  - .args:
      - .offset:         0
        .size:           416
        .value_kind:     by_value
      - .offset:         416
        .size:           4
        .value_kind:     by_value
      - .address_space:  global
        .offset:         424
        .size:           8
        .value_kind:     global_buffer
      - .offset:         432
        .size:           4
        .value_kind:     by_value
      - .offset:         440
        .size:           8
        .value_kind:     by_value
      - .offset:         448
        .size:           4
        .value_kind:     by_value
      - .offset:         452
        .size:           4
        .value_kind:     by_value
      - .offset:         456
        .size:           4
        .value_kind:     by_value
      - .offset:         460
        .size:           4
        .value_kind:     by_value
      - .address_space:  global
        .offset:         464
        .size:           8
        .value_kind:     global_buffer
      - .address_space:  global
        .offset:         472
        .size:           8
        .value_kind:     global_buffer
      - .offset:         480
        .size:           4
        .value_kind:     hidden_block_count_x
      - .offset:         484
        .size:           4
        .value_kind:     hidden_block_count_y
      - .offset:         488
        .size:           4
        .value_kind:     hidden_block_count_z
      - .offset:         492
        .size:           2
        .value_kind:     hidden_group_size_x
      - .offset:         494
        .size:           2
        .value_kind:     hidden_group_size_y
      - .offset:         496
        .size:           2
        .value_kind:     hidden_group_size_z
      - .offset:         498
        .size:           2
        .value_kind:     hidden_remainder_x
      - .offset:         500
        .size:           2
        .value_kind:     hidden_remainder_y
      - .offset:         502
        .size:           2
        .value_kind:     hidden_remainder_z
      - .offset:         520
        .size:           8
        .value_kind:     hidden_global_offset_x
      - .offset:         528
        .size:           8
        .value_kind:     hidden_global_offset_y
      - .offset:         536
        .size:           8
        .value_kind:     hidden_global_offset_z
      - .offset:         544
        .size:           2
        .value_kind:     hidden_grid_dims
    .group_segment_fixed_size: 1024
    .kernarg_segment_align: 8
    .kernarg_segment_size: 736
    .language:       OpenCL C
    .language_version:
      - 2
      - 0
    .max_flat_workgroup_size: 256
    .name:           _ZN2at6native6mbtopk23computeBlockDigitCountsIhmjLin1EEEvNS_4cuda6detail10TensorInfoIKT_T0_EEjPjjS8_iijT1_PSB_Ps
    .private_segment_fixed_size: 0
    .sgpr_count:     34
    .sgpr_spill_count: 0
    .symbol:         _ZN2at6native6mbtopk23computeBlockDigitCountsIhmjLin1EEEvNS_4cuda6detail10TensorInfoIKT_T0_EEjPjjS8_iijT1_PSB_Ps.kd
    .uniform_work_group_size: 1
    .uses_dynamic_stack: false
    .vgpr_count:     9
    .vgpr_spill_count: 0
    .wavefront_size: 32
    .workgroup_processor_mode: 1
  - .args:
      - .offset:         0
        .size:           416
        .value_kind:     by_value
      - .offset:         416
        .size:           8
        .value_kind:     by_value
      - .offset:         424
        .size:           8
        .value_kind:     by_value
      - .offset:         432
        .size:           1
        .value_kind:     by_value
      - .offset:         436
        .size:           4
        .value_kind:     by_value
      - .offset:         440
        .size:           8
        .value_kind:     by_value
      - .offset:         448
        .size:           416
        .value_kind:     by_value
      - .offset:         864
        .size:           8
        .value_kind:     by_value
      - .offset:         872
        .size:           416
        .value_kind:     by_value
      - .offset:         1288
        .size:           8
        .value_kind:     by_value
      - .offset:         1296
        .size:           4
        .value_kind:     by_value
      - .offset:         1300
        .size:           4
        .value_kind:     by_value
      - .address_space:  global
        .offset:         1304
        .size:           8
        .value_kind:     global_buffer
      - .address_space:  global
        .offset:         1312
        .size:           8
        .value_kind:     global_buffer
      - .address_space:  global
        .offset:         1320
        .size:           8
        .value_kind:     global_buffer
      - .offset:         1328
        .size:           4
        .value_kind:     by_value
      - .offset:         1336
        .size:           4
        .value_kind:     hidden_block_count_x
      - .offset:         1340
        .size:           4
        .value_kind:     hidden_block_count_y
      - .offset:         1344
        .size:           4
        .value_kind:     hidden_block_count_z
      - .offset:         1348
        .size:           2
        .value_kind:     hidden_group_size_x
      - .offset:         1350
        .size:           2
        .value_kind:     hidden_group_size_y
      - .offset:         1352
        .size:           2
        .value_kind:     hidden_group_size_z
      - .offset:         1354
        .size:           2
        .value_kind:     hidden_remainder_x
      - .offset:         1356
        .size:           2
        .value_kind:     hidden_remainder_y
      - .offset:         1358
        .size:           2
        .value_kind:     hidden_remainder_z
      - .offset:         1376
        .size:           8
        .value_kind:     hidden_global_offset_x
      - .offset:         1384
        .size:           8
        .value_kind:     hidden_global_offset_y
      - .offset:         1392
        .size:           8
        .value_kind:     hidden_global_offset_z
      - .offset:         1400
        .size:           2
        .value_kind:     hidden_grid_dims
    .group_segment_fixed_size: 1068
    .kernarg_segment_align: 8
    .kernarg_segment_size: 1592
    .language:       OpenCL C
    .language_version:
      - 2
      - 0
    .max_flat_workgroup_size: 256
    .name:           _ZN2at6native6mbtopk10gatherTopKIhmLin1EEEvNS_4cuda6detail10TensorInfoIKT_T0_EES8_S8_bjS8_NS5_IS6_S8_EES8_NS5_IlS8_EES8_jjPS6_PjSD_j
    .private_segment_fixed_size: 0
    .sgpr_count:     58
    .sgpr_spill_count: 0
    .symbol:         _ZN2at6native6mbtopk10gatherTopKIhmLin1EEEvNS_4cuda6detail10TensorInfoIKT_T0_EES8_S8_bjS8_NS5_IS6_S8_EES8_NS5_IlS8_EES8_jjPS6_PjSD_j.kd
    .uniform_work_group_size: 1
    .uses_dynamic_stack: false
    .vgpr_count:     25
    .vgpr_spill_count: 0
    .wavefront_size: 32
    .workgroup_processor_mode: 1
  - .args:
      - .offset:         0
        .size:           416
        .value_kind:     by_value
      - .offset:         416
        .size:           8
        .value_kind:     by_value
      - .offset:         424
        .size:           8
        .value_kind:     by_value
      - .offset:         432
        .size:           1
        .value_kind:     by_value
      - .offset:         440
        .size:           8
        .value_kind:     by_value
      - .offset:         448
        .size:           8
        .value_kind:     by_value
      - .offset:         456
        .size:           416
        .value_kind:     by_value
      - .offset:         872
        .size:           8
        .value_kind:     by_value
      - .offset:         880
        .size:           416
        .value_kind:     by_value
      - .offset:         1296
        .size:           8
        .value_kind:     by_value
      - .address_space:  global
        .offset:         1304
        .size:           8
        .value_kind:     global_buffer
      - .offset:         1312
        .size:           4
        .value_kind:     hidden_block_count_x
      - .offset:         1316
        .size:           4
        .value_kind:     hidden_block_count_y
      - .offset:         1320
        .size:           4
        .value_kind:     hidden_block_count_z
      - .offset:         1324
        .size:           2
        .value_kind:     hidden_group_size_x
      - .offset:         1326
        .size:           2
        .value_kind:     hidden_group_size_y
      - .offset:         1328
        .size:           2
        .value_kind:     hidden_group_size_z
      - .offset:         1330
        .size:           2
        .value_kind:     hidden_remainder_x
      - .offset:         1332
        .size:           2
        .value_kind:     hidden_remainder_y
      - .offset:         1334
        .size:           2
        .value_kind:     hidden_remainder_z
      - .offset:         1352
        .size:           8
        .value_kind:     hidden_global_offset_x
      - .offset:         1360
        .size:           8
        .value_kind:     hidden_global_offset_y
      - .offset:         1368
        .size:           8
        .value_kind:     hidden_global_offset_z
      - .offset:         1376
        .size:           2
        .value_kind:     hidden_grid_dims
    .group_segment_fixed_size: 5152
    .kernarg_segment_align: 8
    .kernarg_segment_size: 1568
    .language:       OpenCL C
    .language_version:
      - 2
      - 0
    .max_flat_workgroup_size: 1024
    .name:           _ZN2at6native6sbtopk10gatherTopKIhmLin1ELb0EEEvNS_4cuda6detail10TensorInfoIKT_T0_EES8_S8_bS8_S8_NS5_IS6_S8_EES8_NS5_IlS8_EES8_PS6_
    .private_segment_fixed_size: 0
    .sgpr_count:     107
    .sgpr_spill_count: 6
    .symbol:         _ZN2at6native6sbtopk10gatherTopKIhmLin1ELb0EEEvNS_4cuda6detail10TensorInfoIKT_T0_EES8_S8_bS8_S8_NS5_IS6_S8_EES8_NS5_IlS8_EES8_PS6_.kd
    .uniform_work_group_size: 1
    .uses_dynamic_stack: false
    .vgpr_count:     46
    .vgpr_spill_count: 0
    .wavefront_size: 32
    .workgroup_processor_mode: 1
  - .args:
      - .offset:         0
        .size:           416
        .value_kind:     by_value
      - .offset:         416
        .size:           4
        .value_kind:     by_value
      - .address_space:  global
        .offset:         424
        .size:           8
        .value_kind:     global_buffer
      - .offset:         432
        .size:           4
        .value_kind:     by_value
      - .offset:         440
        .size:           8
        .value_kind:     by_value
      - .offset:         448
        .size:           4
        .value_kind:     by_value
      - .offset:         452
        .size:           4
        .value_kind:     by_value
      - .offset:         456
        .size:           4
        .value_kind:     by_value
      - .offset:         460
        .size:           4
        .value_kind:     by_value
      - .address_space:  global
        .offset:         464
        .size:           8
        .value_kind:     global_buffer
      - .address_space:  global
        .offset:         472
        .size:           8
        .value_kind:     global_buffer
      - .offset:         480
        .size:           4
        .value_kind:     hidden_block_count_x
      - .offset:         484
        .size:           4
        .value_kind:     hidden_block_count_y
      - .offset:         488
        .size:           4
        .value_kind:     hidden_block_count_z
      - .offset:         492
        .size:           2
        .value_kind:     hidden_group_size_x
      - .offset:         494
        .size:           2
        .value_kind:     hidden_group_size_y
      - .offset:         496
        .size:           2
        .value_kind:     hidden_group_size_z
      - .offset:         498
        .size:           2
        .value_kind:     hidden_remainder_x
      - .offset:         500
        .size:           2
        .value_kind:     hidden_remainder_y
      - .offset:         502
        .size:           2
        .value_kind:     hidden_remainder_z
      - .offset:         520
        .size:           8
        .value_kind:     hidden_global_offset_x
      - .offset:         528
        .size:           8
        .value_kind:     hidden_global_offset_y
      - .offset:         536
        .size:           8
        .value_kind:     hidden_global_offset_z
      - .offset:         544
        .size:           2
        .value_kind:     hidden_grid_dims
    .group_segment_fixed_size: 1024
    .kernarg_segment_align: 8
    .kernarg_segment_size: 736
    .language:       OpenCL C
    .language_version:
      - 2
      - 0
    .max_flat_workgroup_size: 256
    .name:           _ZN2at6native6mbtopk23computeBlockDigitCountsIamjLi1EEEvNS_4cuda6detail10TensorInfoIKT_T0_EEjPjjS8_iijT1_PSB_Ps
    .private_segment_fixed_size: 0
    .sgpr_count:     22
    .sgpr_spill_count: 0
    .symbol:         _ZN2at6native6mbtopk23computeBlockDigitCountsIamjLi1EEEvNS_4cuda6detail10TensorInfoIKT_T0_EEjPjjS8_iijT1_PSB_Ps.kd
    .uniform_work_group_size: 1
    .uses_dynamic_stack: false
    .vgpr_count:     10
    .vgpr_spill_count: 0
    .wavefront_size: 32
    .workgroup_processor_mode: 1
  - .args:
      - .offset:         0
        .size:           416
        .value_kind:     by_value
      - .offset:         416
        .size:           8
        .value_kind:     by_value
      - .offset:         424
        .size:           8
        .value_kind:     by_value
      - .offset:         432
        .size:           1
        .value_kind:     by_value
      - .offset:         436
        .size:           4
        .value_kind:     by_value
      - .offset:         440
        .size:           8
        .value_kind:     by_value
      - .offset:         448
        .size:           416
        .value_kind:     by_value
      - .offset:         864
        .size:           8
        .value_kind:     by_value
      - .offset:         872
        .size:           416
        .value_kind:     by_value
      - .offset:         1288
        .size:           8
        .value_kind:     by_value
      - .offset:         1296
        .size:           4
        .value_kind:     by_value
      - .offset:         1300
        .size:           4
        .value_kind:     by_value
      - .address_space:  global
        .offset:         1304
        .size:           8
        .value_kind:     global_buffer
      - .address_space:  global
        .offset:         1312
        .size:           8
        .value_kind:     global_buffer
      - .address_space:  global
        .offset:         1320
        .size:           8
        .value_kind:     global_buffer
      - .offset:         1328
        .size:           4
        .value_kind:     by_value
      - .offset:         1336
        .size:           4
        .value_kind:     hidden_block_count_x
      - .offset:         1340
        .size:           4
        .value_kind:     hidden_block_count_y
      - .offset:         1344
        .size:           4
        .value_kind:     hidden_block_count_z
      - .offset:         1348
        .size:           2
        .value_kind:     hidden_group_size_x
      - .offset:         1350
        .size:           2
        .value_kind:     hidden_group_size_y
      - .offset:         1352
        .size:           2
        .value_kind:     hidden_group_size_z
      - .offset:         1354
        .size:           2
        .value_kind:     hidden_remainder_x
      - .offset:         1356
        .size:           2
        .value_kind:     hidden_remainder_y
      - .offset:         1358
        .size:           2
        .value_kind:     hidden_remainder_z
      - .offset:         1376
        .size:           8
        .value_kind:     hidden_global_offset_x
      - .offset:         1384
        .size:           8
        .value_kind:     hidden_global_offset_y
      - .offset:         1392
        .size:           8
        .value_kind:     hidden_global_offset_z
      - .offset:         1400
        .size:           2
        .value_kind:     hidden_grid_dims
    .group_segment_fixed_size: 1068
    .kernarg_segment_align: 8
    .kernarg_segment_size: 1592
    .language:       OpenCL C
    .language_version:
      - 2
      - 0
    .max_flat_workgroup_size: 256
    .name:           _ZN2at6native6mbtopk10gatherTopKIamLi1EEEvNS_4cuda6detail10TensorInfoIKT_T0_EES8_S8_bjS8_NS5_IS6_S8_EES8_NS5_IlS8_EES8_jjPS6_PjSD_j
    .private_segment_fixed_size: 0
    .sgpr_count:     43
    .sgpr_spill_count: 0
    .symbol:         _ZN2at6native6mbtopk10gatherTopKIamLi1EEEvNS_4cuda6detail10TensorInfoIKT_T0_EES8_S8_bjS8_NS5_IS6_S8_EES8_NS5_IlS8_EES8_jjPS6_PjSD_j.kd
    .uniform_work_group_size: 1
    .uses_dynamic_stack: false
    .vgpr_count:     26
    .vgpr_spill_count: 0
    .wavefront_size: 32
    .workgroup_processor_mode: 1
  - .args:
      - .offset:         0
        .size:           416
        .value_kind:     by_value
      - .offset:         416
        .size:           8
        .value_kind:     by_value
      - .offset:         424
        .size:           8
        .value_kind:     by_value
      - .offset:         432
        .size:           1
        .value_kind:     by_value
      - .offset:         440
        .size:           8
        .value_kind:     by_value
      - .offset:         448
        .size:           8
        .value_kind:     by_value
      - .offset:         456
        .size:           416
        .value_kind:     by_value
      - .offset:         872
        .size:           8
        .value_kind:     by_value
      - .offset:         880
        .size:           416
        .value_kind:     by_value
      - .offset:         1296
        .size:           8
        .value_kind:     by_value
      - .address_space:  global
        .offset:         1304
        .size:           8
        .value_kind:     global_buffer
      - .offset:         1312
        .size:           4
        .value_kind:     hidden_block_count_x
      - .offset:         1316
        .size:           4
        .value_kind:     hidden_block_count_y
      - .offset:         1320
        .size:           4
        .value_kind:     hidden_block_count_z
      - .offset:         1324
        .size:           2
        .value_kind:     hidden_group_size_x
      - .offset:         1326
        .size:           2
        .value_kind:     hidden_group_size_y
      - .offset:         1328
        .size:           2
        .value_kind:     hidden_group_size_z
      - .offset:         1330
        .size:           2
        .value_kind:     hidden_remainder_x
      - .offset:         1332
        .size:           2
        .value_kind:     hidden_remainder_y
      - .offset:         1334
        .size:           2
        .value_kind:     hidden_remainder_z
      - .offset:         1352
        .size:           8
        .value_kind:     hidden_global_offset_x
      - .offset:         1360
        .size:           8
        .value_kind:     hidden_global_offset_y
      - .offset:         1368
        .size:           8
        .value_kind:     hidden_global_offset_z
      - .offset:         1376
        .size:           2
        .value_kind:     hidden_grid_dims
    .group_segment_fixed_size: 5152
    .kernarg_segment_align: 8
    .kernarg_segment_size: 1568
    .language:       OpenCL C
    .language_version:
      - 2
      - 0
    .max_flat_workgroup_size: 1024
    .name:           _ZN2at6native6sbtopk10gatherTopKIamLi1ELb0EEEvNS_4cuda6detail10TensorInfoIKT_T0_EES8_S8_bS8_S8_NS5_IS6_S8_EES8_NS5_IlS8_EES8_PS6_
    .private_segment_fixed_size: 0
    .sgpr_count:     107
    .sgpr_spill_count: 0
    .symbol:         _ZN2at6native6sbtopk10gatherTopKIamLi1ELb0EEEvNS_4cuda6detail10TensorInfoIKT_T0_EES8_S8_bS8_S8_NS5_IS6_S8_EES8_NS5_IlS8_EES8_PS6_.kd
    .uniform_work_group_size: 1
    .uses_dynamic_stack: false
    .vgpr_count:     41
    .vgpr_spill_count: 0
    .wavefront_size: 32
    .workgroup_processor_mode: 1
  - .args:
      - .offset:         0
        .size:           416
        .value_kind:     by_value
      - .offset:         416
        .size:           4
        .value_kind:     by_value
      - .address_space:  global
        .offset:         424
        .size:           8
        .value_kind:     global_buffer
      - .offset:         432
        .size:           4
        .value_kind:     by_value
      - .offset:         440
        .size:           8
        .value_kind:     by_value
      - .offset:         448
        .size:           4
        .value_kind:     by_value
      - .offset:         452
        .size:           4
        .value_kind:     by_value
      - .offset:         456
        .size:           4
        .value_kind:     by_value
      - .offset:         460
        .size:           4
        .value_kind:     by_value
      - .address_space:  global
        .offset:         464
        .size:           8
        .value_kind:     global_buffer
      - .address_space:  global
        .offset:         472
        .size:           8
        .value_kind:     global_buffer
      - .offset:         480
        .size:           4
        .value_kind:     hidden_block_count_x
      - .offset:         484
        .size:           4
        .value_kind:     hidden_block_count_y
      - .offset:         488
        .size:           4
        .value_kind:     hidden_block_count_z
      - .offset:         492
        .size:           2
        .value_kind:     hidden_group_size_x
      - .offset:         494
        .size:           2
        .value_kind:     hidden_group_size_y
      - .offset:         496
        .size:           2
        .value_kind:     hidden_group_size_z
      - .offset:         498
        .size:           2
        .value_kind:     hidden_remainder_x
      - .offset:         500
        .size:           2
        .value_kind:     hidden_remainder_y
      - .offset:         502
        .size:           2
        .value_kind:     hidden_remainder_z
      - .offset:         520
        .size:           8
        .value_kind:     hidden_global_offset_x
      - .offset:         528
        .size:           8
        .value_kind:     hidden_global_offset_y
      - .offset:         536
        .size:           8
        .value_kind:     hidden_global_offset_z
      - .offset:         544
        .size:           2
        .value_kind:     hidden_grid_dims
    .group_segment_fixed_size: 1024
    .kernarg_segment_align: 8
    .kernarg_segment_size: 736
    .language:       OpenCL C
    .language_version:
      - 2
      - 0
    .max_flat_workgroup_size: 256
    .name:           _ZN2at6native6mbtopk23computeBlockDigitCountsIamjLi2EEEvNS_4cuda6detail10TensorInfoIKT_T0_EEjPjjS8_iijT1_PSB_Ps
    .private_segment_fixed_size: 0
    .sgpr_count:     27
    .sgpr_spill_count: 0
    .symbol:         _ZN2at6native6mbtopk23computeBlockDigitCountsIamjLi2EEEvNS_4cuda6detail10TensorInfoIKT_T0_EEjPjjS8_iijT1_PSB_Ps.kd
    .uniform_work_group_size: 1
    .uses_dynamic_stack: false
    .vgpr_count:     10
    .vgpr_spill_count: 0
    .wavefront_size: 32
    .workgroup_processor_mode: 1
  - .args:
      - .offset:         0
        .size:           416
        .value_kind:     by_value
      - .offset:         416
        .size:           8
        .value_kind:     by_value
      - .offset:         424
        .size:           8
        .value_kind:     by_value
      - .offset:         432
        .size:           1
        .value_kind:     by_value
      - .offset:         436
        .size:           4
        .value_kind:     by_value
      - .offset:         440
        .size:           8
        .value_kind:     by_value
      - .offset:         448
        .size:           416
        .value_kind:     by_value
      - .offset:         864
        .size:           8
        .value_kind:     by_value
      - .offset:         872
        .size:           416
        .value_kind:     by_value
      - .offset:         1288
        .size:           8
        .value_kind:     by_value
      - .offset:         1296
        .size:           4
        .value_kind:     by_value
      - .offset:         1300
        .size:           4
        .value_kind:     by_value
      - .address_space:  global
        .offset:         1304
        .size:           8
        .value_kind:     global_buffer
      - .address_space:  global
        .offset:         1312
        .size:           8
        .value_kind:     global_buffer
      - .address_space:  global
        .offset:         1320
        .size:           8
        .value_kind:     global_buffer
      - .offset:         1328
        .size:           4
        .value_kind:     by_value
      - .offset:         1336
        .size:           4
        .value_kind:     hidden_block_count_x
      - .offset:         1340
        .size:           4
        .value_kind:     hidden_block_count_y
      - .offset:         1344
        .size:           4
        .value_kind:     hidden_block_count_z
      - .offset:         1348
        .size:           2
        .value_kind:     hidden_group_size_x
      - .offset:         1350
        .size:           2
        .value_kind:     hidden_group_size_y
      - .offset:         1352
        .size:           2
        .value_kind:     hidden_group_size_z
      - .offset:         1354
        .size:           2
        .value_kind:     hidden_remainder_x
      - .offset:         1356
        .size:           2
        .value_kind:     hidden_remainder_y
      - .offset:         1358
        .size:           2
        .value_kind:     hidden_remainder_z
      - .offset:         1376
        .size:           8
        .value_kind:     hidden_global_offset_x
      - .offset:         1384
        .size:           8
        .value_kind:     hidden_global_offset_y
      - .offset:         1392
        .size:           8
        .value_kind:     hidden_global_offset_z
      - .offset:         1400
        .size:           2
        .value_kind:     hidden_grid_dims
    .group_segment_fixed_size: 1068
    .kernarg_segment_align: 8
    .kernarg_segment_size: 1592
    .language:       OpenCL C
    .language_version:
      - 2
      - 0
    .max_flat_workgroup_size: 256
    .name:           _ZN2at6native6mbtopk10gatherTopKIamLi2EEEvNS_4cuda6detail10TensorInfoIKT_T0_EES8_S8_bjS8_NS5_IS6_S8_EES8_NS5_IlS8_EES8_jjPS6_PjSD_j
    .private_segment_fixed_size: 0
    .sgpr_count:     51
    .sgpr_spill_count: 0
    .symbol:         _ZN2at6native6mbtopk10gatherTopKIamLi2EEEvNS_4cuda6detail10TensorInfoIKT_T0_EES8_S8_bjS8_NS5_IS6_S8_EES8_NS5_IlS8_EES8_jjPS6_PjSD_j.kd
    .uniform_work_group_size: 1
    .uses_dynamic_stack: false
    .vgpr_count:     26
    .vgpr_spill_count: 0
    .wavefront_size: 32
    .workgroup_processor_mode: 1
  - .args:
      - .offset:         0
        .size:           416
        .value_kind:     by_value
      - .offset:         416
        .size:           8
        .value_kind:     by_value
      - .offset:         424
        .size:           8
        .value_kind:     by_value
      - .offset:         432
        .size:           1
        .value_kind:     by_value
      - .offset:         440
        .size:           8
        .value_kind:     by_value
      - .offset:         448
        .size:           8
        .value_kind:     by_value
      - .offset:         456
        .size:           416
        .value_kind:     by_value
      - .offset:         872
        .size:           8
        .value_kind:     by_value
      - .offset:         880
        .size:           416
        .value_kind:     by_value
      - .offset:         1296
        .size:           8
        .value_kind:     by_value
      - .address_space:  global
        .offset:         1304
        .size:           8
        .value_kind:     global_buffer
      - .offset:         1312
        .size:           4
        .value_kind:     hidden_block_count_x
      - .offset:         1316
        .size:           4
        .value_kind:     hidden_block_count_y
      - .offset:         1320
        .size:           4
        .value_kind:     hidden_block_count_z
      - .offset:         1324
        .size:           2
        .value_kind:     hidden_group_size_x
      - .offset:         1326
        .size:           2
        .value_kind:     hidden_group_size_y
      - .offset:         1328
        .size:           2
        .value_kind:     hidden_group_size_z
      - .offset:         1330
        .size:           2
        .value_kind:     hidden_remainder_x
      - .offset:         1332
        .size:           2
        .value_kind:     hidden_remainder_y
      - .offset:         1334
        .size:           2
        .value_kind:     hidden_remainder_z
      - .offset:         1352
        .size:           8
        .value_kind:     hidden_global_offset_x
      - .offset:         1360
        .size:           8
        .value_kind:     hidden_global_offset_y
      - .offset:         1368
        .size:           8
        .value_kind:     hidden_global_offset_z
      - .offset:         1376
        .size:           2
        .value_kind:     hidden_grid_dims
    .group_segment_fixed_size: 5152
    .kernarg_segment_align: 8
    .kernarg_segment_size: 1568
    .language:       OpenCL C
    .language_version:
      - 2
      - 0
    .max_flat_workgroup_size: 1024
    .name:           _ZN2at6native6sbtopk10gatherTopKIamLi2ELb0EEEvNS_4cuda6detail10TensorInfoIKT_T0_EES8_S8_bS8_S8_NS5_IS6_S8_EES8_NS5_IlS8_EES8_PS6_
    .private_segment_fixed_size: 0
    .sgpr_count:     107
    .sgpr_spill_count: 0
    .symbol:         _ZN2at6native6sbtopk10gatherTopKIamLi2ELb0EEEvNS_4cuda6detail10TensorInfoIKT_T0_EES8_S8_bS8_S8_NS5_IS6_S8_EES8_NS5_IlS8_EES8_PS6_.kd
    .uniform_work_group_size: 1
    .uses_dynamic_stack: false
    .vgpr_count:     33
    .vgpr_spill_count: 0
    .wavefront_size: 32
    .workgroup_processor_mode: 1
  - .args:
      - .offset:         0
        .size:           416
        .value_kind:     by_value
      - .offset:         416
        .size:           4
        .value_kind:     by_value
      - .address_space:  global
        .offset:         424
        .size:           8
        .value_kind:     global_buffer
      - .offset:         432
        .size:           4
        .value_kind:     by_value
      - .offset:         440
        .size:           8
        .value_kind:     by_value
      - .offset:         448
        .size:           4
        .value_kind:     by_value
      - .offset:         452
        .size:           4
        .value_kind:     by_value
      - .offset:         456
        .size:           4
        .value_kind:     by_value
      - .offset:         460
        .size:           4
        .value_kind:     by_value
      - .address_space:  global
        .offset:         464
        .size:           8
        .value_kind:     global_buffer
      - .address_space:  global
        .offset:         472
        .size:           8
        .value_kind:     global_buffer
      - .offset:         480
        .size:           4
        .value_kind:     hidden_block_count_x
      - .offset:         484
        .size:           4
        .value_kind:     hidden_block_count_y
      - .offset:         488
        .size:           4
        .value_kind:     hidden_block_count_z
      - .offset:         492
        .size:           2
        .value_kind:     hidden_group_size_x
      - .offset:         494
        .size:           2
        .value_kind:     hidden_group_size_y
      - .offset:         496
        .size:           2
        .value_kind:     hidden_group_size_z
      - .offset:         498
        .size:           2
        .value_kind:     hidden_remainder_x
      - .offset:         500
        .size:           2
        .value_kind:     hidden_remainder_y
      - .offset:         502
        .size:           2
        .value_kind:     hidden_remainder_z
      - .offset:         520
        .size:           8
        .value_kind:     hidden_global_offset_x
      - .offset:         528
        .size:           8
        .value_kind:     hidden_global_offset_y
      - .offset:         536
        .size:           8
        .value_kind:     hidden_global_offset_z
      - .offset:         544
        .size:           2
        .value_kind:     hidden_grid_dims
    .group_segment_fixed_size: 1024
    .kernarg_segment_align: 8
    .kernarg_segment_size: 736
    .language:       OpenCL C
    .language_version:
      - 2
      - 0
    .max_flat_workgroup_size: 256
    .name:           _ZN2at6native6mbtopk23computeBlockDigitCountsIamjLi3EEEvNS_4cuda6detail10TensorInfoIKT_T0_EEjPjjS8_iijT1_PSB_Ps
    .private_segment_fixed_size: 0
    .sgpr_count:     34
    .sgpr_spill_count: 0
    .symbol:         _ZN2at6native6mbtopk23computeBlockDigitCountsIamjLi3EEEvNS_4cuda6detail10TensorInfoIKT_T0_EEjPjjS8_iijT1_PSB_Ps.kd
    .uniform_work_group_size: 1
    .uses_dynamic_stack: false
    .vgpr_count:     10
    .vgpr_spill_count: 0
    .wavefront_size: 32
    .workgroup_processor_mode: 1
  - .args:
      - .offset:         0
        .size:           416
        .value_kind:     by_value
      - .offset:         416
        .size:           8
        .value_kind:     by_value
      - .offset:         424
        .size:           8
        .value_kind:     by_value
      - .offset:         432
        .size:           1
        .value_kind:     by_value
      - .offset:         436
        .size:           4
        .value_kind:     by_value
      - .offset:         440
        .size:           8
        .value_kind:     by_value
      - .offset:         448
        .size:           416
        .value_kind:     by_value
      - .offset:         864
        .size:           8
        .value_kind:     by_value
      - .offset:         872
        .size:           416
        .value_kind:     by_value
      - .offset:         1288
        .size:           8
        .value_kind:     by_value
      - .offset:         1296
        .size:           4
        .value_kind:     by_value
      - .offset:         1300
        .size:           4
        .value_kind:     by_value
      - .address_space:  global
        .offset:         1304
        .size:           8
        .value_kind:     global_buffer
      - .address_space:  global
        .offset:         1312
        .size:           8
        .value_kind:     global_buffer
      - .address_space:  global
        .offset:         1320
        .size:           8
        .value_kind:     global_buffer
      - .offset:         1328
        .size:           4
        .value_kind:     by_value
      - .offset:         1336
        .size:           4
        .value_kind:     hidden_block_count_x
      - .offset:         1340
        .size:           4
        .value_kind:     hidden_block_count_y
      - .offset:         1344
        .size:           4
        .value_kind:     hidden_block_count_z
      - .offset:         1348
        .size:           2
        .value_kind:     hidden_group_size_x
      - .offset:         1350
        .size:           2
        .value_kind:     hidden_group_size_y
      - .offset:         1352
        .size:           2
        .value_kind:     hidden_group_size_z
      - .offset:         1354
        .size:           2
        .value_kind:     hidden_remainder_x
      - .offset:         1356
        .size:           2
        .value_kind:     hidden_remainder_y
      - .offset:         1358
        .size:           2
        .value_kind:     hidden_remainder_z
      - .offset:         1376
        .size:           8
        .value_kind:     hidden_global_offset_x
      - .offset:         1384
        .size:           8
        .value_kind:     hidden_global_offset_y
      - .offset:         1392
        .size:           8
        .value_kind:     hidden_global_offset_z
      - .offset:         1400
        .size:           2
        .value_kind:     hidden_grid_dims
    .group_segment_fixed_size: 1068
    .kernarg_segment_align: 8
    .kernarg_segment_size: 1592
    .language:       OpenCL C
    .language_version:
      - 2
      - 0
    .max_flat_workgroup_size: 256
    .name:           _ZN2at6native6mbtopk10gatherTopKIamLi3EEEvNS_4cuda6detail10TensorInfoIKT_T0_EES8_S8_bjS8_NS5_IS6_S8_EES8_NS5_IlS8_EES8_jjPS6_PjSD_j
    .private_segment_fixed_size: 0
    .sgpr_count:     76
    .sgpr_spill_count: 0
    .symbol:         _ZN2at6native6mbtopk10gatherTopKIamLi3EEEvNS_4cuda6detail10TensorInfoIKT_T0_EES8_S8_bjS8_NS5_IS6_S8_EES8_NS5_IlS8_EES8_jjPS6_PjSD_j.kd
    .uniform_work_group_size: 1
    .uses_dynamic_stack: false
    .vgpr_count:     26
    .vgpr_spill_count: 0
    .wavefront_size: 32
    .workgroup_processor_mode: 1
  - .args:
      - .offset:         0
        .size:           416
        .value_kind:     by_value
      - .offset:         416
        .size:           8
        .value_kind:     by_value
      - .offset:         424
        .size:           8
        .value_kind:     by_value
      - .offset:         432
        .size:           1
        .value_kind:     by_value
      - .offset:         440
        .size:           8
        .value_kind:     by_value
      - .offset:         448
        .size:           8
        .value_kind:     by_value
      - .offset:         456
        .size:           416
        .value_kind:     by_value
      - .offset:         872
        .size:           8
        .value_kind:     by_value
      - .offset:         880
        .size:           416
        .value_kind:     by_value
      - .offset:         1296
        .size:           8
        .value_kind:     by_value
      - .address_space:  global
        .offset:         1304
        .size:           8
        .value_kind:     global_buffer
      - .offset:         1312
        .size:           4
        .value_kind:     hidden_block_count_x
      - .offset:         1316
        .size:           4
        .value_kind:     hidden_block_count_y
      - .offset:         1320
        .size:           4
        .value_kind:     hidden_block_count_z
      - .offset:         1324
        .size:           2
        .value_kind:     hidden_group_size_x
      - .offset:         1326
        .size:           2
        .value_kind:     hidden_group_size_y
      - .offset:         1328
        .size:           2
        .value_kind:     hidden_group_size_z
      - .offset:         1330
        .size:           2
        .value_kind:     hidden_remainder_x
      - .offset:         1332
        .size:           2
        .value_kind:     hidden_remainder_y
      - .offset:         1334
        .size:           2
        .value_kind:     hidden_remainder_z
      - .offset:         1352
        .size:           8
        .value_kind:     hidden_global_offset_x
      - .offset:         1360
        .size:           8
        .value_kind:     hidden_global_offset_y
      - .offset:         1368
        .size:           8
        .value_kind:     hidden_global_offset_z
      - .offset:         1376
        .size:           2
        .value_kind:     hidden_grid_dims
    .group_segment_fixed_size: 5152
    .kernarg_segment_align: 8
    .kernarg_segment_size: 1568
    .language:       OpenCL C
    .language_version:
      - 2
      - 0
    .max_flat_workgroup_size: 1024
    .name:           _ZN2at6native6sbtopk10gatherTopKIamLi3ELb0EEEvNS_4cuda6detail10TensorInfoIKT_T0_EES8_S8_bS8_S8_NS5_IS6_S8_EES8_NS5_IlS8_EES8_PS6_
    .private_segment_fixed_size: 0
    .sgpr_count:     107
    .sgpr_spill_count: 2
    .symbol:         _ZN2at6native6sbtopk10gatherTopKIamLi3ELb0EEEvNS_4cuda6detail10TensorInfoIKT_T0_EES8_S8_bS8_S8_NS5_IS6_S8_EES8_NS5_IlS8_EES8_PS6_.kd
    .uniform_work_group_size: 1
    .uses_dynamic_stack: false
    .vgpr_count:     34
    .vgpr_spill_count: 0
    .wavefront_size: 32
    .workgroup_processor_mode: 1
  - .args:
      - .offset:         0
        .size:           416
        .value_kind:     by_value
      - .offset:         416
        .size:           4
        .value_kind:     by_value
      - .address_space:  global
        .offset:         424
        .size:           8
        .value_kind:     global_buffer
      - .offset:         432
        .size:           4
        .value_kind:     by_value
      - .offset:         440
        .size:           8
        .value_kind:     by_value
      - .offset:         448
        .size:           4
        .value_kind:     by_value
      - .offset:         452
        .size:           4
        .value_kind:     by_value
      - .offset:         456
        .size:           4
        .value_kind:     by_value
      - .offset:         460
        .size:           4
        .value_kind:     by_value
      - .address_space:  global
        .offset:         464
        .size:           8
        .value_kind:     global_buffer
      - .address_space:  global
        .offset:         472
        .size:           8
        .value_kind:     global_buffer
      - .offset:         480
        .size:           4
        .value_kind:     hidden_block_count_x
      - .offset:         484
        .size:           4
        .value_kind:     hidden_block_count_y
      - .offset:         488
        .size:           4
        .value_kind:     hidden_block_count_z
      - .offset:         492
        .size:           2
        .value_kind:     hidden_group_size_x
      - .offset:         494
        .size:           2
        .value_kind:     hidden_group_size_y
      - .offset:         496
        .size:           2
        .value_kind:     hidden_group_size_z
      - .offset:         498
        .size:           2
        .value_kind:     hidden_remainder_x
      - .offset:         500
        .size:           2
        .value_kind:     hidden_remainder_y
      - .offset:         502
        .size:           2
        .value_kind:     hidden_remainder_z
      - .offset:         520
        .size:           8
        .value_kind:     hidden_global_offset_x
      - .offset:         528
        .size:           8
        .value_kind:     hidden_global_offset_y
      - .offset:         536
        .size:           8
        .value_kind:     hidden_global_offset_z
      - .offset:         544
        .size:           2
        .value_kind:     hidden_grid_dims
    .group_segment_fixed_size: 1024
    .kernarg_segment_align: 8
    .kernarg_segment_size: 736
    .language:       OpenCL C
    .language_version:
      - 2
      - 0
    .max_flat_workgroup_size: 256
    .name:           _ZN2at6native6mbtopk23computeBlockDigitCountsIamjLin1EEEvNS_4cuda6detail10TensorInfoIKT_T0_EEjPjjS8_iijT1_PSB_Ps
    .private_segment_fixed_size: 0
    .sgpr_count:     34
    .sgpr_spill_count: 0
    .symbol:         _ZN2at6native6mbtopk23computeBlockDigitCountsIamjLin1EEEvNS_4cuda6detail10TensorInfoIKT_T0_EEjPjjS8_iijT1_PSB_Ps.kd
    .uniform_work_group_size: 1
    .uses_dynamic_stack: false
    .vgpr_count:     10
    .vgpr_spill_count: 0
    .wavefront_size: 32
    .workgroup_processor_mode: 1
  - .args:
      - .offset:         0
        .size:           416
        .value_kind:     by_value
      - .offset:         416
        .size:           8
        .value_kind:     by_value
      - .offset:         424
        .size:           8
        .value_kind:     by_value
      - .offset:         432
        .size:           1
        .value_kind:     by_value
      - .offset:         436
        .size:           4
        .value_kind:     by_value
      - .offset:         440
        .size:           8
        .value_kind:     by_value
      - .offset:         448
        .size:           416
        .value_kind:     by_value
      - .offset:         864
        .size:           8
        .value_kind:     by_value
      - .offset:         872
        .size:           416
        .value_kind:     by_value
      - .offset:         1288
        .size:           8
        .value_kind:     by_value
      - .offset:         1296
        .size:           4
        .value_kind:     by_value
      - .offset:         1300
        .size:           4
        .value_kind:     by_value
      - .address_space:  global
        .offset:         1304
        .size:           8
        .value_kind:     global_buffer
      - .address_space:  global
        .offset:         1312
        .size:           8
        .value_kind:     global_buffer
      - .address_space:  global
        .offset:         1320
        .size:           8
        .value_kind:     global_buffer
      - .offset:         1328
        .size:           4
        .value_kind:     by_value
      - .offset:         1336
        .size:           4
        .value_kind:     hidden_block_count_x
      - .offset:         1340
        .size:           4
        .value_kind:     hidden_block_count_y
      - .offset:         1344
        .size:           4
        .value_kind:     hidden_block_count_z
      - .offset:         1348
        .size:           2
        .value_kind:     hidden_group_size_x
      - .offset:         1350
        .size:           2
        .value_kind:     hidden_group_size_y
      - .offset:         1352
        .size:           2
        .value_kind:     hidden_group_size_z
      - .offset:         1354
        .size:           2
        .value_kind:     hidden_remainder_x
      - .offset:         1356
        .size:           2
        .value_kind:     hidden_remainder_y
      - .offset:         1358
        .size:           2
        .value_kind:     hidden_remainder_z
      - .offset:         1376
        .size:           8
        .value_kind:     hidden_global_offset_x
      - .offset:         1384
        .size:           8
        .value_kind:     hidden_global_offset_y
      - .offset:         1392
        .size:           8
        .value_kind:     hidden_global_offset_z
      - .offset:         1400
        .size:           2
        .value_kind:     hidden_grid_dims
    .group_segment_fixed_size: 1068
    .kernarg_segment_align: 8
    .kernarg_segment_size: 1592
    .language:       OpenCL C
    .language_version:
      - 2
      - 0
    .max_flat_workgroup_size: 256
    .name:           _ZN2at6native6mbtopk10gatherTopKIamLin1EEEvNS_4cuda6detail10TensorInfoIKT_T0_EES8_S8_bjS8_NS5_IS6_S8_EES8_NS5_IlS8_EES8_jjPS6_PjSD_j
    .private_segment_fixed_size: 0
    .sgpr_count:     58
    .sgpr_spill_count: 0
    .symbol:         _ZN2at6native6mbtopk10gatherTopKIamLin1EEEvNS_4cuda6detail10TensorInfoIKT_T0_EES8_S8_bjS8_NS5_IS6_S8_EES8_NS5_IlS8_EES8_jjPS6_PjSD_j.kd
    .uniform_work_group_size: 1
    .uses_dynamic_stack: false
    .vgpr_count:     26
    .vgpr_spill_count: 0
    .wavefront_size: 32
    .workgroup_processor_mode: 1
  - .args:
      - .offset:         0
        .size:           416
        .value_kind:     by_value
      - .offset:         416
        .size:           8
        .value_kind:     by_value
      - .offset:         424
        .size:           8
        .value_kind:     by_value
      - .offset:         432
        .size:           1
        .value_kind:     by_value
      - .offset:         440
        .size:           8
        .value_kind:     by_value
      - .offset:         448
        .size:           8
        .value_kind:     by_value
      - .offset:         456
        .size:           416
        .value_kind:     by_value
      - .offset:         872
        .size:           8
        .value_kind:     by_value
      - .offset:         880
        .size:           416
        .value_kind:     by_value
      - .offset:         1296
        .size:           8
        .value_kind:     by_value
      - .address_space:  global
        .offset:         1304
        .size:           8
        .value_kind:     global_buffer
      - .offset:         1312
        .size:           4
        .value_kind:     hidden_block_count_x
      - .offset:         1316
        .size:           4
        .value_kind:     hidden_block_count_y
      - .offset:         1320
        .size:           4
        .value_kind:     hidden_block_count_z
      - .offset:         1324
        .size:           2
        .value_kind:     hidden_group_size_x
      - .offset:         1326
        .size:           2
        .value_kind:     hidden_group_size_y
      - .offset:         1328
        .size:           2
        .value_kind:     hidden_group_size_z
      - .offset:         1330
        .size:           2
        .value_kind:     hidden_remainder_x
      - .offset:         1332
        .size:           2
        .value_kind:     hidden_remainder_y
      - .offset:         1334
        .size:           2
        .value_kind:     hidden_remainder_z
      - .offset:         1352
        .size:           8
        .value_kind:     hidden_global_offset_x
      - .offset:         1360
        .size:           8
        .value_kind:     hidden_global_offset_y
      - .offset:         1368
        .size:           8
        .value_kind:     hidden_global_offset_z
      - .offset:         1376
        .size:           2
        .value_kind:     hidden_grid_dims
    .group_segment_fixed_size: 5152
    .kernarg_segment_align: 8
    .kernarg_segment_size: 1568
    .language:       OpenCL C
    .language_version:
      - 2
      - 0
    .max_flat_workgroup_size: 1024
    .name:           _ZN2at6native6sbtopk10gatherTopKIamLin1ELb0EEEvNS_4cuda6detail10TensorInfoIKT_T0_EES8_S8_bS8_S8_NS5_IS6_S8_EES8_NS5_IlS8_EES8_PS6_
    .private_segment_fixed_size: 0
    .sgpr_count:     107
    .sgpr_spill_count: 6
    .symbol:         _ZN2at6native6sbtopk10gatherTopKIamLin1ELb0EEEvNS_4cuda6detail10TensorInfoIKT_T0_EES8_S8_bS8_S8_NS5_IS6_S8_EES8_NS5_IlS8_EES8_PS6_.kd
    .uniform_work_group_size: 1
    .uses_dynamic_stack: false
    .vgpr_count:     46
    .vgpr_spill_count: 0
    .wavefront_size: 32
    .workgroup_processor_mode: 1
  - .args:
      - .offset:         0
        .size:           416
        .value_kind:     by_value
      - .offset:         416
        .size:           4
        .value_kind:     by_value
      - .address_space:  global
        .offset:         424
        .size:           8
        .value_kind:     global_buffer
      - .offset:         432
        .size:           4
        .value_kind:     by_value
      - .offset:         440
        .size:           8
        .value_kind:     by_value
      - .offset:         448
        .size:           4
        .value_kind:     by_value
      - .offset:         452
        .size:           4
        .value_kind:     by_value
      - .offset:         456
        .size:           4
        .value_kind:     by_value
      - .offset:         460
        .size:           4
        .value_kind:     by_value
      - .address_space:  global
        .offset:         464
        .size:           8
        .value_kind:     global_buffer
      - .address_space:  global
        .offset:         472
        .size:           8
        .value_kind:     global_buffer
      - .offset:         480
        .size:           4
        .value_kind:     hidden_block_count_x
      - .offset:         484
        .size:           4
        .value_kind:     hidden_block_count_y
      - .offset:         488
        .size:           4
        .value_kind:     hidden_block_count_z
      - .offset:         492
        .size:           2
        .value_kind:     hidden_group_size_x
      - .offset:         494
        .size:           2
        .value_kind:     hidden_group_size_y
      - .offset:         496
        .size:           2
        .value_kind:     hidden_group_size_z
      - .offset:         498
        .size:           2
        .value_kind:     hidden_remainder_x
      - .offset:         500
        .size:           2
        .value_kind:     hidden_remainder_y
      - .offset:         502
        .size:           2
        .value_kind:     hidden_remainder_z
      - .offset:         520
        .size:           8
        .value_kind:     hidden_global_offset_x
      - .offset:         528
        .size:           8
        .value_kind:     hidden_global_offset_y
      - .offset:         536
        .size:           8
        .value_kind:     hidden_global_offset_z
      - .offset:         544
        .size:           2
        .value_kind:     hidden_grid_dims
    .group_segment_fixed_size: 1024
    .kernarg_segment_align: 8
    .kernarg_segment_size: 736
    .language:       OpenCL C
    .language_version:
      - 2
      - 0
    .max_flat_workgroup_size: 256
    .name:           _ZN2at6native6mbtopk23computeBlockDigitCountsIimjLi1EEEvNS_4cuda6detail10TensorInfoIKT_T0_EEjPjjS8_iijT1_PSB_Ps
    .private_segment_fixed_size: 0
    .sgpr_count:     24
    .sgpr_spill_count: 0
    .symbol:         _ZN2at6native6mbtopk23computeBlockDigitCountsIimjLi1EEEvNS_4cuda6detail10TensorInfoIKT_T0_EEjPjjS8_iijT1_PSB_Ps.kd
    .uniform_work_group_size: 1
    .uses_dynamic_stack: false
    .vgpr_count:     10
    .vgpr_spill_count: 0
    .wavefront_size: 32
    .workgroup_processor_mode: 1
  - .args:
      - .offset:         0
        .size:           416
        .value_kind:     by_value
      - .offset:         416
        .size:           8
        .value_kind:     by_value
      - .offset:         424
        .size:           8
        .value_kind:     by_value
      - .offset:         432
        .size:           1
        .value_kind:     by_value
      - .offset:         436
        .size:           4
        .value_kind:     by_value
      - .offset:         440
        .size:           8
        .value_kind:     by_value
      - .offset:         448
        .size:           416
        .value_kind:     by_value
      - .offset:         864
        .size:           8
        .value_kind:     by_value
      - .offset:         872
        .size:           416
        .value_kind:     by_value
      - .offset:         1288
        .size:           8
        .value_kind:     by_value
      - .offset:         1296
        .size:           4
        .value_kind:     by_value
      - .offset:         1300
        .size:           4
        .value_kind:     by_value
      - .address_space:  global
        .offset:         1304
        .size:           8
        .value_kind:     global_buffer
      - .address_space:  global
        .offset:         1312
        .size:           8
        .value_kind:     global_buffer
      - .address_space:  global
        .offset:         1320
        .size:           8
        .value_kind:     global_buffer
      - .offset:         1328
        .size:           4
        .value_kind:     by_value
      - .offset:         1336
        .size:           4
        .value_kind:     hidden_block_count_x
      - .offset:         1340
        .size:           4
        .value_kind:     hidden_block_count_y
      - .offset:         1344
        .size:           4
        .value_kind:     hidden_block_count_z
      - .offset:         1348
        .size:           2
        .value_kind:     hidden_group_size_x
      - .offset:         1350
        .size:           2
        .value_kind:     hidden_group_size_y
      - .offset:         1352
        .size:           2
        .value_kind:     hidden_group_size_z
      - .offset:         1354
        .size:           2
        .value_kind:     hidden_remainder_x
      - .offset:         1356
        .size:           2
        .value_kind:     hidden_remainder_y
      - .offset:         1358
        .size:           2
        .value_kind:     hidden_remainder_z
      - .offset:         1376
        .size:           8
        .value_kind:     hidden_global_offset_x
      - .offset:         1384
        .size:           8
        .value_kind:     hidden_global_offset_y
      - .offset:         1392
        .size:           8
        .value_kind:     hidden_global_offset_z
      - .offset:         1400
        .size:           2
        .value_kind:     hidden_grid_dims
    .group_segment_fixed_size: 1068
    .kernarg_segment_align: 8
    .kernarg_segment_size: 1592
    .language:       OpenCL C
    .language_version:
      - 2
      - 0
    .max_flat_workgroup_size: 256
    .name:           _ZN2at6native6mbtopk10gatherTopKIimLi1EEEvNS_4cuda6detail10TensorInfoIKT_T0_EES8_S8_bjS8_NS5_IS6_S8_EES8_NS5_IlS8_EES8_jjPS6_PjSD_j
    .private_segment_fixed_size: 0
    .sgpr_count:     44
    .sgpr_spill_count: 0
    .symbol:         _ZN2at6native6mbtopk10gatherTopKIimLi1EEEvNS_4cuda6detail10TensorInfoIKT_T0_EES8_S8_bjS8_NS5_IS6_S8_EES8_NS5_IlS8_EES8_jjPS6_PjSD_j.kd
    .uniform_work_group_size: 1
    .uses_dynamic_stack: false
    .vgpr_count:     24
    .vgpr_spill_count: 0
    .wavefront_size: 32
    .workgroup_processor_mode: 1
  - .args:
      - .offset:         0
        .size:           416
        .value_kind:     by_value
      - .offset:         416
        .size:           8
        .value_kind:     by_value
      - .offset:         424
        .size:           8
        .value_kind:     by_value
      - .offset:         432
        .size:           1
        .value_kind:     by_value
      - .offset:         440
        .size:           8
        .value_kind:     by_value
      - .offset:         448
        .size:           8
        .value_kind:     by_value
      - .offset:         456
        .size:           416
        .value_kind:     by_value
      - .offset:         872
        .size:           8
        .value_kind:     by_value
      - .offset:         880
        .size:           416
        .value_kind:     by_value
      - .offset:         1296
        .size:           8
        .value_kind:     by_value
      - .address_space:  global
        .offset:         1304
        .size:           8
        .value_kind:     global_buffer
      - .offset:         1312
        .size:           4
        .value_kind:     hidden_block_count_x
      - .offset:         1316
        .size:           4
        .value_kind:     hidden_block_count_y
      - .offset:         1320
        .size:           4
        .value_kind:     hidden_block_count_z
      - .offset:         1324
        .size:           2
        .value_kind:     hidden_group_size_x
      - .offset:         1326
        .size:           2
        .value_kind:     hidden_group_size_y
      - .offset:         1328
        .size:           2
        .value_kind:     hidden_group_size_z
      - .offset:         1330
        .size:           2
        .value_kind:     hidden_remainder_x
      - .offset:         1332
        .size:           2
        .value_kind:     hidden_remainder_y
      - .offset:         1334
        .size:           2
        .value_kind:     hidden_remainder_z
      - .offset:         1352
        .size:           8
        .value_kind:     hidden_global_offset_x
      - .offset:         1360
        .size:           8
        .value_kind:     hidden_global_offset_y
      - .offset:         1368
        .size:           8
        .value_kind:     hidden_global_offset_z
      - .offset:         1376
        .size:           2
        .value_kind:     hidden_grid_dims
    .group_segment_fixed_size: 5152
    .kernarg_segment_align: 8
    .kernarg_segment_size: 1568
    .language:       OpenCL C
    .language_version:
      - 2
      - 0
    .max_flat_workgroup_size: 1024
    .name:           _ZN2at6native6sbtopk10gatherTopKIimLi1ELb0EEEvNS_4cuda6detail10TensorInfoIKT_T0_EES8_S8_bS8_S8_NS5_IS6_S8_EES8_NS5_IlS8_EES8_PS6_
    .private_segment_fixed_size: 0
    .sgpr_count:     107
    .sgpr_spill_count: 2
    .symbol:         _ZN2at6native6sbtopk10gatherTopKIimLi1ELb0EEEvNS_4cuda6detail10TensorInfoIKT_T0_EES8_S8_bS8_S8_NS5_IS6_S8_EES8_NS5_IlS8_EES8_PS6_.kd
    .uniform_work_group_size: 1
    .uses_dynamic_stack: false
    .vgpr_count:     46
    .vgpr_spill_count: 0
    .wavefront_size: 32
    .workgroup_processor_mode: 1
  - .args:
      - .offset:         0
        .size:           416
        .value_kind:     by_value
      - .offset:         416
        .size:           4
        .value_kind:     by_value
      - .address_space:  global
        .offset:         424
        .size:           8
        .value_kind:     global_buffer
      - .offset:         432
        .size:           4
        .value_kind:     by_value
      - .offset:         440
        .size:           8
        .value_kind:     by_value
      - .offset:         448
        .size:           4
        .value_kind:     by_value
      - .offset:         452
        .size:           4
        .value_kind:     by_value
      - .offset:         456
        .size:           4
        .value_kind:     by_value
      - .offset:         460
        .size:           4
        .value_kind:     by_value
      - .address_space:  global
        .offset:         464
        .size:           8
        .value_kind:     global_buffer
      - .address_space:  global
        .offset:         472
        .size:           8
        .value_kind:     global_buffer
      - .offset:         480
        .size:           4
        .value_kind:     hidden_block_count_x
      - .offset:         484
        .size:           4
        .value_kind:     hidden_block_count_y
      - .offset:         488
        .size:           4
        .value_kind:     hidden_block_count_z
      - .offset:         492
        .size:           2
        .value_kind:     hidden_group_size_x
      - .offset:         494
        .size:           2
        .value_kind:     hidden_group_size_y
      - .offset:         496
        .size:           2
        .value_kind:     hidden_group_size_z
      - .offset:         498
        .size:           2
        .value_kind:     hidden_remainder_x
      - .offset:         500
        .size:           2
        .value_kind:     hidden_remainder_y
      - .offset:         502
        .size:           2
        .value_kind:     hidden_remainder_z
      - .offset:         520
        .size:           8
        .value_kind:     hidden_global_offset_x
      - .offset:         528
        .size:           8
        .value_kind:     hidden_global_offset_y
      - .offset:         536
        .size:           8
        .value_kind:     hidden_global_offset_z
      - .offset:         544
        .size:           2
        .value_kind:     hidden_grid_dims
    .group_segment_fixed_size: 1024
    .kernarg_segment_align: 8
    .kernarg_segment_size: 736
    .language:       OpenCL C
    .language_version:
      - 2
      - 0
    .max_flat_workgroup_size: 256
    .name:           _ZN2at6native6mbtopk23computeBlockDigitCountsIimjLi2EEEvNS_4cuda6detail10TensorInfoIKT_T0_EEjPjjS8_iijT1_PSB_Ps
    .private_segment_fixed_size: 0
    .sgpr_count:     27
    .sgpr_spill_count: 0
    .symbol:         _ZN2at6native6mbtopk23computeBlockDigitCountsIimjLi2EEEvNS_4cuda6detail10TensorInfoIKT_T0_EEjPjjS8_iijT1_PSB_Ps.kd
    .uniform_work_group_size: 1
    .uses_dynamic_stack: false
    .vgpr_count:     10
    .vgpr_spill_count: 0
    .wavefront_size: 32
    .workgroup_processor_mode: 1
  - .args:
      - .offset:         0
        .size:           416
        .value_kind:     by_value
      - .offset:         416
        .size:           8
        .value_kind:     by_value
      - .offset:         424
        .size:           8
        .value_kind:     by_value
      - .offset:         432
        .size:           1
        .value_kind:     by_value
      - .offset:         436
        .size:           4
        .value_kind:     by_value
      - .offset:         440
        .size:           8
        .value_kind:     by_value
      - .offset:         448
        .size:           416
        .value_kind:     by_value
      - .offset:         864
        .size:           8
        .value_kind:     by_value
      - .offset:         872
        .size:           416
        .value_kind:     by_value
      - .offset:         1288
        .size:           8
        .value_kind:     by_value
      - .offset:         1296
        .size:           4
        .value_kind:     by_value
      - .offset:         1300
        .size:           4
        .value_kind:     by_value
      - .address_space:  global
        .offset:         1304
        .size:           8
        .value_kind:     global_buffer
      - .address_space:  global
        .offset:         1312
        .size:           8
        .value_kind:     global_buffer
      - .address_space:  global
        .offset:         1320
        .size:           8
        .value_kind:     global_buffer
      - .offset:         1328
        .size:           4
        .value_kind:     by_value
      - .offset:         1336
        .size:           4
        .value_kind:     hidden_block_count_x
      - .offset:         1340
        .size:           4
        .value_kind:     hidden_block_count_y
      - .offset:         1344
        .size:           4
        .value_kind:     hidden_block_count_z
      - .offset:         1348
        .size:           2
        .value_kind:     hidden_group_size_x
      - .offset:         1350
        .size:           2
        .value_kind:     hidden_group_size_y
      - .offset:         1352
        .size:           2
        .value_kind:     hidden_group_size_z
      - .offset:         1354
        .size:           2
        .value_kind:     hidden_remainder_x
      - .offset:         1356
        .size:           2
        .value_kind:     hidden_remainder_y
      - .offset:         1358
        .size:           2
        .value_kind:     hidden_remainder_z
      - .offset:         1376
        .size:           8
        .value_kind:     hidden_global_offset_x
      - .offset:         1384
        .size:           8
        .value_kind:     hidden_global_offset_y
      - .offset:         1392
        .size:           8
        .value_kind:     hidden_global_offset_z
      - .offset:         1400
        .size:           2
        .value_kind:     hidden_grid_dims
    .group_segment_fixed_size: 1068
    .kernarg_segment_align: 8
    .kernarg_segment_size: 1592
    .language:       OpenCL C
    .language_version:
      - 2
      - 0
    .max_flat_workgroup_size: 256
    .name:           _ZN2at6native6mbtopk10gatherTopKIimLi2EEEvNS_4cuda6detail10TensorInfoIKT_T0_EES8_S8_bjS8_NS5_IS6_S8_EES8_NS5_IlS8_EES8_jjPS6_PjSD_j
    .private_segment_fixed_size: 0
    .sgpr_count:     51
    .sgpr_spill_count: 0
    .symbol:         _ZN2at6native6mbtopk10gatherTopKIimLi2EEEvNS_4cuda6detail10TensorInfoIKT_T0_EES8_S8_bjS8_NS5_IS6_S8_EES8_NS5_IlS8_EES8_jjPS6_PjSD_j.kd
    .uniform_work_group_size: 1
    .uses_dynamic_stack: false
    .vgpr_count:     24
    .vgpr_spill_count: 0
    .wavefront_size: 32
    .workgroup_processor_mode: 1
  - .args:
      - .offset:         0
        .size:           416
        .value_kind:     by_value
      - .offset:         416
        .size:           8
        .value_kind:     by_value
      - .offset:         424
        .size:           8
        .value_kind:     by_value
      - .offset:         432
        .size:           1
        .value_kind:     by_value
      - .offset:         440
        .size:           8
        .value_kind:     by_value
      - .offset:         448
        .size:           8
        .value_kind:     by_value
      - .offset:         456
        .size:           416
        .value_kind:     by_value
      - .offset:         872
        .size:           8
        .value_kind:     by_value
      - .offset:         880
        .size:           416
        .value_kind:     by_value
      - .offset:         1296
        .size:           8
        .value_kind:     by_value
      - .address_space:  global
        .offset:         1304
        .size:           8
        .value_kind:     global_buffer
      - .offset:         1312
        .size:           4
        .value_kind:     hidden_block_count_x
      - .offset:         1316
        .size:           4
        .value_kind:     hidden_block_count_y
      - .offset:         1320
        .size:           4
        .value_kind:     hidden_block_count_z
      - .offset:         1324
        .size:           2
        .value_kind:     hidden_group_size_x
      - .offset:         1326
        .size:           2
        .value_kind:     hidden_group_size_y
      - .offset:         1328
        .size:           2
        .value_kind:     hidden_group_size_z
      - .offset:         1330
        .size:           2
        .value_kind:     hidden_remainder_x
      - .offset:         1332
        .size:           2
        .value_kind:     hidden_remainder_y
      - .offset:         1334
        .size:           2
        .value_kind:     hidden_remainder_z
      - .offset:         1352
        .size:           8
        .value_kind:     hidden_global_offset_x
      - .offset:         1360
        .size:           8
        .value_kind:     hidden_global_offset_y
      - .offset:         1368
        .size:           8
        .value_kind:     hidden_global_offset_z
      - .offset:         1376
        .size:           2
        .value_kind:     hidden_grid_dims
    .group_segment_fixed_size: 5152
    .kernarg_segment_align: 8
    .kernarg_segment_size: 1568
    .language:       OpenCL C
    .language_version:
      - 2
      - 0
    .max_flat_workgroup_size: 1024
    .name:           _ZN2at6native6sbtopk10gatherTopKIimLi2ELb0EEEvNS_4cuda6detail10TensorInfoIKT_T0_EES8_S8_bS8_S8_NS5_IS6_S8_EES8_NS5_IlS8_EES8_PS6_
    .private_segment_fixed_size: 0
    .sgpr_count:     107
    .sgpr_spill_count: 0
    .symbol:         _ZN2at6native6sbtopk10gatherTopKIimLi2ELb0EEEvNS_4cuda6detail10TensorInfoIKT_T0_EES8_S8_bS8_S8_NS5_IS6_S8_EES8_NS5_IlS8_EES8_PS6_.kd
    .uniform_work_group_size: 1
    .uses_dynamic_stack: false
    .vgpr_count:     37
    .vgpr_spill_count: 0
    .wavefront_size: 32
    .workgroup_processor_mode: 1
  - .args:
      - .offset:         0
        .size:           416
        .value_kind:     by_value
      - .offset:         416
        .size:           4
        .value_kind:     by_value
      - .address_space:  global
        .offset:         424
        .size:           8
        .value_kind:     global_buffer
      - .offset:         432
        .size:           4
        .value_kind:     by_value
      - .offset:         440
        .size:           8
        .value_kind:     by_value
      - .offset:         448
        .size:           4
        .value_kind:     by_value
      - .offset:         452
        .size:           4
        .value_kind:     by_value
      - .offset:         456
        .size:           4
        .value_kind:     by_value
      - .offset:         460
        .size:           4
        .value_kind:     by_value
      - .address_space:  global
        .offset:         464
        .size:           8
        .value_kind:     global_buffer
      - .address_space:  global
        .offset:         472
        .size:           8
        .value_kind:     global_buffer
      - .offset:         480
        .size:           4
        .value_kind:     hidden_block_count_x
      - .offset:         484
        .size:           4
        .value_kind:     hidden_block_count_y
      - .offset:         488
        .size:           4
        .value_kind:     hidden_block_count_z
      - .offset:         492
        .size:           2
        .value_kind:     hidden_group_size_x
      - .offset:         494
        .size:           2
        .value_kind:     hidden_group_size_y
      - .offset:         496
        .size:           2
        .value_kind:     hidden_group_size_z
      - .offset:         498
        .size:           2
        .value_kind:     hidden_remainder_x
      - .offset:         500
        .size:           2
        .value_kind:     hidden_remainder_y
      - .offset:         502
        .size:           2
        .value_kind:     hidden_remainder_z
      - .offset:         520
        .size:           8
        .value_kind:     hidden_global_offset_x
      - .offset:         528
        .size:           8
        .value_kind:     hidden_global_offset_y
      - .offset:         536
        .size:           8
        .value_kind:     hidden_global_offset_z
      - .offset:         544
        .size:           2
        .value_kind:     hidden_grid_dims
    .group_segment_fixed_size: 1024
    .kernarg_segment_align: 8
    .kernarg_segment_size: 736
    .language:       OpenCL C
    .language_version:
      - 2
      - 0
    .max_flat_workgroup_size: 256
    .name:           _ZN2at6native6mbtopk23computeBlockDigitCountsIimjLi3EEEvNS_4cuda6detail10TensorInfoIKT_T0_EEjPjjS8_iijT1_PSB_Ps
    .private_segment_fixed_size: 0
    .sgpr_count:     34
    .sgpr_spill_count: 0
    .symbol:         _ZN2at6native6mbtopk23computeBlockDigitCountsIimjLi3EEEvNS_4cuda6detail10TensorInfoIKT_T0_EEjPjjS8_iijT1_PSB_Ps.kd
    .uniform_work_group_size: 1
    .uses_dynamic_stack: false
    .vgpr_count:     10
    .vgpr_spill_count: 0
    .wavefront_size: 32
    .workgroup_processor_mode: 1
  - .args:
      - .offset:         0
        .size:           416
        .value_kind:     by_value
      - .offset:         416
        .size:           8
        .value_kind:     by_value
      - .offset:         424
        .size:           8
        .value_kind:     by_value
      - .offset:         432
        .size:           1
        .value_kind:     by_value
      - .offset:         436
        .size:           4
        .value_kind:     by_value
      - .offset:         440
        .size:           8
        .value_kind:     by_value
      - .offset:         448
        .size:           416
        .value_kind:     by_value
      - .offset:         864
        .size:           8
        .value_kind:     by_value
      - .offset:         872
        .size:           416
        .value_kind:     by_value
      - .offset:         1288
        .size:           8
        .value_kind:     by_value
      - .offset:         1296
        .size:           4
        .value_kind:     by_value
      - .offset:         1300
        .size:           4
        .value_kind:     by_value
      - .address_space:  global
        .offset:         1304
        .size:           8
        .value_kind:     global_buffer
      - .address_space:  global
        .offset:         1312
        .size:           8
        .value_kind:     global_buffer
      - .address_space:  global
        .offset:         1320
        .size:           8
        .value_kind:     global_buffer
      - .offset:         1328
        .size:           4
        .value_kind:     by_value
      - .offset:         1336
        .size:           4
        .value_kind:     hidden_block_count_x
      - .offset:         1340
        .size:           4
        .value_kind:     hidden_block_count_y
      - .offset:         1344
        .size:           4
        .value_kind:     hidden_block_count_z
      - .offset:         1348
        .size:           2
        .value_kind:     hidden_group_size_x
      - .offset:         1350
        .size:           2
        .value_kind:     hidden_group_size_y
      - .offset:         1352
        .size:           2
        .value_kind:     hidden_group_size_z
      - .offset:         1354
        .size:           2
        .value_kind:     hidden_remainder_x
      - .offset:         1356
        .size:           2
        .value_kind:     hidden_remainder_y
      - .offset:         1358
        .size:           2
        .value_kind:     hidden_remainder_z
      - .offset:         1376
        .size:           8
        .value_kind:     hidden_global_offset_x
      - .offset:         1384
        .size:           8
        .value_kind:     hidden_global_offset_y
      - .offset:         1392
        .size:           8
        .value_kind:     hidden_global_offset_z
      - .offset:         1400
        .size:           2
        .value_kind:     hidden_grid_dims
    .group_segment_fixed_size: 1068
    .kernarg_segment_align: 8
    .kernarg_segment_size: 1592
    .language:       OpenCL C
    .language_version:
      - 2
      - 0
    .max_flat_workgroup_size: 256
    .name:           _ZN2at6native6mbtopk10gatherTopKIimLi3EEEvNS_4cuda6detail10TensorInfoIKT_T0_EES8_S8_bjS8_NS5_IS6_S8_EES8_NS5_IlS8_EES8_jjPS6_PjSD_j
    .private_segment_fixed_size: 0
    .sgpr_count:     77
    .sgpr_spill_count: 0
    .symbol:         _ZN2at6native6mbtopk10gatherTopKIimLi3EEEvNS_4cuda6detail10TensorInfoIKT_T0_EES8_S8_bjS8_NS5_IS6_S8_EES8_NS5_IlS8_EES8_jjPS6_PjSD_j.kd
    .uniform_work_group_size: 1
    .uses_dynamic_stack: false
    .vgpr_count:     24
    .vgpr_spill_count: 0
    .wavefront_size: 32
    .workgroup_processor_mode: 1
  - .args:
      - .offset:         0
        .size:           416
        .value_kind:     by_value
      - .offset:         416
        .size:           8
        .value_kind:     by_value
      - .offset:         424
        .size:           8
        .value_kind:     by_value
      - .offset:         432
        .size:           1
        .value_kind:     by_value
      - .offset:         440
        .size:           8
        .value_kind:     by_value
      - .offset:         448
        .size:           8
        .value_kind:     by_value
      - .offset:         456
        .size:           416
        .value_kind:     by_value
      - .offset:         872
        .size:           8
        .value_kind:     by_value
      - .offset:         880
        .size:           416
        .value_kind:     by_value
      - .offset:         1296
        .size:           8
        .value_kind:     by_value
      - .address_space:  global
        .offset:         1304
        .size:           8
        .value_kind:     global_buffer
      - .offset:         1312
        .size:           4
        .value_kind:     hidden_block_count_x
      - .offset:         1316
        .size:           4
        .value_kind:     hidden_block_count_y
      - .offset:         1320
        .size:           4
        .value_kind:     hidden_block_count_z
      - .offset:         1324
        .size:           2
        .value_kind:     hidden_group_size_x
      - .offset:         1326
        .size:           2
        .value_kind:     hidden_group_size_y
      - .offset:         1328
        .size:           2
        .value_kind:     hidden_group_size_z
      - .offset:         1330
        .size:           2
        .value_kind:     hidden_remainder_x
      - .offset:         1332
        .size:           2
        .value_kind:     hidden_remainder_y
      - .offset:         1334
        .size:           2
        .value_kind:     hidden_remainder_z
      - .offset:         1352
        .size:           8
        .value_kind:     hidden_global_offset_x
      - .offset:         1360
        .size:           8
        .value_kind:     hidden_global_offset_y
      - .offset:         1368
        .size:           8
        .value_kind:     hidden_global_offset_z
      - .offset:         1376
        .size:           2
        .value_kind:     hidden_grid_dims
    .group_segment_fixed_size: 5152
    .kernarg_segment_align: 8
    .kernarg_segment_size: 1568
    .language:       OpenCL C
    .language_version:
      - 2
      - 0
    .max_flat_workgroup_size: 1024
    .name:           _ZN2at6native6sbtopk10gatherTopKIimLi3ELb0EEEvNS_4cuda6detail10TensorInfoIKT_T0_EES8_S8_bS8_S8_NS5_IS6_S8_EES8_NS5_IlS8_EES8_PS6_
    .private_segment_fixed_size: 0
    .sgpr_count:     107
    .sgpr_spill_count: 2
    .symbol:         _ZN2at6native6sbtopk10gatherTopKIimLi3ELb0EEEvNS_4cuda6detail10TensorInfoIKT_T0_EES8_S8_bS8_S8_NS5_IS6_S8_EES8_NS5_IlS8_EES8_PS6_.kd
    .uniform_work_group_size: 1
    .uses_dynamic_stack: false
    .vgpr_count:     38
    .vgpr_spill_count: 0
    .wavefront_size: 32
    .workgroup_processor_mode: 1
  - .args:
      - .offset:         0
        .size:           416
        .value_kind:     by_value
      - .offset:         416
        .size:           4
        .value_kind:     by_value
      - .address_space:  global
        .offset:         424
        .size:           8
        .value_kind:     global_buffer
      - .offset:         432
        .size:           4
        .value_kind:     by_value
      - .offset:         440
        .size:           8
        .value_kind:     by_value
      - .offset:         448
        .size:           4
        .value_kind:     by_value
      - .offset:         452
        .size:           4
        .value_kind:     by_value
      - .offset:         456
        .size:           4
        .value_kind:     by_value
      - .offset:         460
        .size:           4
        .value_kind:     by_value
      - .address_space:  global
        .offset:         464
        .size:           8
        .value_kind:     global_buffer
      - .address_space:  global
        .offset:         472
        .size:           8
        .value_kind:     global_buffer
      - .offset:         480
        .size:           4
        .value_kind:     hidden_block_count_x
      - .offset:         484
        .size:           4
        .value_kind:     hidden_block_count_y
      - .offset:         488
        .size:           4
        .value_kind:     hidden_block_count_z
      - .offset:         492
        .size:           2
        .value_kind:     hidden_group_size_x
      - .offset:         494
        .size:           2
        .value_kind:     hidden_group_size_y
      - .offset:         496
        .size:           2
        .value_kind:     hidden_group_size_z
      - .offset:         498
        .size:           2
        .value_kind:     hidden_remainder_x
      - .offset:         500
        .size:           2
        .value_kind:     hidden_remainder_y
      - .offset:         502
        .size:           2
        .value_kind:     hidden_remainder_z
      - .offset:         520
        .size:           8
        .value_kind:     hidden_global_offset_x
      - .offset:         528
        .size:           8
        .value_kind:     hidden_global_offset_y
      - .offset:         536
        .size:           8
        .value_kind:     hidden_global_offset_z
      - .offset:         544
        .size:           2
        .value_kind:     hidden_grid_dims
    .group_segment_fixed_size: 1024
    .kernarg_segment_align: 8
    .kernarg_segment_size: 736
    .language:       OpenCL C
    .language_version:
      - 2
      - 0
    .max_flat_workgroup_size: 256
    .name:           _ZN2at6native6mbtopk23computeBlockDigitCountsIimjLin1EEEvNS_4cuda6detail10TensorInfoIKT_T0_EEjPjjS8_iijT1_PSB_Ps
    .private_segment_fixed_size: 0
    .sgpr_count:     34
    .sgpr_spill_count: 0
    .symbol:         _ZN2at6native6mbtopk23computeBlockDigitCountsIimjLin1EEEvNS_4cuda6detail10TensorInfoIKT_T0_EEjPjjS8_iijT1_PSB_Ps.kd
    .uniform_work_group_size: 1
    .uses_dynamic_stack: false
    .vgpr_count:     10
    .vgpr_spill_count: 0
    .wavefront_size: 32
    .workgroup_processor_mode: 1
  - .args:
      - .offset:         0
        .size:           416
        .value_kind:     by_value
      - .offset:         416
        .size:           8
        .value_kind:     by_value
      - .offset:         424
        .size:           8
        .value_kind:     by_value
      - .offset:         432
        .size:           1
        .value_kind:     by_value
      - .offset:         436
        .size:           4
        .value_kind:     by_value
      - .offset:         440
        .size:           8
        .value_kind:     by_value
      - .offset:         448
        .size:           416
        .value_kind:     by_value
      - .offset:         864
        .size:           8
        .value_kind:     by_value
      - .offset:         872
        .size:           416
        .value_kind:     by_value
      - .offset:         1288
        .size:           8
        .value_kind:     by_value
      - .offset:         1296
        .size:           4
        .value_kind:     by_value
      - .offset:         1300
        .size:           4
        .value_kind:     by_value
      - .address_space:  global
        .offset:         1304
        .size:           8
        .value_kind:     global_buffer
      - .address_space:  global
        .offset:         1312
        .size:           8
        .value_kind:     global_buffer
      - .address_space:  global
        .offset:         1320
        .size:           8
        .value_kind:     global_buffer
      - .offset:         1328
        .size:           4
        .value_kind:     by_value
      - .offset:         1336
        .size:           4
        .value_kind:     hidden_block_count_x
      - .offset:         1340
        .size:           4
        .value_kind:     hidden_block_count_y
      - .offset:         1344
        .size:           4
        .value_kind:     hidden_block_count_z
      - .offset:         1348
        .size:           2
        .value_kind:     hidden_group_size_x
      - .offset:         1350
        .size:           2
        .value_kind:     hidden_group_size_y
      - .offset:         1352
        .size:           2
        .value_kind:     hidden_group_size_z
      - .offset:         1354
        .size:           2
        .value_kind:     hidden_remainder_x
      - .offset:         1356
        .size:           2
        .value_kind:     hidden_remainder_y
      - .offset:         1358
        .size:           2
        .value_kind:     hidden_remainder_z
      - .offset:         1376
        .size:           8
        .value_kind:     hidden_global_offset_x
      - .offset:         1384
        .size:           8
        .value_kind:     hidden_global_offset_y
      - .offset:         1392
        .size:           8
        .value_kind:     hidden_global_offset_z
      - .offset:         1400
        .size:           2
        .value_kind:     hidden_grid_dims
    .group_segment_fixed_size: 1068
    .kernarg_segment_align: 8
    .kernarg_segment_size: 1592
    .language:       OpenCL C
    .language_version:
      - 2
      - 0
    .max_flat_workgroup_size: 256
    .name:           _ZN2at6native6mbtopk10gatherTopKIimLin1EEEvNS_4cuda6detail10TensorInfoIKT_T0_EES8_S8_bjS8_NS5_IS6_S8_EES8_NS5_IlS8_EES8_jjPS6_PjSD_j
    .private_segment_fixed_size: 0
    .sgpr_count:     59
    .sgpr_spill_count: 0
    .symbol:         _ZN2at6native6mbtopk10gatherTopKIimLin1EEEvNS_4cuda6detail10TensorInfoIKT_T0_EES8_S8_bjS8_NS5_IS6_S8_EES8_NS5_IlS8_EES8_jjPS6_PjSD_j.kd
    .uniform_work_group_size: 1
    .uses_dynamic_stack: false
    .vgpr_count:     24
    .vgpr_spill_count: 0
    .wavefront_size: 32
    .workgroup_processor_mode: 1
  - .args:
      - .offset:         0
        .size:           416
        .value_kind:     by_value
      - .offset:         416
        .size:           8
        .value_kind:     by_value
      - .offset:         424
        .size:           8
        .value_kind:     by_value
      - .offset:         432
        .size:           1
        .value_kind:     by_value
      - .offset:         440
        .size:           8
        .value_kind:     by_value
      - .offset:         448
        .size:           8
        .value_kind:     by_value
      - .offset:         456
        .size:           416
        .value_kind:     by_value
      - .offset:         872
        .size:           8
        .value_kind:     by_value
      - .offset:         880
        .size:           416
        .value_kind:     by_value
      - .offset:         1296
        .size:           8
        .value_kind:     by_value
      - .address_space:  global
        .offset:         1304
        .size:           8
        .value_kind:     global_buffer
      - .offset:         1312
        .size:           4
        .value_kind:     hidden_block_count_x
      - .offset:         1316
        .size:           4
        .value_kind:     hidden_block_count_y
      - .offset:         1320
        .size:           4
        .value_kind:     hidden_block_count_z
      - .offset:         1324
        .size:           2
        .value_kind:     hidden_group_size_x
      - .offset:         1326
        .size:           2
        .value_kind:     hidden_group_size_y
      - .offset:         1328
        .size:           2
        .value_kind:     hidden_group_size_z
      - .offset:         1330
        .size:           2
        .value_kind:     hidden_remainder_x
      - .offset:         1332
        .size:           2
        .value_kind:     hidden_remainder_y
      - .offset:         1334
        .size:           2
        .value_kind:     hidden_remainder_z
      - .offset:         1352
        .size:           8
        .value_kind:     hidden_global_offset_x
      - .offset:         1360
        .size:           8
        .value_kind:     hidden_global_offset_y
      - .offset:         1368
        .size:           8
        .value_kind:     hidden_global_offset_z
      - .offset:         1376
        .size:           2
        .value_kind:     hidden_grid_dims
    .group_segment_fixed_size: 5152
    .kernarg_segment_align: 8
    .kernarg_segment_size: 1568
    .language:       OpenCL C
    .language_version:
      - 2
      - 0
    .max_flat_workgroup_size: 1024
    .name:           _ZN2at6native6sbtopk10gatherTopKIimLin1ELb0EEEvNS_4cuda6detail10TensorInfoIKT_T0_EES8_S8_bS8_S8_NS5_IS6_S8_EES8_NS5_IlS8_EES8_PS6_
    .private_segment_fixed_size: 0
    .sgpr_count:     107
    .sgpr_spill_count: 7
    .symbol:         _ZN2at6native6sbtopk10gatherTopKIimLin1ELb0EEEvNS_4cuda6detail10TensorInfoIKT_T0_EES8_S8_bS8_S8_NS5_IS6_S8_EES8_NS5_IlS8_EES8_PS6_.kd
    .uniform_work_group_size: 1
    .uses_dynamic_stack: false
    .vgpr_count:     52
    .vgpr_spill_count: 0
    .wavefront_size: 32
    .workgroup_processor_mode: 1
  - .args:
      - .offset:         0
        .size:           416
        .value_kind:     by_value
      - .offset:         416
        .size:           4
        .value_kind:     by_value
      - .address_space:  global
        .offset:         424
        .size:           8
        .value_kind:     global_buffer
      - .offset:         432
        .size:           4
        .value_kind:     by_value
      - .offset:         440
        .size:           8
        .value_kind:     by_value
      - .offset:         448
        .size:           4
        .value_kind:     by_value
      - .offset:         452
        .size:           4
        .value_kind:     by_value
      - .offset:         456
        .size:           4
        .value_kind:     by_value
      - .offset:         464
        .size:           8
        .value_kind:     by_value
      - .address_space:  global
        .offset:         472
        .size:           8
        .value_kind:     global_buffer
      - .address_space:  global
        .offset:         480
        .size:           8
        .value_kind:     global_buffer
      - .offset:         488
        .size:           4
        .value_kind:     hidden_block_count_x
      - .offset:         492
        .size:           4
        .value_kind:     hidden_block_count_y
      - .offset:         496
        .size:           4
        .value_kind:     hidden_block_count_z
      - .offset:         500
        .size:           2
        .value_kind:     hidden_group_size_x
      - .offset:         502
        .size:           2
        .value_kind:     hidden_group_size_y
      - .offset:         504
        .size:           2
        .value_kind:     hidden_group_size_z
      - .offset:         506
        .size:           2
        .value_kind:     hidden_remainder_x
      - .offset:         508
        .size:           2
        .value_kind:     hidden_remainder_y
      - .offset:         510
        .size:           2
        .value_kind:     hidden_remainder_z
      - .offset:         528
        .size:           8
        .value_kind:     hidden_global_offset_x
      - .offset:         536
        .size:           8
        .value_kind:     hidden_global_offset_y
      - .offset:         544
        .size:           8
        .value_kind:     hidden_global_offset_z
      - .offset:         552
        .size:           2
        .value_kind:     hidden_grid_dims
    .group_segment_fixed_size: 1024
    .kernarg_segment_align: 8
    .kernarg_segment_size: 744
    .language:       OpenCL C
    .language_version:
      - 2
      - 0
    .max_flat_workgroup_size: 256
    .name:           _ZN2at6native6mbtopk23computeBlockDigitCountsIlmmLi1EEEvNS_4cuda6detail10TensorInfoIKT_T0_EEjPjjS8_iijT1_PSB_Ps
    .private_segment_fixed_size: 0
    .sgpr_count:     22
    .sgpr_spill_count: 0
    .symbol:         _ZN2at6native6mbtopk23computeBlockDigitCountsIlmmLi1EEEvNS_4cuda6detail10TensorInfoIKT_T0_EEjPjjS8_iijT1_PSB_Ps.kd
    .uniform_work_group_size: 1
    .uses_dynamic_stack: false
    .vgpr_count:     10
    .vgpr_spill_count: 0
    .wavefront_size: 32
    .workgroup_processor_mode: 1
  - .args:
      - .offset:         0
        .size:           416
        .value_kind:     by_value
      - .offset:         416
        .size:           8
        .value_kind:     by_value
      - .offset:         424
        .size:           8
        .value_kind:     by_value
      - .offset:         432
        .size:           1
        .value_kind:     by_value
      - .offset:         436
        .size:           4
        .value_kind:     by_value
      - .offset:         440
        .size:           8
        .value_kind:     by_value
      - .offset:         448
        .size:           416
        .value_kind:     by_value
      - .offset:         864
        .size:           8
        .value_kind:     by_value
      - .offset:         872
        .size:           416
        .value_kind:     by_value
      - .offset:         1288
        .size:           8
        .value_kind:     by_value
      - .offset:         1296
        .size:           4
        .value_kind:     by_value
      - .offset:         1300
        .size:           4
        .value_kind:     by_value
      - .address_space:  global
        .offset:         1304
        .size:           8
        .value_kind:     global_buffer
      - .address_space:  global
        .offset:         1312
        .size:           8
        .value_kind:     global_buffer
      - .address_space:  global
        .offset:         1320
        .size:           8
        .value_kind:     global_buffer
      - .offset:         1328
        .size:           4
        .value_kind:     by_value
      - .offset:         1336
        .size:           4
        .value_kind:     hidden_block_count_x
      - .offset:         1340
        .size:           4
        .value_kind:     hidden_block_count_y
      - .offset:         1344
        .size:           4
        .value_kind:     hidden_block_count_z
      - .offset:         1348
        .size:           2
        .value_kind:     hidden_group_size_x
      - .offset:         1350
        .size:           2
        .value_kind:     hidden_group_size_y
      - .offset:         1352
        .size:           2
        .value_kind:     hidden_group_size_z
      - .offset:         1354
        .size:           2
        .value_kind:     hidden_remainder_x
      - .offset:         1356
        .size:           2
        .value_kind:     hidden_remainder_y
      - .offset:         1358
        .size:           2
        .value_kind:     hidden_remainder_z
      - .offset:         1376
        .size:           8
        .value_kind:     hidden_global_offset_x
      - .offset:         1384
        .size:           8
        .value_kind:     hidden_global_offset_y
      - .offset:         1392
        .size:           8
        .value_kind:     hidden_global_offset_z
      - .offset:         1400
        .size:           2
        .value_kind:     hidden_grid_dims
    .group_segment_fixed_size: 1068
    .kernarg_segment_align: 8
    .kernarg_segment_size: 1592
    .language:       OpenCL C
    .language_version:
      - 2
      - 0
    .max_flat_workgroup_size: 256
    .name:           _ZN2at6native6mbtopk10gatherTopKIlmLi1EEEvNS_4cuda6detail10TensorInfoIKT_T0_EES8_S8_bjS8_NS5_IS6_S8_EES8_NS5_IlS8_EES8_jjPS6_PjSD_j
    .private_segment_fixed_size: 0
    .sgpr_count:     45
    .sgpr_spill_count: 0
    .symbol:         _ZN2at6native6mbtopk10gatherTopKIlmLi1EEEvNS_4cuda6detail10TensorInfoIKT_T0_EES8_S8_bjS8_NS5_IS6_S8_EES8_NS5_IlS8_EES8_jjPS6_PjSD_j.kd
    .uniform_work_group_size: 1
    .uses_dynamic_stack: false
    .vgpr_count:     25
    .vgpr_spill_count: 0
    .wavefront_size: 32
    .workgroup_processor_mode: 1
  - .args:
      - .offset:         0
        .size:           416
        .value_kind:     by_value
      - .offset:         416
        .size:           8
        .value_kind:     by_value
      - .offset:         424
        .size:           8
        .value_kind:     by_value
      - .offset:         432
        .size:           1
        .value_kind:     by_value
      - .offset:         440
        .size:           8
        .value_kind:     by_value
      - .offset:         448
        .size:           8
        .value_kind:     by_value
      - .offset:         456
        .size:           416
        .value_kind:     by_value
      - .offset:         872
        .size:           8
        .value_kind:     by_value
      - .offset:         880
        .size:           416
        .value_kind:     by_value
      - .offset:         1296
        .size:           8
        .value_kind:     by_value
      - .address_space:  global
        .offset:         1304
        .size:           8
        .value_kind:     global_buffer
      - .offset:         1312
        .size:           4
        .value_kind:     hidden_block_count_x
      - .offset:         1316
        .size:           4
        .value_kind:     hidden_block_count_y
      - .offset:         1320
        .size:           4
        .value_kind:     hidden_block_count_z
      - .offset:         1324
        .size:           2
        .value_kind:     hidden_group_size_x
      - .offset:         1326
        .size:           2
        .value_kind:     hidden_group_size_y
      - .offset:         1328
        .size:           2
        .value_kind:     hidden_group_size_z
      - .offset:         1330
        .size:           2
        .value_kind:     hidden_remainder_x
      - .offset:         1332
        .size:           2
        .value_kind:     hidden_remainder_y
      - .offset:         1334
        .size:           2
        .value_kind:     hidden_remainder_z
      - .offset:         1352
        .size:           8
        .value_kind:     hidden_global_offset_x
      - .offset:         1360
        .size:           8
        .value_kind:     hidden_global_offset_y
      - .offset:         1368
        .size:           8
        .value_kind:     hidden_global_offset_z
      - .offset:         1376
        .size:           2
        .value_kind:     hidden_grid_dims
    .group_segment_fixed_size: 5152
    .kernarg_segment_align: 8
    .kernarg_segment_size: 1568
    .language:       OpenCL C
    .language_version:
      - 2
      - 0
    .max_flat_workgroup_size: 1024
    .name:           _ZN2at6native6sbtopk10gatherTopKIlmLi1ELb0EEEvNS_4cuda6detail10TensorInfoIKT_T0_EES8_S8_bS8_S8_NS5_IS6_S8_EES8_NS5_IlS8_EES8_PS6_
    .private_segment_fixed_size: 0
    .sgpr_count:     107
    .sgpr_spill_count: 4
    .symbol:         _ZN2at6native6sbtopk10gatherTopKIlmLi1ELb0EEEvNS_4cuda6detail10TensorInfoIKT_T0_EES8_S8_bS8_S8_NS5_IS6_S8_EES8_NS5_IlS8_EES8_PS6_.kd
    .uniform_work_group_size: 1
    .uses_dynamic_stack: false
    .vgpr_count:     60
    .vgpr_spill_count: 0
    .wavefront_size: 32
    .workgroup_processor_mode: 1
  - .args:
      - .offset:         0
        .size:           416
        .value_kind:     by_value
      - .offset:         416
        .size:           4
        .value_kind:     by_value
      - .address_space:  global
        .offset:         424
        .size:           8
        .value_kind:     global_buffer
      - .offset:         432
        .size:           4
        .value_kind:     by_value
      - .offset:         440
        .size:           8
        .value_kind:     by_value
      - .offset:         448
        .size:           4
        .value_kind:     by_value
      - .offset:         452
        .size:           4
        .value_kind:     by_value
      - .offset:         456
        .size:           4
        .value_kind:     by_value
      - .offset:         464
        .size:           8
        .value_kind:     by_value
      - .address_space:  global
        .offset:         472
        .size:           8
        .value_kind:     global_buffer
      - .address_space:  global
        .offset:         480
        .size:           8
        .value_kind:     global_buffer
      - .offset:         488
        .size:           4
        .value_kind:     hidden_block_count_x
      - .offset:         492
        .size:           4
        .value_kind:     hidden_block_count_y
      - .offset:         496
        .size:           4
        .value_kind:     hidden_block_count_z
      - .offset:         500
        .size:           2
        .value_kind:     hidden_group_size_x
      - .offset:         502
        .size:           2
        .value_kind:     hidden_group_size_y
      - .offset:         504
        .size:           2
        .value_kind:     hidden_group_size_z
      - .offset:         506
        .size:           2
        .value_kind:     hidden_remainder_x
      - .offset:         508
        .size:           2
        .value_kind:     hidden_remainder_y
      - .offset:         510
        .size:           2
        .value_kind:     hidden_remainder_z
      - .offset:         528
        .size:           8
        .value_kind:     hidden_global_offset_x
      - .offset:         536
        .size:           8
        .value_kind:     hidden_global_offset_y
      - .offset:         544
        .size:           8
        .value_kind:     hidden_global_offset_z
      - .offset:         552
        .size:           2
        .value_kind:     hidden_grid_dims
    .group_segment_fixed_size: 1024
    .kernarg_segment_align: 8
    .kernarg_segment_size: 744
    .language:       OpenCL C
    .language_version:
      - 2
      - 0
    .max_flat_workgroup_size: 256
    .name:           _ZN2at6native6mbtopk23computeBlockDigitCountsIlmmLi2EEEvNS_4cuda6detail10TensorInfoIKT_T0_EEjPjjS8_iijT1_PSB_Ps
    .private_segment_fixed_size: 0
    .sgpr_count:     29
    .sgpr_spill_count: 0
    .symbol:         _ZN2at6native6mbtopk23computeBlockDigitCountsIlmmLi2EEEvNS_4cuda6detail10TensorInfoIKT_T0_EEjPjjS8_iijT1_PSB_Ps.kd
    .uniform_work_group_size: 1
    .uses_dynamic_stack: false
    .vgpr_count:     10
    .vgpr_spill_count: 0
    .wavefront_size: 32
    .workgroup_processor_mode: 1
  - .args:
      - .offset:         0
        .size:           416
        .value_kind:     by_value
      - .offset:         416
        .size:           8
        .value_kind:     by_value
      - .offset:         424
        .size:           8
        .value_kind:     by_value
      - .offset:         432
        .size:           1
        .value_kind:     by_value
      - .offset:         436
        .size:           4
        .value_kind:     by_value
      - .offset:         440
        .size:           8
        .value_kind:     by_value
      - .offset:         448
        .size:           416
        .value_kind:     by_value
      - .offset:         864
        .size:           8
        .value_kind:     by_value
      - .offset:         872
        .size:           416
        .value_kind:     by_value
      - .offset:         1288
        .size:           8
        .value_kind:     by_value
      - .offset:         1296
        .size:           4
        .value_kind:     by_value
      - .offset:         1300
        .size:           4
        .value_kind:     by_value
      - .address_space:  global
        .offset:         1304
        .size:           8
        .value_kind:     global_buffer
      - .address_space:  global
        .offset:         1312
        .size:           8
        .value_kind:     global_buffer
      - .address_space:  global
        .offset:         1320
        .size:           8
        .value_kind:     global_buffer
      - .offset:         1328
        .size:           4
        .value_kind:     by_value
      - .offset:         1336
        .size:           4
        .value_kind:     hidden_block_count_x
      - .offset:         1340
        .size:           4
        .value_kind:     hidden_block_count_y
      - .offset:         1344
        .size:           4
        .value_kind:     hidden_block_count_z
      - .offset:         1348
        .size:           2
        .value_kind:     hidden_group_size_x
      - .offset:         1350
        .size:           2
        .value_kind:     hidden_group_size_y
      - .offset:         1352
        .size:           2
        .value_kind:     hidden_group_size_z
      - .offset:         1354
        .size:           2
        .value_kind:     hidden_remainder_x
      - .offset:         1356
        .size:           2
        .value_kind:     hidden_remainder_y
      - .offset:         1358
        .size:           2
        .value_kind:     hidden_remainder_z
      - .offset:         1376
        .size:           8
        .value_kind:     hidden_global_offset_x
      - .offset:         1384
        .size:           8
        .value_kind:     hidden_global_offset_y
      - .offset:         1392
        .size:           8
        .value_kind:     hidden_global_offset_z
      - .offset:         1400
        .size:           2
        .value_kind:     hidden_grid_dims
    .group_segment_fixed_size: 1068
    .kernarg_segment_align: 8
    .kernarg_segment_size: 1592
    .language:       OpenCL C
    .language_version:
      - 2
      - 0
    .max_flat_workgroup_size: 256
    .name:           _ZN2at6native6mbtopk10gatherTopKIlmLi2EEEvNS_4cuda6detail10TensorInfoIKT_T0_EES8_S8_bjS8_NS5_IS6_S8_EES8_NS5_IlS8_EES8_jjPS6_PjSD_j
    .private_segment_fixed_size: 0
    .sgpr_count:     53
    .sgpr_spill_count: 0
    .symbol:         _ZN2at6native6mbtopk10gatherTopKIlmLi2EEEvNS_4cuda6detail10TensorInfoIKT_T0_EES8_S8_bjS8_NS5_IS6_S8_EES8_NS5_IlS8_EES8_jjPS6_PjSD_j.kd
    .uniform_work_group_size: 1
    .uses_dynamic_stack: false
    .vgpr_count:     25
    .vgpr_spill_count: 0
    .wavefront_size: 32
    .workgroup_processor_mode: 1
  - .args:
      - .offset:         0
        .size:           416
        .value_kind:     by_value
      - .offset:         416
        .size:           8
        .value_kind:     by_value
      - .offset:         424
        .size:           8
        .value_kind:     by_value
      - .offset:         432
        .size:           1
        .value_kind:     by_value
      - .offset:         440
        .size:           8
        .value_kind:     by_value
      - .offset:         448
        .size:           8
        .value_kind:     by_value
      - .offset:         456
        .size:           416
        .value_kind:     by_value
      - .offset:         872
        .size:           8
        .value_kind:     by_value
      - .offset:         880
        .size:           416
        .value_kind:     by_value
      - .offset:         1296
        .size:           8
        .value_kind:     by_value
      - .address_space:  global
        .offset:         1304
        .size:           8
        .value_kind:     global_buffer
      - .offset:         1312
        .size:           4
        .value_kind:     hidden_block_count_x
      - .offset:         1316
        .size:           4
        .value_kind:     hidden_block_count_y
      - .offset:         1320
        .size:           4
        .value_kind:     hidden_block_count_z
      - .offset:         1324
        .size:           2
        .value_kind:     hidden_group_size_x
      - .offset:         1326
        .size:           2
        .value_kind:     hidden_group_size_y
      - .offset:         1328
        .size:           2
        .value_kind:     hidden_group_size_z
      - .offset:         1330
        .size:           2
        .value_kind:     hidden_remainder_x
      - .offset:         1332
        .size:           2
        .value_kind:     hidden_remainder_y
      - .offset:         1334
        .size:           2
        .value_kind:     hidden_remainder_z
      - .offset:         1352
        .size:           8
        .value_kind:     hidden_global_offset_x
      - .offset:         1360
        .size:           8
        .value_kind:     hidden_global_offset_y
      - .offset:         1368
        .size:           8
        .value_kind:     hidden_global_offset_z
      - .offset:         1376
        .size:           2
        .value_kind:     hidden_grid_dims
    .group_segment_fixed_size: 5152
    .kernarg_segment_align: 8
    .kernarg_segment_size: 1568
    .language:       OpenCL C
    .language_version:
      - 2
      - 0
    .max_flat_workgroup_size: 1024
    .name:           _ZN2at6native6sbtopk10gatherTopKIlmLi2ELb0EEEvNS_4cuda6detail10TensorInfoIKT_T0_EES8_S8_bS8_S8_NS5_IS6_S8_EES8_NS5_IlS8_EES8_PS6_
    .private_segment_fixed_size: 0
    .sgpr_count:     107
    .sgpr_spill_count: 4
    .symbol:         _ZN2at6native6sbtopk10gatherTopKIlmLi2ELb0EEEvNS_4cuda6detail10TensorInfoIKT_T0_EES8_S8_bS8_S8_NS5_IS6_S8_EES8_NS5_IlS8_EES8_PS6_.kd
    .uniform_work_group_size: 1
    .uses_dynamic_stack: false
    .vgpr_count:     52
    .vgpr_spill_count: 0
    .wavefront_size: 32
    .workgroup_processor_mode: 1
  - .args:
      - .offset:         0
        .size:           416
        .value_kind:     by_value
      - .offset:         416
        .size:           4
        .value_kind:     by_value
      - .address_space:  global
        .offset:         424
        .size:           8
        .value_kind:     global_buffer
      - .offset:         432
        .size:           4
        .value_kind:     by_value
      - .offset:         440
        .size:           8
        .value_kind:     by_value
      - .offset:         448
        .size:           4
        .value_kind:     by_value
      - .offset:         452
        .size:           4
        .value_kind:     by_value
      - .offset:         456
        .size:           4
        .value_kind:     by_value
      - .offset:         464
        .size:           8
        .value_kind:     by_value
      - .address_space:  global
        .offset:         472
        .size:           8
        .value_kind:     global_buffer
      - .address_space:  global
        .offset:         480
        .size:           8
        .value_kind:     global_buffer
      - .offset:         488
        .size:           4
        .value_kind:     hidden_block_count_x
      - .offset:         492
        .size:           4
        .value_kind:     hidden_block_count_y
      - .offset:         496
        .size:           4
        .value_kind:     hidden_block_count_z
      - .offset:         500
        .size:           2
        .value_kind:     hidden_group_size_x
      - .offset:         502
        .size:           2
        .value_kind:     hidden_group_size_y
      - .offset:         504
        .size:           2
        .value_kind:     hidden_group_size_z
      - .offset:         506
        .size:           2
        .value_kind:     hidden_remainder_x
      - .offset:         508
        .size:           2
        .value_kind:     hidden_remainder_y
      - .offset:         510
        .size:           2
        .value_kind:     hidden_remainder_z
      - .offset:         528
        .size:           8
        .value_kind:     hidden_global_offset_x
      - .offset:         536
        .size:           8
        .value_kind:     hidden_global_offset_y
      - .offset:         544
        .size:           8
        .value_kind:     hidden_global_offset_z
      - .offset:         552
        .size:           2
        .value_kind:     hidden_grid_dims
    .group_segment_fixed_size: 1024
    .kernarg_segment_align: 8
    .kernarg_segment_size: 744
    .language:       OpenCL C
    .language_version:
      - 2
      - 0
    .max_flat_workgroup_size: 256
    .name:           _ZN2at6native6mbtopk23computeBlockDigitCountsIlmmLi3EEEvNS_4cuda6detail10TensorInfoIKT_T0_EEjPjjS8_iijT1_PSB_Ps
    .private_segment_fixed_size: 0
    .sgpr_count:     37
    .sgpr_spill_count: 0
    .symbol:         _ZN2at6native6mbtopk23computeBlockDigitCountsIlmmLi3EEEvNS_4cuda6detail10TensorInfoIKT_T0_EEjPjjS8_iijT1_PSB_Ps.kd
    .uniform_work_group_size: 1
    .uses_dynamic_stack: false
    .vgpr_count:     10
    .vgpr_spill_count: 0
    .wavefront_size: 32
    .workgroup_processor_mode: 1
  - .args:
      - .offset:         0
        .size:           416
        .value_kind:     by_value
      - .offset:         416
        .size:           8
        .value_kind:     by_value
      - .offset:         424
        .size:           8
        .value_kind:     by_value
      - .offset:         432
        .size:           1
        .value_kind:     by_value
      - .offset:         436
        .size:           4
        .value_kind:     by_value
      - .offset:         440
        .size:           8
        .value_kind:     by_value
      - .offset:         448
        .size:           416
        .value_kind:     by_value
      - .offset:         864
        .size:           8
        .value_kind:     by_value
      - .offset:         872
        .size:           416
        .value_kind:     by_value
      - .offset:         1288
        .size:           8
        .value_kind:     by_value
      - .offset:         1296
        .size:           4
        .value_kind:     by_value
      - .offset:         1300
        .size:           4
        .value_kind:     by_value
      - .address_space:  global
        .offset:         1304
        .size:           8
        .value_kind:     global_buffer
      - .address_space:  global
        .offset:         1312
        .size:           8
        .value_kind:     global_buffer
      - .address_space:  global
        .offset:         1320
        .size:           8
        .value_kind:     global_buffer
      - .offset:         1328
        .size:           4
        .value_kind:     by_value
      - .offset:         1336
        .size:           4
        .value_kind:     hidden_block_count_x
      - .offset:         1340
        .size:           4
        .value_kind:     hidden_block_count_y
      - .offset:         1344
        .size:           4
        .value_kind:     hidden_block_count_z
      - .offset:         1348
        .size:           2
        .value_kind:     hidden_group_size_x
      - .offset:         1350
        .size:           2
        .value_kind:     hidden_group_size_y
      - .offset:         1352
        .size:           2
        .value_kind:     hidden_group_size_z
      - .offset:         1354
        .size:           2
        .value_kind:     hidden_remainder_x
      - .offset:         1356
        .size:           2
        .value_kind:     hidden_remainder_y
      - .offset:         1358
        .size:           2
        .value_kind:     hidden_remainder_z
      - .offset:         1376
        .size:           8
        .value_kind:     hidden_global_offset_x
      - .offset:         1384
        .size:           8
        .value_kind:     hidden_global_offset_y
      - .offset:         1392
        .size:           8
        .value_kind:     hidden_global_offset_z
      - .offset:         1400
        .size:           2
        .value_kind:     hidden_grid_dims
    .group_segment_fixed_size: 1068
    .kernarg_segment_align: 8
    .kernarg_segment_size: 1592
    .language:       OpenCL C
    .language_version:
      - 2
      - 0
    .max_flat_workgroup_size: 256
    .name:           _ZN2at6native6mbtopk10gatherTopKIlmLi3EEEvNS_4cuda6detail10TensorInfoIKT_T0_EES8_S8_bjS8_NS5_IS6_S8_EES8_NS5_IlS8_EES8_jjPS6_PjSD_j
    .private_segment_fixed_size: 0
    .sgpr_count:     78
    .sgpr_spill_count: 0
    .symbol:         _ZN2at6native6mbtopk10gatherTopKIlmLi3EEEvNS_4cuda6detail10TensorInfoIKT_T0_EES8_S8_bjS8_NS5_IS6_S8_EES8_NS5_IlS8_EES8_jjPS6_PjSD_j.kd
    .uniform_work_group_size: 1
    .uses_dynamic_stack: false
    .vgpr_count:     25
    .vgpr_spill_count: 0
    .wavefront_size: 32
    .workgroup_processor_mode: 1
  - .args:
      - .offset:         0
        .size:           416
        .value_kind:     by_value
      - .offset:         416
        .size:           8
        .value_kind:     by_value
      - .offset:         424
        .size:           8
        .value_kind:     by_value
      - .offset:         432
        .size:           1
        .value_kind:     by_value
      - .offset:         440
        .size:           8
        .value_kind:     by_value
      - .offset:         448
        .size:           8
        .value_kind:     by_value
      - .offset:         456
        .size:           416
        .value_kind:     by_value
      - .offset:         872
        .size:           8
        .value_kind:     by_value
      - .offset:         880
        .size:           416
        .value_kind:     by_value
      - .offset:         1296
        .size:           8
        .value_kind:     by_value
      - .address_space:  global
        .offset:         1304
        .size:           8
        .value_kind:     global_buffer
      - .offset:         1312
        .size:           4
        .value_kind:     hidden_block_count_x
      - .offset:         1316
        .size:           4
        .value_kind:     hidden_block_count_y
      - .offset:         1320
        .size:           4
        .value_kind:     hidden_block_count_z
      - .offset:         1324
        .size:           2
        .value_kind:     hidden_group_size_x
      - .offset:         1326
        .size:           2
        .value_kind:     hidden_group_size_y
      - .offset:         1328
        .size:           2
        .value_kind:     hidden_group_size_z
      - .offset:         1330
        .size:           2
        .value_kind:     hidden_remainder_x
      - .offset:         1332
        .size:           2
        .value_kind:     hidden_remainder_y
      - .offset:         1334
        .size:           2
        .value_kind:     hidden_remainder_z
      - .offset:         1352
        .size:           8
        .value_kind:     hidden_global_offset_x
      - .offset:         1360
        .size:           8
        .value_kind:     hidden_global_offset_y
      - .offset:         1368
        .size:           8
        .value_kind:     hidden_global_offset_z
      - .offset:         1376
        .size:           2
        .value_kind:     hidden_grid_dims
    .group_segment_fixed_size: 5152
    .kernarg_segment_align: 8
    .kernarg_segment_size: 1568
    .language:       OpenCL C
    .language_version:
      - 2
      - 0
    .max_flat_workgroup_size: 1024
    .name:           _ZN2at6native6sbtopk10gatherTopKIlmLi3ELb0EEEvNS_4cuda6detail10TensorInfoIKT_T0_EES8_S8_bS8_S8_NS5_IS6_S8_EES8_NS5_IlS8_EES8_PS6_
    .private_segment_fixed_size: 0
    .sgpr_count:     107
    .sgpr_spill_count: 2
    .symbol:         _ZN2at6native6sbtopk10gatherTopKIlmLi3ELb0EEEvNS_4cuda6detail10TensorInfoIKT_T0_EES8_S8_bS8_S8_NS5_IS6_S8_EES8_NS5_IlS8_EES8_PS6_.kd
    .uniform_work_group_size: 1
    .uses_dynamic_stack: false
    .vgpr_count:     44
    .vgpr_spill_count: 0
    .wavefront_size: 32
    .workgroup_processor_mode: 1
  - .args:
      - .offset:         0
        .size:           416
        .value_kind:     by_value
      - .offset:         416
        .size:           4
        .value_kind:     by_value
      - .address_space:  global
        .offset:         424
        .size:           8
        .value_kind:     global_buffer
      - .offset:         432
        .size:           4
        .value_kind:     by_value
      - .offset:         440
        .size:           8
        .value_kind:     by_value
      - .offset:         448
        .size:           4
        .value_kind:     by_value
      - .offset:         452
        .size:           4
        .value_kind:     by_value
      - .offset:         456
        .size:           4
        .value_kind:     by_value
      - .offset:         464
        .size:           8
        .value_kind:     by_value
      - .address_space:  global
        .offset:         472
        .size:           8
        .value_kind:     global_buffer
      - .address_space:  global
        .offset:         480
        .size:           8
        .value_kind:     global_buffer
      - .offset:         488
        .size:           4
        .value_kind:     hidden_block_count_x
      - .offset:         492
        .size:           4
        .value_kind:     hidden_block_count_y
      - .offset:         496
        .size:           4
        .value_kind:     hidden_block_count_z
      - .offset:         500
        .size:           2
        .value_kind:     hidden_group_size_x
      - .offset:         502
        .size:           2
        .value_kind:     hidden_group_size_y
      - .offset:         504
        .size:           2
        .value_kind:     hidden_group_size_z
      - .offset:         506
        .size:           2
        .value_kind:     hidden_remainder_x
      - .offset:         508
        .size:           2
        .value_kind:     hidden_remainder_y
      - .offset:         510
        .size:           2
        .value_kind:     hidden_remainder_z
      - .offset:         528
        .size:           8
        .value_kind:     hidden_global_offset_x
      - .offset:         536
        .size:           8
        .value_kind:     hidden_global_offset_y
      - .offset:         544
        .size:           8
        .value_kind:     hidden_global_offset_z
      - .offset:         552
        .size:           2
        .value_kind:     hidden_grid_dims
    .group_segment_fixed_size: 1024
    .kernarg_segment_align: 8
    .kernarg_segment_size: 744
    .language:       OpenCL C
    .language_version:
      - 2
      - 0
    .max_flat_workgroup_size: 256
    .name:           _ZN2at6native6mbtopk23computeBlockDigitCountsIlmmLin1EEEvNS_4cuda6detail10TensorInfoIKT_T0_EEjPjjS8_iijT1_PSB_Ps
    .private_segment_fixed_size: 0
    .sgpr_count:     36
    .sgpr_spill_count: 0
    .symbol:         _ZN2at6native6mbtopk23computeBlockDigitCountsIlmmLin1EEEvNS_4cuda6detail10TensorInfoIKT_T0_EEjPjjS8_iijT1_PSB_Ps.kd
    .uniform_work_group_size: 1
    .uses_dynamic_stack: false
    .vgpr_count:     10
    .vgpr_spill_count: 0
    .wavefront_size: 32
    .workgroup_processor_mode: 1
  - .args:
      - .offset:         0
        .size:           416
        .value_kind:     by_value
      - .offset:         416
        .size:           8
        .value_kind:     by_value
      - .offset:         424
        .size:           8
        .value_kind:     by_value
      - .offset:         432
        .size:           1
        .value_kind:     by_value
      - .offset:         436
        .size:           4
        .value_kind:     by_value
      - .offset:         440
        .size:           8
        .value_kind:     by_value
      - .offset:         448
        .size:           416
        .value_kind:     by_value
      - .offset:         864
        .size:           8
        .value_kind:     by_value
      - .offset:         872
        .size:           416
        .value_kind:     by_value
      - .offset:         1288
        .size:           8
        .value_kind:     by_value
      - .offset:         1296
        .size:           4
        .value_kind:     by_value
      - .offset:         1300
        .size:           4
        .value_kind:     by_value
      - .address_space:  global
        .offset:         1304
        .size:           8
        .value_kind:     global_buffer
      - .address_space:  global
        .offset:         1312
        .size:           8
        .value_kind:     global_buffer
      - .address_space:  global
        .offset:         1320
        .size:           8
        .value_kind:     global_buffer
      - .offset:         1328
        .size:           4
        .value_kind:     by_value
      - .offset:         1336
        .size:           4
        .value_kind:     hidden_block_count_x
      - .offset:         1340
        .size:           4
        .value_kind:     hidden_block_count_y
      - .offset:         1344
        .size:           4
        .value_kind:     hidden_block_count_z
      - .offset:         1348
        .size:           2
        .value_kind:     hidden_group_size_x
      - .offset:         1350
        .size:           2
        .value_kind:     hidden_group_size_y
      - .offset:         1352
        .size:           2
        .value_kind:     hidden_group_size_z
      - .offset:         1354
        .size:           2
        .value_kind:     hidden_remainder_x
      - .offset:         1356
        .size:           2
        .value_kind:     hidden_remainder_y
      - .offset:         1358
        .size:           2
        .value_kind:     hidden_remainder_z
      - .offset:         1376
        .size:           8
        .value_kind:     hidden_global_offset_x
      - .offset:         1384
        .size:           8
        .value_kind:     hidden_global_offset_y
      - .offset:         1392
        .size:           8
        .value_kind:     hidden_global_offset_z
      - .offset:         1400
        .size:           2
        .value_kind:     hidden_grid_dims
    .group_segment_fixed_size: 1068
    .kernarg_segment_align: 8
    .kernarg_segment_size: 1592
    .language:       OpenCL C
    .language_version:
      - 2
      - 0
    .max_flat_workgroup_size: 256
    .name:           _ZN2at6native6mbtopk10gatherTopKIlmLin1EEEvNS_4cuda6detail10TensorInfoIKT_T0_EES8_S8_bjS8_NS5_IS6_S8_EES8_NS5_IlS8_EES8_jjPS6_PjSD_j
    .private_segment_fixed_size: 0
    .sgpr_count:     60
    .sgpr_spill_count: 0
    .symbol:         _ZN2at6native6mbtopk10gatherTopKIlmLin1EEEvNS_4cuda6detail10TensorInfoIKT_T0_EES8_S8_bjS8_NS5_IS6_S8_EES8_NS5_IlS8_EES8_jjPS6_PjSD_j.kd
    .uniform_work_group_size: 1
    .uses_dynamic_stack: false
    .vgpr_count:     25
    .vgpr_spill_count: 0
    .wavefront_size: 32
    .workgroup_processor_mode: 1
  - .args:
      - .offset:         0
        .size:           416
        .value_kind:     by_value
      - .offset:         416
        .size:           8
        .value_kind:     by_value
      - .offset:         424
        .size:           8
        .value_kind:     by_value
      - .offset:         432
        .size:           1
        .value_kind:     by_value
      - .offset:         440
        .size:           8
        .value_kind:     by_value
      - .offset:         448
        .size:           8
        .value_kind:     by_value
      - .offset:         456
        .size:           416
        .value_kind:     by_value
      - .offset:         872
        .size:           8
        .value_kind:     by_value
      - .offset:         880
        .size:           416
        .value_kind:     by_value
      - .offset:         1296
        .size:           8
        .value_kind:     by_value
      - .address_space:  global
        .offset:         1304
        .size:           8
        .value_kind:     global_buffer
      - .offset:         1312
        .size:           4
        .value_kind:     hidden_block_count_x
      - .offset:         1316
        .size:           4
        .value_kind:     hidden_block_count_y
      - .offset:         1320
        .size:           4
        .value_kind:     hidden_block_count_z
      - .offset:         1324
        .size:           2
        .value_kind:     hidden_group_size_x
      - .offset:         1326
        .size:           2
        .value_kind:     hidden_group_size_y
      - .offset:         1328
        .size:           2
        .value_kind:     hidden_group_size_z
      - .offset:         1330
        .size:           2
        .value_kind:     hidden_remainder_x
      - .offset:         1332
        .size:           2
        .value_kind:     hidden_remainder_y
      - .offset:         1334
        .size:           2
        .value_kind:     hidden_remainder_z
      - .offset:         1352
        .size:           8
        .value_kind:     hidden_global_offset_x
      - .offset:         1360
        .size:           8
        .value_kind:     hidden_global_offset_y
      - .offset:         1368
        .size:           8
        .value_kind:     hidden_global_offset_z
      - .offset:         1376
        .size:           2
        .value_kind:     hidden_grid_dims
    .group_segment_fixed_size: 5152
    .kernarg_segment_align: 8
    .kernarg_segment_size: 1568
    .language:       OpenCL C
    .language_version:
      - 2
      - 0
    .max_flat_workgroup_size: 1024
    .name:           _ZN2at6native6sbtopk10gatherTopKIlmLin1ELb0EEEvNS_4cuda6detail10TensorInfoIKT_T0_EES8_S8_bS8_S8_NS5_IS6_S8_EES8_NS5_IlS8_EES8_PS6_
    .private_segment_fixed_size: 0
    .sgpr_count:     107
    .sgpr_spill_count: 10
    .symbol:         _ZN2at6native6sbtopk10gatherTopKIlmLin1ELb0EEEvNS_4cuda6detail10TensorInfoIKT_T0_EES8_S8_bS8_S8_NS5_IS6_S8_EES8_NS5_IlS8_EES8_PS6_.kd
    .uniform_work_group_size: 1
    .uses_dynamic_stack: false
    .vgpr_count:     58
    .vgpr_spill_count: 0
    .wavefront_size: 32
    .workgroup_processor_mode: 1
  - .args:
      - .offset:         0
        .size:           416
        .value_kind:     by_value
      - .offset:         416
        .size:           4
        .value_kind:     by_value
      - .address_space:  global
        .offset:         424
        .size:           8
        .value_kind:     global_buffer
      - .offset:         432
        .size:           4
        .value_kind:     by_value
      - .offset:         440
        .size:           8
        .value_kind:     by_value
      - .offset:         448
        .size:           4
        .value_kind:     by_value
      - .offset:         452
        .size:           4
        .value_kind:     by_value
      - .offset:         456
        .size:           4
        .value_kind:     by_value
      - .offset:         460
        .size:           4
        .value_kind:     by_value
      - .address_space:  global
        .offset:         464
        .size:           8
        .value_kind:     global_buffer
      - .address_space:  global
        .offset:         472
        .size:           8
        .value_kind:     global_buffer
      - .offset:         480
        .size:           4
        .value_kind:     hidden_block_count_x
      - .offset:         484
        .size:           4
        .value_kind:     hidden_block_count_y
      - .offset:         488
        .size:           4
        .value_kind:     hidden_block_count_z
      - .offset:         492
        .size:           2
        .value_kind:     hidden_group_size_x
      - .offset:         494
        .size:           2
        .value_kind:     hidden_group_size_y
      - .offset:         496
        .size:           2
        .value_kind:     hidden_group_size_z
      - .offset:         498
        .size:           2
        .value_kind:     hidden_remainder_x
      - .offset:         500
        .size:           2
        .value_kind:     hidden_remainder_y
      - .offset:         502
        .size:           2
        .value_kind:     hidden_remainder_z
      - .offset:         520
        .size:           8
        .value_kind:     hidden_global_offset_x
      - .offset:         528
        .size:           8
        .value_kind:     hidden_global_offset_y
      - .offset:         536
        .size:           8
        .value_kind:     hidden_global_offset_z
      - .offset:         544
        .size:           2
        .value_kind:     hidden_grid_dims
    .group_segment_fixed_size: 1024
    .kernarg_segment_align: 8
    .kernarg_segment_size: 736
    .language:       OpenCL C
    .language_version:
      - 2
      - 0
    .max_flat_workgroup_size: 256
    .name:           _ZN2at6native6mbtopk23computeBlockDigitCountsIsmjLi1EEEvNS_4cuda6detail10TensorInfoIKT_T0_EEjPjjS8_iijT1_PSB_Ps
    .private_segment_fixed_size: 0
    .sgpr_count:     24
    .sgpr_spill_count: 0
    .symbol:         _ZN2at6native6mbtopk23computeBlockDigitCountsIsmjLi1EEEvNS_4cuda6detail10TensorInfoIKT_T0_EEjPjjS8_iijT1_PSB_Ps.kd
    .uniform_work_group_size: 1
    .uses_dynamic_stack: false
    .vgpr_count:     10
    .vgpr_spill_count: 0
    .wavefront_size: 32
    .workgroup_processor_mode: 1
  - .args:
      - .offset:         0
        .size:           416
        .value_kind:     by_value
      - .offset:         416
        .size:           8
        .value_kind:     by_value
      - .offset:         424
        .size:           8
        .value_kind:     by_value
      - .offset:         432
        .size:           1
        .value_kind:     by_value
      - .offset:         436
        .size:           4
        .value_kind:     by_value
      - .offset:         440
        .size:           8
        .value_kind:     by_value
      - .offset:         448
        .size:           416
        .value_kind:     by_value
      - .offset:         864
        .size:           8
        .value_kind:     by_value
      - .offset:         872
        .size:           416
        .value_kind:     by_value
      - .offset:         1288
        .size:           8
        .value_kind:     by_value
      - .offset:         1296
        .size:           4
        .value_kind:     by_value
      - .offset:         1300
        .size:           4
        .value_kind:     by_value
      - .address_space:  global
        .offset:         1304
        .size:           8
        .value_kind:     global_buffer
      - .address_space:  global
        .offset:         1312
        .size:           8
        .value_kind:     global_buffer
      - .address_space:  global
        .offset:         1320
        .size:           8
        .value_kind:     global_buffer
      - .offset:         1328
        .size:           4
        .value_kind:     by_value
      - .offset:         1336
        .size:           4
        .value_kind:     hidden_block_count_x
      - .offset:         1340
        .size:           4
        .value_kind:     hidden_block_count_y
      - .offset:         1344
        .size:           4
        .value_kind:     hidden_block_count_z
      - .offset:         1348
        .size:           2
        .value_kind:     hidden_group_size_x
      - .offset:         1350
        .size:           2
        .value_kind:     hidden_group_size_y
      - .offset:         1352
        .size:           2
        .value_kind:     hidden_group_size_z
      - .offset:         1354
        .size:           2
        .value_kind:     hidden_remainder_x
      - .offset:         1356
        .size:           2
        .value_kind:     hidden_remainder_y
      - .offset:         1358
        .size:           2
        .value_kind:     hidden_remainder_z
      - .offset:         1376
        .size:           8
        .value_kind:     hidden_global_offset_x
      - .offset:         1384
        .size:           8
        .value_kind:     hidden_global_offset_y
      - .offset:         1392
        .size:           8
        .value_kind:     hidden_global_offset_z
      - .offset:         1400
        .size:           2
        .value_kind:     hidden_grid_dims
    .group_segment_fixed_size: 1068
    .kernarg_segment_align: 8
    .kernarg_segment_size: 1592
    .language:       OpenCL C
    .language_version:
      - 2
      - 0
    .max_flat_workgroup_size: 256
    .name:           _ZN2at6native6mbtopk10gatherTopKIsmLi1EEEvNS_4cuda6detail10TensorInfoIKT_T0_EES8_S8_bjS8_NS5_IS6_S8_EES8_NS5_IlS8_EES8_jjPS6_PjSD_j
    .private_segment_fixed_size: 0
    .sgpr_count:     43
    .sgpr_spill_count: 0
    .symbol:         _ZN2at6native6mbtopk10gatherTopKIsmLi1EEEvNS_4cuda6detail10TensorInfoIKT_T0_EES8_S8_bjS8_NS5_IS6_S8_EES8_NS5_IlS8_EES8_jjPS6_PjSD_j.kd
    .uniform_work_group_size: 1
    .uses_dynamic_stack: false
    .vgpr_count:     26
    .vgpr_spill_count: 0
    .wavefront_size: 32
    .workgroup_processor_mode: 1
  - .args:
      - .offset:         0
        .size:           416
        .value_kind:     by_value
      - .offset:         416
        .size:           8
        .value_kind:     by_value
      - .offset:         424
        .size:           8
        .value_kind:     by_value
      - .offset:         432
        .size:           1
        .value_kind:     by_value
      - .offset:         440
        .size:           8
        .value_kind:     by_value
      - .offset:         448
        .size:           8
        .value_kind:     by_value
      - .offset:         456
        .size:           416
        .value_kind:     by_value
      - .offset:         872
        .size:           8
        .value_kind:     by_value
      - .offset:         880
        .size:           416
        .value_kind:     by_value
      - .offset:         1296
        .size:           8
        .value_kind:     by_value
      - .address_space:  global
        .offset:         1304
        .size:           8
        .value_kind:     global_buffer
      - .offset:         1312
        .size:           4
        .value_kind:     hidden_block_count_x
      - .offset:         1316
        .size:           4
        .value_kind:     hidden_block_count_y
      - .offset:         1320
        .size:           4
        .value_kind:     hidden_block_count_z
      - .offset:         1324
        .size:           2
        .value_kind:     hidden_group_size_x
      - .offset:         1326
        .size:           2
        .value_kind:     hidden_group_size_y
      - .offset:         1328
        .size:           2
        .value_kind:     hidden_group_size_z
      - .offset:         1330
        .size:           2
        .value_kind:     hidden_remainder_x
      - .offset:         1332
        .size:           2
        .value_kind:     hidden_remainder_y
      - .offset:         1334
        .size:           2
        .value_kind:     hidden_remainder_z
      - .offset:         1352
        .size:           8
        .value_kind:     hidden_global_offset_x
      - .offset:         1360
        .size:           8
        .value_kind:     hidden_global_offset_y
      - .offset:         1368
        .size:           8
        .value_kind:     hidden_global_offset_z
      - .offset:         1376
        .size:           2
        .value_kind:     hidden_grid_dims
    .group_segment_fixed_size: 5152
    .kernarg_segment_align: 8
    .kernarg_segment_size: 1568
    .language:       OpenCL C
    .language_version:
      - 2
      - 0
    .max_flat_workgroup_size: 1024
    .name:           _ZN2at6native6sbtopk10gatherTopKIsmLi1ELb0EEEvNS_4cuda6detail10TensorInfoIKT_T0_EES8_S8_bS8_S8_NS5_IS6_S8_EES8_NS5_IlS8_EES8_PS6_
    .private_segment_fixed_size: 0
    .sgpr_count:     107
    .sgpr_spill_count: 2
    .symbol:         _ZN2at6native6sbtopk10gatherTopKIsmLi1ELb0EEEvNS_4cuda6detail10TensorInfoIKT_T0_EES8_S8_bS8_S8_NS5_IS6_S8_EES8_NS5_IlS8_EES8_PS6_.kd
    .uniform_work_group_size: 1
    .uses_dynamic_stack: false
    .vgpr_count:     45
    .vgpr_spill_count: 0
    .wavefront_size: 32
    .workgroup_processor_mode: 1
  - .args:
      - .offset:         0
        .size:           416
        .value_kind:     by_value
      - .offset:         416
        .size:           4
        .value_kind:     by_value
      - .address_space:  global
        .offset:         424
        .size:           8
        .value_kind:     global_buffer
      - .offset:         432
        .size:           4
        .value_kind:     by_value
      - .offset:         440
        .size:           8
        .value_kind:     by_value
      - .offset:         448
        .size:           4
        .value_kind:     by_value
      - .offset:         452
        .size:           4
        .value_kind:     by_value
      - .offset:         456
        .size:           4
        .value_kind:     by_value
      - .offset:         460
        .size:           4
        .value_kind:     by_value
      - .address_space:  global
        .offset:         464
        .size:           8
        .value_kind:     global_buffer
      - .address_space:  global
        .offset:         472
        .size:           8
        .value_kind:     global_buffer
      - .offset:         480
        .size:           4
        .value_kind:     hidden_block_count_x
      - .offset:         484
        .size:           4
        .value_kind:     hidden_block_count_y
      - .offset:         488
        .size:           4
        .value_kind:     hidden_block_count_z
      - .offset:         492
        .size:           2
        .value_kind:     hidden_group_size_x
      - .offset:         494
        .size:           2
        .value_kind:     hidden_group_size_y
      - .offset:         496
        .size:           2
        .value_kind:     hidden_group_size_z
      - .offset:         498
        .size:           2
        .value_kind:     hidden_remainder_x
      - .offset:         500
        .size:           2
        .value_kind:     hidden_remainder_y
      - .offset:         502
        .size:           2
        .value_kind:     hidden_remainder_z
      - .offset:         520
        .size:           8
        .value_kind:     hidden_global_offset_x
      - .offset:         528
        .size:           8
        .value_kind:     hidden_global_offset_y
      - .offset:         536
        .size:           8
        .value_kind:     hidden_global_offset_z
      - .offset:         544
        .size:           2
        .value_kind:     hidden_grid_dims
    .group_segment_fixed_size: 1024
    .kernarg_segment_align: 8
    .kernarg_segment_size: 736
    .language:       OpenCL C
    .language_version:
      - 2
      - 0
    .max_flat_workgroup_size: 256
    .name:           _ZN2at6native6mbtopk23computeBlockDigitCountsIsmjLi2EEEvNS_4cuda6detail10TensorInfoIKT_T0_EEjPjjS8_iijT1_PSB_Ps
    .private_segment_fixed_size: 0
    .sgpr_count:     27
    .sgpr_spill_count: 0
    .symbol:         _ZN2at6native6mbtopk23computeBlockDigitCountsIsmjLi2EEEvNS_4cuda6detail10TensorInfoIKT_T0_EEjPjjS8_iijT1_PSB_Ps.kd
    .uniform_work_group_size: 1
    .uses_dynamic_stack: false
    .vgpr_count:     10
    .vgpr_spill_count: 0
    .wavefront_size: 32
    .workgroup_processor_mode: 1
  - .args:
      - .offset:         0
        .size:           416
        .value_kind:     by_value
      - .offset:         416
        .size:           8
        .value_kind:     by_value
      - .offset:         424
        .size:           8
        .value_kind:     by_value
      - .offset:         432
        .size:           1
        .value_kind:     by_value
      - .offset:         436
        .size:           4
        .value_kind:     by_value
      - .offset:         440
        .size:           8
        .value_kind:     by_value
      - .offset:         448
        .size:           416
        .value_kind:     by_value
      - .offset:         864
        .size:           8
        .value_kind:     by_value
      - .offset:         872
        .size:           416
        .value_kind:     by_value
      - .offset:         1288
        .size:           8
        .value_kind:     by_value
      - .offset:         1296
        .size:           4
        .value_kind:     by_value
      - .offset:         1300
        .size:           4
        .value_kind:     by_value
      - .address_space:  global
        .offset:         1304
        .size:           8
        .value_kind:     global_buffer
      - .address_space:  global
        .offset:         1312
        .size:           8
        .value_kind:     global_buffer
      - .address_space:  global
        .offset:         1320
        .size:           8
        .value_kind:     global_buffer
      - .offset:         1328
        .size:           4
        .value_kind:     by_value
      - .offset:         1336
        .size:           4
        .value_kind:     hidden_block_count_x
      - .offset:         1340
        .size:           4
        .value_kind:     hidden_block_count_y
      - .offset:         1344
        .size:           4
        .value_kind:     hidden_block_count_z
      - .offset:         1348
        .size:           2
        .value_kind:     hidden_group_size_x
      - .offset:         1350
        .size:           2
        .value_kind:     hidden_group_size_y
      - .offset:         1352
        .size:           2
        .value_kind:     hidden_group_size_z
      - .offset:         1354
        .size:           2
        .value_kind:     hidden_remainder_x
      - .offset:         1356
        .size:           2
        .value_kind:     hidden_remainder_y
      - .offset:         1358
        .size:           2
        .value_kind:     hidden_remainder_z
      - .offset:         1376
        .size:           8
        .value_kind:     hidden_global_offset_x
      - .offset:         1384
        .size:           8
        .value_kind:     hidden_global_offset_y
      - .offset:         1392
        .size:           8
        .value_kind:     hidden_global_offset_z
      - .offset:         1400
        .size:           2
        .value_kind:     hidden_grid_dims
    .group_segment_fixed_size: 1068
    .kernarg_segment_align: 8
    .kernarg_segment_size: 1592
    .language:       OpenCL C
    .language_version:
      - 2
      - 0
    .max_flat_workgroup_size: 256
    .name:           _ZN2at6native6mbtopk10gatherTopKIsmLi2EEEvNS_4cuda6detail10TensorInfoIKT_T0_EES8_S8_bjS8_NS5_IS6_S8_EES8_NS5_IlS8_EES8_jjPS6_PjSD_j
    .private_segment_fixed_size: 0
    .sgpr_count:     51
    .sgpr_spill_count: 0
    .symbol:         _ZN2at6native6mbtopk10gatherTopKIsmLi2EEEvNS_4cuda6detail10TensorInfoIKT_T0_EES8_S8_bjS8_NS5_IS6_S8_EES8_NS5_IlS8_EES8_jjPS6_PjSD_j.kd
    .uniform_work_group_size: 1
    .uses_dynamic_stack: false
    .vgpr_count:     26
    .vgpr_spill_count: 0
    .wavefront_size: 32
    .workgroup_processor_mode: 1
  - .args:
      - .offset:         0
        .size:           416
        .value_kind:     by_value
      - .offset:         416
        .size:           8
        .value_kind:     by_value
      - .offset:         424
        .size:           8
        .value_kind:     by_value
      - .offset:         432
        .size:           1
        .value_kind:     by_value
      - .offset:         440
        .size:           8
        .value_kind:     by_value
      - .offset:         448
        .size:           8
        .value_kind:     by_value
      - .offset:         456
        .size:           416
        .value_kind:     by_value
      - .offset:         872
        .size:           8
        .value_kind:     by_value
      - .offset:         880
        .size:           416
        .value_kind:     by_value
      - .offset:         1296
        .size:           8
        .value_kind:     by_value
      - .address_space:  global
        .offset:         1304
        .size:           8
        .value_kind:     global_buffer
      - .offset:         1312
        .size:           4
        .value_kind:     hidden_block_count_x
      - .offset:         1316
        .size:           4
        .value_kind:     hidden_block_count_y
      - .offset:         1320
        .size:           4
        .value_kind:     hidden_block_count_z
      - .offset:         1324
        .size:           2
        .value_kind:     hidden_group_size_x
      - .offset:         1326
        .size:           2
        .value_kind:     hidden_group_size_y
      - .offset:         1328
        .size:           2
        .value_kind:     hidden_group_size_z
      - .offset:         1330
        .size:           2
        .value_kind:     hidden_remainder_x
      - .offset:         1332
        .size:           2
        .value_kind:     hidden_remainder_y
      - .offset:         1334
        .size:           2
        .value_kind:     hidden_remainder_z
      - .offset:         1352
        .size:           8
        .value_kind:     hidden_global_offset_x
      - .offset:         1360
        .size:           8
        .value_kind:     hidden_global_offset_y
      - .offset:         1368
        .size:           8
        .value_kind:     hidden_global_offset_z
      - .offset:         1376
        .size:           2
        .value_kind:     hidden_grid_dims
    .group_segment_fixed_size: 5152
    .kernarg_segment_align: 8
    .kernarg_segment_size: 1568
    .language:       OpenCL C
    .language_version:
      - 2
      - 0
    .max_flat_workgroup_size: 1024
    .name:           _ZN2at6native6sbtopk10gatherTopKIsmLi2ELb0EEEvNS_4cuda6detail10TensorInfoIKT_T0_EES8_S8_bS8_S8_NS5_IS6_S8_EES8_NS5_IlS8_EES8_PS6_
    .private_segment_fixed_size: 0
    .sgpr_count:     107
    .sgpr_spill_count: 0
    .symbol:         _ZN2at6native6sbtopk10gatherTopKIsmLi2ELb0EEEvNS_4cuda6detail10TensorInfoIKT_T0_EES8_S8_bS8_S8_NS5_IS6_S8_EES8_NS5_IlS8_EES8_PS6_.kd
    .uniform_work_group_size: 1
    .uses_dynamic_stack: false
    .vgpr_count:     36
    .vgpr_spill_count: 0
    .wavefront_size: 32
    .workgroup_processor_mode: 1
  - .args:
      - .offset:         0
        .size:           416
        .value_kind:     by_value
      - .offset:         416
        .size:           4
        .value_kind:     by_value
      - .address_space:  global
        .offset:         424
        .size:           8
        .value_kind:     global_buffer
      - .offset:         432
        .size:           4
        .value_kind:     by_value
      - .offset:         440
        .size:           8
        .value_kind:     by_value
      - .offset:         448
        .size:           4
        .value_kind:     by_value
      - .offset:         452
        .size:           4
        .value_kind:     by_value
      - .offset:         456
        .size:           4
        .value_kind:     by_value
      - .offset:         460
        .size:           4
        .value_kind:     by_value
      - .address_space:  global
        .offset:         464
        .size:           8
        .value_kind:     global_buffer
      - .address_space:  global
        .offset:         472
        .size:           8
        .value_kind:     global_buffer
      - .offset:         480
        .size:           4
        .value_kind:     hidden_block_count_x
      - .offset:         484
        .size:           4
        .value_kind:     hidden_block_count_y
      - .offset:         488
        .size:           4
        .value_kind:     hidden_block_count_z
      - .offset:         492
        .size:           2
        .value_kind:     hidden_group_size_x
      - .offset:         494
        .size:           2
        .value_kind:     hidden_group_size_y
      - .offset:         496
        .size:           2
        .value_kind:     hidden_group_size_z
      - .offset:         498
        .size:           2
        .value_kind:     hidden_remainder_x
      - .offset:         500
        .size:           2
        .value_kind:     hidden_remainder_y
      - .offset:         502
        .size:           2
        .value_kind:     hidden_remainder_z
      - .offset:         520
        .size:           8
        .value_kind:     hidden_global_offset_x
      - .offset:         528
        .size:           8
        .value_kind:     hidden_global_offset_y
      - .offset:         536
        .size:           8
        .value_kind:     hidden_global_offset_z
      - .offset:         544
        .size:           2
        .value_kind:     hidden_grid_dims
    .group_segment_fixed_size: 1024
    .kernarg_segment_align: 8
    .kernarg_segment_size: 736
    .language:       OpenCL C
    .language_version:
      - 2
      - 0
    .max_flat_workgroup_size: 256
    .name:           _ZN2at6native6mbtopk23computeBlockDigitCountsIsmjLi3EEEvNS_4cuda6detail10TensorInfoIKT_T0_EEjPjjS8_iijT1_PSB_Ps
    .private_segment_fixed_size: 0
    .sgpr_count:     34
    .sgpr_spill_count: 0
    .symbol:         _ZN2at6native6mbtopk23computeBlockDigitCountsIsmjLi3EEEvNS_4cuda6detail10TensorInfoIKT_T0_EEjPjjS8_iijT1_PSB_Ps.kd
    .uniform_work_group_size: 1
    .uses_dynamic_stack: false
    .vgpr_count:     10
    .vgpr_spill_count: 0
    .wavefront_size: 32
    .workgroup_processor_mode: 1
  - .args:
      - .offset:         0
        .size:           416
        .value_kind:     by_value
      - .offset:         416
        .size:           8
        .value_kind:     by_value
      - .offset:         424
        .size:           8
        .value_kind:     by_value
      - .offset:         432
        .size:           1
        .value_kind:     by_value
      - .offset:         436
        .size:           4
        .value_kind:     by_value
      - .offset:         440
        .size:           8
        .value_kind:     by_value
      - .offset:         448
        .size:           416
        .value_kind:     by_value
      - .offset:         864
        .size:           8
        .value_kind:     by_value
      - .offset:         872
        .size:           416
        .value_kind:     by_value
      - .offset:         1288
        .size:           8
        .value_kind:     by_value
      - .offset:         1296
        .size:           4
        .value_kind:     by_value
      - .offset:         1300
        .size:           4
        .value_kind:     by_value
      - .address_space:  global
        .offset:         1304
        .size:           8
        .value_kind:     global_buffer
      - .address_space:  global
        .offset:         1312
        .size:           8
        .value_kind:     global_buffer
      - .address_space:  global
        .offset:         1320
        .size:           8
        .value_kind:     global_buffer
      - .offset:         1328
        .size:           4
        .value_kind:     by_value
      - .offset:         1336
        .size:           4
        .value_kind:     hidden_block_count_x
      - .offset:         1340
        .size:           4
        .value_kind:     hidden_block_count_y
      - .offset:         1344
        .size:           4
        .value_kind:     hidden_block_count_z
      - .offset:         1348
        .size:           2
        .value_kind:     hidden_group_size_x
      - .offset:         1350
        .size:           2
        .value_kind:     hidden_group_size_y
      - .offset:         1352
        .size:           2
        .value_kind:     hidden_group_size_z
      - .offset:         1354
        .size:           2
        .value_kind:     hidden_remainder_x
      - .offset:         1356
        .size:           2
        .value_kind:     hidden_remainder_y
      - .offset:         1358
        .size:           2
        .value_kind:     hidden_remainder_z
      - .offset:         1376
        .size:           8
        .value_kind:     hidden_global_offset_x
      - .offset:         1384
        .size:           8
        .value_kind:     hidden_global_offset_y
      - .offset:         1392
        .size:           8
        .value_kind:     hidden_global_offset_z
      - .offset:         1400
        .size:           2
        .value_kind:     hidden_grid_dims
    .group_segment_fixed_size: 1068
    .kernarg_segment_align: 8
    .kernarg_segment_size: 1592
    .language:       OpenCL C
    .language_version:
      - 2
      - 0
    .max_flat_workgroup_size: 256
    .name:           _ZN2at6native6mbtopk10gatherTopKIsmLi3EEEvNS_4cuda6detail10TensorInfoIKT_T0_EES8_S8_bjS8_NS5_IS6_S8_EES8_NS5_IlS8_EES8_jjPS6_PjSD_j
    .private_segment_fixed_size: 0
    .sgpr_count:     76
    .sgpr_spill_count: 0
    .symbol:         _ZN2at6native6mbtopk10gatherTopKIsmLi3EEEvNS_4cuda6detail10TensorInfoIKT_T0_EES8_S8_bjS8_NS5_IS6_S8_EES8_NS5_IlS8_EES8_jjPS6_PjSD_j.kd
    .uniform_work_group_size: 1
    .uses_dynamic_stack: false
    .vgpr_count:     26
    .vgpr_spill_count: 0
    .wavefront_size: 32
    .workgroup_processor_mode: 1
  - .args:
      - .offset:         0
        .size:           416
        .value_kind:     by_value
      - .offset:         416
        .size:           8
        .value_kind:     by_value
      - .offset:         424
        .size:           8
        .value_kind:     by_value
      - .offset:         432
        .size:           1
        .value_kind:     by_value
      - .offset:         440
        .size:           8
        .value_kind:     by_value
      - .offset:         448
        .size:           8
        .value_kind:     by_value
      - .offset:         456
        .size:           416
        .value_kind:     by_value
      - .offset:         872
        .size:           8
        .value_kind:     by_value
      - .offset:         880
        .size:           416
        .value_kind:     by_value
      - .offset:         1296
        .size:           8
        .value_kind:     by_value
      - .address_space:  global
        .offset:         1304
        .size:           8
        .value_kind:     global_buffer
      - .offset:         1312
        .size:           4
        .value_kind:     hidden_block_count_x
      - .offset:         1316
        .size:           4
        .value_kind:     hidden_block_count_y
      - .offset:         1320
        .size:           4
        .value_kind:     hidden_block_count_z
      - .offset:         1324
        .size:           2
        .value_kind:     hidden_group_size_x
      - .offset:         1326
        .size:           2
        .value_kind:     hidden_group_size_y
      - .offset:         1328
        .size:           2
        .value_kind:     hidden_group_size_z
      - .offset:         1330
        .size:           2
        .value_kind:     hidden_remainder_x
      - .offset:         1332
        .size:           2
        .value_kind:     hidden_remainder_y
      - .offset:         1334
        .size:           2
        .value_kind:     hidden_remainder_z
      - .offset:         1352
        .size:           8
        .value_kind:     hidden_global_offset_x
      - .offset:         1360
        .size:           8
        .value_kind:     hidden_global_offset_y
      - .offset:         1368
        .size:           8
        .value_kind:     hidden_global_offset_z
      - .offset:         1376
        .size:           2
        .value_kind:     hidden_grid_dims
    .group_segment_fixed_size: 5152
    .kernarg_segment_align: 8
    .kernarg_segment_size: 1568
    .language:       OpenCL C
    .language_version:
      - 2
      - 0
    .max_flat_workgroup_size: 1024
    .name:           _ZN2at6native6sbtopk10gatherTopKIsmLi3ELb0EEEvNS_4cuda6detail10TensorInfoIKT_T0_EES8_S8_bS8_S8_NS5_IS6_S8_EES8_NS5_IlS8_EES8_PS6_
    .private_segment_fixed_size: 0
    .sgpr_count:     107
    .sgpr_spill_count: 2
    .symbol:         _ZN2at6native6sbtopk10gatherTopKIsmLi3ELb0EEEvNS_4cuda6detail10TensorInfoIKT_T0_EES8_S8_bS8_S8_NS5_IS6_S8_EES8_NS5_IlS8_EES8_PS6_.kd
    .uniform_work_group_size: 1
    .uses_dynamic_stack: false
    .vgpr_count:     37
    .vgpr_spill_count: 0
    .wavefront_size: 32
    .workgroup_processor_mode: 1
  - .args:
      - .offset:         0
        .size:           416
        .value_kind:     by_value
      - .offset:         416
        .size:           4
        .value_kind:     by_value
      - .address_space:  global
        .offset:         424
        .size:           8
        .value_kind:     global_buffer
      - .offset:         432
        .size:           4
        .value_kind:     by_value
      - .offset:         440
        .size:           8
        .value_kind:     by_value
      - .offset:         448
        .size:           4
        .value_kind:     by_value
      - .offset:         452
        .size:           4
        .value_kind:     by_value
      - .offset:         456
        .size:           4
        .value_kind:     by_value
      - .offset:         460
        .size:           4
        .value_kind:     by_value
      - .address_space:  global
        .offset:         464
        .size:           8
        .value_kind:     global_buffer
      - .address_space:  global
        .offset:         472
        .size:           8
        .value_kind:     global_buffer
      - .offset:         480
        .size:           4
        .value_kind:     hidden_block_count_x
      - .offset:         484
        .size:           4
        .value_kind:     hidden_block_count_y
      - .offset:         488
        .size:           4
        .value_kind:     hidden_block_count_z
      - .offset:         492
        .size:           2
        .value_kind:     hidden_group_size_x
      - .offset:         494
        .size:           2
        .value_kind:     hidden_group_size_y
      - .offset:         496
        .size:           2
        .value_kind:     hidden_group_size_z
      - .offset:         498
        .size:           2
        .value_kind:     hidden_remainder_x
      - .offset:         500
        .size:           2
        .value_kind:     hidden_remainder_y
      - .offset:         502
        .size:           2
        .value_kind:     hidden_remainder_z
      - .offset:         520
        .size:           8
        .value_kind:     hidden_global_offset_x
      - .offset:         528
        .size:           8
        .value_kind:     hidden_global_offset_y
      - .offset:         536
        .size:           8
        .value_kind:     hidden_global_offset_z
      - .offset:         544
        .size:           2
        .value_kind:     hidden_grid_dims
    .group_segment_fixed_size: 1024
    .kernarg_segment_align: 8
    .kernarg_segment_size: 736
    .language:       OpenCL C
    .language_version:
      - 2
      - 0
    .max_flat_workgroup_size: 256
    .name:           _ZN2at6native6mbtopk23computeBlockDigitCountsIsmjLin1EEEvNS_4cuda6detail10TensorInfoIKT_T0_EEjPjjS8_iijT1_PSB_Ps
    .private_segment_fixed_size: 0
    .sgpr_count:     34
    .sgpr_spill_count: 0
    .symbol:         _ZN2at6native6mbtopk23computeBlockDigitCountsIsmjLin1EEEvNS_4cuda6detail10TensorInfoIKT_T0_EEjPjjS8_iijT1_PSB_Ps.kd
    .uniform_work_group_size: 1
    .uses_dynamic_stack: false
    .vgpr_count:     10
    .vgpr_spill_count: 0
    .wavefront_size: 32
    .workgroup_processor_mode: 1
  - .args:
      - .offset:         0
        .size:           416
        .value_kind:     by_value
      - .offset:         416
        .size:           8
        .value_kind:     by_value
      - .offset:         424
        .size:           8
        .value_kind:     by_value
      - .offset:         432
        .size:           1
        .value_kind:     by_value
      - .offset:         436
        .size:           4
        .value_kind:     by_value
      - .offset:         440
        .size:           8
        .value_kind:     by_value
      - .offset:         448
        .size:           416
        .value_kind:     by_value
      - .offset:         864
        .size:           8
        .value_kind:     by_value
      - .offset:         872
        .size:           416
        .value_kind:     by_value
      - .offset:         1288
        .size:           8
        .value_kind:     by_value
      - .offset:         1296
        .size:           4
        .value_kind:     by_value
      - .offset:         1300
        .size:           4
        .value_kind:     by_value
      - .address_space:  global
        .offset:         1304
        .size:           8
        .value_kind:     global_buffer
      - .address_space:  global
        .offset:         1312
        .size:           8
        .value_kind:     global_buffer
      - .address_space:  global
        .offset:         1320
        .size:           8
        .value_kind:     global_buffer
      - .offset:         1328
        .size:           4
        .value_kind:     by_value
      - .offset:         1336
        .size:           4
        .value_kind:     hidden_block_count_x
      - .offset:         1340
        .size:           4
        .value_kind:     hidden_block_count_y
      - .offset:         1344
        .size:           4
        .value_kind:     hidden_block_count_z
      - .offset:         1348
        .size:           2
        .value_kind:     hidden_group_size_x
      - .offset:         1350
        .size:           2
        .value_kind:     hidden_group_size_y
      - .offset:         1352
        .size:           2
        .value_kind:     hidden_group_size_z
      - .offset:         1354
        .size:           2
        .value_kind:     hidden_remainder_x
      - .offset:         1356
        .size:           2
        .value_kind:     hidden_remainder_y
      - .offset:         1358
        .size:           2
        .value_kind:     hidden_remainder_z
      - .offset:         1376
        .size:           8
        .value_kind:     hidden_global_offset_x
      - .offset:         1384
        .size:           8
        .value_kind:     hidden_global_offset_y
      - .offset:         1392
        .size:           8
        .value_kind:     hidden_global_offset_z
      - .offset:         1400
        .size:           2
        .value_kind:     hidden_grid_dims
    .group_segment_fixed_size: 1068
    .kernarg_segment_align: 8
    .kernarg_segment_size: 1592
    .language:       OpenCL C
    .language_version:
      - 2
      - 0
    .max_flat_workgroup_size: 256
    .name:           _ZN2at6native6mbtopk10gatherTopKIsmLin1EEEvNS_4cuda6detail10TensorInfoIKT_T0_EES8_S8_bjS8_NS5_IS6_S8_EES8_NS5_IlS8_EES8_jjPS6_PjSD_j
    .private_segment_fixed_size: 0
    .sgpr_count:     58
    .sgpr_spill_count: 0
    .symbol:         _ZN2at6native6mbtopk10gatherTopKIsmLin1EEEvNS_4cuda6detail10TensorInfoIKT_T0_EES8_S8_bjS8_NS5_IS6_S8_EES8_NS5_IlS8_EES8_jjPS6_PjSD_j.kd
    .uniform_work_group_size: 1
    .uses_dynamic_stack: false
    .vgpr_count:     26
    .vgpr_spill_count: 0
    .wavefront_size: 32
    .workgroup_processor_mode: 1
  - .args:
      - .offset:         0
        .size:           416
        .value_kind:     by_value
      - .offset:         416
        .size:           8
        .value_kind:     by_value
      - .offset:         424
        .size:           8
        .value_kind:     by_value
      - .offset:         432
        .size:           1
        .value_kind:     by_value
      - .offset:         440
        .size:           8
        .value_kind:     by_value
      - .offset:         448
        .size:           8
        .value_kind:     by_value
      - .offset:         456
        .size:           416
        .value_kind:     by_value
      - .offset:         872
        .size:           8
        .value_kind:     by_value
      - .offset:         880
        .size:           416
        .value_kind:     by_value
      - .offset:         1296
        .size:           8
        .value_kind:     by_value
      - .address_space:  global
        .offset:         1304
        .size:           8
        .value_kind:     global_buffer
      - .offset:         1312
        .size:           4
        .value_kind:     hidden_block_count_x
      - .offset:         1316
        .size:           4
        .value_kind:     hidden_block_count_y
      - .offset:         1320
        .size:           4
        .value_kind:     hidden_block_count_z
      - .offset:         1324
        .size:           2
        .value_kind:     hidden_group_size_x
      - .offset:         1326
        .size:           2
        .value_kind:     hidden_group_size_y
      - .offset:         1328
        .size:           2
        .value_kind:     hidden_group_size_z
      - .offset:         1330
        .size:           2
        .value_kind:     hidden_remainder_x
      - .offset:         1332
        .size:           2
        .value_kind:     hidden_remainder_y
      - .offset:         1334
        .size:           2
        .value_kind:     hidden_remainder_z
      - .offset:         1352
        .size:           8
        .value_kind:     hidden_global_offset_x
      - .offset:         1360
        .size:           8
        .value_kind:     hidden_global_offset_y
      - .offset:         1368
        .size:           8
        .value_kind:     hidden_global_offset_z
      - .offset:         1376
        .size:           2
        .value_kind:     hidden_grid_dims
    .group_segment_fixed_size: 5152
    .kernarg_segment_align: 8
    .kernarg_segment_size: 1568
    .language:       OpenCL C
    .language_version:
      - 2
      - 0
    .max_flat_workgroup_size: 1024
    .name:           _ZN2at6native6sbtopk10gatherTopKIsmLin1ELb0EEEvNS_4cuda6detail10TensorInfoIKT_T0_EES8_S8_bS8_S8_NS5_IS6_S8_EES8_NS5_IlS8_EES8_PS6_
    .private_segment_fixed_size: 0
    .sgpr_count:     107
    .sgpr_spill_count: 7
    .symbol:         _ZN2at6native6sbtopk10gatherTopKIsmLin1ELb0EEEvNS_4cuda6detail10TensorInfoIKT_T0_EES8_S8_bS8_S8_NS5_IS6_S8_EES8_NS5_IlS8_EES8_PS6_.kd
    .uniform_work_group_size: 1
    .uses_dynamic_stack: false
    .vgpr_count:     51
    .vgpr_spill_count: 0
    .wavefront_size: 32
    .workgroup_processor_mode: 1
  - .args:
      - .offset:         0
        .size:           416
        .value_kind:     by_value
      - .offset:         416
        .size:           4
        .value_kind:     by_value
      - .address_space:  global
        .offset:         424
        .size:           8
        .value_kind:     global_buffer
      - .offset:         432
        .size:           4
        .value_kind:     by_value
      - .offset:         440
        .size:           8
        .value_kind:     by_value
      - .offset:         448
        .size:           4
        .value_kind:     by_value
      - .offset:         452
        .size:           4
        .value_kind:     by_value
      - .offset:         456
        .size:           4
        .value_kind:     by_value
      - .offset:         464
        .size:           8
        .value_kind:     by_value
      - .address_space:  global
        .offset:         472
        .size:           8
        .value_kind:     global_buffer
      - .address_space:  global
        .offset:         480
        .size:           8
        .value_kind:     global_buffer
      - .offset:         488
        .size:           4
        .value_kind:     hidden_block_count_x
      - .offset:         492
        .size:           4
        .value_kind:     hidden_block_count_y
      - .offset:         496
        .size:           4
        .value_kind:     hidden_block_count_z
      - .offset:         500
        .size:           2
        .value_kind:     hidden_group_size_x
      - .offset:         502
        .size:           2
        .value_kind:     hidden_group_size_y
      - .offset:         504
        .size:           2
        .value_kind:     hidden_group_size_z
      - .offset:         506
        .size:           2
        .value_kind:     hidden_remainder_x
      - .offset:         508
        .size:           2
        .value_kind:     hidden_remainder_y
      - .offset:         510
        .size:           2
        .value_kind:     hidden_remainder_z
      - .offset:         528
        .size:           8
        .value_kind:     hidden_global_offset_x
      - .offset:         536
        .size:           8
        .value_kind:     hidden_global_offset_y
      - .offset:         544
        .size:           8
        .value_kind:     hidden_global_offset_z
      - .offset:         552
        .size:           2
        .value_kind:     hidden_grid_dims
    .group_segment_fixed_size: 1024
    .kernarg_segment_align: 8
    .kernarg_segment_size: 744
    .language:       OpenCL C
    .language_version:
      - 2
      - 0
    .max_flat_workgroup_size: 256
    .name:           _ZN2at6native6mbtopk23computeBlockDigitCountsIdmmLi1EEEvNS_4cuda6detail10TensorInfoIKT_T0_EEjPjjS8_iijT1_PSB_Ps
    .private_segment_fixed_size: 0
    .sgpr_count:     22
    .sgpr_spill_count: 0
    .symbol:         _ZN2at6native6mbtopk23computeBlockDigitCountsIdmmLi1EEEvNS_4cuda6detail10TensorInfoIKT_T0_EEjPjjS8_iijT1_PSB_Ps.kd
    .uniform_work_group_size: 1
    .uses_dynamic_stack: false
    .vgpr_count:     10
    .vgpr_spill_count: 0
    .wavefront_size: 32
    .workgroup_processor_mode: 1
  - .args:
      - .offset:         0
        .size:           416
        .value_kind:     by_value
      - .offset:         416
        .size:           8
        .value_kind:     by_value
      - .offset:         424
        .size:           8
        .value_kind:     by_value
      - .offset:         432
        .size:           1
        .value_kind:     by_value
      - .offset:         436
        .size:           4
        .value_kind:     by_value
      - .offset:         440
        .size:           8
        .value_kind:     by_value
      - .offset:         448
        .size:           416
        .value_kind:     by_value
      - .offset:         864
        .size:           8
        .value_kind:     by_value
      - .offset:         872
        .size:           416
        .value_kind:     by_value
      - .offset:         1288
        .size:           8
        .value_kind:     by_value
      - .offset:         1296
        .size:           4
        .value_kind:     by_value
      - .offset:         1300
        .size:           4
        .value_kind:     by_value
      - .address_space:  global
        .offset:         1304
        .size:           8
        .value_kind:     global_buffer
      - .address_space:  global
        .offset:         1312
        .size:           8
        .value_kind:     global_buffer
      - .address_space:  global
        .offset:         1320
        .size:           8
        .value_kind:     global_buffer
      - .offset:         1328
        .size:           4
        .value_kind:     by_value
      - .offset:         1336
        .size:           4
        .value_kind:     hidden_block_count_x
      - .offset:         1340
        .size:           4
        .value_kind:     hidden_block_count_y
      - .offset:         1344
        .size:           4
        .value_kind:     hidden_block_count_z
      - .offset:         1348
        .size:           2
        .value_kind:     hidden_group_size_x
      - .offset:         1350
        .size:           2
        .value_kind:     hidden_group_size_y
      - .offset:         1352
        .size:           2
        .value_kind:     hidden_group_size_z
      - .offset:         1354
        .size:           2
        .value_kind:     hidden_remainder_x
      - .offset:         1356
        .size:           2
        .value_kind:     hidden_remainder_y
      - .offset:         1358
        .size:           2
        .value_kind:     hidden_remainder_z
      - .offset:         1376
        .size:           8
        .value_kind:     hidden_global_offset_x
      - .offset:         1384
        .size:           8
        .value_kind:     hidden_global_offset_y
      - .offset:         1392
        .size:           8
        .value_kind:     hidden_global_offset_z
      - .offset:         1400
        .size:           2
        .value_kind:     hidden_grid_dims
    .group_segment_fixed_size: 1068
    .kernarg_segment_align: 8
    .kernarg_segment_size: 1592
    .language:       OpenCL C
    .language_version:
      - 2
      - 0
    .max_flat_workgroup_size: 256
    .name:           _ZN2at6native6mbtopk10gatherTopKIdmLi1EEEvNS_4cuda6detail10TensorInfoIKT_T0_EES8_S8_bjS8_NS5_IS6_S8_EES8_NS5_IlS8_EES8_jjPS6_PjSD_j
    .private_segment_fixed_size: 0
    .sgpr_count:     45
    .sgpr_spill_count: 0
    .symbol:         _ZN2at6native6mbtopk10gatherTopKIdmLi1EEEvNS_4cuda6detail10TensorInfoIKT_T0_EES8_S8_bjS8_NS5_IS6_S8_EES8_NS5_IlS8_EES8_jjPS6_PjSD_j.kd
    .uniform_work_group_size: 1
    .uses_dynamic_stack: false
    .vgpr_count:     25
    .vgpr_spill_count: 0
    .wavefront_size: 32
    .workgroup_processor_mode: 1
  - .args:
      - .offset:         0
        .size:           416
        .value_kind:     by_value
      - .offset:         416
        .size:           8
        .value_kind:     by_value
      - .offset:         424
        .size:           8
        .value_kind:     by_value
      - .offset:         432
        .size:           1
        .value_kind:     by_value
      - .offset:         440
        .size:           8
        .value_kind:     by_value
      - .offset:         448
        .size:           8
        .value_kind:     by_value
      - .offset:         456
        .size:           416
        .value_kind:     by_value
      - .offset:         872
        .size:           8
        .value_kind:     by_value
      - .offset:         880
        .size:           416
        .value_kind:     by_value
      - .offset:         1296
        .size:           8
        .value_kind:     by_value
      - .address_space:  global
        .offset:         1304
        .size:           8
        .value_kind:     global_buffer
      - .offset:         1312
        .size:           4
        .value_kind:     hidden_block_count_x
      - .offset:         1316
        .size:           4
        .value_kind:     hidden_block_count_y
      - .offset:         1320
        .size:           4
        .value_kind:     hidden_block_count_z
      - .offset:         1324
        .size:           2
        .value_kind:     hidden_group_size_x
      - .offset:         1326
        .size:           2
        .value_kind:     hidden_group_size_y
      - .offset:         1328
        .size:           2
        .value_kind:     hidden_group_size_z
      - .offset:         1330
        .size:           2
        .value_kind:     hidden_remainder_x
      - .offset:         1332
        .size:           2
        .value_kind:     hidden_remainder_y
      - .offset:         1334
        .size:           2
        .value_kind:     hidden_remainder_z
      - .offset:         1352
        .size:           8
        .value_kind:     hidden_global_offset_x
      - .offset:         1360
        .size:           8
        .value_kind:     hidden_global_offset_y
      - .offset:         1368
        .size:           8
        .value_kind:     hidden_global_offset_z
      - .offset:         1376
        .size:           2
        .value_kind:     hidden_grid_dims
    .group_segment_fixed_size: 5152
    .kernarg_segment_align: 8
    .kernarg_segment_size: 1568
    .language:       OpenCL C
    .language_version:
      - 2
      - 0
    .max_flat_workgroup_size: 1024
    .name:           _ZN2at6native6sbtopk10gatherTopKIdmLi1ELb0EEEvNS_4cuda6detail10TensorInfoIKT_T0_EES8_S8_bS8_S8_NS5_IS6_S8_EES8_NS5_IlS8_EES8_PS6_
    .private_segment_fixed_size: 0
    .sgpr_count:     107
    .sgpr_spill_count: 4
    .symbol:         _ZN2at6native6sbtopk10gatherTopKIdmLi1ELb0EEEvNS_4cuda6detail10TensorInfoIKT_T0_EES8_S8_bS8_S8_NS5_IS6_S8_EES8_NS5_IlS8_EES8_PS6_.kd
    .uniform_work_group_size: 1
    .uses_dynamic_stack: false
    .vgpr_count:     60
    .vgpr_spill_count: 0
    .wavefront_size: 32
    .workgroup_processor_mode: 1
  - .args:
      - .offset:         0
        .size:           416
        .value_kind:     by_value
      - .offset:         416
        .size:           4
        .value_kind:     by_value
      - .address_space:  global
        .offset:         424
        .size:           8
        .value_kind:     global_buffer
      - .offset:         432
        .size:           4
        .value_kind:     by_value
      - .offset:         440
        .size:           8
        .value_kind:     by_value
      - .offset:         448
        .size:           4
        .value_kind:     by_value
      - .offset:         452
        .size:           4
        .value_kind:     by_value
      - .offset:         456
        .size:           4
        .value_kind:     by_value
      - .offset:         464
        .size:           8
        .value_kind:     by_value
      - .address_space:  global
        .offset:         472
        .size:           8
        .value_kind:     global_buffer
      - .address_space:  global
        .offset:         480
        .size:           8
        .value_kind:     global_buffer
      - .offset:         488
        .size:           4
        .value_kind:     hidden_block_count_x
      - .offset:         492
        .size:           4
        .value_kind:     hidden_block_count_y
      - .offset:         496
        .size:           4
        .value_kind:     hidden_block_count_z
      - .offset:         500
        .size:           2
        .value_kind:     hidden_group_size_x
      - .offset:         502
        .size:           2
        .value_kind:     hidden_group_size_y
      - .offset:         504
        .size:           2
        .value_kind:     hidden_group_size_z
      - .offset:         506
        .size:           2
        .value_kind:     hidden_remainder_x
      - .offset:         508
        .size:           2
        .value_kind:     hidden_remainder_y
      - .offset:         510
        .size:           2
        .value_kind:     hidden_remainder_z
      - .offset:         528
        .size:           8
        .value_kind:     hidden_global_offset_x
      - .offset:         536
        .size:           8
        .value_kind:     hidden_global_offset_y
      - .offset:         544
        .size:           8
        .value_kind:     hidden_global_offset_z
      - .offset:         552
        .size:           2
        .value_kind:     hidden_grid_dims
    .group_segment_fixed_size: 1024
    .kernarg_segment_align: 8
    .kernarg_segment_size: 744
    .language:       OpenCL C
    .language_version:
      - 2
      - 0
    .max_flat_workgroup_size: 256
    .name:           _ZN2at6native6mbtopk23computeBlockDigitCountsIdmmLi2EEEvNS_4cuda6detail10TensorInfoIKT_T0_EEjPjjS8_iijT1_PSB_Ps
    .private_segment_fixed_size: 0
    .sgpr_count:     29
    .sgpr_spill_count: 0
    .symbol:         _ZN2at6native6mbtopk23computeBlockDigitCountsIdmmLi2EEEvNS_4cuda6detail10TensorInfoIKT_T0_EEjPjjS8_iijT1_PSB_Ps.kd
    .uniform_work_group_size: 1
    .uses_dynamic_stack: false
    .vgpr_count:     10
    .vgpr_spill_count: 0
    .wavefront_size: 32
    .workgroup_processor_mode: 1
  - .args:
      - .offset:         0
        .size:           416
        .value_kind:     by_value
      - .offset:         416
        .size:           8
        .value_kind:     by_value
      - .offset:         424
        .size:           8
        .value_kind:     by_value
      - .offset:         432
        .size:           1
        .value_kind:     by_value
      - .offset:         436
        .size:           4
        .value_kind:     by_value
      - .offset:         440
        .size:           8
        .value_kind:     by_value
      - .offset:         448
        .size:           416
        .value_kind:     by_value
      - .offset:         864
        .size:           8
        .value_kind:     by_value
      - .offset:         872
        .size:           416
        .value_kind:     by_value
      - .offset:         1288
        .size:           8
        .value_kind:     by_value
      - .offset:         1296
        .size:           4
        .value_kind:     by_value
      - .offset:         1300
        .size:           4
        .value_kind:     by_value
      - .address_space:  global
        .offset:         1304
        .size:           8
        .value_kind:     global_buffer
      - .address_space:  global
        .offset:         1312
        .size:           8
        .value_kind:     global_buffer
      - .address_space:  global
        .offset:         1320
        .size:           8
        .value_kind:     global_buffer
      - .offset:         1328
        .size:           4
        .value_kind:     by_value
      - .offset:         1336
        .size:           4
        .value_kind:     hidden_block_count_x
      - .offset:         1340
        .size:           4
        .value_kind:     hidden_block_count_y
      - .offset:         1344
        .size:           4
        .value_kind:     hidden_block_count_z
      - .offset:         1348
        .size:           2
        .value_kind:     hidden_group_size_x
      - .offset:         1350
        .size:           2
        .value_kind:     hidden_group_size_y
      - .offset:         1352
        .size:           2
        .value_kind:     hidden_group_size_z
      - .offset:         1354
        .size:           2
        .value_kind:     hidden_remainder_x
      - .offset:         1356
        .size:           2
        .value_kind:     hidden_remainder_y
      - .offset:         1358
        .size:           2
        .value_kind:     hidden_remainder_z
      - .offset:         1376
        .size:           8
        .value_kind:     hidden_global_offset_x
      - .offset:         1384
        .size:           8
        .value_kind:     hidden_global_offset_y
      - .offset:         1392
        .size:           8
        .value_kind:     hidden_global_offset_z
      - .offset:         1400
        .size:           2
        .value_kind:     hidden_grid_dims
    .group_segment_fixed_size: 1068
    .kernarg_segment_align: 8
    .kernarg_segment_size: 1592
    .language:       OpenCL C
    .language_version:
      - 2
      - 0
    .max_flat_workgroup_size: 256
    .name:           _ZN2at6native6mbtopk10gatherTopKIdmLi2EEEvNS_4cuda6detail10TensorInfoIKT_T0_EES8_S8_bjS8_NS5_IS6_S8_EES8_NS5_IlS8_EES8_jjPS6_PjSD_j
    .private_segment_fixed_size: 0
    .sgpr_count:     53
    .sgpr_spill_count: 0
    .symbol:         _ZN2at6native6mbtopk10gatherTopKIdmLi2EEEvNS_4cuda6detail10TensorInfoIKT_T0_EES8_S8_bjS8_NS5_IS6_S8_EES8_NS5_IlS8_EES8_jjPS6_PjSD_j.kd
    .uniform_work_group_size: 1
    .uses_dynamic_stack: false
    .vgpr_count:     25
    .vgpr_spill_count: 0
    .wavefront_size: 32
    .workgroup_processor_mode: 1
  - .args:
      - .offset:         0
        .size:           416
        .value_kind:     by_value
      - .offset:         416
        .size:           8
        .value_kind:     by_value
      - .offset:         424
        .size:           8
        .value_kind:     by_value
      - .offset:         432
        .size:           1
        .value_kind:     by_value
      - .offset:         440
        .size:           8
        .value_kind:     by_value
      - .offset:         448
        .size:           8
        .value_kind:     by_value
      - .offset:         456
        .size:           416
        .value_kind:     by_value
      - .offset:         872
        .size:           8
        .value_kind:     by_value
      - .offset:         880
        .size:           416
        .value_kind:     by_value
      - .offset:         1296
        .size:           8
        .value_kind:     by_value
      - .address_space:  global
        .offset:         1304
        .size:           8
        .value_kind:     global_buffer
      - .offset:         1312
        .size:           4
        .value_kind:     hidden_block_count_x
      - .offset:         1316
        .size:           4
        .value_kind:     hidden_block_count_y
      - .offset:         1320
        .size:           4
        .value_kind:     hidden_block_count_z
      - .offset:         1324
        .size:           2
        .value_kind:     hidden_group_size_x
      - .offset:         1326
        .size:           2
        .value_kind:     hidden_group_size_y
      - .offset:         1328
        .size:           2
        .value_kind:     hidden_group_size_z
      - .offset:         1330
        .size:           2
        .value_kind:     hidden_remainder_x
      - .offset:         1332
        .size:           2
        .value_kind:     hidden_remainder_y
      - .offset:         1334
        .size:           2
        .value_kind:     hidden_remainder_z
      - .offset:         1352
        .size:           8
        .value_kind:     hidden_global_offset_x
      - .offset:         1360
        .size:           8
        .value_kind:     hidden_global_offset_y
      - .offset:         1368
        .size:           8
        .value_kind:     hidden_global_offset_z
      - .offset:         1376
        .size:           2
        .value_kind:     hidden_grid_dims
    .group_segment_fixed_size: 5152
    .kernarg_segment_align: 8
    .kernarg_segment_size: 1568
    .language:       OpenCL C
    .language_version:
      - 2
      - 0
    .max_flat_workgroup_size: 1024
    .name:           _ZN2at6native6sbtopk10gatherTopKIdmLi2ELb0EEEvNS_4cuda6detail10TensorInfoIKT_T0_EES8_S8_bS8_S8_NS5_IS6_S8_EES8_NS5_IlS8_EES8_PS6_
    .private_segment_fixed_size: 0
    .sgpr_count:     107
    .sgpr_spill_count: 4
    .symbol:         _ZN2at6native6sbtopk10gatherTopKIdmLi2ELb0EEEvNS_4cuda6detail10TensorInfoIKT_T0_EES8_S8_bS8_S8_NS5_IS6_S8_EES8_NS5_IlS8_EES8_PS6_.kd
    .uniform_work_group_size: 1
    .uses_dynamic_stack: false
    .vgpr_count:     52
    .vgpr_spill_count: 0
    .wavefront_size: 32
    .workgroup_processor_mode: 1
  - .args:
      - .offset:         0
        .size:           416
        .value_kind:     by_value
      - .offset:         416
        .size:           4
        .value_kind:     by_value
      - .address_space:  global
        .offset:         424
        .size:           8
        .value_kind:     global_buffer
      - .offset:         432
        .size:           4
        .value_kind:     by_value
      - .offset:         440
        .size:           8
        .value_kind:     by_value
      - .offset:         448
        .size:           4
        .value_kind:     by_value
      - .offset:         452
        .size:           4
        .value_kind:     by_value
      - .offset:         456
        .size:           4
        .value_kind:     by_value
      - .offset:         464
        .size:           8
        .value_kind:     by_value
      - .address_space:  global
        .offset:         472
        .size:           8
        .value_kind:     global_buffer
      - .address_space:  global
        .offset:         480
        .size:           8
        .value_kind:     global_buffer
      - .offset:         488
        .size:           4
        .value_kind:     hidden_block_count_x
      - .offset:         492
        .size:           4
        .value_kind:     hidden_block_count_y
      - .offset:         496
        .size:           4
        .value_kind:     hidden_block_count_z
      - .offset:         500
        .size:           2
        .value_kind:     hidden_group_size_x
      - .offset:         502
        .size:           2
        .value_kind:     hidden_group_size_y
      - .offset:         504
        .size:           2
        .value_kind:     hidden_group_size_z
      - .offset:         506
        .size:           2
        .value_kind:     hidden_remainder_x
      - .offset:         508
        .size:           2
        .value_kind:     hidden_remainder_y
      - .offset:         510
        .size:           2
        .value_kind:     hidden_remainder_z
      - .offset:         528
        .size:           8
        .value_kind:     hidden_global_offset_x
      - .offset:         536
        .size:           8
        .value_kind:     hidden_global_offset_y
      - .offset:         544
        .size:           8
        .value_kind:     hidden_global_offset_z
      - .offset:         552
        .size:           2
        .value_kind:     hidden_grid_dims
    .group_segment_fixed_size: 1024
    .kernarg_segment_align: 8
    .kernarg_segment_size: 744
    .language:       OpenCL C
    .language_version:
      - 2
      - 0
    .max_flat_workgroup_size: 256
    .name:           _ZN2at6native6mbtopk23computeBlockDigitCountsIdmmLi3EEEvNS_4cuda6detail10TensorInfoIKT_T0_EEjPjjS8_iijT1_PSB_Ps
    .private_segment_fixed_size: 0
    .sgpr_count:     37
    .sgpr_spill_count: 0
    .symbol:         _ZN2at6native6mbtopk23computeBlockDigitCountsIdmmLi3EEEvNS_4cuda6detail10TensorInfoIKT_T0_EEjPjjS8_iijT1_PSB_Ps.kd
    .uniform_work_group_size: 1
    .uses_dynamic_stack: false
    .vgpr_count:     10
    .vgpr_spill_count: 0
    .wavefront_size: 32
    .workgroup_processor_mode: 1
  - .args:
      - .offset:         0
        .size:           416
        .value_kind:     by_value
      - .offset:         416
        .size:           8
        .value_kind:     by_value
      - .offset:         424
        .size:           8
        .value_kind:     by_value
      - .offset:         432
        .size:           1
        .value_kind:     by_value
      - .offset:         436
        .size:           4
        .value_kind:     by_value
      - .offset:         440
        .size:           8
        .value_kind:     by_value
      - .offset:         448
        .size:           416
        .value_kind:     by_value
      - .offset:         864
        .size:           8
        .value_kind:     by_value
      - .offset:         872
        .size:           416
        .value_kind:     by_value
      - .offset:         1288
        .size:           8
        .value_kind:     by_value
      - .offset:         1296
        .size:           4
        .value_kind:     by_value
      - .offset:         1300
        .size:           4
        .value_kind:     by_value
      - .address_space:  global
        .offset:         1304
        .size:           8
        .value_kind:     global_buffer
      - .address_space:  global
        .offset:         1312
        .size:           8
        .value_kind:     global_buffer
      - .address_space:  global
        .offset:         1320
        .size:           8
        .value_kind:     global_buffer
      - .offset:         1328
        .size:           4
        .value_kind:     by_value
      - .offset:         1336
        .size:           4
        .value_kind:     hidden_block_count_x
      - .offset:         1340
        .size:           4
        .value_kind:     hidden_block_count_y
      - .offset:         1344
        .size:           4
        .value_kind:     hidden_block_count_z
      - .offset:         1348
        .size:           2
        .value_kind:     hidden_group_size_x
      - .offset:         1350
        .size:           2
        .value_kind:     hidden_group_size_y
      - .offset:         1352
        .size:           2
        .value_kind:     hidden_group_size_z
      - .offset:         1354
        .size:           2
        .value_kind:     hidden_remainder_x
      - .offset:         1356
        .size:           2
        .value_kind:     hidden_remainder_y
      - .offset:         1358
        .size:           2
        .value_kind:     hidden_remainder_z
      - .offset:         1376
        .size:           8
        .value_kind:     hidden_global_offset_x
      - .offset:         1384
        .size:           8
        .value_kind:     hidden_global_offset_y
      - .offset:         1392
        .size:           8
        .value_kind:     hidden_global_offset_z
      - .offset:         1400
        .size:           2
        .value_kind:     hidden_grid_dims
    .group_segment_fixed_size: 1068
    .kernarg_segment_align: 8
    .kernarg_segment_size: 1592
    .language:       OpenCL C
    .language_version:
      - 2
      - 0
    .max_flat_workgroup_size: 256
    .name:           _ZN2at6native6mbtopk10gatherTopKIdmLi3EEEvNS_4cuda6detail10TensorInfoIKT_T0_EES8_S8_bjS8_NS5_IS6_S8_EES8_NS5_IlS8_EES8_jjPS6_PjSD_j
    .private_segment_fixed_size: 0
    .sgpr_count:     78
    .sgpr_spill_count: 0
    .symbol:         _ZN2at6native6mbtopk10gatherTopKIdmLi3EEEvNS_4cuda6detail10TensorInfoIKT_T0_EES8_S8_bjS8_NS5_IS6_S8_EES8_NS5_IlS8_EES8_jjPS6_PjSD_j.kd
    .uniform_work_group_size: 1
    .uses_dynamic_stack: false
    .vgpr_count:     25
    .vgpr_spill_count: 0
    .wavefront_size: 32
    .workgroup_processor_mode: 1
  - .args:
      - .offset:         0
        .size:           416
        .value_kind:     by_value
      - .offset:         416
        .size:           8
        .value_kind:     by_value
      - .offset:         424
        .size:           8
        .value_kind:     by_value
      - .offset:         432
        .size:           1
        .value_kind:     by_value
      - .offset:         440
        .size:           8
        .value_kind:     by_value
      - .offset:         448
        .size:           8
        .value_kind:     by_value
      - .offset:         456
        .size:           416
        .value_kind:     by_value
      - .offset:         872
        .size:           8
        .value_kind:     by_value
      - .offset:         880
        .size:           416
        .value_kind:     by_value
      - .offset:         1296
        .size:           8
        .value_kind:     by_value
      - .address_space:  global
        .offset:         1304
        .size:           8
        .value_kind:     global_buffer
      - .offset:         1312
        .size:           4
        .value_kind:     hidden_block_count_x
      - .offset:         1316
        .size:           4
        .value_kind:     hidden_block_count_y
      - .offset:         1320
        .size:           4
        .value_kind:     hidden_block_count_z
      - .offset:         1324
        .size:           2
        .value_kind:     hidden_group_size_x
      - .offset:         1326
        .size:           2
        .value_kind:     hidden_group_size_y
      - .offset:         1328
        .size:           2
        .value_kind:     hidden_group_size_z
      - .offset:         1330
        .size:           2
        .value_kind:     hidden_remainder_x
      - .offset:         1332
        .size:           2
        .value_kind:     hidden_remainder_y
      - .offset:         1334
        .size:           2
        .value_kind:     hidden_remainder_z
      - .offset:         1352
        .size:           8
        .value_kind:     hidden_global_offset_x
      - .offset:         1360
        .size:           8
        .value_kind:     hidden_global_offset_y
      - .offset:         1368
        .size:           8
        .value_kind:     hidden_global_offset_z
      - .offset:         1376
        .size:           2
        .value_kind:     hidden_grid_dims
    .group_segment_fixed_size: 5152
    .kernarg_segment_align: 8
    .kernarg_segment_size: 1568
    .language:       OpenCL C
    .language_version:
      - 2
      - 0
    .max_flat_workgroup_size: 1024
    .name:           _ZN2at6native6sbtopk10gatherTopKIdmLi3ELb0EEEvNS_4cuda6detail10TensorInfoIKT_T0_EES8_S8_bS8_S8_NS5_IS6_S8_EES8_NS5_IlS8_EES8_PS6_
    .private_segment_fixed_size: 0
    .sgpr_count:     107
    .sgpr_spill_count: 2
    .symbol:         _ZN2at6native6sbtopk10gatherTopKIdmLi3ELb0EEEvNS_4cuda6detail10TensorInfoIKT_T0_EES8_S8_bS8_S8_NS5_IS6_S8_EES8_NS5_IlS8_EES8_PS6_.kd
    .uniform_work_group_size: 1
    .uses_dynamic_stack: false
    .vgpr_count:     42
    .vgpr_spill_count: 0
    .wavefront_size: 32
    .workgroup_processor_mode: 1
  - .args:
      - .offset:         0
        .size:           416
        .value_kind:     by_value
      - .offset:         416
        .size:           4
        .value_kind:     by_value
      - .address_space:  global
        .offset:         424
        .size:           8
        .value_kind:     global_buffer
      - .offset:         432
        .size:           4
        .value_kind:     by_value
      - .offset:         440
        .size:           8
        .value_kind:     by_value
      - .offset:         448
        .size:           4
        .value_kind:     by_value
      - .offset:         452
        .size:           4
        .value_kind:     by_value
      - .offset:         456
        .size:           4
        .value_kind:     by_value
      - .offset:         464
        .size:           8
        .value_kind:     by_value
      - .address_space:  global
        .offset:         472
        .size:           8
        .value_kind:     global_buffer
      - .address_space:  global
        .offset:         480
        .size:           8
        .value_kind:     global_buffer
      - .offset:         488
        .size:           4
        .value_kind:     hidden_block_count_x
      - .offset:         492
        .size:           4
        .value_kind:     hidden_block_count_y
      - .offset:         496
        .size:           4
        .value_kind:     hidden_block_count_z
      - .offset:         500
        .size:           2
        .value_kind:     hidden_group_size_x
      - .offset:         502
        .size:           2
        .value_kind:     hidden_group_size_y
      - .offset:         504
        .size:           2
        .value_kind:     hidden_group_size_z
      - .offset:         506
        .size:           2
        .value_kind:     hidden_remainder_x
      - .offset:         508
        .size:           2
        .value_kind:     hidden_remainder_y
      - .offset:         510
        .size:           2
        .value_kind:     hidden_remainder_z
      - .offset:         528
        .size:           8
        .value_kind:     hidden_global_offset_x
      - .offset:         536
        .size:           8
        .value_kind:     hidden_global_offset_y
      - .offset:         544
        .size:           8
        .value_kind:     hidden_global_offset_z
      - .offset:         552
        .size:           2
        .value_kind:     hidden_grid_dims
    .group_segment_fixed_size: 1024
    .kernarg_segment_align: 8
    .kernarg_segment_size: 744
    .language:       OpenCL C
    .language_version:
      - 2
      - 0
    .max_flat_workgroup_size: 256
    .name:           _ZN2at6native6mbtopk23computeBlockDigitCountsIdmmLin1EEEvNS_4cuda6detail10TensorInfoIKT_T0_EEjPjjS8_iijT1_PSB_Ps
    .private_segment_fixed_size: 0
    .sgpr_count:     36
    .sgpr_spill_count: 0
    .symbol:         _ZN2at6native6mbtopk23computeBlockDigitCountsIdmmLin1EEEvNS_4cuda6detail10TensorInfoIKT_T0_EEjPjjS8_iijT1_PSB_Ps.kd
    .uniform_work_group_size: 1
    .uses_dynamic_stack: false
    .vgpr_count:     10
    .vgpr_spill_count: 0
    .wavefront_size: 32
    .workgroup_processor_mode: 1
  - .args:
      - .offset:         0
        .size:           416
        .value_kind:     by_value
      - .offset:         416
        .size:           8
        .value_kind:     by_value
      - .offset:         424
        .size:           8
        .value_kind:     by_value
      - .offset:         432
        .size:           1
        .value_kind:     by_value
      - .offset:         436
        .size:           4
        .value_kind:     by_value
      - .offset:         440
        .size:           8
        .value_kind:     by_value
      - .offset:         448
        .size:           416
        .value_kind:     by_value
      - .offset:         864
        .size:           8
        .value_kind:     by_value
      - .offset:         872
        .size:           416
        .value_kind:     by_value
      - .offset:         1288
        .size:           8
        .value_kind:     by_value
      - .offset:         1296
        .size:           4
        .value_kind:     by_value
      - .offset:         1300
        .size:           4
        .value_kind:     by_value
      - .address_space:  global
        .offset:         1304
        .size:           8
        .value_kind:     global_buffer
      - .address_space:  global
        .offset:         1312
        .size:           8
        .value_kind:     global_buffer
      - .address_space:  global
        .offset:         1320
        .size:           8
        .value_kind:     global_buffer
      - .offset:         1328
        .size:           4
        .value_kind:     by_value
      - .offset:         1336
        .size:           4
        .value_kind:     hidden_block_count_x
      - .offset:         1340
        .size:           4
        .value_kind:     hidden_block_count_y
      - .offset:         1344
        .size:           4
        .value_kind:     hidden_block_count_z
      - .offset:         1348
        .size:           2
        .value_kind:     hidden_group_size_x
      - .offset:         1350
        .size:           2
        .value_kind:     hidden_group_size_y
      - .offset:         1352
        .size:           2
        .value_kind:     hidden_group_size_z
      - .offset:         1354
        .size:           2
        .value_kind:     hidden_remainder_x
      - .offset:         1356
        .size:           2
        .value_kind:     hidden_remainder_y
      - .offset:         1358
        .size:           2
        .value_kind:     hidden_remainder_z
      - .offset:         1376
        .size:           8
        .value_kind:     hidden_global_offset_x
      - .offset:         1384
        .size:           8
        .value_kind:     hidden_global_offset_y
      - .offset:         1392
        .size:           8
        .value_kind:     hidden_global_offset_z
      - .offset:         1400
        .size:           2
        .value_kind:     hidden_grid_dims
    .group_segment_fixed_size: 1068
    .kernarg_segment_align: 8
    .kernarg_segment_size: 1592
    .language:       OpenCL C
    .language_version:
      - 2
      - 0
    .max_flat_workgroup_size: 256
    .name:           _ZN2at6native6mbtopk10gatherTopKIdmLin1EEEvNS_4cuda6detail10TensorInfoIKT_T0_EES8_S8_bjS8_NS5_IS6_S8_EES8_NS5_IlS8_EES8_jjPS6_PjSD_j
    .private_segment_fixed_size: 0
    .sgpr_count:     60
    .sgpr_spill_count: 0
    .symbol:         _ZN2at6native6mbtopk10gatherTopKIdmLin1EEEvNS_4cuda6detail10TensorInfoIKT_T0_EES8_S8_bjS8_NS5_IS6_S8_EES8_NS5_IlS8_EES8_jjPS6_PjSD_j.kd
    .uniform_work_group_size: 1
    .uses_dynamic_stack: false
    .vgpr_count:     25
    .vgpr_spill_count: 0
    .wavefront_size: 32
    .workgroup_processor_mode: 1
  - .args:
      - .offset:         0
        .size:           416
        .value_kind:     by_value
      - .offset:         416
        .size:           8
        .value_kind:     by_value
      - .offset:         424
        .size:           8
        .value_kind:     by_value
      - .offset:         432
        .size:           1
        .value_kind:     by_value
      - .offset:         440
        .size:           8
        .value_kind:     by_value
      - .offset:         448
        .size:           8
        .value_kind:     by_value
      - .offset:         456
        .size:           416
        .value_kind:     by_value
      - .offset:         872
        .size:           8
        .value_kind:     by_value
      - .offset:         880
        .size:           416
        .value_kind:     by_value
      - .offset:         1296
        .size:           8
        .value_kind:     by_value
      - .address_space:  global
        .offset:         1304
        .size:           8
        .value_kind:     global_buffer
      - .offset:         1312
        .size:           4
        .value_kind:     hidden_block_count_x
      - .offset:         1316
        .size:           4
        .value_kind:     hidden_block_count_y
      - .offset:         1320
        .size:           4
        .value_kind:     hidden_block_count_z
      - .offset:         1324
        .size:           2
        .value_kind:     hidden_group_size_x
      - .offset:         1326
        .size:           2
        .value_kind:     hidden_group_size_y
      - .offset:         1328
        .size:           2
        .value_kind:     hidden_group_size_z
      - .offset:         1330
        .size:           2
        .value_kind:     hidden_remainder_x
      - .offset:         1332
        .size:           2
        .value_kind:     hidden_remainder_y
      - .offset:         1334
        .size:           2
        .value_kind:     hidden_remainder_z
      - .offset:         1352
        .size:           8
        .value_kind:     hidden_global_offset_x
      - .offset:         1360
        .size:           8
        .value_kind:     hidden_global_offset_y
      - .offset:         1368
        .size:           8
        .value_kind:     hidden_global_offset_z
      - .offset:         1376
        .size:           2
        .value_kind:     hidden_grid_dims
    .group_segment_fixed_size: 5152
    .kernarg_segment_align: 8
    .kernarg_segment_size: 1568
    .language:       OpenCL C
    .language_version:
      - 2
      - 0
    .max_flat_workgroup_size: 1024
    .name:           _ZN2at6native6sbtopk10gatherTopKIdmLin1ELb0EEEvNS_4cuda6detail10TensorInfoIKT_T0_EES8_S8_bS8_S8_NS5_IS6_S8_EES8_NS5_IlS8_EES8_PS6_
    .private_segment_fixed_size: 0
    .sgpr_count:     107
    .sgpr_spill_count: 12
    .symbol:         _ZN2at6native6sbtopk10gatherTopKIdmLin1ELb0EEEvNS_4cuda6detail10TensorInfoIKT_T0_EES8_S8_bS8_S8_NS5_IS6_S8_EES8_NS5_IlS8_EES8_PS6_.kd
    .uniform_work_group_size: 1
    .uses_dynamic_stack: false
    .vgpr_count:     58
    .vgpr_spill_count: 0
    .wavefront_size: 32
    .workgroup_processor_mode: 1
  - .args:
      - .offset:         0
        .size:           416
        .value_kind:     by_value
      - .offset:         416
        .size:           4
        .value_kind:     by_value
      - .address_space:  global
        .offset:         424
        .size:           8
        .value_kind:     global_buffer
      - .offset:         432
        .size:           4
        .value_kind:     by_value
      - .offset:         440
        .size:           8
        .value_kind:     by_value
      - .offset:         448
        .size:           4
        .value_kind:     by_value
      - .offset:         452
        .size:           4
        .value_kind:     by_value
      - .offset:         456
        .size:           4
        .value_kind:     by_value
      - .offset:         460
        .size:           4
        .value_kind:     by_value
      - .address_space:  global
        .offset:         464
        .size:           8
        .value_kind:     global_buffer
      - .address_space:  global
        .offset:         472
        .size:           8
        .value_kind:     global_buffer
      - .offset:         480
        .size:           4
        .value_kind:     hidden_block_count_x
      - .offset:         484
        .size:           4
        .value_kind:     hidden_block_count_y
      - .offset:         488
        .size:           4
        .value_kind:     hidden_block_count_z
      - .offset:         492
        .size:           2
        .value_kind:     hidden_group_size_x
      - .offset:         494
        .size:           2
        .value_kind:     hidden_group_size_y
      - .offset:         496
        .size:           2
        .value_kind:     hidden_group_size_z
      - .offset:         498
        .size:           2
        .value_kind:     hidden_remainder_x
      - .offset:         500
        .size:           2
        .value_kind:     hidden_remainder_y
      - .offset:         502
        .size:           2
        .value_kind:     hidden_remainder_z
      - .offset:         520
        .size:           8
        .value_kind:     hidden_global_offset_x
      - .offset:         528
        .size:           8
        .value_kind:     hidden_global_offset_y
      - .offset:         536
        .size:           8
        .value_kind:     hidden_global_offset_z
      - .offset:         544
        .size:           2
        .value_kind:     hidden_grid_dims
    .group_segment_fixed_size: 1024
    .kernarg_segment_align: 8
    .kernarg_segment_size: 736
    .language:       OpenCL C
    .language_version:
      - 2
      - 0
    .max_flat_workgroup_size: 256
    .name:           _ZN2at6native6mbtopk23computeBlockDigitCountsIfmjLi1EEEvNS_4cuda6detail10TensorInfoIKT_T0_EEjPjjS8_iijT1_PSB_Ps
    .private_segment_fixed_size: 0
    .sgpr_count:     24
    .sgpr_spill_count: 0
    .symbol:         _ZN2at6native6mbtopk23computeBlockDigitCountsIfmjLi1EEEvNS_4cuda6detail10TensorInfoIKT_T0_EEjPjjS8_iijT1_PSB_Ps.kd
    .uniform_work_group_size: 1
    .uses_dynamic_stack: false
    .vgpr_count:     10
    .vgpr_spill_count: 0
    .wavefront_size: 32
    .workgroup_processor_mode: 1
  - .args:
      - .offset:         0
        .size:           416
        .value_kind:     by_value
      - .offset:         416
        .size:           8
        .value_kind:     by_value
      - .offset:         424
        .size:           8
        .value_kind:     by_value
      - .offset:         432
        .size:           1
        .value_kind:     by_value
      - .offset:         436
        .size:           4
        .value_kind:     by_value
      - .offset:         440
        .size:           8
        .value_kind:     by_value
      - .offset:         448
        .size:           416
        .value_kind:     by_value
      - .offset:         864
        .size:           8
        .value_kind:     by_value
      - .offset:         872
        .size:           416
        .value_kind:     by_value
      - .offset:         1288
        .size:           8
        .value_kind:     by_value
      - .offset:         1296
        .size:           4
        .value_kind:     by_value
      - .offset:         1300
        .size:           4
        .value_kind:     by_value
      - .address_space:  global
        .offset:         1304
        .size:           8
        .value_kind:     global_buffer
      - .address_space:  global
        .offset:         1312
        .size:           8
        .value_kind:     global_buffer
      - .address_space:  global
        .offset:         1320
        .size:           8
        .value_kind:     global_buffer
      - .offset:         1328
        .size:           4
        .value_kind:     by_value
      - .offset:         1336
        .size:           4
        .value_kind:     hidden_block_count_x
      - .offset:         1340
        .size:           4
        .value_kind:     hidden_block_count_y
      - .offset:         1344
        .size:           4
        .value_kind:     hidden_block_count_z
      - .offset:         1348
        .size:           2
        .value_kind:     hidden_group_size_x
      - .offset:         1350
        .size:           2
        .value_kind:     hidden_group_size_y
      - .offset:         1352
        .size:           2
        .value_kind:     hidden_group_size_z
      - .offset:         1354
        .size:           2
        .value_kind:     hidden_remainder_x
      - .offset:         1356
        .size:           2
        .value_kind:     hidden_remainder_y
      - .offset:         1358
        .size:           2
        .value_kind:     hidden_remainder_z
      - .offset:         1376
        .size:           8
        .value_kind:     hidden_global_offset_x
      - .offset:         1384
        .size:           8
        .value_kind:     hidden_global_offset_y
      - .offset:         1392
        .size:           8
        .value_kind:     hidden_global_offset_z
      - .offset:         1400
        .size:           2
        .value_kind:     hidden_grid_dims
    .group_segment_fixed_size: 1068
    .kernarg_segment_align: 8
    .kernarg_segment_size: 1592
    .language:       OpenCL C
    .language_version:
      - 2
      - 0
    .max_flat_workgroup_size: 256
    .name:           _ZN2at6native6mbtopk10gatherTopKIfmLi1EEEvNS_4cuda6detail10TensorInfoIKT_T0_EES8_S8_bjS8_NS5_IS6_S8_EES8_NS5_IlS8_EES8_jjPS6_PjSD_j
    .private_segment_fixed_size: 0
    .sgpr_count:     44
    .sgpr_spill_count: 0
    .symbol:         _ZN2at6native6mbtopk10gatherTopKIfmLi1EEEvNS_4cuda6detail10TensorInfoIKT_T0_EES8_S8_bjS8_NS5_IS6_S8_EES8_NS5_IlS8_EES8_jjPS6_PjSD_j.kd
    .uniform_work_group_size: 1
    .uses_dynamic_stack: false
    .vgpr_count:     24
    .vgpr_spill_count: 0
    .wavefront_size: 32
    .workgroup_processor_mode: 1
  - .args:
      - .offset:         0
        .size:           416
        .value_kind:     by_value
      - .offset:         416
        .size:           8
        .value_kind:     by_value
      - .offset:         424
        .size:           8
        .value_kind:     by_value
      - .offset:         432
        .size:           1
        .value_kind:     by_value
      - .offset:         440
        .size:           8
        .value_kind:     by_value
      - .offset:         448
        .size:           8
        .value_kind:     by_value
      - .offset:         456
        .size:           416
        .value_kind:     by_value
      - .offset:         872
        .size:           8
        .value_kind:     by_value
      - .offset:         880
        .size:           416
        .value_kind:     by_value
      - .offset:         1296
        .size:           8
        .value_kind:     by_value
      - .address_space:  global
        .offset:         1304
        .size:           8
        .value_kind:     global_buffer
      - .offset:         1312
        .size:           4
        .value_kind:     hidden_block_count_x
      - .offset:         1316
        .size:           4
        .value_kind:     hidden_block_count_y
      - .offset:         1320
        .size:           4
        .value_kind:     hidden_block_count_z
      - .offset:         1324
        .size:           2
        .value_kind:     hidden_group_size_x
      - .offset:         1326
        .size:           2
        .value_kind:     hidden_group_size_y
      - .offset:         1328
        .size:           2
        .value_kind:     hidden_group_size_z
      - .offset:         1330
        .size:           2
        .value_kind:     hidden_remainder_x
      - .offset:         1332
        .size:           2
        .value_kind:     hidden_remainder_y
      - .offset:         1334
        .size:           2
        .value_kind:     hidden_remainder_z
      - .offset:         1352
        .size:           8
        .value_kind:     hidden_global_offset_x
      - .offset:         1360
        .size:           8
        .value_kind:     hidden_global_offset_y
      - .offset:         1368
        .size:           8
        .value_kind:     hidden_global_offset_z
      - .offset:         1376
        .size:           2
        .value_kind:     hidden_grid_dims
    .group_segment_fixed_size: 5152
    .kernarg_segment_align: 8
    .kernarg_segment_size: 1568
    .language:       OpenCL C
    .language_version:
      - 2
      - 0
    .max_flat_workgroup_size: 1024
    .name:           _ZN2at6native6sbtopk10gatherTopKIfmLi1ELb0EEEvNS_4cuda6detail10TensorInfoIKT_T0_EES8_S8_bS8_S8_NS5_IS6_S8_EES8_NS5_IlS8_EES8_PS6_
    .private_segment_fixed_size: 0
    .sgpr_count:     107
    .sgpr_spill_count: 2
    .symbol:         _ZN2at6native6sbtopk10gatherTopKIfmLi1ELb0EEEvNS_4cuda6detail10TensorInfoIKT_T0_EES8_S8_bS8_S8_NS5_IS6_S8_EES8_NS5_IlS8_EES8_PS6_.kd
    .uniform_work_group_size: 1
    .uses_dynamic_stack: false
    .vgpr_count:     46
    .vgpr_spill_count: 0
    .wavefront_size: 32
    .workgroup_processor_mode: 1
  - .args:
      - .offset:         0
        .size:           416
        .value_kind:     by_value
      - .offset:         416
        .size:           4
        .value_kind:     by_value
      - .address_space:  global
        .offset:         424
        .size:           8
        .value_kind:     global_buffer
      - .offset:         432
        .size:           4
        .value_kind:     by_value
      - .offset:         440
        .size:           8
        .value_kind:     by_value
      - .offset:         448
        .size:           4
        .value_kind:     by_value
      - .offset:         452
        .size:           4
        .value_kind:     by_value
      - .offset:         456
        .size:           4
        .value_kind:     by_value
      - .offset:         460
        .size:           4
        .value_kind:     by_value
      - .address_space:  global
        .offset:         464
        .size:           8
        .value_kind:     global_buffer
      - .address_space:  global
        .offset:         472
        .size:           8
        .value_kind:     global_buffer
      - .offset:         480
        .size:           4
        .value_kind:     hidden_block_count_x
      - .offset:         484
        .size:           4
        .value_kind:     hidden_block_count_y
      - .offset:         488
        .size:           4
        .value_kind:     hidden_block_count_z
      - .offset:         492
        .size:           2
        .value_kind:     hidden_group_size_x
      - .offset:         494
        .size:           2
        .value_kind:     hidden_group_size_y
      - .offset:         496
        .size:           2
        .value_kind:     hidden_group_size_z
      - .offset:         498
        .size:           2
        .value_kind:     hidden_remainder_x
      - .offset:         500
        .size:           2
        .value_kind:     hidden_remainder_y
      - .offset:         502
        .size:           2
        .value_kind:     hidden_remainder_z
      - .offset:         520
        .size:           8
        .value_kind:     hidden_global_offset_x
      - .offset:         528
        .size:           8
        .value_kind:     hidden_global_offset_y
      - .offset:         536
        .size:           8
        .value_kind:     hidden_global_offset_z
      - .offset:         544
        .size:           2
        .value_kind:     hidden_grid_dims
    .group_segment_fixed_size: 1024
    .kernarg_segment_align: 8
    .kernarg_segment_size: 736
    .language:       OpenCL C
    .language_version:
      - 2
      - 0
    .max_flat_workgroup_size: 256
    .name:           _ZN2at6native6mbtopk23computeBlockDigitCountsIfmjLi2EEEvNS_4cuda6detail10TensorInfoIKT_T0_EEjPjjS8_iijT1_PSB_Ps
    .private_segment_fixed_size: 0
    .sgpr_count:     27
    .sgpr_spill_count: 0
    .symbol:         _ZN2at6native6mbtopk23computeBlockDigitCountsIfmjLi2EEEvNS_4cuda6detail10TensorInfoIKT_T0_EEjPjjS8_iijT1_PSB_Ps.kd
    .uniform_work_group_size: 1
    .uses_dynamic_stack: false
    .vgpr_count:     10
    .vgpr_spill_count: 0
    .wavefront_size: 32
    .workgroup_processor_mode: 1
  - .args:
      - .offset:         0
        .size:           416
        .value_kind:     by_value
      - .offset:         416
        .size:           8
        .value_kind:     by_value
      - .offset:         424
        .size:           8
        .value_kind:     by_value
      - .offset:         432
        .size:           1
        .value_kind:     by_value
      - .offset:         436
        .size:           4
        .value_kind:     by_value
      - .offset:         440
        .size:           8
        .value_kind:     by_value
      - .offset:         448
        .size:           416
        .value_kind:     by_value
      - .offset:         864
        .size:           8
        .value_kind:     by_value
      - .offset:         872
        .size:           416
        .value_kind:     by_value
      - .offset:         1288
        .size:           8
        .value_kind:     by_value
      - .offset:         1296
        .size:           4
        .value_kind:     by_value
      - .offset:         1300
        .size:           4
        .value_kind:     by_value
      - .address_space:  global
        .offset:         1304
        .size:           8
        .value_kind:     global_buffer
      - .address_space:  global
        .offset:         1312
        .size:           8
        .value_kind:     global_buffer
      - .address_space:  global
        .offset:         1320
        .size:           8
        .value_kind:     global_buffer
      - .offset:         1328
        .size:           4
        .value_kind:     by_value
      - .offset:         1336
        .size:           4
        .value_kind:     hidden_block_count_x
      - .offset:         1340
        .size:           4
        .value_kind:     hidden_block_count_y
      - .offset:         1344
        .size:           4
        .value_kind:     hidden_block_count_z
      - .offset:         1348
        .size:           2
        .value_kind:     hidden_group_size_x
      - .offset:         1350
        .size:           2
        .value_kind:     hidden_group_size_y
      - .offset:         1352
        .size:           2
        .value_kind:     hidden_group_size_z
      - .offset:         1354
        .size:           2
        .value_kind:     hidden_remainder_x
      - .offset:         1356
        .size:           2
        .value_kind:     hidden_remainder_y
      - .offset:         1358
        .size:           2
        .value_kind:     hidden_remainder_z
      - .offset:         1376
        .size:           8
        .value_kind:     hidden_global_offset_x
      - .offset:         1384
        .size:           8
        .value_kind:     hidden_global_offset_y
      - .offset:         1392
        .size:           8
        .value_kind:     hidden_global_offset_z
      - .offset:         1400
        .size:           2
        .value_kind:     hidden_grid_dims
    .group_segment_fixed_size: 1068
    .kernarg_segment_align: 8
    .kernarg_segment_size: 1592
    .language:       OpenCL C
    .language_version:
      - 2
      - 0
    .max_flat_workgroup_size: 256
    .name:           _ZN2at6native6mbtopk10gatherTopKIfmLi2EEEvNS_4cuda6detail10TensorInfoIKT_T0_EES8_S8_bjS8_NS5_IS6_S8_EES8_NS5_IlS8_EES8_jjPS6_PjSD_j
    .private_segment_fixed_size: 0
    .sgpr_count:     51
    .sgpr_spill_count: 0
    .symbol:         _ZN2at6native6mbtopk10gatherTopKIfmLi2EEEvNS_4cuda6detail10TensorInfoIKT_T0_EES8_S8_bjS8_NS5_IS6_S8_EES8_NS5_IlS8_EES8_jjPS6_PjSD_j.kd
    .uniform_work_group_size: 1
    .uses_dynamic_stack: false
    .vgpr_count:     24
    .vgpr_spill_count: 0
    .wavefront_size: 32
    .workgroup_processor_mode: 1
  - .args:
      - .offset:         0
        .size:           416
        .value_kind:     by_value
      - .offset:         416
        .size:           8
        .value_kind:     by_value
      - .offset:         424
        .size:           8
        .value_kind:     by_value
      - .offset:         432
        .size:           1
        .value_kind:     by_value
      - .offset:         440
        .size:           8
        .value_kind:     by_value
      - .offset:         448
        .size:           8
        .value_kind:     by_value
      - .offset:         456
        .size:           416
        .value_kind:     by_value
      - .offset:         872
        .size:           8
        .value_kind:     by_value
      - .offset:         880
        .size:           416
        .value_kind:     by_value
      - .offset:         1296
        .size:           8
        .value_kind:     by_value
      - .address_space:  global
        .offset:         1304
        .size:           8
        .value_kind:     global_buffer
      - .offset:         1312
        .size:           4
        .value_kind:     hidden_block_count_x
      - .offset:         1316
        .size:           4
        .value_kind:     hidden_block_count_y
      - .offset:         1320
        .size:           4
        .value_kind:     hidden_block_count_z
      - .offset:         1324
        .size:           2
        .value_kind:     hidden_group_size_x
      - .offset:         1326
        .size:           2
        .value_kind:     hidden_group_size_y
      - .offset:         1328
        .size:           2
        .value_kind:     hidden_group_size_z
      - .offset:         1330
        .size:           2
        .value_kind:     hidden_remainder_x
      - .offset:         1332
        .size:           2
        .value_kind:     hidden_remainder_y
      - .offset:         1334
        .size:           2
        .value_kind:     hidden_remainder_z
      - .offset:         1352
        .size:           8
        .value_kind:     hidden_global_offset_x
      - .offset:         1360
        .size:           8
        .value_kind:     hidden_global_offset_y
      - .offset:         1368
        .size:           8
        .value_kind:     hidden_global_offset_z
      - .offset:         1376
        .size:           2
        .value_kind:     hidden_grid_dims
    .group_segment_fixed_size: 5152
    .kernarg_segment_align: 8
    .kernarg_segment_size: 1568
    .language:       OpenCL C
    .language_version:
      - 2
      - 0
    .max_flat_workgroup_size: 1024
    .name:           _ZN2at6native6sbtopk10gatherTopKIfmLi2ELb0EEEvNS_4cuda6detail10TensorInfoIKT_T0_EES8_S8_bS8_S8_NS5_IS6_S8_EES8_NS5_IlS8_EES8_PS6_
    .private_segment_fixed_size: 0
    .sgpr_count:     107
    .sgpr_spill_count: 0
    .symbol:         _ZN2at6native6sbtopk10gatherTopKIfmLi2ELb0EEEvNS_4cuda6detail10TensorInfoIKT_T0_EES8_S8_bS8_S8_NS5_IS6_S8_EES8_NS5_IlS8_EES8_PS6_.kd
    .uniform_work_group_size: 1
    .uses_dynamic_stack: false
    .vgpr_count:     37
    .vgpr_spill_count: 0
    .wavefront_size: 32
    .workgroup_processor_mode: 1
  - .args:
      - .offset:         0
        .size:           416
        .value_kind:     by_value
      - .offset:         416
        .size:           4
        .value_kind:     by_value
      - .address_space:  global
        .offset:         424
        .size:           8
        .value_kind:     global_buffer
      - .offset:         432
        .size:           4
        .value_kind:     by_value
      - .offset:         440
        .size:           8
        .value_kind:     by_value
      - .offset:         448
        .size:           4
        .value_kind:     by_value
      - .offset:         452
        .size:           4
        .value_kind:     by_value
      - .offset:         456
        .size:           4
        .value_kind:     by_value
      - .offset:         460
        .size:           4
        .value_kind:     by_value
      - .address_space:  global
        .offset:         464
        .size:           8
        .value_kind:     global_buffer
      - .address_space:  global
        .offset:         472
        .size:           8
        .value_kind:     global_buffer
      - .offset:         480
        .size:           4
        .value_kind:     hidden_block_count_x
      - .offset:         484
        .size:           4
        .value_kind:     hidden_block_count_y
      - .offset:         488
        .size:           4
        .value_kind:     hidden_block_count_z
      - .offset:         492
        .size:           2
        .value_kind:     hidden_group_size_x
      - .offset:         494
        .size:           2
        .value_kind:     hidden_group_size_y
      - .offset:         496
        .size:           2
        .value_kind:     hidden_group_size_z
      - .offset:         498
        .size:           2
        .value_kind:     hidden_remainder_x
      - .offset:         500
        .size:           2
        .value_kind:     hidden_remainder_y
      - .offset:         502
        .size:           2
        .value_kind:     hidden_remainder_z
      - .offset:         520
        .size:           8
        .value_kind:     hidden_global_offset_x
      - .offset:         528
        .size:           8
        .value_kind:     hidden_global_offset_y
      - .offset:         536
        .size:           8
        .value_kind:     hidden_global_offset_z
      - .offset:         544
        .size:           2
        .value_kind:     hidden_grid_dims
    .group_segment_fixed_size: 1024
    .kernarg_segment_align: 8
    .kernarg_segment_size: 736
    .language:       OpenCL C
    .language_version:
      - 2
      - 0
    .max_flat_workgroup_size: 256
    .name:           _ZN2at6native6mbtopk23computeBlockDigitCountsIfmjLi3EEEvNS_4cuda6detail10TensorInfoIKT_T0_EEjPjjS8_iijT1_PSB_Ps
    .private_segment_fixed_size: 0
    .sgpr_count:     34
    .sgpr_spill_count: 0
    .symbol:         _ZN2at6native6mbtopk23computeBlockDigitCountsIfmjLi3EEEvNS_4cuda6detail10TensorInfoIKT_T0_EEjPjjS8_iijT1_PSB_Ps.kd
    .uniform_work_group_size: 1
    .uses_dynamic_stack: false
    .vgpr_count:     10
    .vgpr_spill_count: 0
    .wavefront_size: 32
    .workgroup_processor_mode: 1
  - .args:
      - .offset:         0
        .size:           416
        .value_kind:     by_value
      - .offset:         416
        .size:           8
        .value_kind:     by_value
      - .offset:         424
        .size:           8
        .value_kind:     by_value
      - .offset:         432
        .size:           1
        .value_kind:     by_value
      - .offset:         436
        .size:           4
        .value_kind:     by_value
      - .offset:         440
        .size:           8
        .value_kind:     by_value
      - .offset:         448
        .size:           416
        .value_kind:     by_value
      - .offset:         864
        .size:           8
        .value_kind:     by_value
      - .offset:         872
        .size:           416
        .value_kind:     by_value
      - .offset:         1288
        .size:           8
        .value_kind:     by_value
      - .offset:         1296
        .size:           4
        .value_kind:     by_value
      - .offset:         1300
        .size:           4
        .value_kind:     by_value
      - .address_space:  global
        .offset:         1304
        .size:           8
        .value_kind:     global_buffer
      - .address_space:  global
        .offset:         1312
        .size:           8
        .value_kind:     global_buffer
      - .address_space:  global
        .offset:         1320
        .size:           8
        .value_kind:     global_buffer
      - .offset:         1328
        .size:           4
        .value_kind:     by_value
      - .offset:         1336
        .size:           4
        .value_kind:     hidden_block_count_x
      - .offset:         1340
        .size:           4
        .value_kind:     hidden_block_count_y
      - .offset:         1344
        .size:           4
        .value_kind:     hidden_block_count_z
      - .offset:         1348
        .size:           2
        .value_kind:     hidden_group_size_x
      - .offset:         1350
        .size:           2
        .value_kind:     hidden_group_size_y
      - .offset:         1352
        .size:           2
        .value_kind:     hidden_group_size_z
      - .offset:         1354
        .size:           2
        .value_kind:     hidden_remainder_x
      - .offset:         1356
        .size:           2
        .value_kind:     hidden_remainder_y
      - .offset:         1358
        .size:           2
        .value_kind:     hidden_remainder_z
      - .offset:         1376
        .size:           8
        .value_kind:     hidden_global_offset_x
      - .offset:         1384
        .size:           8
        .value_kind:     hidden_global_offset_y
      - .offset:         1392
        .size:           8
        .value_kind:     hidden_global_offset_z
      - .offset:         1400
        .size:           2
        .value_kind:     hidden_grid_dims
    .group_segment_fixed_size: 1068
    .kernarg_segment_align: 8
    .kernarg_segment_size: 1592
    .language:       OpenCL C
    .language_version:
      - 2
      - 0
    .max_flat_workgroup_size: 256
    .name:           _ZN2at6native6mbtopk10gatherTopKIfmLi3EEEvNS_4cuda6detail10TensorInfoIKT_T0_EES8_S8_bjS8_NS5_IS6_S8_EES8_NS5_IlS8_EES8_jjPS6_PjSD_j
    .private_segment_fixed_size: 0
    .sgpr_count:     77
    .sgpr_spill_count: 0
    .symbol:         _ZN2at6native6mbtopk10gatherTopKIfmLi3EEEvNS_4cuda6detail10TensorInfoIKT_T0_EES8_S8_bjS8_NS5_IS6_S8_EES8_NS5_IlS8_EES8_jjPS6_PjSD_j.kd
    .uniform_work_group_size: 1
    .uses_dynamic_stack: false
    .vgpr_count:     24
    .vgpr_spill_count: 0
    .wavefront_size: 32
    .workgroup_processor_mode: 1
  - .args:
      - .offset:         0
        .size:           416
        .value_kind:     by_value
      - .offset:         416
        .size:           8
        .value_kind:     by_value
      - .offset:         424
        .size:           8
        .value_kind:     by_value
      - .offset:         432
        .size:           1
        .value_kind:     by_value
      - .offset:         440
        .size:           8
        .value_kind:     by_value
      - .offset:         448
        .size:           8
        .value_kind:     by_value
      - .offset:         456
        .size:           416
        .value_kind:     by_value
      - .offset:         872
        .size:           8
        .value_kind:     by_value
      - .offset:         880
        .size:           416
        .value_kind:     by_value
      - .offset:         1296
        .size:           8
        .value_kind:     by_value
      - .address_space:  global
        .offset:         1304
        .size:           8
        .value_kind:     global_buffer
      - .offset:         1312
        .size:           4
        .value_kind:     hidden_block_count_x
      - .offset:         1316
        .size:           4
        .value_kind:     hidden_block_count_y
      - .offset:         1320
        .size:           4
        .value_kind:     hidden_block_count_z
      - .offset:         1324
        .size:           2
        .value_kind:     hidden_group_size_x
      - .offset:         1326
        .size:           2
        .value_kind:     hidden_group_size_y
      - .offset:         1328
        .size:           2
        .value_kind:     hidden_group_size_z
      - .offset:         1330
        .size:           2
        .value_kind:     hidden_remainder_x
      - .offset:         1332
        .size:           2
        .value_kind:     hidden_remainder_y
      - .offset:         1334
        .size:           2
        .value_kind:     hidden_remainder_z
      - .offset:         1352
        .size:           8
        .value_kind:     hidden_global_offset_x
      - .offset:         1360
        .size:           8
        .value_kind:     hidden_global_offset_y
      - .offset:         1368
        .size:           8
        .value_kind:     hidden_global_offset_z
      - .offset:         1376
        .size:           2
        .value_kind:     hidden_grid_dims
    .group_segment_fixed_size: 5152
    .kernarg_segment_align: 8
    .kernarg_segment_size: 1568
    .language:       OpenCL C
    .language_version:
      - 2
      - 0
    .max_flat_workgroup_size: 1024
    .name:           _ZN2at6native6sbtopk10gatherTopKIfmLi3ELb0EEEvNS_4cuda6detail10TensorInfoIKT_T0_EES8_S8_bS8_S8_NS5_IS6_S8_EES8_NS5_IlS8_EES8_PS6_
    .private_segment_fixed_size: 0
    .sgpr_count:     107
    .sgpr_spill_count: 2
    .symbol:         _ZN2at6native6sbtopk10gatherTopKIfmLi3ELb0EEEvNS_4cuda6detail10TensorInfoIKT_T0_EES8_S8_bS8_S8_NS5_IS6_S8_EES8_NS5_IlS8_EES8_PS6_.kd
    .uniform_work_group_size: 1
    .uses_dynamic_stack: false
    .vgpr_count:     38
    .vgpr_spill_count: 0
    .wavefront_size: 32
    .workgroup_processor_mode: 1
  - .args:
      - .offset:         0
        .size:           416
        .value_kind:     by_value
      - .offset:         416
        .size:           4
        .value_kind:     by_value
      - .address_space:  global
        .offset:         424
        .size:           8
        .value_kind:     global_buffer
      - .offset:         432
        .size:           4
        .value_kind:     by_value
      - .offset:         440
        .size:           8
        .value_kind:     by_value
      - .offset:         448
        .size:           4
        .value_kind:     by_value
      - .offset:         452
        .size:           4
        .value_kind:     by_value
      - .offset:         456
        .size:           4
        .value_kind:     by_value
      - .offset:         460
        .size:           4
        .value_kind:     by_value
      - .address_space:  global
        .offset:         464
        .size:           8
        .value_kind:     global_buffer
      - .address_space:  global
        .offset:         472
        .size:           8
        .value_kind:     global_buffer
      - .offset:         480
        .size:           4
        .value_kind:     hidden_block_count_x
      - .offset:         484
        .size:           4
        .value_kind:     hidden_block_count_y
      - .offset:         488
        .size:           4
        .value_kind:     hidden_block_count_z
      - .offset:         492
        .size:           2
        .value_kind:     hidden_group_size_x
      - .offset:         494
        .size:           2
        .value_kind:     hidden_group_size_y
      - .offset:         496
        .size:           2
        .value_kind:     hidden_group_size_z
      - .offset:         498
        .size:           2
        .value_kind:     hidden_remainder_x
      - .offset:         500
        .size:           2
        .value_kind:     hidden_remainder_y
      - .offset:         502
        .size:           2
        .value_kind:     hidden_remainder_z
      - .offset:         520
        .size:           8
        .value_kind:     hidden_global_offset_x
      - .offset:         528
        .size:           8
        .value_kind:     hidden_global_offset_y
      - .offset:         536
        .size:           8
        .value_kind:     hidden_global_offset_z
      - .offset:         544
        .size:           2
        .value_kind:     hidden_grid_dims
    .group_segment_fixed_size: 1024
    .kernarg_segment_align: 8
    .kernarg_segment_size: 736
    .language:       OpenCL C
    .language_version:
      - 2
      - 0
    .max_flat_workgroup_size: 256
    .name:           _ZN2at6native6mbtopk23computeBlockDigitCountsIfmjLin1EEEvNS_4cuda6detail10TensorInfoIKT_T0_EEjPjjS8_iijT1_PSB_Ps
    .private_segment_fixed_size: 0
    .sgpr_count:     34
    .sgpr_spill_count: 0
    .symbol:         _ZN2at6native6mbtopk23computeBlockDigitCountsIfmjLin1EEEvNS_4cuda6detail10TensorInfoIKT_T0_EEjPjjS8_iijT1_PSB_Ps.kd
    .uniform_work_group_size: 1
    .uses_dynamic_stack: false
    .vgpr_count:     10
    .vgpr_spill_count: 0
    .wavefront_size: 32
    .workgroup_processor_mode: 1
  - .args:
      - .offset:         0
        .size:           416
        .value_kind:     by_value
      - .offset:         416
        .size:           8
        .value_kind:     by_value
      - .offset:         424
        .size:           8
        .value_kind:     by_value
      - .offset:         432
        .size:           1
        .value_kind:     by_value
      - .offset:         436
        .size:           4
        .value_kind:     by_value
      - .offset:         440
        .size:           8
        .value_kind:     by_value
      - .offset:         448
        .size:           416
        .value_kind:     by_value
      - .offset:         864
        .size:           8
        .value_kind:     by_value
      - .offset:         872
        .size:           416
        .value_kind:     by_value
      - .offset:         1288
        .size:           8
        .value_kind:     by_value
      - .offset:         1296
        .size:           4
        .value_kind:     by_value
      - .offset:         1300
        .size:           4
        .value_kind:     by_value
      - .address_space:  global
        .offset:         1304
        .size:           8
        .value_kind:     global_buffer
      - .address_space:  global
        .offset:         1312
        .size:           8
        .value_kind:     global_buffer
      - .address_space:  global
        .offset:         1320
        .size:           8
        .value_kind:     global_buffer
      - .offset:         1328
        .size:           4
        .value_kind:     by_value
      - .offset:         1336
        .size:           4
        .value_kind:     hidden_block_count_x
      - .offset:         1340
        .size:           4
        .value_kind:     hidden_block_count_y
      - .offset:         1344
        .size:           4
        .value_kind:     hidden_block_count_z
      - .offset:         1348
        .size:           2
        .value_kind:     hidden_group_size_x
      - .offset:         1350
        .size:           2
        .value_kind:     hidden_group_size_y
      - .offset:         1352
        .size:           2
        .value_kind:     hidden_group_size_z
      - .offset:         1354
        .size:           2
        .value_kind:     hidden_remainder_x
      - .offset:         1356
        .size:           2
        .value_kind:     hidden_remainder_y
      - .offset:         1358
        .size:           2
        .value_kind:     hidden_remainder_z
      - .offset:         1376
        .size:           8
        .value_kind:     hidden_global_offset_x
      - .offset:         1384
        .size:           8
        .value_kind:     hidden_global_offset_y
      - .offset:         1392
        .size:           8
        .value_kind:     hidden_global_offset_z
      - .offset:         1400
        .size:           2
        .value_kind:     hidden_grid_dims
    .group_segment_fixed_size: 1068
    .kernarg_segment_align: 8
    .kernarg_segment_size: 1592
    .language:       OpenCL C
    .language_version:
      - 2
      - 0
    .max_flat_workgroup_size: 256
    .name:           _ZN2at6native6mbtopk10gatherTopKIfmLin1EEEvNS_4cuda6detail10TensorInfoIKT_T0_EES8_S8_bjS8_NS5_IS6_S8_EES8_NS5_IlS8_EES8_jjPS6_PjSD_j
    .private_segment_fixed_size: 0
    .sgpr_count:     59
    .sgpr_spill_count: 0
    .symbol:         _ZN2at6native6mbtopk10gatherTopKIfmLin1EEEvNS_4cuda6detail10TensorInfoIKT_T0_EES8_S8_bjS8_NS5_IS6_S8_EES8_NS5_IlS8_EES8_jjPS6_PjSD_j.kd
    .uniform_work_group_size: 1
    .uses_dynamic_stack: false
    .vgpr_count:     24
    .vgpr_spill_count: 0
    .wavefront_size: 32
    .workgroup_processor_mode: 1
  - .args:
      - .offset:         0
        .size:           416
        .value_kind:     by_value
      - .offset:         416
        .size:           8
        .value_kind:     by_value
      - .offset:         424
        .size:           8
        .value_kind:     by_value
      - .offset:         432
        .size:           1
        .value_kind:     by_value
      - .offset:         440
        .size:           8
        .value_kind:     by_value
      - .offset:         448
        .size:           8
        .value_kind:     by_value
      - .offset:         456
        .size:           416
        .value_kind:     by_value
      - .offset:         872
        .size:           8
        .value_kind:     by_value
      - .offset:         880
        .size:           416
        .value_kind:     by_value
      - .offset:         1296
        .size:           8
        .value_kind:     by_value
      - .address_space:  global
        .offset:         1304
        .size:           8
        .value_kind:     global_buffer
      - .offset:         1312
        .size:           4
        .value_kind:     hidden_block_count_x
      - .offset:         1316
        .size:           4
        .value_kind:     hidden_block_count_y
      - .offset:         1320
        .size:           4
        .value_kind:     hidden_block_count_z
      - .offset:         1324
        .size:           2
        .value_kind:     hidden_group_size_x
      - .offset:         1326
        .size:           2
        .value_kind:     hidden_group_size_y
      - .offset:         1328
        .size:           2
        .value_kind:     hidden_group_size_z
      - .offset:         1330
        .size:           2
        .value_kind:     hidden_remainder_x
      - .offset:         1332
        .size:           2
        .value_kind:     hidden_remainder_y
      - .offset:         1334
        .size:           2
        .value_kind:     hidden_remainder_z
      - .offset:         1352
        .size:           8
        .value_kind:     hidden_global_offset_x
      - .offset:         1360
        .size:           8
        .value_kind:     hidden_global_offset_y
      - .offset:         1368
        .size:           8
        .value_kind:     hidden_global_offset_z
      - .offset:         1376
        .size:           2
        .value_kind:     hidden_grid_dims
    .group_segment_fixed_size: 5152
    .kernarg_segment_align: 8
    .kernarg_segment_size: 1568
    .language:       OpenCL C
    .language_version:
      - 2
      - 0
    .max_flat_workgroup_size: 1024
    .name:           _ZN2at6native6sbtopk10gatherTopKIfmLin1ELb0EEEvNS_4cuda6detail10TensorInfoIKT_T0_EES8_S8_bS8_S8_NS5_IS6_S8_EES8_NS5_IlS8_EES8_PS6_
    .private_segment_fixed_size: 0
    .sgpr_count:     107
    .sgpr_spill_count: 7
    .symbol:         _ZN2at6native6sbtopk10gatherTopKIfmLin1ELb0EEEvNS_4cuda6detail10TensorInfoIKT_T0_EES8_S8_bS8_S8_NS5_IS6_S8_EES8_NS5_IlS8_EES8_PS6_.kd
    .uniform_work_group_size: 1
    .uses_dynamic_stack: false
    .vgpr_count:     52
    .vgpr_spill_count: 0
    .wavefront_size: 32
    .workgroup_processor_mode: 1
  - .args:
      - .offset:         0
        .size:           416
        .value_kind:     by_value
      - .offset:         416
        .size:           4
        .value_kind:     by_value
      - .address_space:  global
        .offset:         424
        .size:           8
        .value_kind:     global_buffer
      - .offset:         432
        .size:           4
        .value_kind:     by_value
      - .offset:         440
        .size:           8
        .value_kind:     by_value
      - .offset:         448
        .size:           4
        .value_kind:     by_value
      - .offset:         452
        .size:           4
        .value_kind:     by_value
      - .offset:         456
        .size:           4
        .value_kind:     by_value
      - .offset:         460
        .size:           4
        .value_kind:     by_value
      - .address_space:  global
        .offset:         464
        .size:           8
        .value_kind:     global_buffer
      - .address_space:  global
        .offset:         472
        .size:           8
        .value_kind:     global_buffer
      - .offset:         480
        .size:           4
        .value_kind:     hidden_block_count_x
      - .offset:         484
        .size:           4
        .value_kind:     hidden_block_count_y
      - .offset:         488
        .size:           4
        .value_kind:     hidden_block_count_z
      - .offset:         492
        .size:           2
        .value_kind:     hidden_group_size_x
      - .offset:         494
        .size:           2
        .value_kind:     hidden_group_size_y
      - .offset:         496
        .size:           2
        .value_kind:     hidden_group_size_z
      - .offset:         498
        .size:           2
        .value_kind:     hidden_remainder_x
      - .offset:         500
        .size:           2
        .value_kind:     hidden_remainder_y
      - .offset:         502
        .size:           2
        .value_kind:     hidden_remainder_z
      - .offset:         520
        .size:           8
        .value_kind:     hidden_global_offset_x
      - .offset:         528
        .size:           8
        .value_kind:     hidden_global_offset_y
      - .offset:         536
        .size:           8
        .value_kind:     hidden_global_offset_z
      - .offset:         544
        .size:           2
        .value_kind:     hidden_grid_dims
    .group_segment_fixed_size: 1024
    .kernarg_segment_align: 8
    .kernarg_segment_size: 736
    .language:       OpenCL C
    .language_version:
      - 2
      - 0
    .max_flat_workgroup_size: 256
    .name:           _ZN2at6native6mbtopk23computeBlockDigitCountsIN3c104HalfEmjLi1EEEvNS_4cuda6detail10TensorInfoIKT_T0_EEjPjjSA_iijT1_PSD_Ps
    .private_segment_fixed_size: 0
    .sgpr_count:     24
    .sgpr_spill_count: 0
    .symbol:         _ZN2at6native6mbtopk23computeBlockDigitCountsIN3c104HalfEmjLi1EEEvNS_4cuda6detail10TensorInfoIKT_T0_EEjPjjSA_iijT1_PSD_Ps.kd
    .uniform_work_group_size: 1
    .uses_dynamic_stack: false
    .vgpr_count:     11
    .vgpr_spill_count: 0
    .wavefront_size: 32
    .workgroup_processor_mode: 1
  - .args:
      - .offset:         0
        .size:           416
        .value_kind:     by_value
      - .offset:         416
        .size:           8
        .value_kind:     by_value
      - .offset:         424
        .size:           8
        .value_kind:     by_value
      - .offset:         432
        .size:           1
        .value_kind:     by_value
      - .offset:         436
        .size:           4
        .value_kind:     by_value
      - .offset:         440
        .size:           8
        .value_kind:     by_value
      - .offset:         448
        .size:           416
        .value_kind:     by_value
      - .offset:         864
        .size:           8
        .value_kind:     by_value
      - .offset:         872
        .size:           416
        .value_kind:     by_value
      - .offset:         1288
        .size:           8
        .value_kind:     by_value
      - .offset:         1296
        .size:           4
        .value_kind:     by_value
      - .offset:         1300
        .size:           4
        .value_kind:     by_value
      - .address_space:  global
        .offset:         1304
        .size:           8
        .value_kind:     global_buffer
      - .address_space:  global
        .offset:         1312
        .size:           8
        .value_kind:     global_buffer
      - .address_space:  global
        .offset:         1320
        .size:           8
        .value_kind:     global_buffer
      - .offset:         1328
        .size:           4
        .value_kind:     by_value
      - .offset:         1336
        .size:           4
        .value_kind:     hidden_block_count_x
      - .offset:         1340
        .size:           4
        .value_kind:     hidden_block_count_y
      - .offset:         1344
        .size:           4
        .value_kind:     hidden_block_count_z
      - .offset:         1348
        .size:           2
        .value_kind:     hidden_group_size_x
      - .offset:         1350
        .size:           2
        .value_kind:     hidden_group_size_y
      - .offset:         1352
        .size:           2
        .value_kind:     hidden_group_size_z
      - .offset:         1354
        .size:           2
        .value_kind:     hidden_remainder_x
      - .offset:         1356
        .size:           2
        .value_kind:     hidden_remainder_y
      - .offset:         1358
        .size:           2
        .value_kind:     hidden_remainder_z
      - .offset:         1376
        .size:           8
        .value_kind:     hidden_global_offset_x
      - .offset:         1384
        .size:           8
        .value_kind:     hidden_global_offset_y
      - .offset:         1392
        .size:           8
        .value_kind:     hidden_global_offset_z
      - .offset:         1400
        .size:           2
        .value_kind:     hidden_grid_dims
    .group_segment_fixed_size: 1068
    .kernarg_segment_align: 8
    .kernarg_segment_size: 1592
    .language:       OpenCL C
    .language_version:
      - 2
      - 0
    .max_flat_workgroup_size: 256
    .name:           _ZN2at6native6mbtopk10gatherTopKIN3c104HalfEmLi1EEEvNS_4cuda6detail10TensorInfoIKT_T0_EESA_SA_bjSA_NS7_IS8_SA_EESA_NS7_IlSA_EESA_jjPS8_PjSF_j
    .private_segment_fixed_size: 0
    .sgpr_count:     44
    .sgpr_spill_count: 0
    .symbol:         _ZN2at6native6mbtopk10gatherTopKIN3c104HalfEmLi1EEEvNS_4cuda6detail10TensorInfoIKT_T0_EESA_SA_bjSA_NS7_IS8_SA_EESA_NS7_IlSA_EESA_jjPS8_PjSF_j.kd
    .uniform_work_group_size: 1
    .uses_dynamic_stack: false
    .vgpr_count:     25
    .vgpr_spill_count: 0
    .wavefront_size: 32
    .workgroup_processor_mode: 1
  - .args:
      - .offset:         0
        .size:           416
        .value_kind:     by_value
      - .offset:         416
        .size:           8
        .value_kind:     by_value
      - .offset:         424
        .size:           8
        .value_kind:     by_value
      - .offset:         432
        .size:           1
        .value_kind:     by_value
      - .offset:         440
        .size:           8
        .value_kind:     by_value
      - .offset:         448
        .size:           8
        .value_kind:     by_value
      - .offset:         456
        .size:           416
        .value_kind:     by_value
      - .offset:         872
        .size:           8
        .value_kind:     by_value
      - .offset:         880
        .size:           416
        .value_kind:     by_value
      - .offset:         1296
        .size:           8
        .value_kind:     by_value
      - .address_space:  global
        .offset:         1304
        .size:           8
        .value_kind:     global_buffer
      - .offset:         1312
        .size:           4
        .value_kind:     hidden_block_count_x
      - .offset:         1316
        .size:           4
        .value_kind:     hidden_block_count_y
      - .offset:         1320
        .size:           4
        .value_kind:     hidden_block_count_z
      - .offset:         1324
        .size:           2
        .value_kind:     hidden_group_size_x
      - .offset:         1326
        .size:           2
        .value_kind:     hidden_group_size_y
      - .offset:         1328
        .size:           2
        .value_kind:     hidden_group_size_z
      - .offset:         1330
        .size:           2
        .value_kind:     hidden_remainder_x
      - .offset:         1332
        .size:           2
        .value_kind:     hidden_remainder_y
      - .offset:         1334
        .size:           2
        .value_kind:     hidden_remainder_z
      - .offset:         1352
        .size:           8
        .value_kind:     hidden_global_offset_x
      - .offset:         1360
        .size:           8
        .value_kind:     hidden_global_offset_y
      - .offset:         1368
        .size:           8
        .value_kind:     hidden_global_offset_z
      - .offset:         1376
        .size:           2
        .value_kind:     hidden_grid_dims
    .group_segment_fixed_size: 5152
    .kernarg_segment_align: 8
    .kernarg_segment_size: 1568
    .language:       OpenCL C
    .language_version:
      - 2
      - 0
    .max_flat_workgroup_size: 1024
    .name:           _ZN2at6native6sbtopk10gatherTopKIN3c104HalfEmLi1ELb0EEEvNS_4cuda6detail10TensorInfoIKT_T0_EESA_SA_bSA_SA_NS7_IS8_SA_EESA_NS7_IlSA_EESA_PS8_
    .private_segment_fixed_size: 0
    .sgpr_count:     107
    .sgpr_spill_count: 4
    .symbol:         _ZN2at6native6sbtopk10gatherTopKIN3c104HalfEmLi1ELb0EEEvNS_4cuda6detail10TensorInfoIKT_T0_EESA_SA_bSA_SA_NS7_IS8_SA_EESA_NS7_IlSA_EESA_PS8_.kd
    .uniform_work_group_size: 1
    .uses_dynamic_stack: false
    .vgpr_count:     46
    .vgpr_spill_count: 0
    .wavefront_size: 32
    .workgroup_processor_mode: 1
  - .args:
      - .offset:         0
        .size:           416
        .value_kind:     by_value
      - .offset:         416
        .size:           4
        .value_kind:     by_value
      - .address_space:  global
        .offset:         424
        .size:           8
        .value_kind:     global_buffer
      - .offset:         432
        .size:           4
        .value_kind:     by_value
      - .offset:         440
        .size:           8
        .value_kind:     by_value
      - .offset:         448
        .size:           4
        .value_kind:     by_value
      - .offset:         452
        .size:           4
        .value_kind:     by_value
      - .offset:         456
        .size:           4
        .value_kind:     by_value
      - .offset:         460
        .size:           4
        .value_kind:     by_value
      - .address_space:  global
        .offset:         464
        .size:           8
        .value_kind:     global_buffer
      - .address_space:  global
        .offset:         472
        .size:           8
        .value_kind:     global_buffer
      - .offset:         480
        .size:           4
        .value_kind:     hidden_block_count_x
      - .offset:         484
        .size:           4
        .value_kind:     hidden_block_count_y
      - .offset:         488
        .size:           4
        .value_kind:     hidden_block_count_z
      - .offset:         492
        .size:           2
        .value_kind:     hidden_group_size_x
      - .offset:         494
        .size:           2
        .value_kind:     hidden_group_size_y
      - .offset:         496
        .size:           2
        .value_kind:     hidden_group_size_z
      - .offset:         498
        .size:           2
        .value_kind:     hidden_remainder_x
      - .offset:         500
        .size:           2
        .value_kind:     hidden_remainder_y
      - .offset:         502
        .size:           2
        .value_kind:     hidden_remainder_z
      - .offset:         520
        .size:           8
        .value_kind:     hidden_global_offset_x
      - .offset:         528
        .size:           8
        .value_kind:     hidden_global_offset_y
      - .offset:         536
        .size:           8
        .value_kind:     hidden_global_offset_z
      - .offset:         544
        .size:           2
        .value_kind:     hidden_grid_dims
    .group_segment_fixed_size: 1024
    .kernarg_segment_align: 8
    .kernarg_segment_size: 736
    .language:       OpenCL C
    .language_version:
      - 2
      - 0
    .max_flat_workgroup_size: 256
    .name:           _ZN2at6native6mbtopk23computeBlockDigitCountsIN3c104HalfEmjLi2EEEvNS_4cuda6detail10TensorInfoIKT_T0_EEjPjjSA_iijT1_PSD_Ps
    .private_segment_fixed_size: 0
    .sgpr_count:     27
    .sgpr_spill_count: 0
    .symbol:         _ZN2at6native6mbtopk23computeBlockDigitCountsIN3c104HalfEmjLi2EEEvNS_4cuda6detail10TensorInfoIKT_T0_EEjPjjSA_iijT1_PSD_Ps.kd
    .uniform_work_group_size: 1
    .uses_dynamic_stack: false
    .vgpr_count:     11
    .vgpr_spill_count: 0
    .wavefront_size: 32
    .workgroup_processor_mode: 1
  - .args:
      - .offset:         0
        .size:           416
        .value_kind:     by_value
      - .offset:         416
        .size:           8
        .value_kind:     by_value
      - .offset:         424
        .size:           8
        .value_kind:     by_value
      - .offset:         432
        .size:           1
        .value_kind:     by_value
      - .offset:         436
        .size:           4
        .value_kind:     by_value
      - .offset:         440
        .size:           8
        .value_kind:     by_value
      - .offset:         448
        .size:           416
        .value_kind:     by_value
      - .offset:         864
        .size:           8
        .value_kind:     by_value
      - .offset:         872
        .size:           416
        .value_kind:     by_value
      - .offset:         1288
        .size:           8
        .value_kind:     by_value
      - .offset:         1296
        .size:           4
        .value_kind:     by_value
      - .offset:         1300
        .size:           4
        .value_kind:     by_value
      - .address_space:  global
        .offset:         1304
        .size:           8
        .value_kind:     global_buffer
      - .address_space:  global
        .offset:         1312
        .size:           8
        .value_kind:     global_buffer
      - .address_space:  global
        .offset:         1320
        .size:           8
        .value_kind:     global_buffer
      - .offset:         1328
        .size:           4
        .value_kind:     by_value
      - .offset:         1336
        .size:           4
        .value_kind:     hidden_block_count_x
      - .offset:         1340
        .size:           4
        .value_kind:     hidden_block_count_y
      - .offset:         1344
        .size:           4
        .value_kind:     hidden_block_count_z
      - .offset:         1348
        .size:           2
        .value_kind:     hidden_group_size_x
      - .offset:         1350
        .size:           2
        .value_kind:     hidden_group_size_y
      - .offset:         1352
        .size:           2
        .value_kind:     hidden_group_size_z
      - .offset:         1354
        .size:           2
        .value_kind:     hidden_remainder_x
      - .offset:         1356
        .size:           2
        .value_kind:     hidden_remainder_y
      - .offset:         1358
        .size:           2
        .value_kind:     hidden_remainder_z
      - .offset:         1376
        .size:           8
        .value_kind:     hidden_global_offset_x
      - .offset:         1384
        .size:           8
        .value_kind:     hidden_global_offset_y
      - .offset:         1392
        .size:           8
        .value_kind:     hidden_global_offset_z
      - .offset:         1400
        .size:           2
        .value_kind:     hidden_grid_dims
    .group_segment_fixed_size: 1068
    .kernarg_segment_align: 8
    .kernarg_segment_size: 1592
    .language:       OpenCL C
    .language_version:
      - 2
      - 0
    .max_flat_workgroup_size: 256
    .name:           _ZN2at6native6mbtopk10gatherTopKIN3c104HalfEmLi2EEEvNS_4cuda6detail10TensorInfoIKT_T0_EESA_SA_bjSA_NS7_IS8_SA_EESA_NS7_IlSA_EESA_jjPS8_PjSF_j
    .private_segment_fixed_size: 0
    .sgpr_count:     51
    .sgpr_spill_count: 0
    .symbol:         _ZN2at6native6mbtopk10gatherTopKIN3c104HalfEmLi2EEEvNS_4cuda6detail10TensorInfoIKT_T0_EESA_SA_bjSA_NS7_IS8_SA_EESA_NS7_IlSA_EESA_jjPS8_PjSF_j.kd
    .uniform_work_group_size: 1
    .uses_dynamic_stack: false
    .vgpr_count:     25
    .vgpr_spill_count: 0
    .wavefront_size: 32
    .workgroup_processor_mode: 1
  - .args:
      - .offset:         0
        .size:           416
        .value_kind:     by_value
      - .offset:         416
        .size:           8
        .value_kind:     by_value
      - .offset:         424
        .size:           8
        .value_kind:     by_value
      - .offset:         432
        .size:           1
        .value_kind:     by_value
      - .offset:         440
        .size:           8
        .value_kind:     by_value
      - .offset:         448
        .size:           8
        .value_kind:     by_value
      - .offset:         456
        .size:           416
        .value_kind:     by_value
      - .offset:         872
        .size:           8
        .value_kind:     by_value
      - .offset:         880
        .size:           416
        .value_kind:     by_value
      - .offset:         1296
        .size:           8
        .value_kind:     by_value
      - .address_space:  global
        .offset:         1304
        .size:           8
        .value_kind:     global_buffer
      - .offset:         1312
        .size:           4
        .value_kind:     hidden_block_count_x
      - .offset:         1316
        .size:           4
        .value_kind:     hidden_block_count_y
      - .offset:         1320
        .size:           4
        .value_kind:     hidden_block_count_z
      - .offset:         1324
        .size:           2
        .value_kind:     hidden_group_size_x
      - .offset:         1326
        .size:           2
        .value_kind:     hidden_group_size_y
      - .offset:         1328
        .size:           2
        .value_kind:     hidden_group_size_z
      - .offset:         1330
        .size:           2
        .value_kind:     hidden_remainder_x
      - .offset:         1332
        .size:           2
        .value_kind:     hidden_remainder_y
      - .offset:         1334
        .size:           2
        .value_kind:     hidden_remainder_z
      - .offset:         1352
        .size:           8
        .value_kind:     hidden_global_offset_x
      - .offset:         1360
        .size:           8
        .value_kind:     hidden_global_offset_y
      - .offset:         1368
        .size:           8
        .value_kind:     hidden_global_offset_z
      - .offset:         1376
        .size:           2
        .value_kind:     hidden_grid_dims
    .group_segment_fixed_size: 5152
    .kernarg_segment_align: 8
    .kernarg_segment_size: 1568
    .language:       OpenCL C
    .language_version:
      - 2
      - 0
    .max_flat_workgroup_size: 1024
    .name:           _ZN2at6native6sbtopk10gatherTopKIN3c104HalfEmLi2ELb0EEEvNS_4cuda6detail10TensorInfoIKT_T0_EESA_SA_bSA_SA_NS7_IS8_SA_EESA_NS7_IlSA_EESA_PS8_
    .private_segment_fixed_size: 0
    .sgpr_count:     107
    .sgpr_spill_count: 0
    .symbol:         _ZN2at6native6sbtopk10gatherTopKIN3c104HalfEmLi2ELb0EEEvNS_4cuda6detail10TensorInfoIKT_T0_EESA_SA_bSA_SA_NS7_IS8_SA_EESA_NS7_IlSA_EESA_PS8_.kd
    .uniform_work_group_size: 1
    .uses_dynamic_stack: false
    .vgpr_count:     37
    .vgpr_spill_count: 0
    .wavefront_size: 32
    .workgroup_processor_mode: 1
  - .args:
      - .offset:         0
        .size:           416
        .value_kind:     by_value
      - .offset:         416
        .size:           4
        .value_kind:     by_value
      - .address_space:  global
        .offset:         424
        .size:           8
        .value_kind:     global_buffer
      - .offset:         432
        .size:           4
        .value_kind:     by_value
      - .offset:         440
        .size:           8
        .value_kind:     by_value
      - .offset:         448
        .size:           4
        .value_kind:     by_value
      - .offset:         452
        .size:           4
        .value_kind:     by_value
      - .offset:         456
        .size:           4
        .value_kind:     by_value
      - .offset:         460
        .size:           4
        .value_kind:     by_value
      - .address_space:  global
        .offset:         464
        .size:           8
        .value_kind:     global_buffer
      - .address_space:  global
        .offset:         472
        .size:           8
        .value_kind:     global_buffer
      - .offset:         480
        .size:           4
        .value_kind:     hidden_block_count_x
      - .offset:         484
        .size:           4
        .value_kind:     hidden_block_count_y
      - .offset:         488
        .size:           4
        .value_kind:     hidden_block_count_z
      - .offset:         492
        .size:           2
        .value_kind:     hidden_group_size_x
      - .offset:         494
        .size:           2
        .value_kind:     hidden_group_size_y
      - .offset:         496
        .size:           2
        .value_kind:     hidden_group_size_z
      - .offset:         498
        .size:           2
        .value_kind:     hidden_remainder_x
      - .offset:         500
        .size:           2
        .value_kind:     hidden_remainder_y
      - .offset:         502
        .size:           2
        .value_kind:     hidden_remainder_z
      - .offset:         520
        .size:           8
        .value_kind:     hidden_global_offset_x
      - .offset:         528
        .size:           8
        .value_kind:     hidden_global_offset_y
      - .offset:         536
        .size:           8
        .value_kind:     hidden_global_offset_z
      - .offset:         544
        .size:           2
        .value_kind:     hidden_grid_dims
    .group_segment_fixed_size: 1024
    .kernarg_segment_align: 8
    .kernarg_segment_size: 736
    .language:       OpenCL C
    .language_version:
      - 2
      - 0
    .max_flat_workgroup_size: 256
    .name:           _ZN2at6native6mbtopk23computeBlockDigitCountsIN3c104HalfEmjLi3EEEvNS_4cuda6detail10TensorInfoIKT_T0_EEjPjjSA_iijT1_PSD_Ps
    .private_segment_fixed_size: 0
    .sgpr_count:     34
    .sgpr_spill_count: 0
    .symbol:         _ZN2at6native6mbtopk23computeBlockDigitCountsIN3c104HalfEmjLi3EEEvNS_4cuda6detail10TensorInfoIKT_T0_EEjPjjSA_iijT1_PSD_Ps.kd
    .uniform_work_group_size: 1
    .uses_dynamic_stack: false
    .vgpr_count:     11
    .vgpr_spill_count: 0
    .wavefront_size: 32
    .workgroup_processor_mode: 1
  - .args:
      - .offset:         0
        .size:           416
        .value_kind:     by_value
      - .offset:         416
        .size:           8
        .value_kind:     by_value
      - .offset:         424
        .size:           8
        .value_kind:     by_value
      - .offset:         432
        .size:           1
        .value_kind:     by_value
      - .offset:         436
        .size:           4
        .value_kind:     by_value
      - .offset:         440
        .size:           8
        .value_kind:     by_value
      - .offset:         448
        .size:           416
        .value_kind:     by_value
      - .offset:         864
        .size:           8
        .value_kind:     by_value
      - .offset:         872
        .size:           416
        .value_kind:     by_value
      - .offset:         1288
        .size:           8
        .value_kind:     by_value
      - .offset:         1296
        .size:           4
        .value_kind:     by_value
      - .offset:         1300
        .size:           4
        .value_kind:     by_value
      - .address_space:  global
        .offset:         1304
        .size:           8
        .value_kind:     global_buffer
      - .address_space:  global
        .offset:         1312
        .size:           8
        .value_kind:     global_buffer
      - .address_space:  global
        .offset:         1320
        .size:           8
        .value_kind:     global_buffer
      - .offset:         1328
        .size:           4
        .value_kind:     by_value
      - .offset:         1336
        .size:           4
        .value_kind:     hidden_block_count_x
      - .offset:         1340
        .size:           4
        .value_kind:     hidden_block_count_y
      - .offset:         1344
        .size:           4
        .value_kind:     hidden_block_count_z
      - .offset:         1348
        .size:           2
        .value_kind:     hidden_group_size_x
      - .offset:         1350
        .size:           2
        .value_kind:     hidden_group_size_y
      - .offset:         1352
        .size:           2
        .value_kind:     hidden_group_size_z
      - .offset:         1354
        .size:           2
        .value_kind:     hidden_remainder_x
      - .offset:         1356
        .size:           2
        .value_kind:     hidden_remainder_y
      - .offset:         1358
        .size:           2
        .value_kind:     hidden_remainder_z
      - .offset:         1376
        .size:           8
        .value_kind:     hidden_global_offset_x
      - .offset:         1384
        .size:           8
        .value_kind:     hidden_global_offset_y
      - .offset:         1392
        .size:           8
        .value_kind:     hidden_global_offset_z
      - .offset:         1400
        .size:           2
        .value_kind:     hidden_grid_dims
    .group_segment_fixed_size: 1068
    .kernarg_segment_align: 8
    .kernarg_segment_size: 1592
    .language:       OpenCL C
    .language_version:
      - 2
      - 0
    .max_flat_workgroup_size: 256
    .name:           _ZN2at6native6mbtopk10gatherTopKIN3c104HalfEmLi3EEEvNS_4cuda6detail10TensorInfoIKT_T0_EESA_SA_bjSA_NS7_IS8_SA_EESA_NS7_IlSA_EESA_jjPS8_PjSF_j
    .private_segment_fixed_size: 0
    .sgpr_count:     77
    .sgpr_spill_count: 0
    .symbol:         _ZN2at6native6mbtopk10gatherTopKIN3c104HalfEmLi3EEEvNS_4cuda6detail10TensorInfoIKT_T0_EESA_SA_bjSA_NS7_IS8_SA_EESA_NS7_IlSA_EESA_jjPS8_PjSF_j.kd
    .uniform_work_group_size: 1
    .uses_dynamic_stack: false
    .vgpr_count:     25
    .vgpr_spill_count: 0
    .wavefront_size: 32
    .workgroup_processor_mode: 1
  - .args:
      - .offset:         0
        .size:           416
        .value_kind:     by_value
      - .offset:         416
        .size:           8
        .value_kind:     by_value
      - .offset:         424
        .size:           8
        .value_kind:     by_value
      - .offset:         432
        .size:           1
        .value_kind:     by_value
      - .offset:         440
        .size:           8
        .value_kind:     by_value
      - .offset:         448
        .size:           8
        .value_kind:     by_value
      - .offset:         456
        .size:           416
        .value_kind:     by_value
      - .offset:         872
        .size:           8
        .value_kind:     by_value
      - .offset:         880
        .size:           416
        .value_kind:     by_value
      - .offset:         1296
        .size:           8
        .value_kind:     by_value
      - .address_space:  global
        .offset:         1304
        .size:           8
        .value_kind:     global_buffer
      - .offset:         1312
        .size:           4
        .value_kind:     hidden_block_count_x
      - .offset:         1316
        .size:           4
        .value_kind:     hidden_block_count_y
      - .offset:         1320
        .size:           4
        .value_kind:     hidden_block_count_z
      - .offset:         1324
        .size:           2
        .value_kind:     hidden_group_size_x
      - .offset:         1326
        .size:           2
        .value_kind:     hidden_group_size_y
      - .offset:         1328
        .size:           2
        .value_kind:     hidden_group_size_z
      - .offset:         1330
        .size:           2
        .value_kind:     hidden_remainder_x
      - .offset:         1332
        .size:           2
        .value_kind:     hidden_remainder_y
      - .offset:         1334
        .size:           2
        .value_kind:     hidden_remainder_z
      - .offset:         1352
        .size:           8
        .value_kind:     hidden_global_offset_x
      - .offset:         1360
        .size:           8
        .value_kind:     hidden_global_offset_y
      - .offset:         1368
        .size:           8
        .value_kind:     hidden_global_offset_z
      - .offset:         1376
        .size:           2
        .value_kind:     hidden_grid_dims
    .group_segment_fixed_size: 5152
    .kernarg_segment_align: 8
    .kernarg_segment_size: 1568
    .language:       OpenCL C
    .language_version:
      - 2
      - 0
    .max_flat_workgroup_size: 1024
    .name:           _ZN2at6native6sbtopk10gatherTopKIN3c104HalfEmLi3ELb0EEEvNS_4cuda6detail10TensorInfoIKT_T0_EESA_SA_bSA_SA_NS7_IS8_SA_EESA_NS7_IlSA_EESA_PS8_
    .private_segment_fixed_size: 0
    .sgpr_count:     107
    .sgpr_spill_count: 2
    .symbol:         _ZN2at6native6sbtopk10gatherTopKIN3c104HalfEmLi3ELb0EEEvNS_4cuda6detail10TensorInfoIKT_T0_EESA_SA_bSA_SA_NS7_IS8_SA_EESA_NS7_IlSA_EESA_PS8_.kd
    .uniform_work_group_size: 1
    .uses_dynamic_stack: false
    .vgpr_count:     38
    .vgpr_spill_count: 0
    .wavefront_size: 32
    .workgroup_processor_mode: 1
  - .args:
      - .offset:         0
        .size:           416
        .value_kind:     by_value
      - .offset:         416
        .size:           4
        .value_kind:     by_value
      - .address_space:  global
        .offset:         424
        .size:           8
        .value_kind:     global_buffer
      - .offset:         432
        .size:           4
        .value_kind:     by_value
      - .offset:         440
        .size:           8
        .value_kind:     by_value
      - .offset:         448
        .size:           4
        .value_kind:     by_value
      - .offset:         452
        .size:           4
        .value_kind:     by_value
      - .offset:         456
        .size:           4
        .value_kind:     by_value
      - .offset:         460
        .size:           4
        .value_kind:     by_value
      - .address_space:  global
        .offset:         464
        .size:           8
        .value_kind:     global_buffer
      - .address_space:  global
        .offset:         472
        .size:           8
        .value_kind:     global_buffer
      - .offset:         480
        .size:           4
        .value_kind:     hidden_block_count_x
      - .offset:         484
        .size:           4
        .value_kind:     hidden_block_count_y
      - .offset:         488
        .size:           4
        .value_kind:     hidden_block_count_z
      - .offset:         492
        .size:           2
        .value_kind:     hidden_group_size_x
      - .offset:         494
        .size:           2
        .value_kind:     hidden_group_size_y
      - .offset:         496
        .size:           2
        .value_kind:     hidden_group_size_z
      - .offset:         498
        .size:           2
        .value_kind:     hidden_remainder_x
      - .offset:         500
        .size:           2
        .value_kind:     hidden_remainder_y
      - .offset:         502
        .size:           2
        .value_kind:     hidden_remainder_z
      - .offset:         520
        .size:           8
        .value_kind:     hidden_global_offset_x
      - .offset:         528
        .size:           8
        .value_kind:     hidden_global_offset_y
      - .offset:         536
        .size:           8
        .value_kind:     hidden_global_offset_z
      - .offset:         544
        .size:           2
        .value_kind:     hidden_grid_dims
    .group_segment_fixed_size: 1024
    .kernarg_segment_align: 8
    .kernarg_segment_size: 736
    .language:       OpenCL C
    .language_version:
      - 2
      - 0
    .max_flat_workgroup_size: 256
    .name:           _ZN2at6native6mbtopk23computeBlockDigitCountsIN3c104HalfEmjLin1EEEvNS_4cuda6detail10TensorInfoIKT_T0_EEjPjjSA_iijT1_PSD_Ps
    .private_segment_fixed_size: 0
    .sgpr_count:     34
    .sgpr_spill_count: 0
    .symbol:         _ZN2at6native6mbtopk23computeBlockDigitCountsIN3c104HalfEmjLin1EEEvNS_4cuda6detail10TensorInfoIKT_T0_EEjPjjSA_iijT1_PSD_Ps.kd
    .uniform_work_group_size: 1
    .uses_dynamic_stack: false
    .vgpr_count:     11
    .vgpr_spill_count: 0
    .wavefront_size: 32
    .workgroup_processor_mode: 1
  - .args:
      - .offset:         0
        .size:           416
        .value_kind:     by_value
      - .offset:         416
        .size:           8
        .value_kind:     by_value
      - .offset:         424
        .size:           8
        .value_kind:     by_value
      - .offset:         432
        .size:           1
        .value_kind:     by_value
      - .offset:         436
        .size:           4
        .value_kind:     by_value
      - .offset:         440
        .size:           8
        .value_kind:     by_value
      - .offset:         448
        .size:           416
        .value_kind:     by_value
      - .offset:         864
        .size:           8
        .value_kind:     by_value
      - .offset:         872
        .size:           416
        .value_kind:     by_value
      - .offset:         1288
        .size:           8
        .value_kind:     by_value
      - .offset:         1296
        .size:           4
        .value_kind:     by_value
      - .offset:         1300
        .size:           4
        .value_kind:     by_value
      - .address_space:  global
        .offset:         1304
        .size:           8
        .value_kind:     global_buffer
      - .address_space:  global
        .offset:         1312
        .size:           8
        .value_kind:     global_buffer
      - .address_space:  global
        .offset:         1320
        .size:           8
        .value_kind:     global_buffer
      - .offset:         1328
        .size:           4
        .value_kind:     by_value
      - .offset:         1336
        .size:           4
        .value_kind:     hidden_block_count_x
      - .offset:         1340
        .size:           4
        .value_kind:     hidden_block_count_y
      - .offset:         1344
        .size:           4
        .value_kind:     hidden_block_count_z
      - .offset:         1348
        .size:           2
        .value_kind:     hidden_group_size_x
      - .offset:         1350
        .size:           2
        .value_kind:     hidden_group_size_y
      - .offset:         1352
        .size:           2
        .value_kind:     hidden_group_size_z
      - .offset:         1354
        .size:           2
        .value_kind:     hidden_remainder_x
      - .offset:         1356
        .size:           2
        .value_kind:     hidden_remainder_y
      - .offset:         1358
        .size:           2
        .value_kind:     hidden_remainder_z
      - .offset:         1376
        .size:           8
        .value_kind:     hidden_global_offset_x
      - .offset:         1384
        .size:           8
        .value_kind:     hidden_global_offset_y
      - .offset:         1392
        .size:           8
        .value_kind:     hidden_global_offset_z
      - .offset:         1400
        .size:           2
        .value_kind:     hidden_grid_dims
    .group_segment_fixed_size: 1068
    .kernarg_segment_align: 8
    .kernarg_segment_size: 1592
    .language:       OpenCL C
    .language_version:
      - 2
      - 0
    .max_flat_workgroup_size: 256
    .name:           _ZN2at6native6mbtopk10gatherTopKIN3c104HalfEmLin1EEEvNS_4cuda6detail10TensorInfoIKT_T0_EESA_SA_bjSA_NS7_IS8_SA_EESA_NS7_IlSA_EESA_jjPS8_PjSF_j
    .private_segment_fixed_size: 0
    .sgpr_count:     59
    .sgpr_spill_count: 0
    .symbol:         _ZN2at6native6mbtopk10gatherTopKIN3c104HalfEmLin1EEEvNS_4cuda6detail10TensorInfoIKT_T0_EESA_SA_bjSA_NS7_IS8_SA_EESA_NS7_IlSA_EESA_jjPS8_PjSF_j.kd
    .uniform_work_group_size: 1
    .uses_dynamic_stack: false
    .vgpr_count:     25
    .vgpr_spill_count: 0
    .wavefront_size: 32
    .workgroup_processor_mode: 1
  - .args:
      - .offset:         0
        .size:           416
        .value_kind:     by_value
      - .offset:         416
        .size:           8
        .value_kind:     by_value
      - .offset:         424
        .size:           8
        .value_kind:     by_value
      - .offset:         432
        .size:           1
        .value_kind:     by_value
      - .offset:         440
        .size:           8
        .value_kind:     by_value
      - .offset:         448
        .size:           8
        .value_kind:     by_value
      - .offset:         456
        .size:           416
        .value_kind:     by_value
      - .offset:         872
        .size:           8
        .value_kind:     by_value
      - .offset:         880
        .size:           416
        .value_kind:     by_value
      - .offset:         1296
        .size:           8
        .value_kind:     by_value
      - .address_space:  global
        .offset:         1304
        .size:           8
        .value_kind:     global_buffer
      - .offset:         1312
        .size:           4
        .value_kind:     hidden_block_count_x
      - .offset:         1316
        .size:           4
        .value_kind:     hidden_block_count_y
      - .offset:         1320
        .size:           4
        .value_kind:     hidden_block_count_z
      - .offset:         1324
        .size:           2
        .value_kind:     hidden_group_size_x
      - .offset:         1326
        .size:           2
        .value_kind:     hidden_group_size_y
      - .offset:         1328
        .size:           2
        .value_kind:     hidden_group_size_z
      - .offset:         1330
        .size:           2
        .value_kind:     hidden_remainder_x
      - .offset:         1332
        .size:           2
        .value_kind:     hidden_remainder_y
      - .offset:         1334
        .size:           2
        .value_kind:     hidden_remainder_z
      - .offset:         1352
        .size:           8
        .value_kind:     hidden_global_offset_x
      - .offset:         1360
        .size:           8
        .value_kind:     hidden_global_offset_y
      - .offset:         1368
        .size:           8
        .value_kind:     hidden_global_offset_z
      - .offset:         1376
        .size:           2
        .value_kind:     hidden_grid_dims
    .group_segment_fixed_size: 5152
    .kernarg_segment_align: 8
    .kernarg_segment_size: 1568
    .language:       OpenCL C
    .language_version:
      - 2
      - 0
    .max_flat_workgroup_size: 1024
    .name:           _ZN2at6native6sbtopk10gatherTopKIN3c104HalfEmLin1ELb0EEEvNS_4cuda6detail10TensorInfoIKT_T0_EESA_SA_bSA_SA_NS7_IS8_SA_EESA_NS7_IlSA_EESA_PS8_
    .private_segment_fixed_size: 0
    .sgpr_count:     107
    .sgpr_spill_count: 10
    .symbol:         _ZN2at6native6sbtopk10gatherTopKIN3c104HalfEmLin1ELb0EEEvNS_4cuda6detail10TensorInfoIKT_T0_EESA_SA_bSA_SA_NS7_IS8_SA_EESA_NS7_IlSA_EESA_PS8_.kd
    .uniform_work_group_size: 1
    .uses_dynamic_stack: false
    .vgpr_count:     52
    .vgpr_spill_count: 0
    .wavefront_size: 32
    .workgroup_processor_mode: 1
  - .args:
      - .offset:         0
        .size:           416
        .value_kind:     by_value
      - .offset:         416
        .size:           4
        .value_kind:     by_value
      - .address_space:  global
        .offset:         424
        .size:           8
        .value_kind:     global_buffer
      - .offset:         432
        .size:           4
        .value_kind:     by_value
      - .offset:         440
        .size:           8
        .value_kind:     by_value
      - .offset:         448
        .size:           4
        .value_kind:     by_value
      - .offset:         452
        .size:           4
        .value_kind:     by_value
      - .offset:         456
        .size:           4
        .value_kind:     by_value
      - .offset:         460
        .size:           4
        .value_kind:     by_value
      - .address_space:  global
        .offset:         464
        .size:           8
        .value_kind:     global_buffer
      - .address_space:  global
        .offset:         472
        .size:           8
        .value_kind:     global_buffer
      - .offset:         480
        .size:           4
        .value_kind:     hidden_block_count_x
      - .offset:         484
        .size:           4
        .value_kind:     hidden_block_count_y
      - .offset:         488
        .size:           4
        .value_kind:     hidden_block_count_z
      - .offset:         492
        .size:           2
        .value_kind:     hidden_group_size_x
      - .offset:         494
        .size:           2
        .value_kind:     hidden_group_size_y
      - .offset:         496
        .size:           2
        .value_kind:     hidden_group_size_z
      - .offset:         498
        .size:           2
        .value_kind:     hidden_remainder_x
      - .offset:         500
        .size:           2
        .value_kind:     hidden_remainder_y
      - .offset:         502
        .size:           2
        .value_kind:     hidden_remainder_z
      - .offset:         520
        .size:           8
        .value_kind:     hidden_global_offset_x
      - .offset:         528
        .size:           8
        .value_kind:     hidden_global_offset_y
      - .offset:         536
        .size:           8
        .value_kind:     hidden_global_offset_z
      - .offset:         544
        .size:           2
        .value_kind:     hidden_grid_dims
    .group_segment_fixed_size: 1024
    .kernarg_segment_align: 8
    .kernarg_segment_size: 736
    .language:       OpenCL C
    .language_version:
      - 2
      - 0
    .max_flat_workgroup_size: 256
    .name:           _ZN2at6native6mbtopk23computeBlockDigitCountsIN3c108BFloat16EmjLi1EEEvNS_4cuda6detail10TensorInfoIKT_T0_EEjPjjSA_iijT1_PSD_Ps
    .private_segment_fixed_size: 0
    .sgpr_count:     24
    .sgpr_spill_count: 0
    .symbol:         _ZN2at6native6mbtopk23computeBlockDigitCountsIN3c108BFloat16EmjLi1EEEvNS_4cuda6detail10TensorInfoIKT_T0_EEjPjjSA_iijT1_PSD_Ps.kd
    .uniform_work_group_size: 1
    .uses_dynamic_stack: false
    .vgpr_count:     11
    .vgpr_spill_count: 0
    .wavefront_size: 32
    .workgroup_processor_mode: 1
  - .args:
      - .offset:         0
        .size:           416
        .value_kind:     by_value
      - .offset:         416
        .size:           8
        .value_kind:     by_value
      - .offset:         424
        .size:           8
        .value_kind:     by_value
      - .offset:         432
        .size:           1
        .value_kind:     by_value
      - .offset:         436
        .size:           4
        .value_kind:     by_value
      - .offset:         440
        .size:           8
        .value_kind:     by_value
      - .offset:         448
        .size:           416
        .value_kind:     by_value
      - .offset:         864
        .size:           8
        .value_kind:     by_value
      - .offset:         872
        .size:           416
        .value_kind:     by_value
      - .offset:         1288
        .size:           8
        .value_kind:     by_value
      - .offset:         1296
        .size:           4
        .value_kind:     by_value
      - .offset:         1300
        .size:           4
        .value_kind:     by_value
      - .address_space:  global
        .offset:         1304
        .size:           8
        .value_kind:     global_buffer
      - .address_space:  global
        .offset:         1312
        .size:           8
        .value_kind:     global_buffer
      - .address_space:  global
        .offset:         1320
        .size:           8
        .value_kind:     global_buffer
      - .offset:         1328
        .size:           4
        .value_kind:     by_value
      - .offset:         1336
        .size:           4
        .value_kind:     hidden_block_count_x
      - .offset:         1340
        .size:           4
        .value_kind:     hidden_block_count_y
      - .offset:         1344
        .size:           4
        .value_kind:     hidden_block_count_z
      - .offset:         1348
        .size:           2
        .value_kind:     hidden_group_size_x
      - .offset:         1350
        .size:           2
        .value_kind:     hidden_group_size_y
      - .offset:         1352
        .size:           2
        .value_kind:     hidden_group_size_z
      - .offset:         1354
        .size:           2
        .value_kind:     hidden_remainder_x
      - .offset:         1356
        .size:           2
        .value_kind:     hidden_remainder_y
      - .offset:         1358
        .size:           2
        .value_kind:     hidden_remainder_z
      - .offset:         1376
        .size:           8
        .value_kind:     hidden_global_offset_x
      - .offset:         1384
        .size:           8
        .value_kind:     hidden_global_offset_y
      - .offset:         1392
        .size:           8
        .value_kind:     hidden_global_offset_z
      - .offset:         1400
        .size:           2
        .value_kind:     hidden_grid_dims
    .group_segment_fixed_size: 1068
    .kernarg_segment_align: 8
    .kernarg_segment_size: 1592
    .language:       OpenCL C
    .language_version:
      - 2
      - 0
    .max_flat_workgroup_size: 256
    .name:           _ZN2at6native6mbtopk10gatherTopKIN3c108BFloat16EmLi1EEEvNS_4cuda6detail10TensorInfoIKT_T0_EESA_SA_bjSA_NS7_IS8_SA_EESA_NS7_IlSA_EESA_jjPS8_PjSF_j
    .private_segment_fixed_size: 0
    .sgpr_count:     44
    .sgpr_spill_count: 0
    .symbol:         _ZN2at6native6mbtopk10gatherTopKIN3c108BFloat16EmLi1EEEvNS_4cuda6detail10TensorInfoIKT_T0_EESA_SA_bjSA_NS7_IS8_SA_EESA_NS7_IlSA_EESA_jjPS8_PjSF_j.kd
    .uniform_work_group_size: 1
    .uses_dynamic_stack: false
    .vgpr_count:     25
    .vgpr_spill_count: 0
    .wavefront_size: 32
    .workgroup_processor_mode: 1
  - .args:
      - .offset:         0
        .size:           416
        .value_kind:     by_value
      - .offset:         416
        .size:           8
        .value_kind:     by_value
      - .offset:         424
        .size:           8
        .value_kind:     by_value
      - .offset:         432
        .size:           1
        .value_kind:     by_value
      - .offset:         440
        .size:           8
        .value_kind:     by_value
      - .offset:         448
        .size:           8
        .value_kind:     by_value
      - .offset:         456
        .size:           416
        .value_kind:     by_value
      - .offset:         872
        .size:           8
        .value_kind:     by_value
      - .offset:         880
        .size:           416
        .value_kind:     by_value
      - .offset:         1296
        .size:           8
        .value_kind:     by_value
      - .address_space:  global
        .offset:         1304
        .size:           8
        .value_kind:     global_buffer
      - .offset:         1312
        .size:           4
        .value_kind:     hidden_block_count_x
      - .offset:         1316
        .size:           4
        .value_kind:     hidden_block_count_y
      - .offset:         1320
        .size:           4
        .value_kind:     hidden_block_count_z
      - .offset:         1324
        .size:           2
        .value_kind:     hidden_group_size_x
      - .offset:         1326
        .size:           2
        .value_kind:     hidden_group_size_y
      - .offset:         1328
        .size:           2
        .value_kind:     hidden_group_size_z
      - .offset:         1330
        .size:           2
        .value_kind:     hidden_remainder_x
      - .offset:         1332
        .size:           2
        .value_kind:     hidden_remainder_y
      - .offset:         1334
        .size:           2
        .value_kind:     hidden_remainder_z
      - .offset:         1352
        .size:           8
        .value_kind:     hidden_global_offset_x
      - .offset:         1360
        .size:           8
        .value_kind:     hidden_global_offset_y
      - .offset:         1368
        .size:           8
        .value_kind:     hidden_global_offset_z
      - .offset:         1376
        .size:           2
        .value_kind:     hidden_grid_dims
    .group_segment_fixed_size: 5152
    .kernarg_segment_align: 8
    .kernarg_segment_size: 1568
    .language:       OpenCL C
    .language_version:
      - 2
      - 0
    .max_flat_workgroup_size: 1024
    .name:           _ZN2at6native6sbtopk10gatherTopKIN3c108BFloat16EmLi1ELb0EEEvNS_4cuda6detail10TensorInfoIKT_T0_EESA_SA_bSA_SA_NS7_IS8_SA_EESA_NS7_IlSA_EESA_PS8_
    .private_segment_fixed_size: 0
    .sgpr_count:     107
    .sgpr_spill_count: 4
    .symbol:         _ZN2at6native6sbtopk10gatherTopKIN3c108BFloat16EmLi1ELb0EEEvNS_4cuda6detail10TensorInfoIKT_T0_EESA_SA_bSA_SA_NS7_IS8_SA_EESA_NS7_IlSA_EESA_PS8_.kd
    .uniform_work_group_size: 1
    .uses_dynamic_stack: false
    .vgpr_count:     46
    .vgpr_spill_count: 0
    .wavefront_size: 32
    .workgroup_processor_mode: 1
  - .args:
      - .offset:         0
        .size:           416
        .value_kind:     by_value
      - .offset:         416
        .size:           4
        .value_kind:     by_value
      - .address_space:  global
        .offset:         424
        .size:           8
        .value_kind:     global_buffer
      - .offset:         432
        .size:           4
        .value_kind:     by_value
      - .offset:         440
        .size:           8
        .value_kind:     by_value
      - .offset:         448
        .size:           4
        .value_kind:     by_value
      - .offset:         452
        .size:           4
        .value_kind:     by_value
      - .offset:         456
        .size:           4
        .value_kind:     by_value
      - .offset:         460
        .size:           4
        .value_kind:     by_value
      - .address_space:  global
        .offset:         464
        .size:           8
        .value_kind:     global_buffer
      - .address_space:  global
        .offset:         472
        .size:           8
        .value_kind:     global_buffer
      - .offset:         480
        .size:           4
        .value_kind:     hidden_block_count_x
      - .offset:         484
        .size:           4
        .value_kind:     hidden_block_count_y
      - .offset:         488
        .size:           4
        .value_kind:     hidden_block_count_z
      - .offset:         492
        .size:           2
        .value_kind:     hidden_group_size_x
      - .offset:         494
        .size:           2
        .value_kind:     hidden_group_size_y
      - .offset:         496
        .size:           2
        .value_kind:     hidden_group_size_z
      - .offset:         498
        .size:           2
        .value_kind:     hidden_remainder_x
      - .offset:         500
        .size:           2
        .value_kind:     hidden_remainder_y
      - .offset:         502
        .size:           2
        .value_kind:     hidden_remainder_z
      - .offset:         520
        .size:           8
        .value_kind:     hidden_global_offset_x
      - .offset:         528
        .size:           8
        .value_kind:     hidden_global_offset_y
      - .offset:         536
        .size:           8
        .value_kind:     hidden_global_offset_z
      - .offset:         544
        .size:           2
        .value_kind:     hidden_grid_dims
    .group_segment_fixed_size: 1024
    .kernarg_segment_align: 8
    .kernarg_segment_size: 736
    .language:       OpenCL C
    .language_version:
      - 2
      - 0
    .max_flat_workgroup_size: 256
    .name:           _ZN2at6native6mbtopk23computeBlockDigitCountsIN3c108BFloat16EmjLi2EEEvNS_4cuda6detail10TensorInfoIKT_T0_EEjPjjSA_iijT1_PSD_Ps
    .private_segment_fixed_size: 0
    .sgpr_count:     27
    .sgpr_spill_count: 0
    .symbol:         _ZN2at6native6mbtopk23computeBlockDigitCountsIN3c108BFloat16EmjLi2EEEvNS_4cuda6detail10TensorInfoIKT_T0_EEjPjjSA_iijT1_PSD_Ps.kd
    .uniform_work_group_size: 1
    .uses_dynamic_stack: false
    .vgpr_count:     11
    .vgpr_spill_count: 0
    .wavefront_size: 32
    .workgroup_processor_mode: 1
  - .args:
      - .offset:         0
        .size:           416
        .value_kind:     by_value
      - .offset:         416
        .size:           8
        .value_kind:     by_value
      - .offset:         424
        .size:           8
        .value_kind:     by_value
      - .offset:         432
        .size:           1
        .value_kind:     by_value
      - .offset:         436
        .size:           4
        .value_kind:     by_value
      - .offset:         440
        .size:           8
        .value_kind:     by_value
      - .offset:         448
        .size:           416
        .value_kind:     by_value
      - .offset:         864
        .size:           8
        .value_kind:     by_value
      - .offset:         872
        .size:           416
        .value_kind:     by_value
      - .offset:         1288
        .size:           8
        .value_kind:     by_value
      - .offset:         1296
        .size:           4
        .value_kind:     by_value
      - .offset:         1300
        .size:           4
        .value_kind:     by_value
      - .address_space:  global
        .offset:         1304
        .size:           8
        .value_kind:     global_buffer
      - .address_space:  global
        .offset:         1312
        .size:           8
        .value_kind:     global_buffer
      - .address_space:  global
        .offset:         1320
        .size:           8
        .value_kind:     global_buffer
      - .offset:         1328
        .size:           4
        .value_kind:     by_value
      - .offset:         1336
        .size:           4
        .value_kind:     hidden_block_count_x
      - .offset:         1340
        .size:           4
        .value_kind:     hidden_block_count_y
      - .offset:         1344
        .size:           4
        .value_kind:     hidden_block_count_z
      - .offset:         1348
        .size:           2
        .value_kind:     hidden_group_size_x
      - .offset:         1350
        .size:           2
        .value_kind:     hidden_group_size_y
      - .offset:         1352
        .size:           2
        .value_kind:     hidden_group_size_z
      - .offset:         1354
        .size:           2
        .value_kind:     hidden_remainder_x
      - .offset:         1356
        .size:           2
        .value_kind:     hidden_remainder_y
      - .offset:         1358
        .size:           2
        .value_kind:     hidden_remainder_z
      - .offset:         1376
        .size:           8
        .value_kind:     hidden_global_offset_x
      - .offset:         1384
        .size:           8
        .value_kind:     hidden_global_offset_y
      - .offset:         1392
        .size:           8
        .value_kind:     hidden_global_offset_z
      - .offset:         1400
        .size:           2
        .value_kind:     hidden_grid_dims
    .group_segment_fixed_size: 1068
    .kernarg_segment_align: 8
    .kernarg_segment_size: 1592
    .language:       OpenCL C
    .language_version:
      - 2
      - 0
    .max_flat_workgroup_size: 256
    .name:           _ZN2at6native6mbtopk10gatherTopKIN3c108BFloat16EmLi2EEEvNS_4cuda6detail10TensorInfoIKT_T0_EESA_SA_bjSA_NS7_IS8_SA_EESA_NS7_IlSA_EESA_jjPS8_PjSF_j
    .private_segment_fixed_size: 0
    .sgpr_count:     51
    .sgpr_spill_count: 0
    .symbol:         _ZN2at6native6mbtopk10gatherTopKIN3c108BFloat16EmLi2EEEvNS_4cuda6detail10TensorInfoIKT_T0_EESA_SA_bjSA_NS7_IS8_SA_EESA_NS7_IlSA_EESA_jjPS8_PjSF_j.kd
    .uniform_work_group_size: 1
    .uses_dynamic_stack: false
    .vgpr_count:     25
    .vgpr_spill_count: 0
    .wavefront_size: 32
    .workgroup_processor_mode: 1
  - .args:
      - .offset:         0
        .size:           416
        .value_kind:     by_value
      - .offset:         416
        .size:           8
        .value_kind:     by_value
      - .offset:         424
        .size:           8
        .value_kind:     by_value
      - .offset:         432
        .size:           1
        .value_kind:     by_value
      - .offset:         440
        .size:           8
        .value_kind:     by_value
      - .offset:         448
        .size:           8
        .value_kind:     by_value
      - .offset:         456
        .size:           416
        .value_kind:     by_value
      - .offset:         872
        .size:           8
        .value_kind:     by_value
      - .offset:         880
        .size:           416
        .value_kind:     by_value
      - .offset:         1296
        .size:           8
        .value_kind:     by_value
      - .address_space:  global
        .offset:         1304
        .size:           8
        .value_kind:     global_buffer
      - .offset:         1312
        .size:           4
        .value_kind:     hidden_block_count_x
      - .offset:         1316
        .size:           4
        .value_kind:     hidden_block_count_y
      - .offset:         1320
        .size:           4
        .value_kind:     hidden_block_count_z
      - .offset:         1324
        .size:           2
        .value_kind:     hidden_group_size_x
      - .offset:         1326
        .size:           2
        .value_kind:     hidden_group_size_y
      - .offset:         1328
        .size:           2
        .value_kind:     hidden_group_size_z
      - .offset:         1330
        .size:           2
        .value_kind:     hidden_remainder_x
      - .offset:         1332
        .size:           2
        .value_kind:     hidden_remainder_y
      - .offset:         1334
        .size:           2
        .value_kind:     hidden_remainder_z
      - .offset:         1352
        .size:           8
        .value_kind:     hidden_global_offset_x
      - .offset:         1360
        .size:           8
        .value_kind:     hidden_global_offset_y
      - .offset:         1368
        .size:           8
        .value_kind:     hidden_global_offset_z
      - .offset:         1376
        .size:           2
        .value_kind:     hidden_grid_dims
    .group_segment_fixed_size: 5152
    .kernarg_segment_align: 8
    .kernarg_segment_size: 1568
    .language:       OpenCL C
    .language_version:
      - 2
      - 0
    .max_flat_workgroup_size: 1024
    .name:           _ZN2at6native6sbtopk10gatherTopKIN3c108BFloat16EmLi2ELb0EEEvNS_4cuda6detail10TensorInfoIKT_T0_EESA_SA_bSA_SA_NS7_IS8_SA_EESA_NS7_IlSA_EESA_PS8_
    .private_segment_fixed_size: 0
    .sgpr_count:     107
    .sgpr_spill_count: 0
    .symbol:         _ZN2at6native6sbtopk10gatherTopKIN3c108BFloat16EmLi2ELb0EEEvNS_4cuda6detail10TensorInfoIKT_T0_EESA_SA_bSA_SA_NS7_IS8_SA_EESA_NS7_IlSA_EESA_PS8_.kd
    .uniform_work_group_size: 1
    .uses_dynamic_stack: false
    .vgpr_count:     37
    .vgpr_spill_count: 0
    .wavefront_size: 32
    .workgroup_processor_mode: 1
  - .args:
      - .offset:         0
        .size:           416
        .value_kind:     by_value
      - .offset:         416
        .size:           4
        .value_kind:     by_value
      - .address_space:  global
        .offset:         424
        .size:           8
        .value_kind:     global_buffer
      - .offset:         432
        .size:           4
        .value_kind:     by_value
      - .offset:         440
        .size:           8
        .value_kind:     by_value
      - .offset:         448
        .size:           4
        .value_kind:     by_value
      - .offset:         452
        .size:           4
        .value_kind:     by_value
      - .offset:         456
        .size:           4
        .value_kind:     by_value
      - .offset:         460
        .size:           4
        .value_kind:     by_value
      - .address_space:  global
        .offset:         464
        .size:           8
        .value_kind:     global_buffer
      - .address_space:  global
        .offset:         472
        .size:           8
        .value_kind:     global_buffer
      - .offset:         480
        .size:           4
        .value_kind:     hidden_block_count_x
      - .offset:         484
        .size:           4
        .value_kind:     hidden_block_count_y
      - .offset:         488
        .size:           4
        .value_kind:     hidden_block_count_z
      - .offset:         492
        .size:           2
        .value_kind:     hidden_group_size_x
      - .offset:         494
        .size:           2
        .value_kind:     hidden_group_size_y
      - .offset:         496
        .size:           2
        .value_kind:     hidden_group_size_z
      - .offset:         498
        .size:           2
        .value_kind:     hidden_remainder_x
      - .offset:         500
        .size:           2
        .value_kind:     hidden_remainder_y
      - .offset:         502
        .size:           2
        .value_kind:     hidden_remainder_z
      - .offset:         520
        .size:           8
        .value_kind:     hidden_global_offset_x
      - .offset:         528
        .size:           8
        .value_kind:     hidden_global_offset_y
      - .offset:         536
        .size:           8
        .value_kind:     hidden_global_offset_z
      - .offset:         544
        .size:           2
        .value_kind:     hidden_grid_dims
    .group_segment_fixed_size: 1024
    .kernarg_segment_align: 8
    .kernarg_segment_size: 736
    .language:       OpenCL C
    .language_version:
      - 2
      - 0
    .max_flat_workgroup_size: 256
    .name:           _ZN2at6native6mbtopk23computeBlockDigitCountsIN3c108BFloat16EmjLi3EEEvNS_4cuda6detail10TensorInfoIKT_T0_EEjPjjSA_iijT1_PSD_Ps
    .private_segment_fixed_size: 0
    .sgpr_count:     34
    .sgpr_spill_count: 0
    .symbol:         _ZN2at6native6mbtopk23computeBlockDigitCountsIN3c108BFloat16EmjLi3EEEvNS_4cuda6detail10TensorInfoIKT_T0_EEjPjjSA_iijT1_PSD_Ps.kd
    .uniform_work_group_size: 1
    .uses_dynamic_stack: false
    .vgpr_count:     11
    .vgpr_spill_count: 0
    .wavefront_size: 32
    .workgroup_processor_mode: 1
  - .args:
      - .offset:         0
        .size:           416
        .value_kind:     by_value
      - .offset:         416
        .size:           8
        .value_kind:     by_value
      - .offset:         424
        .size:           8
        .value_kind:     by_value
      - .offset:         432
        .size:           1
        .value_kind:     by_value
      - .offset:         436
        .size:           4
        .value_kind:     by_value
      - .offset:         440
        .size:           8
        .value_kind:     by_value
      - .offset:         448
        .size:           416
        .value_kind:     by_value
      - .offset:         864
        .size:           8
        .value_kind:     by_value
      - .offset:         872
        .size:           416
        .value_kind:     by_value
      - .offset:         1288
        .size:           8
        .value_kind:     by_value
      - .offset:         1296
        .size:           4
        .value_kind:     by_value
      - .offset:         1300
        .size:           4
        .value_kind:     by_value
      - .address_space:  global
        .offset:         1304
        .size:           8
        .value_kind:     global_buffer
      - .address_space:  global
        .offset:         1312
        .size:           8
        .value_kind:     global_buffer
      - .address_space:  global
        .offset:         1320
        .size:           8
        .value_kind:     global_buffer
      - .offset:         1328
        .size:           4
        .value_kind:     by_value
      - .offset:         1336
        .size:           4
        .value_kind:     hidden_block_count_x
      - .offset:         1340
        .size:           4
        .value_kind:     hidden_block_count_y
      - .offset:         1344
        .size:           4
        .value_kind:     hidden_block_count_z
      - .offset:         1348
        .size:           2
        .value_kind:     hidden_group_size_x
      - .offset:         1350
        .size:           2
        .value_kind:     hidden_group_size_y
      - .offset:         1352
        .size:           2
        .value_kind:     hidden_group_size_z
      - .offset:         1354
        .size:           2
        .value_kind:     hidden_remainder_x
      - .offset:         1356
        .size:           2
        .value_kind:     hidden_remainder_y
      - .offset:         1358
        .size:           2
        .value_kind:     hidden_remainder_z
      - .offset:         1376
        .size:           8
        .value_kind:     hidden_global_offset_x
      - .offset:         1384
        .size:           8
        .value_kind:     hidden_global_offset_y
      - .offset:         1392
        .size:           8
        .value_kind:     hidden_global_offset_z
      - .offset:         1400
        .size:           2
        .value_kind:     hidden_grid_dims
    .group_segment_fixed_size: 1068
    .kernarg_segment_align: 8
    .kernarg_segment_size: 1592
    .language:       OpenCL C
    .language_version:
      - 2
      - 0
    .max_flat_workgroup_size: 256
    .name:           _ZN2at6native6mbtopk10gatherTopKIN3c108BFloat16EmLi3EEEvNS_4cuda6detail10TensorInfoIKT_T0_EESA_SA_bjSA_NS7_IS8_SA_EESA_NS7_IlSA_EESA_jjPS8_PjSF_j
    .private_segment_fixed_size: 0
    .sgpr_count:     77
    .sgpr_spill_count: 0
    .symbol:         _ZN2at6native6mbtopk10gatherTopKIN3c108BFloat16EmLi3EEEvNS_4cuda6detail10TensorInfoIKT_T0_EESA_SA_bjSA_NS7_IS8_SA_EESA_NS7_IlSA_EESA_jjPS8_PjSF_j.kd
    .uniform_work_group_size: 1
    .uses_dynamic_stack: false
    .vgpr_count:     25
    .vgpr_spill_count: 0
    .wavefront_size: 32
    .workgroup_processor_mode: 1
  - .args:
      - .offset:         0
        .size:           416
        .value_kind:     by_value
      - .offset:         416
        .size:           8
        .value_kind:     by_value
      - .offset:         424
        .size:           8
        .value_kind:     by_value
      - .offset:         432
        .size:           1
        .value_kind:     by_value
      - .offset:         440
        .size:           8
        .value_kind:     by_value
      - .offset:         448
        .size:           8
        .value_kind:     by_value
      - .offset:         456
        .size:           416
        .value_kind:     by_value
      - .offset:         872
        .size:           8
        .value_kind:     by_value
      - .offset:         880
        .size:           416
        .value_kind:     by_value
      - .offset:         1296
        .size:           8
        .value_kind:     by_value
      - .address_space:  global
        .offset:         1304
        .size:           8
        .value_kind:     global_buffer
      - .offset:         1312
        .size:           4
        .value_kind:     hidden_block_count_x
      - .offset:         1316
        .size:           4
        .value_kind:     hidden_block_count_y
      - .offset:         1320
        .size:           4
        .value_kind:     hidden_block_count_z
      - .offset:         1324
        .size:           2
        .value_kind:     hidden_group_size_x
      - .offset:         1326
        .size:           2
        .value_kind:     hidden_group_size_y
      - .offset:         1328
        .size:           2
        .value_kind:     hidden_group_size_z
      - .offset:         1330
        .size:           2
        .value_kind:     hidden_remainder_x
      - .offset:         1332
        .size:           2
        .value_kind:     hidden_remainder_y
      - .offset:         1334
        .size:           2
        .value_kind:     hidden_remainder_z
      - .offset:         1352
        .size:           8
        .value_kind:     hidden_global_offset_x
      - .offset:         1360
        .size:           8
        .value_kind:     hidden_global_offset_y
      - .offset:         1368
        .size:           8
        .value_kind:     hidden_global_offset_z
      - .offset:         1376
        .size:           2
        .value_kind:     hidden_grid_dims
    .group_segment_fixed_size: 5152
    .kernarg_segment_align: 8
    .kernarg_segment_size: 1568
    .language:       OpenCL C
    .language_version:
      - 2
      - 0
    .max_flat_workgroup_size: 1024
    .name:           _ZN2at6native6sbtopk10gatherTopKIN3c108BFloat16EmLi3ELb0EEEvNS_4cuda6detail10TensorInfoIKT_T0_EESA_SA_bSA_SA_NS7_IS8_SA_EESA_NS7_IlSA_EESA_PS8_
    .private_segment_fixed_size: 0
    .sgpr_count:     107
    .sgpr_spill_count: 2
    .symbol:         _ZN2at6native6sbtopk10gatherTopKIN3c108BFloat16EmLi3ELb0EEEvNS_4cuda6detail10TensorInfoIKT_T0_EESA_SA_bSA_SA_NS7_IS8_SA_EESA_NS7_IlSA_EESA_PS8_.kd
    .uniform_work_group_size: 1
    .uses_dynamic_stack: false
    .vgpr_count:     38
    .vgpr_spill_count: 0
    .wavefront_size: 32
    .workgroup_processor_mode: 1
  - .args:
      - .offset:         0
        .size:           416
        .value_kind:     by_value
      - .offset:         416
        .size:           4
        .value_kind:     by_value
      - .address_space:  global
        .offset:         424
        .size:           8
        .value_kind:     global_buffer
      - .offset:         432
        .size:           4
        .value_kind:     by_value
      - .offset:         440
        .size:           8
        .value_kind:     by_value
      - .offset:         448
        .size:           4
        .value_kind:     by_value
      - .offset:         452
        .size:           4
        .value_kind:     by_value
      - .offset:         456
        .size:           4
        .value_kind:     by_value
      - .offset:         460
        .size:           4
        .value_kind:     by_value
      - .address_space:  global
        .offset:         464
        .size:           8
        .value_kind:     global_buffer
      - .address_space:  global
        .offset:         472
        .size:           8
        .value_kind:     global_buffer
      - .offset:         480
        .size:           4
        .value_kind:     hidden_block_count_x
      - .offset:         484
        .size:           4
        .value_kind:     hidden_block_count_y
      - .offset:         488
        .size:           4
        .value_kind:     hidden_block_count_z
      - .offset:         492
        .size:           2
        .value_kind:     hidden_group_size_x
      - .offset:         494
        .size:           2
        .value_kind:     hidden_group_size_y
      - .offset:         496
        .size:           2
        .value_kind:     hidden_group_size_z
      - .offset:         498
        .size:           2
        .value_kind:     hidden_remainder_x
      - .offset:         500
        .size:           2
        .value_kind:     hidden_remainder_y
      - .offset:         502
        .size:           2
        .value_kind:     hidden_remainder_z
      - .offset:         520
        .size:           8
        .value_kind:     hidden_global_offset_x
      - .offset:         528
        .size:           8
        .value_kind:     hidden_global_offset_y
      - .offset:         536
        .size:           8
        .value_kind:     hidden_global_offset_z
      - .offset:         544
        .size:           2
        .value_kind:     hidden_grid_dims
    .group_segment_fixed_size: 1024
    .kernarg_segment_align: 8
    .kernarg_segment_size: 736
    .language:       OpenCL C
    .language_version:
      - 2
      - 0
    .max_flat_workgroup_size: 256
    .name:           _ZN2at6native6mbtopk23computeBlockDigitCountsIN3c108BFloat16EmjLin1EEEvNS_4cuda6detail10TensorInfoIKT_T0_EEjPjjSA_iijT1_PSD_Ps
    .private_segment_fixed_size: 0
    .sgpr_count:     34
    .sgpr_spill_count: 0
    .symbol:         _ZN2at6native6mbtopk23computeBlockDigitCountsIN3c108BFloat16EmjLin1EEEvNS_4cuda6detail10TensorInfoIKT_T0_EEjPjjSA_iijT1_PSD_Ps.kd
    .uniform_work_group_size: 1
    .uses_dynamic_stack: false
    .vgpr_count:     11
    .vgpr_spill_count: 0
    .wavefront_size: 32
    .workgroup_processor_mode: 1
  - .args:
      - .offset:         0
        .size:           416
        .value_kind:     by_value
      - .offset:         416
        .size:           8
        .value_kind:     by_value
      - .offset:         424
        .size:           8
        .value_kind:     by_value
      - .offset:         432
        .size:           1
        .value_kind:     by_value
      - .offset:         436
        .size:           4
        .value_kind:     by_value
      - .offset:         440
        .size:           8
        .value_kind:     by_value
      - .offset:         448
        .size:           416
        .value_kind:     by_value
      - .offset:         864
        .size:           8
        .value_kind:     by_value
      - .offset:         872
        .size:           416
        .value_kind:     by_value
      - .offset:         1288
        .size:           8
        .value_kind:     by_value
      - .offset:         1296
        .size:           4
        .value_kind:     by_value
      - .offset:         1300
        .size:           4
        .value_kind:     by_value
      - .address_space:  global
        .offset:         1304
        .size:           8
        .value_kind:     global_buffer
      - .address_space:  global
        .offset:         1312
        .size:           8
        .value_kind:     global_buffer
      - .address_space:  global
        .offset:         1320
        .size:           8
        .value_kind:     global_buffer
      - .offset:         1328
        .size:           4
        .value_kind:     by_value
      - .offset:         1336
        .size:           4
        .value_kind:     hidden_block_count_x
      - .offset:         1340
        .size:           4
        .value_kind:     hidden_block_count_y
      - .offset:         1344
        .size:           4
        .value_kind:     hidden_block_count_z
      - .offset:         1348
        .size:           2
        .value_kind:     hidden_group_size_x
      - .offset:         1350
        .size:           2
        .value_kind:     hidden_group_size_y
      - .offset:         1352
        .size:           2
        .value_kind:     hidden_group_size_z
      - .offset:         1354
        .size:           2
        .value_kind:     hidden_remainder_x
      - .offset:         1356
        .size:           2
        .value_kind:     hidden_remainder_y
      - .offset:         1358
        .size:           2
        .value_kind:     hidden_remainder_z
      - .offset:         1376
        .size:           8
        .value_kind:     hidden_global_offset_x
      - .offset:         1384
        .size:           8
        .value_kind:     hidden_global_offset_y
      - .offset:         1392
        .size:           8
        .value_kind:     hidden_global_offset_z
      - .offset:         1400
        .size:           2
        .value_kind:     hidden_grid_dims
    .group_segment_fixed_size: 1068
    .kernarg_segment_align: 8
    .kernarg_segment_size: 1592
    .language:       OpenCL C
    .language_version:
      - 2
      - 0
    .max_flat_workgroup_size: 256
    .name:           _ZN2at6native6mbtopk10gatherTopKIN3c108BFloat16EmLin1EEEvNS_4cuda6detail10TensorInfoIKT_T0_EESA_SA_bjSA_NS7_IS8_SA_EESA_NS7_IlSA_EESA_jjPS8_PjSF_j
    .private_segment_fixed_size: 0
    .sgpr_count:     59
    .sgpr_spill_count: 0
    .symbol:         _ZN2at6native6mbtopk10gatherTopKIN3c108BFloat16EmLin1EEEvNS_4cuda6detail10TensorInfoIKT_T0_EESA_SA_bjSA_NS7_IS8_SA_EESA_NS7_IlSA_EESA_jjPS8_PjSF_j.kd
    .uniform_work_group_size: 1
    .uses_dynamic_stack: false
    .vgpr_count:     25
    .vgpr_spill_count: 0
    .wavefront_size: 32
    .workgroup_processor_mode: 1
  - .args:
      - .offset:         0
        .size:           416
        .value_kind:     by_value
      - .offset:         416
        .size:           8
        .value_kind:     by_value
      - .offset:         424
        .size:           8
        .value_kind:     by_value
      - .offset:         432
        .size:           1
        .value_kind:     by_value
      - .offset:         440
        .size:           8
        .value_kind:     by_value
      - .offset:         448
        .size:           8
        .value_kind:     by_value
      - .offset:         456
        .size:           416
        .value_kind:     by_value
      - .offset:         872
        .size:           8
        .value_kind:     by_value
      - .offset:         880
        .size:           416
        .value_kind:     by_value
      - .offset:         1296
        .size:           8
        .value_kind:     by_value
      - .address_space:  global
        .offset:         1304
        .size:           8
        .value_kind:     global_buffer
      - .offset:         1312
        .size:           4
        .value_kind:     hidden_block_count_x
      - .offset:         1316
        .size:           4
        .value_kind:     hidden_block_count_y
      - .offset:         1320
        .size:           4
        .value_kind:     hidden_block_count_z
      - .offset:         1324
        .size:           2
        .value_kind:     hidden_group_size_x
      - .offset:         1326
        .size:           2
        .value_kind:     hidden_group_size_y
      - .offset:         1328
        .size:           2
        .value_kind:     hidden_group_size_z
      - .offset:         1330
        .size:           2
        .value_kind:     hidden_remainder_x
      - .offset:         1332
        .size:           2
        .value_kind:     hidden_remainder_y
      - .offset:         1334
        .size:           2
        .value_kind:     hidden_remainder_z
      - .offset:         1352
        .size:           8
        .value_kind:     hidden_global_offset_x
      - .offset:         1360
        .size:           8
        .value_kind:     hidden_global_offset_y
      - .offset:         1368
        .size:           8
        .value_kind:     hidden_global_offset_z
      - .offset:         1376
        .size:           2
        .value_kind:     hidden_grid_dims
    .group_segment_fixed_size: 5152
    .kernarg_segment_align: 8
    .kernarg_segment_size: 1568
    .language:       OpenCL C
    .language_version:
      - 2
      - 0
    .max_flat_workgroup_size: 1024
    .name:           _ZN2at6native6sbtopk10gatherTopKIN3c108BFloat16EmLin1ELb0EEEvNS_4cuda6detail10TensorInfoIKT_T0_EESA_SA_bSA_SA_NS7_IS8_SA_EESA_NS7_IlSA_EESA_PS8_
    .private_segment_fixed_size: 0
    .sgpr_count:     107
    .sgpr_spill_count: 10
    .symbol:         _ZN2at6native6sbtopk10gatherTopKIN3c108BFloat16EmLin1ELb0EEEvNS_4cuda6detail10TensorInfoIKT_T0_EESA_SA_bSA_SA_NS7_IS8_SA_EESA_NS7_IlSA_EESA_PS8_.kd
    .uniform_work_group_size: 1
    .uses_dynamic_stack: false
    .vgpr_count:     52
    .vgpr_spill_count: 0
    .wavefront_size: 32
    .workgroup_processor_mode: 1
amdhsa.target:   amdgcn-amd-amdhsa--gfx1100
amdhsa.version:
  - 1
  - 2
...

	.end_amdgpu_metadata
